;; amdgpu-corpus repo=pytorch/pytorch kind=compiled arch=gfx1250 opt=O3
	.amdgcn_target "amdgcn-amd-amdhsa--gfx1250"
	.amdhsa_code_object_version 6
	.section	.text._ZN2at6native6mbtopk4fillIjjEEvPT_S3_T0_,"axG",@progbits,_ZN2at6native6mbtopk4fillIjjEEvPT_S3_T0_,comdat
	.protected	_ZN2at6native6mbtopk4fillIjjEEvPT_S3_T0_ ; -- Begin function _ZN2at6native6mbtopk4fillIjjEEvPT_S3_T0_
	.globl	_ZN2at6native6mbtopk4fillIjjEEvPT_S3_T0_
	.p2align	8
	.type	_ZN2at6native6mbtopk4fillIjjEEvPT_S3_T0_,@function
_ZN2at6native6mbtopk4fillIjjEEvPT_S3_T0_: ; @_ZN2at6native6mbtopk4fillIjjEEvPT_S3_T0_
; %bb.0:
	s_clause 0x1
	s_load_b32 s4, s[0:1], 0x1c
	s_load_b64 s[2:3], s[0:1], 0x8
	s_bfe_u32 s5, ttmp6, 0x4000c
	s_and_b32 s6, ttmp6, 15
	s_add_co_i32 s5, s5, 1
	s_getreg_b32 s8, hwreg(HW_REG_IB_STS2, 6, 4)
	s_mul_i32 s5, ttmp9, s5
	s_delay_alu instid0(SALU_CYCLE_1)
	s_add_co_i32 s6, s6, s5
	s_wait_kmcnt 0x0
	s_and_b32 s7, s4, 0xffff
	s_cmp_eq_u32 s8, 0
	s_cselect_b32 s4, ttmp9, s6
	s_mov_b32 s6, 0
	v_mad_u32 v0, s4, s7, v0
	s_mov_b32 s4, exec_lo
	s_delay_alu instid0(VALU_DEP_1)
	v_cmpx_gt_u32_e64 s3, v0
	s_cbranch_execz .LBB0_3
; %bb.1:
	s_add_nc_u64 s[8:9], s[0:1], 16
	v_mov_b32_e32 v1, s2
	s_load_b32 s10, s[8:9], 0x0
	s_load_b64 s[4:5], s[0:1], 0x0
	s_wait_kmcnt 0x0
	s_mul_i32 s0, s10, s7
.LBB0_2:                                ; =>This Inner Loop Header: Depth=1
	global_store_b32 v0, v1, s[4:5] scale_offset
	s_wait_xcnt 0x0
	v_add_nc_u32_e32 v0, s0, v0
	s_delay_alu instid0(VALU_DEP_1) | instskip(SKIP_1) | instid1(SALU_CYCLE_1)
	v_cmp_le_u32_e32 vcc_lo, s3, v0
	s_or_b32 s6, vcc_lo, s6
	s_and_not1_b32 exec_lo, exec_lo, s6
	s_cbranch_execnz .LBB0_2
.LBB0_3:
	s_endpgm
	.section	.rodata,"a",@progbits
	.p2align	6, 0x0
	.amdhsa_kernel _ZN2at6native6mbtopk4fillIjjEEvPT_S3_T0_
		.amdhsa_group_segment_fixed_size 0
		.amdhsa_private_segment_fixed_size 0
		.amdhsa_kernarg_size 272
		.amdhsa_user_sgpr_count 2
		.amdhsa_user_sgpr_dispatch_ptr 0
		.amdhsa_user_sgpr_queue_ptr 0
		.amdhsa_user_sgpr_kernarg_segment_ptr 1
		.amdhsa_user_sgpr_dispatch_id 0
		.amdhsa_user_sgpr_kernarg_preload_length 0
		.amdhsa_user_sgpr_kernarg_preload_offset 0
		.amdhsa_user_sgpr_private_segment_size 0
		.amdhsa_wavefront_size32 1
		.amdhsa_uses_dynamic_stack 0
		.amdhsa_enable_private_segment 0
		.amdhsa_system_sgpr_workgroup_id_x 1
		.amdhsa_system_sgpr_workgroup_id_y 0
		.amdhsa_system_sgpr_workgroup_id_z 0
		.amdhsa_system_sgpr_workgroup_info 0
		.amdhsa_system_vgpr_workitem_id 0
		.amdhsa_next_free_vgpr 2
		.amdhsa_next_free_sgpr 11
		.amdhsa_named_barrier_count 0
		.amdhsa_reserve_vcc 1
		.amdhsa_float_round_mode_32 0
		.amdhsa_float_round_mode_16_64 0
		.amdhsa_float_denorm_mode_32 3
		.amdhsa_float_denorm_mode_16_64 3
		.amdhsa_fp16_overflow 0
		.amdhsa_memory_ordered 1
		.amdhsa_forward_progress 1
		.amdhsa_inst_pref_size 2
		.amdhsa_round_robin_scheduling 0
		.amdhsa_exception_fp_ieee_invalid_op 0
		.amdhsa_exception_fp_denorm_src 0
		.amdhsa_exception_fp_ieee_div_zero 0
		.amdhsa_exception_fp_ieee_overflow 0
		.amdhsa_exception_fp_ieee_underflow 0
		.amdhsa_exception_fp_ieee_inexact 0
		.amdhsa_exception_int_div_zero 0
	.end_amdhsa_kernel
	.section	.text._ZN2at6native6mbtopk4fillIjjEEvPT_S3_T0_,"axG",@progbits,_ZN2at6native6mbtopk4fillIjjEEvPT_S3_T0_,comdat
.Lfunc_end0:
	.size	_ZN2at6native6mbtopk4fillIjjEEvPT_S3_T0_, .Lfunc_end0-_ZN2at6native6mbtopk4fillIjjEEvPT_S3_T0_
                                        ; -- End function
	.set _ZN2at6native6mbtopk4fillIjjEEvPT_S3_T0_.num_vgpr, 2
	.set _ZN2at6native6mbtopk4fillIjjEEvPT_S3_T0_.num_agpr, 0
	.set _ZN2at6native6mbtopk4fillIjjEEvPT_S3_T0_.numbered_sgpr, 11
	.set _ZN2at6native6mbtopk4fillIjjEEvPT_S3_T0_.num_named_barrier, 0
	.set _ZN2at6native6mbtopk4fillIjjEEvPT_S3_T0_.private_seg_size, 0
	.set _ZN2at6native6mbtopk4fillIjjEEvPT_S3_T0_.uses_vcc, 1
	.set _ZN2at6native6mbtopk4fillIjjEEvPT_S3_T0_.uses_flat_scratch, 0
	.set _ZN2at6native6mbtopk4fillIjjEEvPT_S3_T0_.has_dyn_sized_stack, 0
	.set _ZN2at6native6mbtopk4fillIjjEEvPT_S3_T0_.has_recursion, 0
	.set _ZN2at6native6mbtopk4fillIjjEEvPT_S3_T0_.has_indirect_call, 0
	.section	.AMDGPU.csdata,"",@progbits
; Kernel info:
; codeLenInByte = 180
; TotalNumSgprs: 13
; NumVgprs: 2
; ScratchSize: 0
; MemoryBound: 0
; FloatMode: 240
; IeeeMode: 1
; LDSByteSize: 0 bytes/workgroup (compile time only)
; SGPRBlocks: 0
; VGPRBlocks: 0
; NumSGPRsForWavesPerEU: 13
; NumVGPRsForWavesPerEU: 2
; NamedBarCnt: 0
; Occupancy: 16
; WaveLimiterHint : 0
; COMPUTE_PGM_RSRC2:SCRATCH_EN: 0
; COMPUTE_PGM_RSRC2:USER_SGPR: 2
; COMPUTE_PGM_RSRC2:TRAP_HANDLER: 0
; COMPUTE_PGM_RSRC2:TGID_X_EN: 1
; COMPUTE_PGM_RSRC2:TGID_Y_EN: 0
; COMPUTE_PGM_RSRC2:TGID_Z_EN: 0
; COMPUTE_PGM_RSRC2:TIDIG_COMP_CNT: 0
	.section	.text._ZN2at6native6mbtopk23computeBlockDigitCountsIhjjLi1EEEvNS_4cuda6detail10TensorInfoIKT_T0_EEjPjjS8_iijT1_PSB_Ps,"axG",@progbits,_ZN2at6native6mbtopk23computeBlockDigitCountsIhjjLi1EEEvNS_4cuda6detail10TensorInfoIKT_T0_EEjPjjS8_iijT1_PSB_Ps,comdat
	.protected	_ZN2at6native6mbtopk23computeBlockDigitCountsIhjjLi1EEEvNS_4cuda6detail10TensorInfoIKT_T0_EEjPjjS8_iijT1_PSB_Ps ; -- Begin function _ZN2at6native6mbtopk23computeBlockDigitCountsIhjjLi1EEEvNS_4cuda6detail10TensorInfoIKT_T0_EEjPjjS8_iijT1_PSB_Ps
	.globl	_ZN2at6native6mbtopk23computeBlockDigitCountsIhjjLi1EEEvNS_4cuda6detail10TensorInfoIKT_T0_EEjPjjS8_iijT1_PSB_Ps
	.p2align	8
	.type	_ZN2at6native6mbtopk23computeBlockDigitCountsIhjjLi1EEEvNS_4cuda6detail10TensorInfoIKT_T0_EEjPjjS8_iijT1_PSB_Ps,@function
_ZN2at6native6mbtopk23computeBlockDigitCountsIhjjLi1EEEvNS_4cuda6detail10TensorInfoIKT_T0_EEjPjjS8_iijT1_PSB_Ps: ; @_ZN2at6native6mbtopk23computeBlockDigitCountsIhjjLi1EEEvNS_4cuda6detail10TensorInfoIKT_T0_EEjPjjS8_iijT1_PSB_Ps
; %bb.0:
	s_load_b64 s[2:3], s[0:1], 0xf8
	s_bfe_u32 s4, ttmp6, 0x40010
	s_and_b32 s6, ttmp7, 0xffff
	s_add_co_i32 s7, s4, 1
	s_bfe_u32 s8, ttmp6, 0x40004
	s_mul_i32 s7, s6, s7
	s_load_b64 s[4:5], s[0:1], 0x110
	s_add_co_i32 s7, s8, s7
	s_bfe_u32 s9, ttmp6, 0x4000c
	s_bfe_u32 s11, ttmp6, 0x40014
	s_add_co_i32 s9, s9, 1
	s_and_b32 s10, ttmp6, 15
	s_mul_i32 s9, ttmp9, s9
	s_add_co_i32 s11, s11, 1
	s_add_co_i32 s12, s10, s9
	s_bfe_u32 s10, ttmp6, 0x40008
	s_wait_kmcnt 0x0
	s_cvt_f32_u32 s8, s2
	s_delay_alu instid0(SALU_CYCLE_3) | instskip(SKIP_1) | instid1(SALU_CYCLE_1)
	v_rcp_iflag_f32_e32 v1, s8
	s_lshr_b32 s8, ttmp7, 16
	s_mul_i32 s9, s8, s11
	s_getreg_b32 s11, hwreg(HW_REG_IB_STS2, 6, 4)
	s_add_co_i32 s10, s10, s9
	s_cmp_eq_u32 s11, 0
	v_nop
	v_readfirstlane_b32 s13, v1
	s_cselect_b32 s14, s8, s10
	s_load_b128 s[8:11], s[0:1], 0xe8
	s_mul_i32 s5, s5, s14
	s_cselect_b32 s12, ttmp9, s12
	s_mul_f32 s13, s13, 0x4f7ffffe
	s_cselect_b32 s6, s6, s7
	s_sub_co_i32 s7, 0, s2
	s_add_co_i32 s5, s5, s6
	s_cvt_u32_f32 s13, s13
	s_mul_i32 s14, s5, s4
	s_delay_alu instid0(SALU_CYCLE_1) | instskip(NEXT) | instid1(SALU_CYCLE_1)
	s_add_co_i32 s14, s14, s12
	s_mul_i32 s7, s7, s13
	s_delay_alu instid0(SALU_CYCLE_1) | instskip(NEXT) | instid1(SALU_CYCLE_1)
	s_mul_hi_u32 s4, s13, s7
	s_add_co_i32 s13, s13, s4
	s_delay_alu instid0(SALU_CYCLE_1) | instskip(NEXT) | instid1(SALU_CYCLE_1)
	s_mul_hi_u32 s4, s14, s13
	s_mul_i32 s5, s4, s2
	s_add_co_i32 s6, s4, 1
	s_sub_co_i32 s5, s14, s5
	s_delay_alu instid0(SALU_CYCLE_1)
	s_sub_co_i32 s7, s5, s2
	s_cmp_ge_u32 s5, s2
	s_cselect_b32 s4, s6, s4
	s_cselect_b32 s5, s7, s5
	s_add_co_i32 s6, s4, 1
	s_cmp_ge_u32 s5, s2
	s_cselect_b32 s16, s6, s4
	s_wait_kmcnt 0x0
	s_cmp_ge_u32 s16, s8
	s_cbranch_scc1 .LBB1_27
; %bb.1:
	v_cmp_gt_u32_e32 vcc_lo, 0x100, v0
	v_lshlrev_b32_e32 v1, 2, v0
	s_and_saveexec_b32 s4, vcc_lo
; %bb.2:
	v_mov_b32_e32 v2, 0
	ds_store_b32 v1, v2
; %bb.3:
	s_or_b32 exec_lo, exec_lo, s4
	s_clause 0x1
	s_load_b32 s8, s[0:1], 0xd8
	s_load_b128 s[4:7], s[0:1], 0x100
	s_mul_i32 s12, s16, s2
	s_mov_b32 s13, 0
	s_sub_co_i32 s17, s14, s12
	s_wait_dscnt 0x0
	s_mul_i32 s12, s11, s17
	s_add_co_i32 s17, s17, 1
	s_lshl_b32 s15, s12, 8
	s_barrier_signal -1
	s_barrier_wait -1
	s_wait_kmcnt 0x0
	s_sub_co_i32 s12, s8, s15
	s_delay_alu instid0(SALU_CYCLE_1) | instskip(NEXT) | instid1(SALU_CYCLE_1)
	s_add_nc_u64 s[18:19], s[12:13], 0xff
	s_lshr_b64 s[18:19], s[18:19], 8
	s_cmp_lt_u32 s17, s2
	s_cselect_b32 s11, s11, s18
	s_delay_alu instid0(SALU_CYCLE_1)
	s_cmp_lt_i32 s11, 1
	s_cbranch_scc1 .LBB1_25
; %bb.4:
	s_clause 0x1
	s_load_b32 s12, s[0:1], 0x6c
	s_load_b64 s[18:19], s[0:1], 0x0
	s_load_b32 s2, s[4:5], s16 offset:0x0 scale_offset
	s_wait_xcnt 0x0
	s_and_b32 s1, s10, 0xff
	s_cmp_lt_u32 s11, 4
	s_wait_kmcnt 0x0
	s_mul_i32 s12, s12, s16
	s_delay_alu instid0(SALU_CYCLE_1)
	s_add_nc_u64 s[4:5], s[18:19], s[12:13]
	s_cbranch_scc1 .LBB1_19
; %bb.5:
	v_dual_mov_b32 v7, 1 :: v_dual_add_nc_u32 v6, s15, v0
	s_and_b32 s13, s11, 0x7ffffffc
	s_lshl_b32 s10, s9, 10
	s_mov_b32 s12, 0
	s_delay_alu instid0(VALU_DEP_1)
	v_add_nc_u32_e32 v2, 0x300, v6
	v_add_nc_u32_e32 v4, 0x200, v6
	;; [unrolled: 1-line block ×3, first 2 shown]
	v_mul_lo_u32 v6, s9, v6
	s_mov_b32 s16, 0
	v_mul_lo_u32 v3, s9, v2
	v_mul_lo_u32 v4, s9, v4
	;; [unrolled: 1-line block ×3, first 2 shown]
	s_branch .LBB1_7
.LBB1_6:                                ;   in Loop: Header=BB1_7 Depth=1
	s_or_b32 exec_lo, exec_lo, s17
	v_add_nc_u32_e32 v2, 0x400, v2
	s_add_co_i32 s16, s16, 4
	s_add_co_i32 s12, s12, s10
	s_cmp_eq_u32 s13, s16
	s_cbranch_scc1 .LBB1_19
.LBB1_7:                                ; =>This Inner Loop Header: Depth=1
	v_add_nc_u32_e32 v8, 0xfffffd00, v2
	s_mov_b32 s17, exec_lo
	s_delay_alu instid0(VALU_DEP_1)
	v_cmpx_gt_u32_e64 s8, v8
	s_cbranch_execz .LBB1_10
; %bb.8:                                ;   in Loop: Header=BB1_7 Depth=1
	v_add_nc_u32_e32 v8, s12, v6
	global_load_u8 v8, v8, s[4:5]
	s_wait_loadcnt 0x0
	v_bitop3_b32 v9, s2, s3, v8 bitop3:0x48
	s_delay_alu instid0(VALU_DEP_1)
	v_cmp_eq_u32_e64 s0, 0, v9
	s_wait_xcnt 0x0
	s_and_b32 exec_lo, exec_lo, s0
; %bb.9:                                ;   in Loop: Header=BB1_7 Depth=1
	v_lshrrev_b32_e32 v8, s1, v8
	s_delay_alu instid0(VALU_DEP_1)
	v_lshlrev_b32_e32 v8, 2, v8
	ds_add_u32 v8, v7
.LBB1_10:                               ;   in Loop: Header=BB1_7 Depth=1
	s_or_b32 exec_lo, exec_lo, s17
	v_add_nc_u32_e32 v8, 0xfffffe00, v2
	s_mov_b32 s17, exec_lo
	s_delay_alu instid0(VALU_DEP_1)
	v_cmpx_gt_u32_e64 s8, v8
	s_cbranch_execz .LBB1_13
; %bb.11:                               ;   in Loop: Header=BB1_7 Depth=1
	v_add_nc_u32_e32 v8, s12, v5
	global_load_u8 v8, v8, s[4:5]
	s_wait_loadcnt 0x0
	v_bitop3_b32 v9, s2, s3, v8 bitop3:0x48
	s_delay_alu instid0(VALU_DEP_1)
	v_cmp_eq_u32_e64 s0, 0, v9
	s_and_b32 exec_lo, exec_lo, s0
; %bb.12:                               ;   in Loop: Header=BB1_7 Depth=1
	v_lshrrev_b32_e32 v8, s1, v8
	s_delay_alu instid0(VALU_DEP_1)
	v_lshlrev_b32_e32 v8, 2, v8
	ds_add_u32 v8, v7
.LBB1_13:                               ;   in Loop: Header=BB1_7 Depth=1
	s_or_b32 exec_lo, exec_lo, s17
	v_add_nc_u32_e32 v8, 0xffffff00, v2
	s_mov_b32 s17, exec_lo
	s_delay_alu instid0(VALU_DEP_1)
	v_cmpx_gt_u32_e64 s8, v8
	s_cbranch_execz .LBB1_16
; %bb.14:                               ;   in Loop: Header=BB1_7 Depth=1
	v_add_nc_u32_e32 v8, s12, v4
	global_load_u8 v8, v8, s[4:5]
	s_wait_loadcnt 0x0
	v_bitop3_b32 v9, s2, s3, v8 bitop3:0x48
	s_delay_alu instid0(VALU_DEP_1)
	v_cmp_eq_u32_e64 s0, 0, v9
	s_and_b32 exec_lo, exec_lo, s0
; %bb.15:                               ;   in Loop: Header=BB1_7 Depth=1
	v_lshrrev_b32_e32 v8, s1, v8
	s_delay_alu instid0(VALU_DEP_1)
	v_lshlrev_b32_e32 v8, 2, v8
	ds_add_u32 v8, v7
.LBB1_16:                               ;   in Loop: Header=BB1_7 Depth=1
	s_or_b32 exec_lo, exec_lo, s17
	s_delay_alu instid0(SALU_CYCLE_1)
	s_mov_b32 s17, exec_lo
	v_cmpx_gt_u32_e64 s8, v2
	s_cbranch_execz .LBB1_6
; %bb.17:                               ;   in Loop: Header=BB1_7 Depth=1
	v_add_nc_u32_e32 v8, s12, v3
	global_load_u8 v8, v8, s[4:5]
	s_wait_loadcnt 0x0
	v_bitop3_b32 v9, s2, s3, v8 bitop3:0x48
	s_delay_alu instid0(VALU_DEP_1)
	v_cmp_eq_u32_e64 s0, 0, v9
	s_and_b32 exec_lo, exec_lo, s0
	s_cbranch_execz .LBB1_6
; %bb.18:                               ;   in Loop: Header=BB1_7 Depth=1
	v_lshrrev_b32_e32 v8, s1, v8
	s_delay_alu instid0(VALU_DEP_1)
	v_lshlrev_b32_e32 v8, 2, v8
	ds_add_u32 v8, v7
	s_branch .LBB1_6
.LBB1_19:
	s_and_b32 s10, s11, 3
	s_delay_alu instid0(SALU_CYCLE_1)
	s_cmp_eq_u32 s10, 0
	s_cbranch_scc1 .LBB1_25
; %bb.20:
	s_lshl_b32 s0, s13, 8
	v_mov_b32_e32 v4, 1
	v_add3_u32 v2, s0, s15, v0
	s_delay_alu instid0(VALU_DEP_1)
	v_mul_lo_u32 v3, s9, v2
	s_lshl_b32 s9, s9, 8
	s_branch .LBB1_22
.LBB1_21:                               ;   in Loop: Header=BB1_22 Depth=1
	s_or_b32 exec_lo, exec_lo, s11
	s_delay_alu instid0(VALU_DEP_2) | instskip(SKIP_2) | instid1(SALU_CYCLE_1)
	v_add_nc_u32_e32 v3, s9, v3
	v_add_nc_u32_e32 v2, 0x100, v2
	s_add_co_i32 s10, s10, -1
	s_cmp_lg_u32 s10, 0
	s_cbranch_scc0 .LBB1_25
.LBB1_22:                               ; =>This Inner Loop Header: Depth=1
	s_mov_b32 s11, exec_lo
	v_cmpx_gt_u32_e64 s8, v2
	s_cbranch_execz .LBB1_21
; %bb.23:                               ;   in Loop: Header=BB1_22 Depth=1
	global_load_u8 v5, v3, s[4:5]
	s_wait_loadcnt 0x0
	v_bitop3_b32 v6, s2, s3, v5 bitop3:0x48
	s_delay_alu instid0(VALU_DEP_1)
	v_cmp_eq_u32_e64 s0, 0, v6
	s_and_b32 exec_lo, exec_lo, s0
	s_cbranch_execz .LBB1_21
; %bb.24:                               ;   in Loop: Header=BB1_22 Depth=1
	v_lshrrev_b32_e32 v5, s1, v5
	s_delay_alu instid0(VALU_DEP_1)
	v_lshlrev_b32_e32 v5, 2, v5
	ds_add_u32 v5, v4
	s_branch .LBB1_21
.LBB1_25:
	s_wait_dscnt 0x0
	s_barrier_signal -1
	s_barrier_wait -1
	s_and_saveexec_b32 s0, vcc_lo
	s_cbranch_execz .LBB1_27
; %bb.26:
	ds_load_b32 v1, v1
	v_lshl_or_b32 v0, s14, 8, v0
	s_wait_dscnt 0x0
	global_store_b16 v0, v1, s[6:7] scale_offset
.LBB1_27:
	s_endpgm
	.section	.rodata,"a",@progbits
	.p2align	6, 0x0
	.amdhsa_kernel _ZN2at6native6mbtopk23computeBlockDigitCountsIhjjLi1EEEvNS_4cuda6detail10TensorInfoIKT_T0_EEjPjjS8_iijT1_PSB_Ps
		.amdhsa_group_segment_fixed_size 1024
		.amdhsa_private_segment_fixed_size 0
		.amdhsa_kernarg_size 528
		.amdhsa_user_sgpr_count 2
		.amdhsa_user_sgpr_dispatch_ptr 0
		.amdhsa_user_sgpr_queue_ptr 0
		.amdhsa_user_sgpr_kernarg_segment_ptr 1
		.amdhsa_user_sgpr_dispatch_id 0
		.amdhsa_user_sgpr_kernarg_preload_length 0
		.amdhsa_user_sgpr_kernarg_preload_offset 0
		.amdhsa_user_sgpr_private_segment_size 0
		.amdhsa_wavefront_size32 1
		.amdhsa_uses_dynamic_stack 0
		.amdhsa_enable_private_segment 0
		.amdhsa_system_sgpr_workgroup_id_x 1
		.amdhsa_system_sgpr_workgroup_id_y 1
		.amdhsa_system_sgpr_workgroup_id_z 1
		.amdhsa_system_sgpr_workgroup_info 0
		.amdhsa_system_vgpr_workitem_id 0
		.amdhsa_next_free_vgpr 10
		.amdhsa_next_free_sgpr 20
		.amdhsa_named_barrier_count 0
		.amdhsa_reserve_vcc 1
		.amdhsa_float_round_mode_32 0
		.amdhsa_float_round_mode_16_64 0
		.amdhsa_float_denorm_mode_32 3
		.amdhsa_float_denorm_mode_16_64 3
		.amdhsa_fp16_overflow 0
		.amdhsa_memory_ordered 1
		.amdhsa_forward_progress 1
		.amdhsa_inst_pref_size 10
		.amdhsa_round_robin_scheduling 0
		.amdhsa_exception_fp_ieee_invalid_op 0
		.amdhsa_exception_fp_denorm_src 0
		.amdhsa_exception_fp_ieee_div_zero 0
		.amdhsa_exception_fp_ieee_overflow 0
		.amdhsa_exception_fp_ieee_underflow 0
		.amdhsa_exception_fp_ieee_inexact 0
		.amdhsa_exception_int_div_zero 0
	.end_amdhsa_kernel
	.section	.text._ZN2at6native6mbtopk23computeBlockDigitCountsIhjjLi1EEEvNS_4cuda6detail10TensorInfoIKT_T0_EEjPjjS8_iijT1_PSB_Ps,"axG",@progbits,_ZN2at6native6mbtopk23computeBlockDigitCountsIhjjLi1EEEvNS_4cuda6detail10TensorInfoIKT_T0_EEjPjjS8_iijT1_PSB_Ps,comdat
.Lfunc_end1:
	.size	_ZN2at6native6mbtopk23computeBlockDigitCountsIhjjLi1EEEvNS_4cuda6detail10TensorInfoIKT_T0_EEjPjjS8_iijT1_PSB_Ps, .Lfunc_end1-_ZN2at6native6mbtopk23computeBlockDigitCountsIhjjLi1EEEvNS_4cuda6detail10TensorInfoIKT_T0_EEjPjjS8_iijT1_PSB_Ps
                                        ; -- End function
	.set _ZN2at6native6mbtopk23computeBlockDigitCountsIhjjLi1EEEvNS_4cuda6detail10TensorInfoIKT_T0_EEjPjjS8_iijT1_PSB_Ps.num_vgpr, 10
	.set _ZN2at6native6mbtopk23computeBlockDigitCountsIhjjLi1EEEvNS_4cuda6detail10TensorInfoIKT_T0_EEjPjjS8_iijT1_PSB_Ps.num_agpr, 0
	.set _ZN2at6native6mbtopk23computeBlockDigitCountsIhjjLi1EEEvNS_4cuda6detail10TensorInfoIKT_T0_EEjPjjS8_iijT1_PSB_Ps.numbered_sgpr, 20
	.set _ZN2at6native6mbtopk23computeBlockDigitCountsIhjjLi1EEEvNS_4cuda6detail10TensorInfoIKT_T0_EEjPjjS8_iijT1_PSB_Ps.num_named_barrier, 0
	.set _ZN2at6native6mbtopk23computeBlockDigitCountsIhjjLi1EEEvNS_4cuda6detail10TensorInfoIKT_T0_EEjPjjS8_iijT1_PSB_Ps.private_seg_size, 0
	.set _ZN2at6native6mbtopk23computeBlockDigitCountsIhjjLi1EEEvNS_4cuda6detail10TensorInfoIKT_T0_EEjPjjS8_iijT1_PSB_Ps.uses_vcc, 1
	.set _ZN2at6native6mbtopk23computeBlockDigitCountsIhjjLi1EEEvNS_4cuda6detail10TensorInfoIKT_T0_EEjPjjS8_iijT1_PSB_Ps.uses_flat_scratch, 0
	.set _ZN2at6native6mbtopk23computeBlockDigitCountsIhjjLi1EEEvNS_4cuda6detail10TensorInfoIKT_T0_EEjPjjS8_iijT1_PSB_Ps.has_dyn_sized_stack, 0
	.set _ZN2at6native6mbtopk23computeBlockDigitCountsIhjjLi1EEEvNS_4cuda6detail10TensorInfoIKT_T0_EEjPjjS8_iijT1_PSB_Ps.has_recursion, 0
	.set _ZN2at6native6mbtopk23computeBlockDigitCountsIhjjLi1EEEvNS_4cuda6detail10TensorInfoIKT_T0_EEjPjjS8_iijT1_PSB_Ps.has_indirect_call, 0
	.section	.AMDGPU.csdata,"",@progbits
; Kernel info:
; codeLenInByte = 1200
; TotalNumSgprs: 22
; NumVgprs: 10
; ScratchSize: 0
; MemoryBound: 0
; FloatMode: 240
; IeeeMode: 1
; LDSByteSize: 1024 bytes/workgroup (compile time only)
; SGPRBlocks: 0
; VGPRBlocks: 0
; NumSGPRsForWavesPerEU: 22
; NumVGPRsForWavesPerEU: 10
; NamedBarCnt: 0
; Occupancy: 16
; WaveLimiterHint : 1
; COMPUTE_PGM_RSRC2:SCRATCH_EN: 0
; COMPUTE_PGM_RSRC2:USER_SGPR: 2
; COMPUTE_PGM_RSRC2:TRAP_HANDLER: 0
; COMPUTE_PGM_RSRC2:TGID_X_EN: 1
; COMPUTE_PGM_RSRC2:TGID_Y_EN: 1
; COMPUTE_PGM_RSRC2:TGID_Z_EN: 1
; COMPUTE_PGM_RSRC2:TIDIG_COMP_CNT: 0
	.section	.text._ZN2at6native6mbtopk29computeBlockwiseWithinKCountsIjhEEvPT_PsPjjibS6_PT0_S6_S4_S6_j,"axG",@progbits,_ZN2at6native6mbtopk29computeBlockwiseWithinKCountsIjhEEvPT_PsPjjibS6_PT0_S6_S4_S6_j,comdat
	.protected	_ZN2at6native6mbtopk29computeBlockwiseWithinKCountsIjhEEvPT_PsPjjibS6_PT0_S6_S4_S6_j ; -- Begin function _ZN2at6native6mbtopk29computeBlockwiseWithinKCountsIjhEEvPT_PsPjjibS6_PT0_S6_S4_S6_j
	.globl	_ZN2at6native6mbtopk29computeBlockwiseWithinKCountsIjhEEvPT_PsPjjibS6_PT0_S6_S4_S6_j
	.p2align	8
	.type	_ZN2at6native6mbtopk29computeBlockwiseWithinKCountsIjhEEvPT_PsPjjibS6_PT0_S6_S4_S6_j,@function
_ZN2at6native6mbtopk29computeBlockwiseWithinKCountsIjhEEvPT_PsPjjibS6_PT0_S6_S4_S6_j: ; @_ZN2at6native6mbtopk29computeBlockwiseWithinKCountsIjhEEvPT_PsPjjibS6_PT0_S6_S4_S6_j
; %bb.0:
	s_bfe_u32 s2, ttmp6, 0x40010
	s_and_b32 s4, ttmp7, 0xffff
	s_add_co_i32 s5, s2, 1
	s_clause 0x2
	s_load_b96 s[16:18], s[0:1], 0x18
	s_load_b32 s6, s[0:1], 0x50
	s_load_b64 s[2:3], s[0:1], 0x58
	s_bfe_u32 s8, ttmp6, 0x4000c
	s_mul_i32 s5, s4, s5
	s_bfe_u32 s7, ttmp6, 0x40004
	s_add_co_i32 s8, s8, 1
	s_bfe_u32 s9, ttmp6, 0x40014
	s_add_co_i32 s7, s7, s5
	s_and_b32 s5, ttmp6, 15
	s_mul_i32 s8, ttmp9, s8
	s_lshr_b32 s10, ttmp7, 16
	s_add_co_i32 s9, s9, 1
	s_add_co_i32 s5, s5, s8
	s_mul_i32 s8, s10, s9
	s_bfe_u32 s9, ttmp6, 0x40008
	s_getreg_b32 s11, hwreg(HW_REG_IB_STS2, 6, 4)
	s_add_co_i32 s9, s9, s8
	s_cmp_eq_u32 s11, 0
	s_mov_b32 s21, 0
	s_cselect_b32 s8, s10, s9
	s_wait_kmcnt 0x0
	s_cvt_f32_u32 s9, s16
	s_mul_i32 s3, s3, s8
	s_cselect_b32 s4, s4, s7
	s_cselect_b32 s5, ttmp9, s5
	v_rcp_iflag_f32_e32 v1, s9
	s_add_co_i32 s3, s3, s4
	s_delay_alu instid0(SALU_CYCLE_1) | instskip(NEXT) | instid1(SALU_CYCLE_1)
	s_mul_i32 s2, s3, s2
	s_add_co_i32 s20, s2, s5
	v_nop
	s_delay_alu instid0(TRANS32_DEP_1)
	v_readfirstlane_b32 s2, v1
	s_cmp_ge_u32 s20, s6
	s_cbranch_scc1 .LBB2_49
; %bb.1:
	s_mul_f32 s2, s2, 0x4f7ffffe
	s_delay_alu instid0(SALU_CYCLE_3) | instskip(SKIP_1) | instid1(SALU_CYCLE_2)
	s_cvt_u32_f32 s4, s2
	s_sub_co_i32 s2, 0, s16
	s_mul_i32 s2, s2, s4
	s_delay_alu instid0(SALU_CYCLE_1) | instskip(SKIP_3) | instid1(SALU_CYCLE_1)
	s_mul_hi_u32 s5, s4, s2
	s_load_b64 s[2:3], s[0:1], 0x10
	s_add_co_i32 s4, s4, s5
	s_mov_b32 s5, s21
	s_mul_u64 s[4:5], s[20:21], s[4:5]
	s_delay_alu instid0(SALU_CYCLE_1) | instskip(SKIP_2) | instid1(SALU_CYCLE_1)
	s_mul_i32 s4, s5, s16
	s_add_co_i32 s6, s5, 1
	s_sub_co_i32 s4, s20, s4
	s_sub_co_i32 s7, s4, s16
	s_cmp_ge_u32 s4, s16
	s_cselect_b32 s5, s6, s5
	s_cselect_b32 s4, s7, s4
	s_add_co_i32 s6, s5, 1
	s_cmp_ge_u32 s4, s16
	s_cselect_b32 s22, s6, s5
	s_load_b128 s[12:15], s[0:1], 0x0
	s_wait_kmcnt 0x0
	s_load_b32 s19, s[2:3], s22 offset:0x0 scale_offset
	s_wait_xcnt 0x0
	v_cmp_gt_u32_e64 s2, 0x100, v0
	s_and_saveexec_b32 s3, s2
	s_cbranch_execz .LBB2_17
; %bb.2:
	s_mul_i32 s4, s22, s16
	s_mov_b32 s5, 0
	s_lshl_b32 s4, s4, 8
	v_dual_mov_b32 v3, 0 :: v_dual_lshlrev_b32 v2, 1, v0
	s_lshl_b64 s[6:7], s[4:5], 1
	s_cmp_lt_u32 s16, 4
	s_add_nc_u64 s[6:7], s[14:15], s[6:7]
	s_delay_alu instid0(VALU_DEP_1) | instid1(SALU_CYCLE_1)
	v_add_nc_u64_e32 v[4:5], s[6:7], v[2:3]
	s_cbranch_scc1 .LBB2_10
; %bb.3:
	v_readfirstlane_b32 s5, v0
	v_mov_b32_e32 v3, 0
	s_add_co_i32 s4, s16, -4
	s_delay_alu instid0(SALU_CYCLE_1)
	s_cmp_lt_u32 s4, 4
	s_cbranch_scc1 .LBB2_7
; %bb.4:
	s_delay_alu instid0(VALU_DEP_1)
	v_add_nc_u64_e32 v[6:7], s[6:7], v[2:3]
	s_lshr_b32 s4, s4, 2
	s_mov_b32 s7, 0
	s_add_co_i32 s6, s4, 1
	v_mov_b32_e32 v1, v3
	s_and_b64 s[8:9], s[6:7], 0x7ffffffe
	s_delay_alu instid0(SALU_CYCLE_1)
	s_mov_b64 s[4:5], s[8:9]
	v_add_nc_u64_e32 v[6:7], 0x800, v[6:7]
.LBB2_5:                                ; =>This Inner Loop Header: Depth=1
	s_clause 0x7
	global_load_i16 v2, v[6:7], off offset:-2048
	global_load_i16 v8, v[6:7], off
	global_load_i16 v9, v[6:7], off offset:512
	global_load_i16 v10, v[6:7], off offset:-1536
	global_load_i16 v11, v[6:7], off offset:-1024
	global_load_i16 v12, v[6:7], off offset:1024
	global_load_i16 v13, v[6:7], off offset:1536
	global_load_i16 v14, v[6:7], off offset:-512
	s_wait_xcnt 0x0
	v_add_nc_u64_e32 v[6:7], 0x1000, v[6:7]
	s_add_nc_u64 s[4:5], s[4:5], -2
	s_delay_alu instid0(SALU_CYCLE_1)
	s_cmp_lg_u64 s[4:5], 0
	s_wait_loadcnt 0x5
	v_add3_u32 v1, v1, v8, v9
	s_wait_loadcnt 0x4
	v_add3_u32 v2, v3, v2, v10
	s_wait_loadcnt 0x1
	s_delay_alu instid0(VALU_DEP_2) | instskip(SKIP_1) | instid1(VALU_DEP_2)
	v_add3_u32 v1, v1, v12, v13
	s_wait_loadcnt 0x0
	v_add3_u32 v3, v2, v11, v14
	s_cbranch_scc1 .LBB2_5
; %bb.6:
	s_lshl_b64 s[4:5], s[8:9], 11
	s_delay_alu instid0(VALU_DEP_1)
	v_add_nc_u32_e32 v3, v3, v1
	v_add_nc_u64_e32 v[4:5], s[4:5], v[4:5]
	s_lshl_b32 s5, s8, 2
	s_cmp_lg_u64 s[8:9], s[6:7]
	s_mov_b32 s4, s5
	s_cselect_b32 s6, -1, 0
	s_delay_alu instid0(SALU_CYCLE_1)
	s_and_b32 vcc_lo, exec_lo, s6
	s_cbranch_vccnz .LBB2_8
	s_branch .LBB2_10
.LBB2_7:
	s_mov_b32 s4, 0
	s_cbranch_execz .LBB2_10
.LBB2_8:                                ; =>This Inner Loop Header: Depth=1
	s_clause 0x3
	global_load_i16 v1, v[4:5], off
	global_load_i16 v2, v[4:5], off offset:512
	global_load_i16 v6, v[4:5], off offset:1024
	;; [unrolled: 1-line block ×3, first 2 shown]
	s_wait_xcnt 0x0
	v_add_nc_u64_e32 v[4:5], 0x800, v[4:5]
	s_add_co_i32 s5, s4, 7
	s_add_co_i32 s4, s4, 4
	s_cmp_ge_u32 s5, s16
	s_wait_loadcnt 0x2
	v_add3_u32 v1, v3, v1, v2
	s_wait_loadcnt 0x0
	s_delay_alu instid0(VALU_DEP_1)
	v_add3_u32 v3, v1, v6, v7
	s_cbranch_scc0 .LBB2_8
; %bb.9:
	s_mov_b32 s5, s4
.LBB2_10:
	s_delay_alu instid0(SALU_CYCLE_1)
	s_cmp_ge_u32 s5, s16
	s_cbranch_scc1 .LBB2_16
; %bb.11:
	s_not_b32 s4, s5
	s_mov_b32 s7, 0
	s_add_co_i32 s6, s16, s4
	s_delay_alu instid0(SALU_CYCLE_1)
	s_cmp_eq_u32 s6, 0
	s_cbranch_scc1 .LBB2_50
; %bb.12:
	v_add_nc_u64_e32 v[6:7], 0x200, v[4:5]
	s_add_nc_u64 s[6:7], s[6:7], 1
	v_mov_b32_e32 v1, 0
	s_and_b64 s[8:9], s[6:7], 0x1fffffffe
	s_delay_alu instid0(SALU_CYCLE_1)
	s_mov_b64 s[10:11], s[8:9]
.LBB2_13:                               ; =>This Inner Loop Header: Depth=1
	s_clause 0x1
	global_load_i16 v2, v[6:7], off
	global_load_i16 v8, v[6:7], off offset:-512
	s_wait_xcnt 0x0
	v_add_nc_u64_e32 v[6:7], 0x400, v[6:7]
	s_add_nc_u64 s[10:11], s[10:11], -2
	s_delay_alu instid0(SALU_CYCLE_1)
	s_cmp_lg_u64 s[10:11], 0
	s_wait_loadcnt 0x0
	v_dual_add_nc_u32 v1, v1, v2 :: v_dual_add_nc_u32 v3, v3, v8
	s_cbranch_scc1 .LBB2_13
; %bb.14:
	s_lshl_b64 s[10:11], s[8:9], 9
	s_add_co_i32 s5, s5, s8
	v_add_nc_u64_e32 v[4:5], s[10:11], v[4:5]
	v_add_nc_u32_e32 v3, v3, v1
	s_cmp_lg_u64 s[6:7], s[8:9]
	s_cselect_b32 s4, -1, 0
	s_delay_alu instid0(SALU_CYCLE_1)
	s_and_b32 vcc_lo, exec_lo, s4
	s_cbranch_vccz .LBB2_16
.LBB2_15:                               ; =>This Inner Loop Header: Depth=1
	global_load_i16 v1, v[4:5], off
	s_wait_xcnt 0x0
	v_add_nc_u64_e32 v[4:5], 0x200, v[4:5]
	s_add_co_i32 s5, s5, 1
	s_delay_alu instid0(SALU_CYCLE_1)
	s_cmp_lt_u32 s5, s16
	s_wait_loadcnt 0x0
	v_add_nc_u32_e32 v3, v3, v1
	s_cbranch_scc1 .LBB2_15
.LBB2_16:
	v_lshlrev_b32_e32 v1, 2, v0
	ds_store_b32 v1, v3 offset:1056
.LBB2_17:
	s_or_b32 exec_lo, exec_lo, s3
	v_dual_mov_b32 v5, 0 :: v_dual_lshlrev_b32 v1, 2, v0
	s_mov_b32 s23, s21
	s_wait_dscnt 0x0
	s_barrier_signal -1
	s_barrier_wait -1
	s_and_saveexec_b32 s3, s2
; %bb.18:
	ds_load_b32 v5, v1 offset:1056
; %bb.19:
	s_or_b32 exec_lo, exec_lo, s3
	v_lshrrev_b32_e32 v3, 5, v0
	v_cmp_gt_u32_e64 s3, 32, v0
	v_mbcnt_lo_u32_b32 v2, -1, 0
	s_delay_alu instid0(VALU_DEP_3)
	v_lshl_add_u32 v4, v3, 2, v1
	s_wait_dscnt 0x0
	ds_store_b32 v4, v5
	s_wait_dscnt 0x0
	s_barrier_signal -1
	s_barrier_wait -1
	s_and_saveexec_b32 s4, s3
	s_cbranch_execz .LBB2_21
; %bb.20:
	v_and_b32_e32 v6, 0xfc, v0
	s_delay_alu instid0(VALU_DEP_1)
	v_lshl_add_u32 v14, v0, 5, v6
	ds_load_2addr_b32 v[6:7], v14 offset1:1
	ds_load_2addr_b32 v[8:9], v14 offset0:2 offset1:3
	ds_load_2addr_b32 v[10:11], v14 offset0:4 offset1:5
	ds_load_2addr_b32 v[12:13], v14 offset0:6 offset1:7
	; wave barrier
	s_wait_dscnt 0x3
	v_add_nc_u32_e32 v7, v7, v6
	s_wait_dscnt 0x2
	s_delay_alu instid0(VALU_DEP_1) | instskip(SKIP_1) | instid1(VALU_DEP_1)
	v_add3_u32 v7, v7, v8, v9
	s_wait_dscnt 0x1
	v_add3_u32 v7, v7, v10, v11
	v_bfe_i32 v10, v2, 4, 1
	s_wait_dscnt 0x0
	s_delay_alu instid0(VALU_DEP_2) | instskip(SKIP_1) | instid1(VALU_DEP_2)
	v_add3_u32 v7, v7, v12, v13
	v_and_b32_e32 v8, 15, v2
	v_mov_b32_dpp v9, v7 row_shr:1 row_mask:0xf bank_mask:0xf
	s_delay_alu instid0(VALU_DEP_2) | instskip(NEXT) | instid1(VALU_DEP_2)
	v_cmp_ne_u32_e32 vcc_lo, 0, v8
	v_cndmask_b32_e32 v9, 0, v9, vcc_lo
	s_delay_alu instid0(VALU_DEP_1) | instskip(SKIP_1) | instid1(VALU_DEP_2)
	v_add_nc_u32_e32 v7, v9, v7
	v_cmp_lt_u32_e32 vcc_lo, 1, v8
	v_mov_b32_dpp v9, v7 row_shr:2 row_mask:0xf bank_mask:0xf
	s_delay_alu instid0(VALU_DEP_1) | instskip(SKIP_1) | instid1(VALU_DEP_2)
	v_cndmask_b32_e32 v9, 0, v9, vcc_lo
	v_cmp_lt_u32_e32 vcc_lo, 3, v8
	v_add_nc_u32_e32 v7, v7, v9
	s_delay_alu instid0(VALU_DEP_1) | instskip(NEXT) | instid1(VALU_DEP_1)
	v_mov_b32_dpp v9, v7 row_shr:4 row_mask:0xf bank_mask:0xf
	v_cndmask_b32_e32 v9, 0, v9, vcc_lo
	v_cmp_lt_u32_e32 vcc_lo, 7, v8
	s_delay_alu instid0(VALU_DEP_2) | instskip(NEXT) | instid1(VALU_DEP_1)
	v_add_nc_u32_e32 v7, v7, v9
	v_mov_b32_dpp v9, v7 row_shr:8 row_mask:0xf bank_mask:0xf
	s_delay_alu instid0(VALU_DEP_1) | instskip(NEXT) | instid1(VALU_DEP_1)
	v_cndmask_b32_e32 v8, 0, v9, vcc_lo
	v_add_nc_u32_e32 v7, v7, v8
	ds_swizzle_b32 v8, v7 offset:swizzle(BROADCAST,32,15)
	s_wait_dscnt 0x0
	v_dual_add_nc_u32 v9, -1, v2 :: v_dual_bitop2_b32 v8, v10, v8 bitop3:0x40
	s_delay_alu instid0(VALU_DEP_1) | instskip(NEXT) | instid1(VALU_DEP_2)
	v_cmp_gt_i32_e32 vcc_lo, 0, v9
	v_dual_add_nc_u32 v7, v7, v8 :: v_dual_cndmask_b32 v9, v9, v2, vcc_lo
	v_cmp_eq_u32_e32 vcc_lo, 0, v0
	s_delay_alu instid0(VALU_DEP_2) | instskip(SKIP_3) | instid1(VALU_DEP_1)
	v_lshlrev_b32_e32 v9, 2, v9
	ds_bpermute_b32 v7, v9, v7
	s_wait_dscnt 0x0
	v_add_nc_u32_e32 v6, v7, v6
	v_cndmask_b32_e32 v5, v6, v5, vcc_lo
	ds_store_b32 v14, v5
	; wave barrier
	ds_load_2addr_b32 v[6:7], v14 offset0:1 offset1:2
	ds_load_2addr_b32 v[8:9], v14 offset0:3 offset1:4
	;; [unrolled: 1-line block ×3, first 2 shown]
	ds_load_b32 v12, v14 offset:28
	s_wait_dscnt 0x3
	v_add_nc_u32_e32 v5, v6, v5
	s_delay_alu instid0(VALU_DEP_1) | instskip(SKIP_1) | instid1(VALU_DEP_1)
	v_add_nc_u32_e32 v6, v7, v5
	s_wait_dscnt 0x2
	v_add_nc_u32_e32 v7, v8, v6
	s_delay_alu instid0(VALU_DEP_1) | instskip(SKIP_1) | instid1(VALU_DEP_1)
	v_add_nc_u32_e32 v8, v9, v7
	;; [unrolled: 4-line block ×3, first 2 shown]
	s_wait_dscnt 0x0
	v_add_nc_u32_e32 v11, v12, v10
	ds_store_2addr_b32 v14, v5, v6 offset0:1 offset1:2
	ds_store_2addr_b32 v14, v7, v8 offset0:3 offset1:4
	;; [unrolled: 1-line block ×3, first 2 shown]
	ds_store_b32 v14, v11 offset:28
.LBB2_21:
	s_or_b32 exec_lo, exec_lo, s4
	s_wait_dscnt 0x0
	s_barrier_signal -1
	s_barrier_wait -1
	ds_load_b32 v5, v4
	s_wait_dscnt 0x0
	s_barrier_signal -1
	s_barrier_wait -1
	s_and_saveexec_b32 s4, s2
; %bb.22:
	ds_store_b32 v1, v5 offset:1056
; %bb.23:
	s_or_b32 exec_lo, exec_lo, s4
	s_clause 0x1
	s_load_b256 s[4:11], s[0:1], 0x28
	s_load_b64 s[24:25], s[0:1], 0x48
	s_wait_dscnt 0x0
	s_barrier_signal -1
	s_barrier_wait -1
	s_and_saveexec_b32 s26, s2
	s_cbranch_execz .LBB2_32
; %bb.24:
	v_mov_b32_e32 v4, 0
	s_wait_xcnt 0x0
	s_mov_b32 s0, exec_lo
	v_cmpx_ne_u32_e32 0, v0
; %bb.25:
	ds_load_b32 v4, v1 offset:1052
; %bb.26:
	s_or_b32 exec_lo, exec_lo, s0
	s_wait_dscnt 0x0
	s_wait_kmcnt 0x0
	v_cmp_gt_u32_e32 vcc_lo, s19, v4
	v_cmp_le_u32_e64 s0, s19, v5
	s_and_b32 s0, vcc_lo, s0
	s_delay_alu instid0(SALU_CYCLE_1)
	s_and_b32 exec_lo, exec_lo, s0
	s_cbranch_execz .LBB2_32
; %bb.27:
	v_dual_mov_b32 v6, 0 :: v_dual_lshlrev_b32 v7, s17, v0
	s_lshl_b64 s[0:1], s[22:23], 2
	s_lshl_b32 s2, 0xff, s17
	s_add_nc_u64 s[12:13], s[12:13], s[0:1]
	global_load_b32 v5, v6, s[12:13]
	s_wait_loadcnt 0x0
	v_bitop3_b32 v5, v5, v7, s2 bitop3:0xdc
	s_mul_i32 s2, s22, s16
	s_delay_alu instid0(SALU_CYCLE_1)
	s_cmp_lg_u32 s20, s2
	ds_store_b32 v6, v5 offset:2112
	s_cbranch_scc1 .LBB2_32
; %bb.28:
	s_add_nc_u64 s[10:11], s[10:11], s[0:1]
	s_cmp_lt_i32 s17, 1
	s_mov_b32 s2, -1
	global_store_b32 v6, v5, s[10:11]
	s_cbranch_scc0 .LBB2_30
; %bb.29:
	s_wait_xcnt 0x0
	v_mov_b32_e32 v6, 0
	s_add_nc_u64 s[6:7], s[6:7], s[22:23]
	s_mov_b32 s2, 0
	global_store_b8 v6, v5, s[6:7]
.LBB2_30:
	s_and_not1_b32 vcc_lo, exec_lo, s2
	s_cbranch_vccnz .LBB2_32
; %bb.31:
	s_wait_xcnt 0x0
	v_dual_mov_b32 v5, 0 :: v_dual_sub_nc_u32 v4, s19, v4
	s_add_nc_u64 s[0:1], s[8:9], s[0:1]
	global_store_b32 v5, v4, s[0:1]
.LBB2_32:
	s_wait_xcnt 0x0
	s_or_b32 exec_lo, exec_lo, s26
	v_mov_b32_e32 v4, 0
	s_wait_storecnt_dscnt 0x0
	s_barrier_signal -1
	s_barrier_wait -1
	ds_load_b32 v4, v4 offset:2112
	s_bitcmp0_b32 s18, 0
	s_mov_b32 s0, 0
	s_wait_dscnt 0x0
	v_lshrrev_b32_e32 v4, s17, v4
	s_delay_alu instid0(VALU_DEP_1)
	v_and_b32_e32 v4, 0xff, v4
	s_cbranch_scc0 .LBB2_34
; %bb.33:
	v_and_b32_e32 v5, 0xe0, v0
	s_delay_alu instid0(VALU_DEP_2) | instskip(NEXT) | instid1(VALU_DEP_2)
	v_cmp_lt_u32_e64 s1, v0, v4
	v_cmp_lt_u32_e64 s2, v5, v4
	s_and_not1_b32 vcc_lo, exec_lo, s0
	s_cbranch_vccz .LBB2_35
	s_branch .LBB2_36
.LBB2_34:
                                        ; implicit-def: $sgpr1
                                        ; implicit-def: $sgpr2
.LBB2_35:
	v_or_b32_e32 v5, 31, v0
	s_delay_alu instid0(VALU_DEP_2) | instskip(SKIP_2) | instid1(VALU_DEP_2)
	v_cmp_gt_u32_e32 vcc_lo, v0, v4
	s_and_not1_b32 s1, s1, exec_lo
	s_and_not1_b32 s2, s2, exec_lo
	v_cmp_gt_u32_e64 s0, v5, v4
	s_wait_kmcnt 0x0
	s_and_b32 s6, vcc_lo, exec_lo
	s_delay_alu instid0(SALU_CYCLE_1) | instskip(SKIP_1) | instid1(SALU_CYCLE_1)
	s_or_b32 s1, s1, s6
	s_and_b32 s0, s0, exec_lo
	s_or_b32 s2, s2, s0
.LBB2_36:
	v_mov_b32_e32 v4, 0
	s_and_saveexec_b32 s0, s2
	s_cbranch_execz .LBB2_40
; %bb.37:
	v_mov_b32_e32 v4, 0
	s_and_saveexec_b32 s2, s1
	s_cbranch_execz .LBB2_39
; %bb.38:
	s_wait_kmcnt 0x0
	s_lshl_b32 s6, s20, 8
	s_mov_b32 s7, 0
	s_delay_alu instid0(SALU_CYCLE_1) | instskip(NEXT) | instid1(SALU_CYCLE_1)
	s_lshl_b64 s[6:7], s[6:7], 1
	s_add_nc_u64 s[6:7], s[14:15], s[6:7]
	global_load_i16 v4, v0, s[6:7] scale_offset
.LBB2_39:
	s_wait_xcnt 0x0
	s_or_b32 exec_lo, exec_lo, s2
	v_lshl_or_b32 v5, v2, 2, 64
	v_cmp_gt_u32_e32 vcc_lo, 24, v2
	s_wait_loadcnt 0x0
	ds_bpermute_b32 v5, v5, v4
	v_cndmask_b32_e64 v6, 0, 8, vcc_lo
	v_cmp_gt_u32_e32 vcc_lo, 28, v2
	s_delay_alu instid0(VALU_DEP_2)
	v_add_lshl_u32 v6, v6, v2, 2
	s_wait_dscnt 0x0
	v_add_nc_u32_e32 v4, v5, v4
	ds_bpermute_b32 v5, v6, v4
	v_cndmask_b32_e64 v6, 0, 4, vcc_lo
	v_cmp_gt_u32_e32 vcc_lo, 30, v2
	s_delay_alu instid0(VALU_DEP_2)
	v_add_lshl_u32 v6, v6, v2, 2
	s_wait_dscnt 0x0
	v_add_nc_u32_e32 v4, v5, v4
	ds_bpermute_b32 v5, v6, v4
	v_cndmask_b32_e64 v6, 0, 2, vcc_lo
	v_cmp_ne_u32_e32 vcc_lo, 31, v2
	s_delay_alu instid0(VALU_DEP_2)
	v_add_lshl_u32 v6, v6, v2, 2
	s_wait_dscnt 0x0
	v_add_nc_u32_e32 v4, v5, v4
	ds_bpermute_b32 v5, v6, v4
	v_add_co_ci_u32_e64 v6, null, 0, v2, vcc_lo
	s_wait_dscnt 0x0
	s_delay_alu instid0(VALU_DEP_1)
	v_dual_add_nc_u32 v4, v5, v4 :: v_dual_lshlrev_b32 v5, 2, v6
	ds_bpermute_b32 v5, v5, v4
	s_wait_dscnt 0x0
	v_add_nc_u32_e32 v4, v5, v4
.LBB2_40:
	s_or_b32 exec_lo, exec_lo, s0
	v_and_b32_e32 v5, 31, v0
	s_mov_b32 s0, exec_lo
	s_delay_alu instid0(VALU_DEP_1)
	v_cmpx_eq_u32_e32 0, v5
; %bb.41:
	v_lshlrev_b32_e32 v3, 2, v3
	ds_store_b32 v3, v4 offset:2080
; %bb.42:
	s_or_b32 exec_lo, exec_lo, s0
	s_wait_dscnt 0x0
	s_barrier_signal -1
	s_barrier_wait -1
	s_and_saveexec_b32 s0, s3
	s_cbranch_execz .LBB2_49
; %bb.43:
	v_mov_b32_e32 v3, 0
	s_mov_b32 s0, exec_lo
	v_cmpx_gt_u32_e32 8, v0
; %bb.44:
	ds_load_b32 v3, v1 offset:2080
; %bb.45:
	s_or_b32 exec_lo, exec_lo, s0
	v_cmp_gt_u32_e32 vcc_lo, 28, v2
	s_mov_b32 s0, exec_lo
	v_cndmask_b32_e64 v1, 0, 4, vcc_lo
	v_cmp_gt_u32_e32 vcc_lo, 30, v2
	s_delay_alu instid0(VALU_DEP_2)
	v_add_lshl_u32 v1, v1, v2, 2
	v_cndmask_b32_e64 v4, 0, 2, vcc_lo
	v_cmp_ne_u32_e32 vcc_lo, 31, v2
	s_wait_dscnt 0x0
	ds_bpermute_b32 v1, v1, v3
	v_add_lshl_u32 v4, v4, v2, 2
	v_add_co_ci_u32_e64 v2, null, 0, v2, vcc_lo
	s_wait_dscnt 0x0
	s_delay_alu instid0(VALU_DEP_1)
	v_dual_lshlrev_b32 v2, 2, v2 :: v_dual_add_nc_u32 v1, v1, v3
	ds_bpermute_b32 v3, v4, v1
	s_wait_dscnt 0x0
	v_add_nc_u32_e32 v1, v3, v1
	ds_bpermute_b32 v2, v2, v1
	v_cmpx_eq_u32_e32 0, v0
	s_cbranch_execz .LBB2_47
; %bb.46:
	v_mov_b32_e32 v3, 0
	s_lshl_b64 s[2:3], s[20:21], 2
	s_wait_kmcnt 0x0
	s_add_nc_u64 s[2:3], s[4:5], s[2:3]
	global_load_b32 v4, v3, s[2:3]
	s_wait_loadcnt_dscnt 0x0
	v_add3_u32 v1, v2, v1, v4
	global_store_b32 v3, v1, s[2:3]
.LBB2_47:
	s_wait_xcnt 0x0
	s_or_b32 exec_lo, exec_lo, s0
	v_or_b32_e32 v0, s17, v0
	s_delay_alu instid0(VALU_DEP_1)
	v_cmp_eq_u32_e32 vcc_lo, 0, v0
	s_and_b32 exec_lo, exec_lo, vcc_lo
	s_cbranch_execz .LBB2_49
; %bb.48:
	v_mov_b32_e32 v0, 0
	s_lshl_b32 s0, s20, 8
	s_mov_b32 s1, 0
	s_delay_alu instid0(SALU_CYCLE_1)
	s_lshl_b64 s[0:1], s[0:1], 1
	ds_load_b32 v1, v0 offset:2112
	s_add_nc_u64 s[0:1], s[14:15], s[0:1]
	s_wait_dscnt 0x0
	v_and_b32_e32 v1, 0xff, v1
	global_load_i16 v1, v1, s[0:1] scale_offset
	s_wait_xcnt 0x0
	s_lshl_b64 s[0:1], s[20:21], 2
	s_wait_kmcnt 0x0
	s_add_nc_u64 s[0:1], s[24:25], s[0:1]
	s_wait_loadcnt 0x0
	global_store_b32 v0, v1, s[0:1]
.LBB2_49:
	s_endpgm
.LBB2_50:
	s_cbranch_execnz .LBB2_15
	s_branch .LBB2_16
	.section	.rodata,"a",@progbits
	.p2align	6, 0x0
	.amdhsa_kernel _ZN2at6native6mbtopk29computeBlockwiseWithinKCountsIjhEEvPT_PsPjjibS6_PT0_S6_S4_S6_j
		.amdhsa_group_segment_fixed_size 2116
		.amdhsa_private_segment_fixed_size 0
		.amdhsa_kernarg_size 344
		.amdhsa_user_sgpr_count 2
		.amdhsa_user_sgpr_dispatch_ptr 0
		.amdhsa_user_sgpr_queue_ptr 0
		.amdhsa_user_sgpr_kernarg_segment_ptr 1
		.amdhsa_user_sgpr_dispatch_id 0
		.amdhsa_user_sgpr_kernarg_preload_length 0
		.amdhsa_user_sgpr_kernarg_preload_offset 0
		.amdhsa_user_sgpr_private_segment_size 0
		.amdhsa_wavefront_size32 1
		.amdhsa_uses_dynamic_stack 0
		.amdhsa_enable_private_segment 0
		.amdhsa_system_sgpr_workgroup_id_x 1
		.amdhsa_system_sgpr_workgroup_id_y 1
		.amdhsa_system_sgpr_workgroup_id_z 1
		.amdhsa_system_sgpr_workgroup_info 0
		.amdhsa_system_vgpr_workitem_id 0
		.amdhsa_next_free_vgpr 15
		.amdhsa_next_free_sgpr 27
		.amdhsa_named_barrier_count 0
		.amdhsa_reserve_vcc 1
		.amdhsa_float_round_mode_32 0
		.amdhsa_float_round_mode_16_64 0
		.amdhsa_float_denorm_mode_32 3
		.amdhsa_float_denorm_mode_16_64 3
		.amdhsa_fp16_overflow 0
		.amdhsa_memory_ordered 1
		.amdhsa_forward_progress 1
		.amdhsa_inst_pref_size 22
		.amdhsa_round_robin_scheduling 0
		.amdhsa_exception_fp_ieee_invalid_op 0
		.amdhsa_exception_fp_denorm_src 0
		.amdhsa_exception_fp_ieee_div_zero 0
		.amdhsa_exception_fp_ieee_overflow 0
		.amdhsa_exception_fp_ieee_underflow 0
		.amdhsa_exception_fp_ieee_inexact 0
		.amdhsa_exception_int_div_zero 0
	.end_amdhsa_kernel
	.section	.text._ZN2at6native6mbtopk29computeBlockwiseWithinKCountsIjhEEvPT_PsPjjibS6_PT0_S6_S4_S6_j,"axG",@progbits,_ZN2at6native6mbtopk29computeBlockwiseWithinKCountsIjhEEvPT_PsPjjibS6_PT0_S6_S4_S6_j,comdat
.Lfunc_end2:
	.size	_ZN2at6native6mbtopk29computeBlockwiseWithinKCountsIjhEEvPT_PsPjjibS6_PT0_S6_S4_S6_j, .Lfunc_end2-_ZN2at6native6mbtopk29computeBlockwiseWithinKCountsIjhEEvPT_PsPjjibS6_PT0_S6_S4_S6_j
                                        ; -- End function
	.set _ZN2at6native6mbtopk29computeBlockwiseWithinKCountsIjhEEvPT_PsPjjibS6_PT0_S6_S4_S6_j.num_vgpr, 15
	.set _ZN2at6native6mbtopk29computeBlockwiseWithinKCountsIjhEEvPT_PsPjjibS6_PT0_S6_S4_S6_j.num_agpr, 0
	.set _ZN2at6native6mbtopk29computeBlockwiseWithinKCountsIjhEEvPT_PsPjjibS6_PT0_S6_S4_S6_j.numbered_sgpr, 27
	.set _ZN2at6native6mbtopk29computeBlockwiseWithinKCountsIjhEEvPT_PsPjjibS6_PT0_S6_S4_S6_j.num_named_barrier, 0
	.set _ZN2at6native6mbtopk29computeBlockwiseWithinKCountsIjhEEvPT_PsPjjibS6_PT0_S6_S4_S6_j.private_seg_size, 0
	.set _ZN2at6native6mbtopk29computeBlockwiseWithinKCountsIjhEEvPT_PsPjjibS6_PT0_S6_S4_S6_j.uses_vcc, 1
	.set _ZN2at6native6mbtopk29computeBlockwiseWithinKCountsIjhEEvPT_PsPjjibS6_PT0_S6_S4_S6_j.uses_flat_scratch, 0
	.set _ZN2at6native6mbtopk29computeBlockwiseWithinKCountsIjhEEvPT_PsPjjibS6_PT0_S6_S4_S6_j.has_dyn_sized_stack, 0
	.set _ZN2at6native6mbtopk29computeBlockwiseWithinKCountsIjhEEvPT_PsPjjibS6_PT0_S6_S4_S6_j.has_recursion, 0
	.set _ZN2at6native6mbtopk29computeBlockwiseWithinKCountsIjhEEvPT_PsPjjibS6_PT0_S6_S4_S6_j.has_indirect_call, 0
	.section	.AMDGPU.csdata,"",@progbits
; Kernel info:
; codeLenInByte = 2692
; TotalNumSgprs: 29
; NumVgprs: 15
; ScratchSize: 0
; MemoryBound: 0
; FloatMode: 240
; IeeeMode: 1
; LDSByteSize: 2116 bytes/workgroup (compile time only)
; SGPRBlocks: 0
; VGPRBlocks: 0
; NumSGPRsForWavesPerEU: 29
; NumVGPRsForWavesPerEU: 15
; NamedBarCnt: 0
; Occupancy: 16
; WaveLimiterHint : 1
; COMPUTE_PGM_RSRC2:SCRATCH_EN: 0
; COMPUTE_PGM_RSRC2:USER_SGPR: 2
; COMPUTE_PGM_RSRC2:TRAP_HANDLER: 0
; COMPUTE_PGM_RSRC2:TGID_X_EN: 1
; COMPUTE_PGM_RSRC2:TGID_Y_EN: 1
; COMPUTE_PGM_RSRC2:TGID_Z_EN: 1
; COMPUTE_PGM_RSRC2:TIDIG_COMP_CNT: 0
	.section	.text._ZN2at6native6mbtopk10gatherTopKIhjLi1EEEvNS_4cuda6detail10TensorInfoIKT_T0_EES8_S8_bjS8_NS5_IS6_S8_EES8_NS5_IlS8_EES8_jjPS6_PjSD_j,"axG",@progbits,_ZN2at6native6mbtopk10gatherTopKIhjLi1EEEvNS_4cuda6detail10TensorInfoIKT_T0_EES8_S8_bjS8_NS5_IS6_S8_EES8_NS5_IlS8_EES8_jjPS6_PjSD_j,comdat
	.protected	_ZN2at6native6mbtopk10gatherTopKIhjLi1EEEvNS_4cuda6detail10TensorInfoIKT_T0_EES8_S8_bjS8_NS5_IS6_S8_EES8_NS5_IlS8_EES8_jjPS6_PjSD_j ; -- Begin function _ZN2at6native6mbtopk10gatherTopKIhjLi1EEEvNS_4cuda6detail10TensorInfoIKT_T0_EES8_S8_bjS8_NS5_IS6_S8_EES8_NS5_IlS8_EES8_jjPS6_PjSD_j
	.globl	_ZN2at6native6mbtopk10gatherTopKIhjLi1EEEvNS_4cuda6detail10TensorInfoIKT_T0_EES8_S8_bjS8_NS5_IS6_S8_EES8_NS5_IlS8_EES8_jjPS6_PjSD_j
	.p2align	8
	.type	_ZN2at6native6mbtopk10gatherTopKIhjLi1EEEvNS_4cuda6detail10TensorInfoIKT_T0_EES8_S8_bjS8_NS5_IS6_S8_EES8_NS5_IlS8_EES8_jjPS6_PjSD_j,@function
_ZN2at6native6mbtopk10gatherTopKIhjLi1EEEvNS_4cuda6detail10TensorInfoIKT_T0_EES8_S8_bjS8_NS5_IS6_S8_EES8_NS5_IlS8_EES8_jjPS6_PjSD_j: ; @_ZN2at6native6mbtopk10gatherTopKIhjLi1EEEvNS_4cuda6detail10TensorInfoIKT_T0_EES8_S8_bjS8_NS5_IS6_S8_EES8_NS5_IlS8_EES8_jjPS6_PjSD_j
; %bb.0:
	s_bfe_u32 s2, ttmp6, 0x40010
	s_and_b32 s4, ttmp7, 0xffff
	s_add_co_i32 s5, s2, 1
	s_clause 0x1
	s_load_b32 s6, s[0:1], 0x2d0
	s_load_b64 s[2:3], s[0:1], 0x2d8
	s_bfe_u32 s8, ttmp6, 0x4000c
	s_mul_i32 s5, s4, s5
	s_bfe_u32 s7, ttmp6, 0x40004
	s_add_co_i32 s8, s8, 1
	s_bfe_u32 s9, ttmp6, 0x40014
	s_add_co_i32 s7, s7, s5
	s_and_b32 s5, ttmp6, 15
	s_mul_i32 s8, ttmp9, s8
	s_lshr_b32 s10, ttmp7, 16
	s_add_co_i32 s9, s9, 1
	s_add_co_i32 s5, s5, s8
	s_mul_i32 s8, s10, s9
	s_bfe_u32 s9, ttmp6, 0x40008
	s_getreg_b32 s11, hwreg(HW_REG_IB_STS2, 6, 4)
	s_add_co_i32 s9, s9, s8
	s_cmp_eq_u32 s11, 0
	s_cselect_b32 s8, s10, s9
	s_cselect_b32 s4, s4, s7
	s_wait_kmcnt 0x0
	s_mul_i32 s3, s3, s8
	s_cselect_b32 s5, ttmp9, s5
	s_add_co_i32 s3, s3, s4
	s_delay_alu instid0(SALU_CYCLE_1) | instskip(NEXT) | instid1(SALU_CYCLE_1)
	s_mul_i32 s8, s3, s2
	s_add_co_i32 s8, s8, s5
	s_delay_alu instid0(SALU_CYCLE_1)
	s_cmp_ge_u32 s8, s6
	s_cbranch_scc1 .LBB3_40
; %bb.1:
	s_clause 0x1
	s_load_b96 s[12:14], s[0:1], 0x2a8
	s_load_b128 s[4:7], s[0:1], 0x2b8
	s_wait_kmcnt 0x0
	s_cvt_f32_u32 s2, s14
	s_sub_co_i32 s3, 0, s14
	s_delay_alu instid0(SALU_CYCLE_2) | instskip(SKIP_1) | instid1(TRANS32_DEP_1)
	v_rcp_iflag_f32_e32 v1, s2
	v_nop
	v_readfirstlane_b32 s2, v1
	s_mul_f32 s2, s2, 0x4f7ffffe
	s_delay_alu instid0(SALU_CYCLE_3) | instskip(NEXT) | instid1(SALU_CYCLE_3)
	s_cvt_u32_f32 s2, s2
	s_mul_i32 s3, s3, s2
	s_delay_alu instid0(SALU_CYCLE_1) | instskip(NEXT) | instid1(SALU_CYCLE_1)
	s_mul_hi_u32 s3, s2, s3
	s_add_co_i32 s2, s2, s3
	s_delay_alu instid0(SALU_CYCLE_1) | instskip(NEXT) | instid1(SALU_CYCLE_1)
	s_mul_hi_u32 s2, s8, s2
	s_mul_i32 s3, s2, s14
	s_add_co_i32 s9, s2, 1
	s_sub_co_i32 s3, s8, s3
	s_delay_alu instid0(SALU_CYCLE_1)
	s_sub_co_i32 s10, s3, s14
	s_cmp_ge_u32 s3, s14
	s_cselect_b32 s2, s9, s2
	s_cselect_b32 s3, s10, s3
	s_add_co_i32 s9, s2, 1
	s_cmp_ge_u32 s3, s14
	v_cmp_eq_u32_e64 s3, 0, v0
	s_cselect_b32 s15, s9, s2
	v_cmp_ne_u32_e64 s2, 0, v0
	v_mov_b32_e32 v1, s15
	global_load_u8 v8, v1, s[4:5]
	s_wait_xcnt 0x0
	s_mul_i32 s4, s15, s14
	s_delay_alu instid0(SALU_CYCLE_1)
	s_sub_co_i32 s24, s8, s4
	s_and_saveexec_b32 s25, s3
	s_cbranch_execz .LBB3_17
; %bb.2:
	s_load_b64 s[18:19], s[0:1], 0x2c8
	s_mov_b32 s5, 0
	s_delay_alu instid0(SALU_CYCLE_1)
	s_lshl_b64 s[20:21], s[4:5], 2
	s_cmp_lt_u32 s14, 4
	s_cbranch_scc1 .LBB3_14
; %bb.3:
	s_mov_b64 s[16:17], 0
	s_mov_b32 s4, 0
.LBB3_4:                                ; =>This Inner Loop Header: Depth=1
	s_add_nc_u64 s[22:23], s[6:7], s[20:21]
	s_cmp_ge_u32 s4, s24
	s_load_b128 s[8:11], s[22:23], 0x0
	s_wait_kmcnt 0x0
	s_add_nc_u64 s[22:23], s[18:19], s[20:21]
	s_cbranch_scc0 .LBB3_11
; %bb.5:                                ;   in Loop: Header=BB3_4 Depth=1
	s_add_co_i32 s26, s4, 1
	s_delay_alu instid0(SALU_CYCLE_1)
	s_cmp_ge_u32 s26, s24
	s_cbranch_scc0 .LBB3_12
.LBB3_6:                                ;   in Loop: Header=BB3_4 Depth=1
	s_add_co_i32 s26, s26, 1
	s_delay_alu instid0(SALU_CYCLE_1)
	s_cmp_ge_u32 s26, s24
	s_cbranch_scc0 .LBB3_13
.LBB3_7:                                ;   in Loop: Header=BB3_4 Depth=1
	s_add_co_i32 s26, s26, 1
	s_delay_alu instid0(SALU_CYCLE_1)
	s_cmp_ge_u32 s26, s24
	s_cbranch_scc1 .LBB3_9
.LBB3_8:                                ;   in Loop: Header=BB3_4 Depth=1
	s_load_b32 s22, s[22:23], 0xc
	s_add_co_i32 s17, s11, s17
	s_wait_kmcnt 0x0
	s_add_co_i32 s16, s22, s16
.LBB3_9:                                ;   in Loop: Header=BB3_4 Depth=1
	s_add_co_i32 s5, s8, s5
	s_add_co_i32 s8, s26, 1
	;; [unrolled: 1-line block ×5, first 2 shown]
	s_add_nc_u64 s[6:7], s[6:7], 16
	s_add_co_i32 s5, s5, s11
	s_cmp_ge_u32 s9, s14
	s_add_nc_u64 s[18:19], s[18:19], 16
	s_cbranch_scc1 .LBB3_15
; %bb.10:                               ;   in Loop: Header=BB3_4 Depth=1
	s_mov_b32 s4, s8
	s_branch .LBB3_4
.LBB3_11:                               ;   in Loop: Header=BB3_4 Depth=1
	s_load_b32 s26, s[22:23], 0x0
	s_add_co_i32 s17, s8, s17
	s_wait_kmcnt 0x0
	s_add_co_i32 s16, s26, s16
	s_add_co_i32 s26, s4, 1
	s_delay_alu instid0(SALU_CYCLE_1)
	s_cmp_ge_u32 s26, s24
	s_cbranch_scc1 .LBB3_6
.LBB3_12:                               ;   in Loop: Header=BB3_4 Depth=1
	s_load_b32 s27, s[22:23], 0x4
	s_add_co_i32 s17, s9, s17
	s_wait_kmcnt 0x0
	s_add_co_i32 s16, s27, s16
	s_add_co_i32 s26, s26, 1
	s_delay_alu instid0(SALU_CYCLE_1)
	s_cmp_ge_u32 s26, s24
	s_cbranch_scc1 .LBB3_7
.LBB3_13:                               ;   in Loop: Header=BB3_4 Depth=1
	s_load_b32 s27, s[22:23], 0x8
	s_add_co_i32 s17, s10, s17
	s_wait_kmcnt 0x0
	s_add_co_i32 s16, s27, s16
	s_add_co_i32 s26, s26, 1
	s_delay_alu instid0(SALU_CYCLE_1)
	s_cmp_ge_u32 s26, s24
	s_cbranch_scc0 .LBB3_8
	s_branch .LBB3_9
.LBB3_14:
	s_mov_b64 s[16:17], 0
	s_add_nc_u64 s[6:7], s[6:7], s[20:21]
	s_wait_kmcnt 0x0
	s_add_nc_u64 s[8:9], s[18:19], s[20:21]
	s_mov_b32 s4, 0
	s_delay_alu instid0(SALU_CYCLE_1)
	s_cmp_ge_u32 s4, s14
	s_cbranch_scc0 .LBB3_38
	s_branch .LBB3_16
.LBB3_15:
	s_add_co_i32 s4, s4, 4
	s_add_nc_u64 s[8:9], s[18:19], s[20:21]
	s_add_nc_u64 s[6:7], s[6:7], s[20:21]
	s_cmp_ge_u32 s4, s14
	s_cbranch_scc0 .LBB3_38
.LBB3_16:
	v_dual_mov_b32 v2, s16 :: v_dual_mov_b32 v3, s5
	v_dual_mov_b32 v4, s17 :: v_dual_mov_b32 v1, 0
	ds_store_b96 v1, v[2:4] offset:1056
.LBB3_17:
	s_or_b32 exec_lo, exec_lo, s25
	s_clause 0x6
	s_load_b32 s20, s[0:1], 0x23c
	s_load_b64 s[16:17], s[0:1], 0x1d0
	s_load_b32 s21, s[0:1], 0x15c
	s_load_b64 s[10:11], s[0:1], 0xf0
	;; [unrolled: 2-line block ×3, first 2 shown]
	s_load_b96 s[4:6], s[0:1], 0xd8
	s_mul_i32 s7, s13, s24
	s_mov_b32 s19, 0
	s_lshl_b32 s7, s7, 8
	s_wait_loadcnt_dscnt 0x0
	s_barrier_signal -1
	s_barrier_wait -1
	s_wait_kmcnt 0x0
	s_sub_co_i32 s18, s4, s7
	s_delay_alu instid0(SALU_CYCLE_1) | instskip(SKIP_4) | instid1(SALU_CYCLE_1)
	s_add_nc_u64 s[26:27], s[18:19], 0xff
	s_add_co_i32 s18, s24, 1
	s_lshr_b64 s[24:25], s[26:27], 8
	s_cmp_lt_u32 s18, s14
	s_cselect_b32 s13, s13, s24
	s_cmp_eq_u32 s13, 0
	s_cbranch_scc1 .LBB3_40
; %bb.18:
	v_dual_mov_b32 v7, 0 :: v_dual_lshrrev_b32 v5, 3, v0
	s_mul_i32 s18, s15, s22
	s_mul_i32 s22, s15, s21
	;; [unrolled: 1-line block ×3, first 2 shown]
	s_clause 0x1
	s_load_b32 s15, s[0:1], 0xe8
	s_load_b32 s14, s[0:1], 0x1c8
	ds_load_b96 v[2:4], v7 offset:1056
	v_dual_add_nc_u32 v9, -1, v0 :: v_dual_lshlrev_b32 v11, 5, v0
	v_dual_add_nc_u32 v6, s7, v0 :: v_dual_bitop2_b32 v5, 28, v5 bitop3:0x40
	s_wait_xcnt 0x0
	v_cmp_gt_u32_e64 s0, 32, v0
	s_delay_alu instid0(VALU_DEP_3)
	v_lshrrev_b32_e32 v12, 3, v9
	v_and_b32_e32 v10, 0xfc, v0
	v_mbcnt_lo_u32_b32 v1, -1, 0
	s_mov_b32 s21, s19
	s_mov_b32 s23, s19
	v_and_b32_e32 v12, 0x1ffffffc, v12
	s_add_nc_u64 s[8:9], s[8:9], s[18:19]
	s_lshl_b64 s[18:19], s[20:21], 3
	v_and_b32_e32 v8, 0xff, v8
	s_bitcmp1_b32 s6, 0
	s_add_nc_u64 s[10:11], s[10:11], s[22:23]
	s_add_nc_u64 s[6:7], s[16:17], s[18:19]
	s_cselect_b32 s1, -1, 0
                                        ; implicit-def: $vgpr13
	s_wait_dscnt 0x0
	v_add_nc_u32_e32 v2, v2, v3
	v_lshl_add_u32 v0, v0, 2, v5
	s_wait_kmcnt 0x0
	v_mul_lo_u32 v5, s15, v6
	v_lshl_add_u32 v3, v9, 2, v12
	v_dual_add_nc_u32 v9, v10, v11 :: v_dual_bitop2_b32 v10, 15, v1 bitop3:0x40
	v_bfe_i32 v11, v1, 4, 1
	v_add_nc_u32_e32 v12, -1, v1
	s_lshl_b32 s15, s15, 8
	s_branch .LBB3_21
.LBB3_19:                               ;   in Loop: Header=BB3_21 Depth=1
	s_wait_xcnt 0x0
	s_or_b32 exec_lo, exec_lo, s16
	v_add_nc_u32_e32 v2, v16, v2
.LBB3_20:                               ;   in Loop: Header=BB3_21 Depth=1
	v_dual_add_nc_u32 v4, v15, v4 :: v_dual_add_nc_u32 v5, s15, v5
	v_add_nc_u32_e32 v6, 0x100, v6
	s_add_co_i32 s13, s13, -1
	s_delay_alu instid0(SALU_CYCLE_1)
	s_cmp_lg_u32 s13, 0
	s_cbranch_scc0 .LBB3_40
.LBB3_21:                               ; =>This Inner Loop Header: Depth=1
	v_dual_mov_b32 v16, 0 :: v_dual_mov_b32 v14, 0
	s_mov_b32 s16, exec_lo
	v_cmpx_gt_u32_e64 s4, v6
	s_cbranch_execz .LBB3_23
; %bb.22:                               ;   in Loop: Header=BB3_21 Depth=1
	global_load_u8 v13, v5, s[8:9]
	s_wait_loadcnt 0x0
	v_cmp_gt_u16_e32 vcc_lo, v13, v8
	v_cndmask_b32_e64 v14, 0, 1, vcc_lo
	v_cmp_lt_u16_e32 vcc_lo, v13, v8
	v_cndmask_b32_e64 v15, 0, 1, vcc_lo
	v_cmp_eq_u16_e32 vcc_lo, v13, v8
	s_delay_alu instid0(VALU_DEP_2) | instskip(NEXT) | instid1(VALU_DEP_1)
	v_cndmask_b32_e64 v14, v15, v14, s1
	v_and_b32_e32 v16, 1, v14
	v_cndmask_b32_e64 v14, 0, 1, vcc_lo
.LBB3_23:                               ;   in Loop: Header=BB3_21 Depth=1
	s_wait_xcnt 0x0
	s_or_b32 exec_lo, exec_lo, s16
	ds_store_b32 v0, v16
	s_wait_dscnt 0x0
	s_barrier_signal -1
	s_barrier_wait -1
	s_and_saveexec_b32 s16, s0
	s_cbranch_execz .LBB3_25
; %bb.24:                               ;   in Loop: Header=BB3_21 Depth=1
	ds_load_2addr_b32 v[18:19], v9 offset1:1
	ds_load_2addr_b32 v[20:21], v9 offset0:2 offset1:3
	ds_load_2addr_b32 v[22:23], v9 offset0:4 offset1:5
	;; [unrolled: 1-line block ×3, first 2 shown]
	v_cmp_ne_u32_e32 vcc_lo, 0, v10
	; wave barrier
	s_wait_dscnt 0x3
	v_add_nc_u32_e32 v15, v19, v18
	s_wait_dscnt 0x2
	s_delay_alu instid0(VALU_DEP_1) | instskip(SKIP_1) | instid1(VALU_DEP_1)
	v_add3_u32 v15, v15, v20, v21
	s_wait_dscnt 0x1
	v_add3_u32 v15, v15, v22, v23
	s_wait_dscnt 0x0
	s_delay_alu instid0(VALU_DEP_1) | instskip(NEXT) | instid1(VALU_DEP_1)
	v_add3_u32 v15, v15, v24, v25
	v_mov_b32_dpp v17, v15 row_shr:1 row_mask:0xf bank_mask:0xf
	s_delay_alu instid0(VALU_DEP_1) | instskip(SKIP_1) | instid1(VALU_DEP_2)
	v_cndmask_b32_e32 v17, 0, v17, vcc_lo
	v_cmp_lt_u32_e32 vcc_lo, 1, v10
	v_add_nc_u32_e32 v15, v17, v15
	s_delay_alu instid0(VALU_DEP_1) | instskip(NEXT) | instid1(VALU_DEP_1)
	v_mov_b32_dpp v17, v15 row_shr:2 row_mask:0xf bank_mask:0xf
	v_cndmask_b32_e32 v17, 0, v17, vcc_lo
	v_cmp_lt_u32_e32 vcc_lo, 3, v10
	s_delay_alu instid0(VALU_DEP_2) | instskip(NEXT) | instid1(VALU_DEP_1)
	v_add_nc_u32_e32 v15, v15, v17
	v_mov_b32_dpp v17, v15 row_shr:4 row_mask:0xf bank_mask:0xf
	s_delay_alu instid0(VALU_DEP_1) | instskip(SKIP_1) | instid1(VALU_DEP_2)
	v_cndmask_b32_e32 v17, 0, v17, vcc_lo
	v_cmp_lt_u32_e32 vcc_lo, 7, v10
	v_add_nc_u32_e32 v15, v15, v17
	s_delay_alu instid0(VALU_DEP_1) | instskip(NEXT) | instid1(VALU_DEP_1)
	v_mov_b32_dpp v17, v15 row_shr:8 row_mask:0xf bank_mask:0xf
	v_cndmask_b32_e32 v17, 0, v17, vcc_lo
	v_cmp_gt_i32_e32 vcc_lo, 0, v12
	v_cndmask_b32_e32 v19, v12, v1, vcc_lo
	s_delay_alu instid0(VALU_DEP_1) | instskip(SKIP_3) | instid1(VALU_DEP_1)
	v_dual_add_nc_u32 v15, v15, v17 :: v_dual_lshlrev_b32 v19, 2, v19
	ds_swizzle_b32 v17, v15 offset:swizzle(BROADCAST,32,15)
	s_wait_dscnt 0x0
	v_and_b32_e32 v17, v11, v17
	v_add_nc_u32_e32 v15, v15, v17
	ds_bpermute_b32 v15, v19, v15
	s_wait_dscnt 0x0
	v_add_nc_u32_e32 v15, v15, v18
	s_delay_alu instid0(VALU_DEP_1)
	v_cndmask_b32_e64 v15, v15, v16, s3
	ds_store_b32 v9, v15
	; wave barrier
	ds_load_2addr_b32 v[18:19], v9 offset0:1 offset1:2
	ds_load_2addr_b32 v[20:21], v9 offset0:3 offset1:4
	;; [unrolled: 1-line block ×3, first 2 shown]
	ds_load_b32 v17, v9 offset:28
	s_wait_dscnt 0x3
	v_add_nc_u32_e32 v15, v18, v15
	s_delay_alu instid0(VALU_DEP_1) | instskip(SKIP_1) | instid1(VALU_DEP_1)
	v_add_nc_u32_e32 v18, v19, v15
	s_wait_dscnt 0x2
	v_add_nc_u32_e32 v19, v20, v18
	s_delay_alu instid0(VALU_DEP_1) | instskip(SKIP_1) | instid1(VALU_DEP_1)
	v_add_nc_u32_e32 v20, v21, v19
	;; [unrolled: 4-line block ×3, first 2 shown]
	s_wait_dscnt 0x0
	v_add_nc_u32_e32 v17, v17, v22
	ds_store_2addr_b32 v9, v15, v18 offset0:1 offset1:2
	ds_store_2addr_b32 v9, v19, v20 offset0:3 offset1:4
	;; [unrolled: 1-line block ×3, first 2 shown]
	ds_store_b32 v9, v17 offset:28
.LBB3_25:                               ;   in Loop: Header=BB3_21 Depth=1
	s_or_b32 exec_lo, exec_lo, s16
	v_mov_b32_e32 v17, 0
	s_wait_dscnt 0x0
	s_barrier_signal -1
	s_barrier_wait -1
	s_and_saveexec_b32 s16, s2
; %bb.26:                               ;   in Loop: Header=BB3_21 Depth=1
	ds_load_b32 v17, v3
; %bb.27:                               ;   in Loop: Header=BB3_21 Depth=1
	s_or_b32 exec_lo, exec_lo, s16
	ds_load_b32 v15, v7 offset:1048
	s_mov_b32 s16, exec_lo
	s_wait_dscnt 0x0
	s_barrier_signal -1
	s_barrier_wait -1
	v_cmpx_ne_u32_e32 0, v16
	s_cbranch_execz .LBB3_29
; %bb.28:                               ;   in Loop: Header=BB3_21 Depth=1
	v_add_nc_u32_e32 v16, v17, v4
	s_delay_alu instid0(VALU_DEP_1)
	v_mul_lo_u32 v17, v16, s14
	v_mul_lo_u32 v16, v16, s12
	global_store_b8 v17, v13, s[10:11]
	global_store_b64 v16, v[6:7], s[6:7] scale_offset
.LBB3_29:                               ;   in Loop: Header=BB3_21 Depth=1
	s_wait_xcnt 0x0
	s_or_b32 exec_lo, exec_lo, s16
	v_cmp_le_u32_e32 vcc_lo, s5, v2
	s_cbranch_vccnz .LBB3_20
; %bb.30:                               ;   in Loop: Header=BB3_21 Depth=1
	ds_store_b32 v0, v14
	s_wait_storecnt_dscnt 0x0
	s_barrier_signal -1
	s_barrier_wait -1
	s_and_saveexec_b32 s16, s0
	s_cbranch_execz .LBB3_32
; %bb.31:                               ;   in Loop: Header=BB3_21 Depth=1
	ds_load_2addr_b32 v[16:17], v9 offset1:1
	ds_load_2addr_b32 v[18:19], v9 offset0:2 offset1:3
	ds_load_2addr_b32 v[20:21], v9 offset0:4 offset1:5
	;; [unrolled: 1-line block ×3, first 2 shown]
	v_cmp_ne_u32_e32 vcc_lo, 0, v10
	; wave barrier
	s_wait_dscnt 0x3
	v_add_nc_u32_e32 v17, v17, v16
	s_wait_dscnt 0x2
	s_delay_alu instid0(VALU_DEP_1) | instskip(SKIP_1) | instid1(VALU_DEP_1)
	v_add3_u32 v17, v17, v18, v19
	s_wait_dscnt 0x1
	v_add3_u32 v17, v17, v20, v21
	s_wait_dscnt 0x0
	s_delay_alu instid0(VALU_DEP_1) | instskip(NEXT) | instid1(VALU_DEP_1)
	v_add3_u32 v17, v17, v22, v23
	v_mov_b32_dpp v18, v17 row_shr:1 row_mask:0xf bank_mask:0xf
	s_delay_alu instid0(VALU_DEP_1) | instskip(SKIP_1) | instid1(VALU_DEP_2)
	v_cndmask_b32_e32 v18, 0, v18, vcc_lo
	v_cmp_lt_u32_e32 vcc_lo, 1, v10
	v_add_nc_u32_e32 v17, v18, v17
	s_delay_alu instid0(VALU_DEP_1) | instskip(NEXT) | instid1(VALU_DEP_1)
	v_mov_b32_dpp v18, v17 row_shr:2 row_mask:0xf bank_mask:0xf
	v_cndmask_b32_e32 v18, 0, v18, vcc_lo
	v_cmp_lt_u32_e32 vcc_lo, 3, v10
	s_delay_alu instid0(VALU_DEP_2) | instskip(NEXT) | instid1(VALU_DEP_1)
	v_add_nc_u32_e32 v17, v17, v18
	v_mov_b32_dpp v18, v17 row_shr:4 row_mask:0xf bank_mask:0xf
	s_delay_alu instid0(VALU_DEP_1) | instskip(SKIP_1) | instid1(VALU_DEP_2)
	v_cndmask_b32_e32 v18, 0, v18, vcc_lo
	v_cmp_lt_u32_e32 vcc_lo, 7, v10
	v_add_nc_u32_e32 v17, v17, v18
	s_delay_alu instid0(VALU_DEP_1) | instskip(NEXT) | instid1(VALU_DEP_1)
	v_mov_b32_dpp v18, v17 row_shr:8 row_mask:0xf bank_mask:0xf
	v_cndmask_b32_e32 v18, 0, v18, vcc_lo
	v_cmp_gt_i32_e32 vcc_lo, 0, v12
	s_delay_alu instid0(VALU_DEP_2) | instskip(SKIP_3) | instid1(VALU_DEP_1)
	v_dual_add_nc_u32 v17, v17, v18 :: v_dual_cndmask_b32 v19, v12, v1, vcc_lo
	ds_swizzle_b32 v18, v17 offset:swizzle(BROADCAST,32,15)
	s_wait_dscnt 0x0
	v_dual_lshlrev_b32 v19, 2, v19 :: v_dual_bitop2_b32 v18, v11, v18 bitop3:0x40
	v_add_nc_u32_e32 v17, v17, v18
	ds_bpermute_b32 v17, v19, v17
	s_wait_dscnt 0x0
	v_add_nc_u32_e32 v16, v17, v16
	s_delay_alu instid0(VALU_DEP_1)
	v_cndmask_b32_e64 v22, v16, v14, s3
	ds_store_b32 v9, v22
	; wave barrier
	ds_load_2addr_b32 v[16:17], v9 offset0:1 offset1:2
	ds_load_2addr_b32 v[18:19], v9 offset0:3 offset1:4
	;; [unrolled: 1-line block ×3, first 2 shown]
	ds_load_b32 v23, v9 offset:28
	s_wait_dscnt 0x3
	v_add_nc_u32_e32 v16, v16, v22
	s_delay_alu instid0(VALU_DEP_1) | instskip(SKIP_1) | instid1(VALU_DEP_1)
	v_add_nc_u32_e32 v17, v17, v16
	s_wait_dscnt 0x2
	v_add_nc_u32_e32 v18, v18, v17
	s_delay_alu instid0(VALU_DEP_1) | instskip(SKIP_1) | instid1(VALU_DEP_1)
	v_add_nc_u32_e32 v19, v19, v18
	;; [unrolled: 4-line block ×3, first 2 shown]
	s_wait_dscnt 0x0
	v_add_nc_u32_e32 v22, v23, v21
	ds_store_2addr_b32 v9, v16, v17 offset0:1 offset1:2
	ds_store_2addr_b32 v9, v18, v19 offset0:3 offset1:4
	ds_store_2addr_b32 v9, v20, v21 offset0:5 offset1:6
	ds_store_b32 v9, v22 offset:28
.LBB3_32:                               ;   in Loop: Header=BB3_21 Depth=1
	s_or_b32 exec_lo, exec_lo, s16
	v_mov_b32_e32 v17, 0
	s_wait_dscnt 0x0
	s_barrier_signal -1
	s_barrier_wait -1
	s_and_saveexec_b32 s16, s2
; %bb.33:                               ;   in Loop: Header=BB3_21 Depth=1
	ds_load_b32 v17, v3
; %bb.34:                               ;   in Loop: Header=BB3_21 Depth=1
	s_or_b32 exec_lo, exec_lo, s16
	ds_load_b32 v16, v7 offset:1048
	s_mov_b32 s16, exec_lo
	s_wait_dscnt 0x0
	s_barrier_signal -1
	s_barrier_wait -1
	v_cmpx_ne_u32_e32 0, v14
	s_cbranch_execz .LBB3_19
; %bb.35:                               ;   in Loop: Header=BB3_21 Depth=1
	v_add_nc_u32_e32 v14, v17, v2
	s_delay_alu instid0(VALU_DEP_1)
	v_cmp_gt_u32_e32 vcc_lo, s5, v14
	s_and_b32 exec_lo, exec_lo, vcc_lo
	s_cbranch_execz .LBB3_19
; %bb.36:                               ;   in Loop: Header=BB3_21 Depth=1
	v_mul_lo_u32 v17, v14, s14
	v_mul_lo_u32 v14, v14, s12
	global_store_b8 v17, v13, s[10:11]
	global_store_b64 v14, v[6:7], s[6:7] scale_offset
	s_branch .LBB3_19
.LBB3_37:                               ;   in Loop: Header=BB3_38 Depth=1
	s_add_co_i32 s4, s4, 1
	s_wait_kmcnt 0x0
	s_add_co_i32 s5, s10, s5
	s_add_nc_u64 s[6:7], s[6:7], 4
	s_cmp_lt_u32 s4, s14
	s_add_nc_u64 s[8:9], s[8:9], 4
	s_cbranch_scc0 .LBB3_16
.LBB3_38:                               ; =>This Inner Loop Header: Depth=1
	s_load_b32 s10, s[6:7], 0x0
	s_cmp_ge_u32 s4, s24
	s_cbranch_scc1 .LBB3_37
; %bb.39:                               ;   in Loop: Header=BB3_38 Depth=1
	s_load_b32 s11, s[8:9], 0x0
	s_wait_kmcnt 0x0
	s_add_co_i32 s17, s10, s17
	s_add_co_i32 s16, s11, s16
	s_branch .LBB3_37
.LBB3_40:
	s_endpgm
	.section	.rodata,"a",@progbits
	.p2align	6, 0x0
	.amdhsa_kernel _ZN2at6native6mbtopk10gatherTopKIhjLi1EEEvNS_4cuda6detail10TensorInfoIKT_T0_EES8_S8_bjS8_NS5_IS6_S8_EES8_NS5_IlS8_EES8_jjPS6_PjSD_j
		.amdhsa_group_segment_fixed_size 1068
		.amdhsa_private_segment_fixed_size 0
		.amdhsa_kernarg_size 984
		.amdhsa_user_sgpr_count 2
		.amdhsa_user_sgpr_dispatch_ptr 0
		.amdhsa_user_sgpr_queue_ptr 0
		.amdhsa_user_sgpr_kernarg_segment_ptr 1
		.amdhsa_user_sgpr_dispatch_id 0
		.amdhsa_user_sgpr_kernarg_preload_length 0
		.amdhsa_user_sgpr_kernarg_preload_offset 0
		.amdhsa_user_sgpr_private_segment_size 0
		.amdhsa_wavefront_size32 1
		.amdhsa_uses_dynamic_stack 0
		.amdhsa_enable_private_segment 0
		.amdhsa_system_sgpr_workgroup_id_x 1
		.amdhsa_system_sgpr_workgroup_id_y 1
		.amdhsa_system_sgpr_workgroup_id_z 1
		.amdhsa_system_sgpr_workgroup_info 0
		.amdhsa_system_vgpr_workitem_id 0
		.amdhsa_next_free_vgpr 26
		.amdhsa_next_free_sgpr 28
		.amdhsa_named_barrier_count 0
		.amdhsa_reserve_vcc 1
		.amdhsa_float_round_mode_32 0
		.amdhsa_float_round_mode_16_64 0
		.amdhsa_float_denorm_mode_32 3
		.amdhsa_float_denorm_mode_16_64 3
		.amdhsa_fp16_overflow 0
		.amdhsa_memory_ordered 1
		.amdhsa_forward_progress 1
		.amdhsa_inst_pref_size 19
		.amdhsa_round_robin_scheduling 0
		.amdhsa_exception_fp_ieee_invalid_op 0
		.amdhsa_exception_fp_denorm_src 0
		.amdhsa_exception_fp_ieee_div_zero 0
		.amdhsa_exception_fp_ieee_overflow 0
		.amdhsa_exception_fp_ieee_underflow 0
		.amdhsa_exception_fp_ieee_inexact 0
		.amdhsa_exception_int_div_zero 0
	.end_amdhsa_kernel
	.section	.text._ZN2at6native6mbtopk10gatherTopKIhjLi1EEEvNS_4cuda6detail10TensorInfoIKT_T0_EES8_S8_bjS8_NS5_IS6_S8_EES8_NS5_IlS8_EES8_jjPS6_PjSD_j,"axG",@progbits,_ZN2at6native6mbtopk10gatherTopKIhjLi1EEEvNS_4cuda6detail10TensorInfoIKT_T0_EES8_S8_bjS8_NS5_IS6_S8_EES8_NS5_IlS8_EES8_jjPS6_PjSD_j,comdat
.Lfunc_end3:
	.size	_ZN2at6native6mbtopk10gatherTopKIhjLi1EEEvNS_4cuda6detail10TensorInfoIKT_T0_EES8_S8_bjS8_NS5_IS6_S8_EES8_NS5_IlS8_EES8_jjPS6_PjSD_j, .Lfunc_end3-_ZN2at6native6mbtopk10gatherTopKIhjLi1EEEvNS_4cuda6detail10TensorInfoIKT_T0_EES8_S8_bjS8_NS5_IS6_S8_EES8_NS5_IlS8_EES8_jjPS6_PjSD_j
                                        ; -- End function
	.set _ZN2at6native6mbtopk10gatherTopKIhjLi1EEEvNS_4cuda6detail10TensorInfoIKT_T0_EES8_S8_bjS8_NS5_IS6_S8_EES8_NS5_IlS8_EES8_jjPS6_PjSD_j.num_vgpr, 26
	.set _ZN2at6native6mbtopk10gatherTopKIhjLi1EEEvNS_4cuda6detail10TensorInfoIKT_T0_EES8_S8_bjS8_NS5_IS6_S8_EES8_NS5_IlS8_EES8_jjPS6_PjSD_j.num_agpr, 0
	.set _ZN2at6native6mbtopk10gatherTopKIhjLi1EEEvNS_4cuda6detail10TensorInfoIKT_T0_EES8_S8_bjS8_NS5_IS6_S8_EES8_NS5_IlS8_EES8_jjPS6_PjSD_j.numbered_sgpr, 28
	.set _ZN2at6native6mbtopk10gatherTopKIhjLi1EEEvNS_4cuda6detail10TensorInfoIKT_T0_EES8_S8_bjS8_NS5_IS6_S8_EES8_NS5_IlS8_EES8_jjPS6_PjSD_j.num_named_barrier, 0
	.set _ZN2at6native6mbtopk10gatherTopKIhjLi1EEEvNS_4cuda6detail10TensorInfoIKT_T0_EES8_S8_bjS8_NS5_IS6_S8_EES8_NS5_IlS8_EES8_jjPS6_PjSD_j.private_seg_size, 0
	.set _ZN2at6native6mbtopk10gatherTopKIhjLi1EEEvNS_4cuda6detail10TensorInfoIKT_T0_EES8_S8_bjS8_NS5_IS6_S8_EES8_NS5_IlS8_EES8_jjPS6_PjSD_j.uses_vcc, 1
	.set _ZN2at6native6mbtopk10gatherTopKIhjLi1EEEvNS_4cuda6detail10TensorInfoIKT_T0_EES8_S8_bjS8_NS5_IS6_S8_EES8_NS5_IlS8_EES8_jjPS6_PjSD_j.uses_flat_scratch, 0
	.set _ZN2at6native6mbtopk10gatherTopKIhjLi1EEEvNS_4cuda6detail10TensorInfoIKT_T0_EES8_S8_bjS8_NS5_IS6_S8_EES8_NS5_IlS8_EES8_jjPS6_PjSD_j.has_dyn_sized_stack, 0
	.set _ZN2at6native6mbtopk10gatherTopKIhjLi1EEEvNS_4cuda6detail10TensorInfoIKT_T0_EES8_S8_bjS8_NS5_IS6_S8_EES8_NS5_IlS8_EES8_jjPS6_PjSD_j.has_recursion, 0
	.set _ZN2at6native6mbtopk10gatherTopKIhjLi1EEEvNS_4cuda6detail10TensorInfoIKT_T0_EES8_S8_bjS8_NS5_IS6_S8_EES8_NS5_IlS8_EES8_jjPS6_PjSD_j.has_indirect_call, 0
	.section	.AMDGPU.csdata,"",@progbits
; Kernel info:
; codeLenInByte = 2396
; TotalNumSgprs: 30
; NumVgprs: 26
; ScratchSize: 0
; MemoryBound: 0
; FloatMode: 240
; IeeeMode: 1
; LDSByteSize: 1068 bytes/workgroup (compile time only)
; SGPRBlocks: 0
; VGPRBlocks: 1
; NumSGPRsForWavesPerEU: 30
; NumVGPRsForWavesPerEU: 26
; NamedBarCnt: 0
; Occupancy: 16
; WaveLimiterHint : 1
; COMPUTE_PGM_RSRC2:SCRATCH_EN: 0
; COMPUTE_PGM_RSRC2:USER_SGPR: 2
; COMPUTE_PGM_RSRC2:TRAP_HANDLER: 0
; COMPUTE_PGM_RSRC2:TGID_X_EN: 1
; COMPUTE_PGM_RSRC2:TGID_Y_EN: 1
; COMPUTE_PGM_RSRC2:TGID_Z_EN: 1
; COMPUTE_PGM_RSRC2:TIDIG_COMP_CNT: 0
	.section	.text._ZN2at6native6sbtopk10gatherTopKIhjLi1ELb0EEEvNS_4cuda6detail10TensorInfoIKT_T0_EES8_S8_bS8_S8_NS5_IS6_S8_EES8_NS5_IlS8_EES8_PS6_,"axG",@progbits,_ZN2at6native6sbtopk10gatherTopKIhjLi1ELb0EEEvNS_4cuda6detail10TensorInfoIKT_T0_EES8_S8_bS8_S8_NS5_IS6_S8_EES8_NS5_IlS8_EES8_PS6_,comdat
	.protected	_ZN2at6native6sbtopk10gatherTopKIhjLi1ELb0EEEvNS_4cuda6detail10TensorInfoIKT_T0_EES8_S8_bS8_S8_NS5_IS6_S8_EES8_NS5_IlS8_EES8_PS6_ ; -- Begin function _ZN2at6native6sbtopk10gatherTopKIhjLi1ELb0EEEvNS_4cuda6detail10TensorInfoIKT_T0_EES8_S8_bS8_S8_NS5_IS6_S8_EES8_NS5_IlS8_EES8_PS6_
	.globl	_ZN2at6native6sbtopk10gatherTopKIhjLi1ELb0EEEvNS_4cuda6detail10TensorInfoIKT_T0_EES8_S8_bS8_S8_NS5_IS6_S8_EES8_NS5_IlS8_EES8_PS6_
	.p2align	8
	.type	_ZN2at6native6sbtopk10gatherTopKIhjLi1ELb0EEEvNS_4cuda6detail10TensorInfoIKT_T0_EES8_S8_bS8_S8_NS5_IS6_S8_EES8_NS5_IlS8_EES8_PS6_,@function
_ZN2at6native6sbtopk10gatherTopKIhjLi1ELb0EEEvNS_4cuda6detail10TensorInfoIKT_T0_EES8_S8_bS8_S8_NS5_IS6_S8_EES8_NS5_IlS8_EES8_PS6_: ; @_ZN2at6native6sbtopk10gatherTopKIhjLi1ELb0EEEvNS_4cuda6detail10TensorInfoIKT_T0_EES8_S8_bS8_S8_NS5_IS6_S8_EES8_NS5_IlS8_EES8_PS6_
; %bb.0:
	s_clause 0x1
	s_load_b128 s[36:39], s[0:1], 0xd8
	s_load_b64 s[8:9], s[0:1], 0x2b8
	s_bfe_u32 s2, ttmp6, 0x40010
	s_and_b32 s3, ttmp7, 0xffff
	s_add_co_i32 s2, s2, 1
	s_bfe_u32 s5, ttmp6, 0x4000c
	s_mul_i32 s2, s3, s2
	s_bfe_u32 s4, ttmp6, 0x40004
	s_add_co_i32 s5, s5, 1
	s_bfe_u32 s6, ttmp6, 0x40014
	s_add_co_i32 s4, s4, s2
	s_and_b32 s2, ttmp6, 15
	s_mul_i32 s5, ttmp9, s5
	s_lshr_b32 s7, ttmp7, 16
	s_add_co_i32 s6, s6, 1
	s_add_co_i32 s2, s2, s5
	s_mul_i32 s5, s7, s6
	s_bfe_u32 s6, ttmp6, 0x40008
	s_getreg_b32 s10, hwreg(HW_REG_IB_STS2, 6, 4)
	s_add_co_i32 s6, s6, s5
	s_cmp_eq_u32 s10, 0
	s_cselect_b32 s5, s7, s6
	s_cselect_b32 s3, s3, s4
	s_wait_kmcnt 0x0
	s_mul_i32 s5, s9, s5
	s_cselect_b32 s7, ttmp9, s2
	s_add_co_i32 s2, s5, s3
	s_delay_alu instid0(SALU_CYCLE_1) | instskip(NEXT) | instid1(SALU_CYCLE_1)
	s_mul_i32 s54, s2, s8
	s_add_co_i32 s54, s54, s7
	s_delay_alu instid0(SALU_CYCLE_1)
	s_cmp_ge_u32 s54, s39
	s_cbranch_scc1 .LBB4_412
; %bb.1:
	s_clause 0x2
	s_load_b32 s52, s[0:1], 0xe8
	s_load_b32 s4, s[0:1], 0x6c
	s_load_b64 s[2:3], s[0:1], 0x0
	v_cmp_eq_u32_e64 s5, 0, v0
	s_add_nc_u64 s[14:15], s[0:1], 0x2b8
	s_and_saveexec_b32 s6, s5
; %bb.2:
	v_dual_mov_b32 v2, 0 :: v_dual_mov_b32 v3, s36
	s_delay_alu instid0(VALU_DEP_1)
	v_mov_b32_e32 v4, v2
	ds_store_b96 v2, v[2:4] offset:4096
; %bb.3:
	s_or_b32 exec_lo, exec_lo, s6
	s_wait_dscnt 0x0
	s_barrier_signal -1
	s_barrier_wait -1
	s_load_b32 s9, s[14:15], 0xc
	s_clause 0x3
	s_load_b32 s55, s[0:1], 0x23c
	s_load_b64 s[40:41], s[0:1], 0x1d0
	s_load_b32 s56, s[0:1], 0x15c
	s_load_b64 s[42:43], s[0:1], 0xf0
	v_mbcnt_lo_u32_b32 v19, -1, 0
	s_wait_kmcnt 0x0
	s_mul_i32 s44, s4, s54
	s_mov_b32 s45, 0
	v_add_max_u32_e64 v4, v0, 2, s36
	s_bitcmp1_b32 s38, 0
	v_cmp_gt_u32_e32 vcc_lo, 32, v0
	s_add_nc_u64 s[38:39], s[2:3], s[44:45]
	v_cmp_gt_i32_e64 s2, 4, v19
	s_cselect_b32 s4, -1, 0
	v_lshlrev_b64_e64 v[2:3], v19, -1
	v_xad_u32 v3, v0, -1, v4
	s_xor_b32 s57, s4, -1
	s_and_b32 s59, vcc_lo, s2
	v_mul_lo_u32 v22, s52, v0
	v_dual_lshlrev_b32 v1, 2, v0 :: v_dual_mov_b32 v25, 0
	s_and_b32 s35, s9, 0xffff
	v_add_nc_u32_e32 v4, -8, v3
	s_lshl_b32 s58, s35, 2
	s_cmp_gt_u32 s36, 0xc00
	v_mov_b32_e32 v23, v25
	s_cselect_b32 s60, -1, 0
	s_cmp_gt_u32 s35, 31
	v_not_b32_e32 v18, v2
	s_cselect_b32 s61, -1, 0
	s_add_co_i32 s62, s35, -1
	v_lshrrev_b32_e32 v2, 1, v0
	s_add_co_i32 s13, s62, s36
	s_cmp_lt_u32 s7, s8
	v_dual_lshrrev_b32 v5, 3, v4 :: v_dual_bitop2_b32 v28, -8, v3 bitop3:0x40
	s_cselect_b32 s44, 12, 18
	s_bfe_u32 s63, s9, 0xb0005
	s_cvt_f32_u32 s9, s58
	s_movk_i32 s7, 0x1f0
	s_add_co_i32 s8, s63, -2
	v_add_nc_u64_e32 v[20:21], s[38:39], v[22:23]
	v_and_or_b32 v23, v2, s7, 0xc00
	v_add_nc_u32_e32 v2, 1, v5
	v_rcp_iflag_f32_e32 v5, s9
	s_lshr_b32 s7, s8, 1
	v_add_nc_u32_e32 v29, v0, v28
	s_add_co_i32 s10, s7, 1
	s_cmp_gt_u32 s35, 63
	v_and_b32_e32 v31, 0x3ffffffe, v2
	s_cselect_b32 s64, -1, 0
	s_and_b32 s65, s63, 0x7fe
	s_and_b32 s66, s10, 7
	s_cmp_gt_u32 s8, 13
	v_readfirstlane_b32 s8, v5
	s_cselect_b32 s67, -1, 0
	s_and_b32 s68, s10, -8
	s_cmp_lg_u32 s66, 0
	s_cvt_f32_u32 s10, s35
	s_mul_f32 s8, s8, 0x4f7ffffe
	s_cselect_b32 s70, -1, 0
	s_cmp_lg_u32 s65, s63
	v_rcp_iflag_f32_e32 v5, s10
	s_cvt_u32_f32 s8, s8
	s_cselect_b32 s71, -1, 0
	s_sub_co_i32 s9, 0, s58
	v_add3_u32 v2, s35, s36, v0
	s_mul_i32 s9, s9, s8
	v_lshlrev_b32_e32 v36, 2, v22
	s_mul_hi_u32 s9, s8, s9
	v_cmp_lt_u32_e64 s7, 31, v3
	s_add_co_i32 s46, s8, s9
	v_readfirstlane_b32 s9, v5
	s_mul_hi_u32 s8, s36, s46
	v_mad_u32 v33, s52, v1, s52
	s_mul_i32 s8, s8, s58
	v_cmp_eq_u32_e64 s2, 0, v19
	s_sub_co_i32 s8, s36, s8
	s_mul_f32 s9, s9, 0x4f7ffffe
	s_sub_co_i32 s10, s8, s58
	s_cmp_ge_u32 s8, s58
	v_cmp_gt_u32_e64 s3, s36, v0
	s_cselect_b32 s10, s10, s8
	s_cvt_u32_f32 s9, s9
	s_sub_co_i32 s11, s10, s58
	s_cmp_ge_u32 s10, s58
	v_cmp_lt_u32_e64 s8, 7, v4
	s_cselect_b32 s16, s11, s10
	s_sub_co_i32 s10, 0, s35
	s_sub_co_i32 s78, s36, s16
	s_mul_i32 s10, s10, s9
	v_and_b32_e32 v4, 8, v4
	s_mul_hi_u32 s10, s9, s10
	v_add_nc_u32_e32 v30, s78, v0
	s_add_co_i32 s48, s9, s10
	v_subrev_nc_u32_e32 v2, s16, v2
	s_mul_hi_u32 s10, s13, s48
	v_cmp_eq_u32_e64 s9, 0, v4
	s_mul_i32 s10, s10, s35
	v_or_b32_e32 v4, 3, v1
	s_sub_co_i32 s11, s13, s10
	v_mul_lo_u32 v24, v30, s52
	s_sub_co_i32 s12, s11, s35
	v_cmp_ne_u32_e64 s10, v3, v28
	s_cmp_ge_u32 s11, s35
	v_or_b32_e32 v3, 2, v1
	s_cselect_b32 s17, s12, s11
	v_mul_lo_u32 v35, s52, v4
	s_sub_co_i32 s18, s17, s35
	s_cmp_ge_u32 s17, s35
	v_mul_lo_u32 v34, s52, v3
	v_mul_lo_u32 v37, s52, v2
	s_cselect_b32 s17, s18, s17
	v_add_nc_u64_e32 v[26:27], s[38:39], v[24:25]
	s_sub_co_i32 s79, s13, s17
	v_cmp_gt_u32_e64 s6, 2, v0
	v_cmp_gt_u32_e64 s11, s78, v1
	;; [unrolled: 1-line block ×4, first 2 shown]
	v_lshl_or_b32 v38, v19, 2, 0xc00
	v_dual_mov_b32 v41, s37 :: v_dual_mov_b32 v40, 0
	v_dual_mov_b32 v32, 0 :: v_dual_mov_b32 v39, 0
	s_mul_i32 s53, s52, s35
	s_mov_b32 s69, s52
	s_mov_b32 s72, s52
	;; [unrolled: 1-line block ×9, first 2 shown]
	s_lshl_b32 s80, s53, 2
	s_mov_b32 s81, 6
	s_add_nc_u64 s[50:51], s[14:15], s[44:45]
	s_mov_b32 s82, 0
	s_mov_b32 s84, 0
                                        ; implicit-def: $sgpr83
                                        ; implicit-def: $sgpr87
                                        ; implicit-def: $sgpr86
                                        ; implicit-def: $sgpr88
                                        ; implicit-def: $sgpr85
                                        ; implicit-def: $sgpr92
                                        ; implicit-def: $sgpr93
                                        ; implicit-def: $sgpr89
                                        ; implicit-def: $sgpr91
                                        ; implicit-def: $sgpr90
	s_branch .LBB4_6
.LBB4_4:                                ;   in Loop: Header=BB4_6 Depth=1
	s_or_b32 exec_lo, exec_lo, s17
	v_mov_b32_e32 v41, v5
	s_and_not1_b32 s17, s90, exec_lo
	s_and_b32 s16, s16, exec_lo
	s_and_not1_b32 s91, s91, exec_lo
	s_or_b32 s90, s17, s16
	s_and_not1_b32 s89, s89, exec_lo
	s_and_not1_b32 s93, s93, exec_lo
	;; [unrolled: 1-line block ×3, first 2 shown]
	s_or_not1_b32 s17, s15, exec_lo
.LBB4_5:                                ;   in Loop: Header=BB4_6 Depth=1
	s_or_b32 exec_lo, exec_lo, s14
	s_delay_alu instid0(SALU_CYCLE_1) | instskip(NEXT) | instid1(SALU_CYCLE_1)
	s_and_b32 s14, exec_lo, s17
	s_or_b32 s82, s14, s82
	s_and_not1_b32 s14, s85, exec_lo
	s_and_b32 s15, s90, exec_lo
	s_and_not1_b32 s16, s88, exec_lo
	s_or_b32 s85, s14, s15
	s_and_b32 s14, s91, exec_lo
	s_and_not1_b32 s15, s86, exec_lo
	s_and_b32 s17, s89, exec_lo
	s_or_b32 s88, s16, s14
	s_or_b32 s86, s15, s17
	s_and_not1_b32 s14, s87, exec_lo
	s_and_b32 s15, s93, exec_lo
	s_and_not1_b32 s16, s83, exec_lo
	s_and_b32 s17, s92, exec_lo
	s_or_b32 s87, s14, s15
	s_or_b32 s83, s16, s17
	s_and_not1_b32 exec_lo, exec_lo, s82
	s_cbranch_execz .LBB4_408
.LBB4_6:                                ; =>This Loop Header: Depth=1
                                        ;     Child Loop BB4_11 Depth 2
                                        ;     Child Loop BB4_32 Depth 2
	;; [unrolled: 1-line block ×26, first 2 shown]
	ds_load_b64 v[2:3], v25 offset:4096
	s_wait_dscnt 0x0
	v_readfirstlane_b32 s44, v2
	s_cmp_lg_u32 s44, 0
	s_cbranch_scc1 .LBB4_49
; %bb.7:                                ;   in Loop: Header=BB4_6 Depth=1
	s_and_b32 vcc_lo, exec_lo, s60
	s_cbranch_vccz .LBB4_19
; %bb.8:                                ;   in Loop: Header=BB4_6 Depth=1
	v_cmp_gt_u32_e32 vcc_lo, 0xc01, v3
	s_mov_b32 s16, 0
	s_mov_b32 s14, 0
	s_cbranch_vccz .LBB4_20
; %bb.9:                                ;   in Loop: Header=BB4_6 Depth=1
	global_load_u8 v3, v[20:21], off
	s_load_u16 s17, s[50:51], 0x0
	s_mov_b32 s18, 0
	s_wait_kmcnt 0x0
	v_dual_mov_b32 v4, v0 :: v_dual_add_nc_u32 v2, s17, v0
	s_mul_i32 s19, s52, s17
	s_delay_alu instid0(VALU_DEP_1)
	v_mul_lo_u32 v2, s52, v2
	s_branch .LBB4_11
.LBB4_10:                               ;   in Loop: Header=BB4_11 Depth=2
	s_or_b32 exec_lo, exec_lo, s15
	v_dual_mov_b32 v3, v5 :: v_dual_add_nc_u32 v2, s19, v2
	s_and_not1_b32 exec_lo, exec_lo, s18
	s_cbranch_execz .LBB4_26
.LBB4_11:                               ;   Parent Loop BB4_6 Depth=1
                                        ; =>  This Inner Loop Header: Depth=2
	s_wait_dscnt 0x0
	v_dual_add_nc_u32 v4, s17, v4 :: v_dual_mov_b32 v6, 0
	v_mov_b32_e32 v5, 0
	s_mov_b32 s15, exec_lo
	s_delay_alu instid0(VALU_DEP_2)
	v_cmp_le_u32_e32 vcc_lo, s36, v4
	v_cmpx_gt_u32_e64 s36, v4
	s_cbranch_execz .LBB4_13
; %bb.12:                               ;   in Loop: Header=BB4_11 Depth=2
	global_load_u8 v5, v2, s[38:39]
.LBB4_13:                               ;   in Loop: Header=BB4_11 Depth=2
	s_wait_xcnt 0x0
	s_or_b32 exec_lo, exec_lo, s15
	s_wait_loadcnt 0x0
	v_bitop3_b32 v7, v3, 0xff, v39 bitop3:0x80
	s_delay_alu instid0(VALU_DEP_1) | instskip(SKIP_2) | instid1(SALU_CYCLE_1)
	v_cmp_eq_u32_e64 s14, v7, v32
	s_cmp_lg_u32 s14, 0
	s_cselect_b32 s15, -1, 0
	s_and_b32 s15, s2, s15
	s_delay_alu instid0(SALU_CYCLE_1)
	s_and_saveexec_b32 s20, s15
	s_cbranch_execz .LBB4_17
; %bb.14:                               ;   in Loop: Header=BB4_11 Depth=2
	s_mov_b32 s23, exec_lo
	s_bcnt1_i32_b32 s21, s14
	v_mbcnt_lo_u32_b32 v6, s23, 0
	s_mov_b32 s22, exec_lo
                                        ; implicit-def: $vgpr7
	s_delay_alu instid0(VALU_DEP_1)
	v_cmpx_eq_u32_e32 0, v6
; %bb.15:                               ;   in Loop: Header=BB4_11 Depth=2
	s_bcnt1_i32_b32 s15, s23
	s_delay_alu instid0(SALU_CYCLE_1) | instskip(NEXT) | instid1(SALU_CYCLE_1)
	s_mul_i32 s15, s21, s15
	v_mov_b32_e32 v7, s15
	ds_add_rtn_u32 v7, v25, v7 offset:4104
; %bb.16:                               ;   in Loop: Header=BB4_11 Depth=2
	s_or_b32 exec_lo, exec_lo, s22
	s_wait_dscnt 0x0
	v_readfirstlane_b32 s15, v7
	s_delay_alu instid0(VALU_DEP_1)
	v_mad_u32_u24 v6, s21, v6, s15
.LBB4_17:                               ;   in Loop: Header=BB4_11 Depth=2
	s_or_b32 exec_lo, exec_lo, s20
	ds_bpermute_b32 v6, v25, v6
	s_and_b32 s15, exec_lo, vcc_lo
	s_delay_alu instid0(SALU_CYCLE_1)
	s_or_b32 s18, s15, s18
	s_and_saveexec_b32 s15, s14
	s_cbranch_execz .LBB4_10
; %bb.18:                               ;   in Loop: Header=BB4_11 Depth=2
	v_and_b32_e32 v7, s14, v18
	s_wait_dscnt 0x0
	s_delay_alu instid0(VALU_DEP_1)
	v_bcnt_u32_b32 v6, v7, v6
	ds_store_b8 v6, v3
	s_branch .LBB4_10
.LBB4_19:                               ;   in Loop: Header=BB4_6 Depth=1
	s_mov_b32 s16, -1
	s_mov_b32 s14, 0
.LBB4_20:                               ;   in Loop: Header=BB4_6 Depth=1
	s_and_b32 vcc_lo, exec_lo, s16
	s_cbranch_vccz .LBB4_47
.LBB4_21:                               ;   in Loop: Header=BB4_6 Depth=1
	s_and_saveexec_b32 s15, s3
	s_cbranch_execz .LBB4_44
; %bb.22:                               ;   in Loop: Header=BB4_6 Depth=1
	global_load_u8 v24, v[20:21], off
	s_load_u16 s17, s[50:51], 0x0
	s_mov_b32 s16, exec_lo
	s_wait_kmcnt 0x0
	v_dual_mov_b32 v3, v0 :: v_dual_add_nc_u32 v2, s17, v0
	s_delay_alu instid0(VALU_DEP_1)
	v_cmpx_gt_u32_e64 s36, v2
	s_cbranch_execz .LBB4_43
; %bb.23:                               ;   in Loop: Header=BB4_6 Depth=1
	s_mov_b32 s14, 0
	s_mul_i32 s18, s52, s17
                                        ; implicit-def: $vgpr3
                                        ; implicit-def: $vgpr4
                                        ; implicit-def: $vgpr5
	s_and_saveexec_b32 s19, s7
	s_delay_alu instid0(SALU_CYCLE_1)
	s_xor_b32 s19, exec_lo, s19
	s_cbranch_execnz .LBB4_29
; %bb.24:                               ;   in Loop: Header=BB4_6 Depth=1
	s_and_not1_saveexec_b32 s19, s19
	s_cbranch_execnz .LBB4_38
.LBB4_25:                               ;   in Loop: Header=BB4_6 Depth=1
	s_or_b32 exec_lo, exec_lo, s19
	s_and_saveexec_b32 s18, s14
	s_cbranch_execnz .LBB4_39
	s_branch .LBB4_42
.LBB4_26:                               ;   in Loop: Header=BB4_6 Depth=1
	s_or_b32 exec_lo, exec_lo, s18
	s_wait_dscnt 0x0
	s_barrier_signal -1
	s_barrier_wait -1
	s_and_saveexec_b32 s14, s5
	s_cbranch_execz .LBB4_28
; %bb.27:                               ;   in Loop: Header=BB4_6 Depth=1
	ds_load_b32 v2, v25 offset:4104
	s_wait_dscnt 0x0
	ds_store_b32 v25, v2 offset:4096
.LBB4_28:                               ;   in Loop: Header=BB4_6 Depth=1
	s_or_b32 exec_lo, exec_lo, s14
	s_wait_dscnt 0x0
	s_barrier_signal -1
	s_mov_b32 s14, -1
	s_barrier_wait -1
	s_and_b32 vcc_lo, exec_lo, s16
	s_cbranch_vccnz .LBB4_21
	s_branch .LBB4_47
.LBB4_29:                               ;   in Loop: Header=BB4_6 Depth=1
	s_cvt_f32_u32 s14, s17
	v_add_max_u32_e64 v3, v2, s17, s36
	s_delay_alu instid0(SALU_CYCLE_2) | instskip(SKIP_1) | instid1(VALU_DEP_1)
	v_rcp_iflag_f32_e32 v4, s14
	s_lshl_b32 s14, s17, 1
	v_sub_nc_u32_e32 v3, v3, v0
	s_delay_alu instid0(VALU_DEP_1) | instskip(NEXT) | instid1(TRANS32_DEP_1)
	v_cmp_ne_u32_e32 vcc_lo, s14, v3
	v_readfirstlane_b32 s20, v4
	v_cndmask_b32_e64 v4, 0, 1, vcc_lo
	s_mul_f32 s20, s20, 0x4f7ffffe
	s_delay_alu instid0(VALU_DEP_1) | instskip(NEXT) | instid1(SALU_CYCLE_2)
	v_or_b32_e32 v4, s14, v4
	s_cvt_u32_f32 s14, s20
	s_sub_co_i32 s20, 0, s17
	s_delay_alu instid0(SALU_CYCLE_2) | instskip(NEXT) | instid1(VALU_DEP_1)
	s_mul_i32 s20, s20, s14
	v_sub_nc_u32_e32 v3, v3, v4
	s_mul_hi_u32 s20, s14, s20
	s_delay_alu instid0(SALU_CYCLE_1)
	s_add_co_i32 s14, s14, s20
	s_delay_alu instid0(VALU_DEP_1) | instid1(SALU_CYCLE_1)
	v_mul_hi_u32 v4, v3, s14
	s_delay_alu instid0(VALU_DEP_1) | instskip(NEXT) | instid1(VALU_DEP_1)
	v_mul_lo_u32 v5, v4, s17
	v_dual_sub_nc_u32 v3, v3, v5 :: v_dual_add_nc_u32 v5, 1, v4
	s_delay_alu instid0(VALU_DEP_1) | instskip(SKIP_1) | instid1(VALU_DEP_1)
	v_subrev_nc_u32_e32 v6, s17, v3
	v_cmp_le_u32_e64 s14, s17, v3
	v_dual_cndmask_b32 v4, v4, v5, s14 :: v_dual_cndmask_b32 v3, v3, v6, s14
	s_delay_alu instid0(VALU_DEP_1) | instskip(NEXT) | instid1(VALU_DEP_2)
	v_add_nc_u32_e32 v5, 1, v4
	v_cmp_le_u32_e64 s14, s17, v3
	s_delay_alu instid0(VALU_DEP_1) | instskip(SKIP_2) | instid1(VALU_DEP_2)
	v_cndmask_b32_e64 v3, v4, v5, s14
	v_mul_lo_u32 v4, s52, v2
	s_abs_i32 s14, s18
	v_add_co_ci_u32_e64 v3, null, 0, v3, vcc_lo
	s_delay_alu instid0(VALU_DEP_1) | instskip(SKIP_2) | instid1(SALU_CYCLE_1)
	v_mul_hi_u32 v5, s14, v3
	v_mul_lo_u32 v3, s14, v3
	s_not_b32 s14, s18
	s_ashr_i32 s14, s14, 31
	s_cmp_eq_u32 s17, 1
	s_delay_alu instid0(VALU_DEP_4) | instskip(SKIP_1) | instid1(VALU_DEP_3)
	v_xor_b32_e32 v4, s14, v4
	s_cselect_b32 s20, -1, 0
	v_cmp_eq_u32_e32 vcc_lo, 0, v5
	s_delay_alu instid0(VALU_DEP_2) | instskip(SKIP_2) | instid1(SALU_CYCLE_1)
	v_cmp_le_u32_e64 s14, v3, v4
	v_mov_b32_e32 v4, v0
                                        ; implicit-def: $vgpr3
	s_and_b32 s20, vcc_lo, s20
	s_and_b32 s21, s20, s14
	s_mov_b32 s20, -1
	s_and_saveexec_b32 s14, s21
	s_cbranch_execz .LBB4_37
; %bb.30:                               ;   in Loop: Header=BB4_6 Depth=1
	v_dual_add_nc_u32 v9, 7, v2 :: v_dual_add_nc_u32 v8, 6, v2
	v_dual_add_nc_u32 v7, 5, v2 :: v_dual_add_nc_u32 v6, 4, v2
	;; [unrolled: 1-line block ×3, first 2 shown]
	s_wait_loadcnt 0x0
	v_dual_add_nc_u32 v3, 1, v2 :: v_dual_lshlrev_b32 v42, 24, v24
	v_mov_b64_e32 v[16:17], v[8:9]
	v_mov_b64_e32 v[14:15], v[6:7]
	;; [unrolled: 1-line block ×3, first 2 shown]
	s_delay_alu instid0(VALU_DEP_4)
	v_mov_b64_e32 v[10:11], v[2:3]
	v_mov_b32_e32 v44, 0
                                        ; implicit-def: $vgpr24
	s_and_saveexec_b32 s20, s8
	s_cbranch_execz .LBB4_34
; %bb.31:                               ;   in Loop: Header=BB4_6 Depth=1
	v_mov_b64_e32 v[16:17], v[8:9]
	v_mov_b64_e32 v[14:15], v[6:7]
	;; [unrolled: 1-line block ×4, first 2 shown]
	v_mov_b32_e32 v43, v31
	s_mov_b32 s21, 0
	s_mov_b32 s22, 0
.LBB4_32:                               ;   Parent Loop BB4_6 Depth=1
                                        ; =>  This Inner Loop Header: Depth=2
	s_delay_alu instid0(VALU_DEP_2)
	v_mul_lo_u32 v24, v10, s52
	v_dual_mov_b32 v53, v25 :: v_dual_add_nc_u32 v64, 8, v17
	v_dual_add_nc_u32 v56, 8, v13 :: v_dual_add_nc_u32 v58, 8, v14
	v_dual_add_nc_u32 v60, 8, v15 :: v_dual_add_nc_u32 v62, 8, v16
	v_mul_lo_u32 v44, v14, s74
	v_mul_lo_u32 v6, v16, s76
	v_dual_add_nc_u32 v52, 8, v11 :: v_dual_add_nc_u32 v54, 8, v12
	v_mul_lo_u32 v64, v64, s77
	v_mul_lo_u32 v4, v17, s77
	v_dual_mov_b32 v5, v25 :: v_dual_add_nc_u32 v3, 8, v10
	v_mul_lo_u32 v56, v56, s73
	v_mul_lo_u32 v8, v15, s75
	;; [unrolled: 1-line block ×8, first 2 shown]
	v_dual_mov_b32 v47, v25 :: v_dual_mov_b32 v45, v25
	v_mul_lo_u32 v54, v54, s72
	v_dual_mov_b32 v9, v25 :: v_dual_mov_b32 v7, v25
	v_dual_mov_b32 v63, v25 :: v_dual_mov_b32 v65, v25
	v_add_nc_u64_e32 v[66:67], s[38:39], v[24:25]
	v_mul_lo_u32 v24, v3, s52
	v_dual_mov_b32 v55, v25 :: v_dual_mov_b32 v57, v25
	v_mul_lo_u32 v52, v52, s69
	v_dual_mov_b32 v59, v25 :: v_dual_mov_b32 v61, v25
	v_dual_mov_b32 v51, v25 :: v_dual_mov_b32 v49, v25
	v_add_nc_u64_e32 v[44:45], s[38:39], v[44:45]
	v_add_nc_u64_e32 v[6:7], s[38:39], v[6:7]
	;; [unrolled: 1-line block ×13, first 2 shown]
	s_clause 0x7
	global_load_u8 v3, v[44:45], off
	global_load_u8 v6, v[6:7], off
	;; [unrolled: 1-line block ×8, first 2 shown]
	v_add_nc_u64_e32 v[4:5], s[38:39], v[24:25]
	v_add_nc_u64_e32 v[52:53], s[38:39], v[52:53]
	s_clause 0x7
	global_load_u8 v24, v[64:65], off
	global_load_u8 v48, v[56:57], off
	;; [unrolled: 1-line block ×8, first 2 shown]
	v_dual_add_nc_u32 v43, -2, v43 :: v_dual_add_nc_u32 v12, 16, v12
	s_wait_xcnt 0x0
	v_dual_add_nc_u32 v52, s22, v0 :: v_dual_add_nc_u32 v17, 16, v17
	s_add_co_i32 s22, s22, 16
	s_delay_alu instid0(VALU_DEP_2)
	v_cmp_eq_u32_e32 vcc_lo, 0, v43
	v_dual_add_nc_u32 v16, 16, v16 :: v_dual_add_nc_u32 v15, 16, v15
	v_dual_add_nc_u32 v14, 16, v14 :: v_dual_add_nc_u32 v13, 16, v13
	;; [unrolled: 1-line block ×3, first 2 shown]
	v_mov_b32_e32 v44, s22
	s_or_b32 s21, vcc_lo, s21
	s_wait_loadcnt 0xc
	v_perm_b32 v6, v8, v6, 0xc0c0004
	s_wait_loadcnt 0xb
	v_perm_b32 v3, v9, v3, 0xc0c0004
	s_wait_loadcnt 0x9
	v_perm_b32 v8, v46, v45, 0xc0c0004
	s_wait_loadcnt 0x8
	v_perm_b32 v9, v42, v47, 0xc0c0007
	s_wait_loadcnt 0x5
	v_perm_b32 v42, v48, v49, 0xc0c0004
	s_wait_loadcnt 0x3
	v_perm_b32 v45, v51, v50, 0xc0c0004
	v_perm_b32 v46, v49, v51, 0xc0c0004
	s_wait_loadcnt 0x1
	v_perm_b32 v47, v7, v4, 0xc0c0004
	s_wait_loadcnt 0x0
	v_perm_b32 v48, v5, v54, 0xc0c0004
	v_perm_b32 v49, v50, v24, 0xc0c0004
	v_lshl_or_b32 v5, v6, 16, v3
	v_lshl_or_b32 v4, v8, 16, v9
	;; [unrolled: 1-line block ×5, first 2 shown]
	ds_store_b128 v52, v[4:7]
	s_and_not1_b32 exec_lo, exec_lo, s21
	s_cbranch_execnz .LBB4_32
; %bb.33:                               ;   in Loop: Header=BB4_6 Depth=1
	s_or_b32 exec_lo, exec_lo, s21
.LBB4_34:                               ;   in Loop: Header=BB4_6 Depth=1
	s_delay_alu instid0(SALU_CYCLE_1)
	s_or_b32 exec_lo, exec_lo, s20
	s_and_saveexec_b32 s20, s9
	s_cbranch_execz .LBB4_36
; %bb.35:                               ;   in Loop: Header=BB4_6 Depth=1
	v_mul_lo_u32 v24, v10, s52
	v_mul_lo_u32 v10, v14, s74
	;; [unrolled: 1-line block ×8, first 2 shown]
	v_dual_mov_b32 v17, v25 :: v_dual_mov_b32 v11, v25
	v_dual_mov_b32 v7, v25 :: v_dual_mov_b32 v9, v25
	;; [unrolled: 1-line block ×3, first 2 shown]
	s_delay_alu instid0(VALU_DEP_3) | instskip(NEXT) | instid1(VALU_DEP_3)
	v_add_nc_u64_e32 v[10:11], s[38:39], v[10:11]
	v_add_nc_u64_e32 v[6:7], s[38:39], v[6:7]
	s_delay_alu instid0(VALU_DEP_4) | instskip(NEXT) | instid1(VALU_DEP_4)
	v_add_nc_u64_e32 v[8:9], s[38:39], v[8:9]
	v_add_nc_u64_e32 v[14:15], s[38:39], v[14:15]
	;; [unrolled: 1-line block ×4, first 2 shown]
	v_mov_b32_e32 v5, v25
	v_add_nc_u64_e32 v[46:47], s[38:39], v[24:25]
	s_clause 0x6
	global_load_u8 v3, v[10:11], off
	global_load_u8 v6, v[6:7], off
	;; [unrolled: 1-line block ×7, first 2 shown]
	v_add_nc_u64_e32 v[4:5], s[38:39], v[4:5]
	global_load_u8 v24, v[4:5], off
	s_wait_loadcnt 0x5
	s_wait_xcnt 0x0
	v_perm_b32 v4, v7, v6, 0xc0c0004
	s_wait_loadcnt 0x4
	v_perm_b32 v3, v8, v3, 0xc0c0004
	s_wait_loadcnt 0x2
	;; [unrolled: 2-line block ×3, first 2 shown]
	v_perm_b32 v7, v42, v11, 0xc0c0007
	v_lshl_or_b32 v5, v4, 16, v3
	v_add_nc_u32_e32 v3, v0, v44
	s_delay_alu instid0(VALU_DEP_3)
	v_lshl_or_b32 v4, v6, 16, v7
	ds_store_b64 v3, v[4:5]
.LBB4_36:                               ;   in Loop: Header=BB4_6 Depth=1
	s_or_b32 exec_lo, exec_lo, s20
	v_dual_add_nc_u32 v2, v2, v28 :: v_dual_mov_b32 v4, v29
	s_or_not1_b32 s20, s10, exec_lo
	s_delay_alu instid0(VALU_DEP_1)
	v_add_nc_u32_e32 v3, -1, v2
.LBB4_37:                               ;   in Loop: Header=BB4_6 Depth=1
	s_or_b32 exec_lo, exec_lo, s14
	v_mov_b32_e32 v5, s18
	s_and_b32 s14, s20, exec_lo
	s_and_not1_saveexec_b32 s19, s19
	s_cbranch_execz .LBB4_25
.LBB4_38:                               ;   in Loop: Header=BB4_6 Depth=1
	v_dual_mov_b32 v5, s18 :: v_dual_mov_b32 v4, v0
	s_or_b32 s14, s14, exec_lo
	s_or_b32 exec_lo, exec_lo, s19
	s_and_saveexec_b32 s18, s14
	s_cbranch_execz .LBB4_42
.LBB4_39:                               ;   in Loop: Header=BB4_6 Depth=1
	v_mul_lo_u32 v3, s52, v2
	s_mov_b32 s19, 0
	s_sub_co_i32 s14, 0, s17
.LBB4_40:                               ;   Parent Loop BB4_6 Depth=1
                                        ; =>  This Inner Loop Header: Depth=2
	global_load_u8 v6, v3, s[38:39]
	s_wait_xcnt 0x0
	v_dual_mov_b32 v7, v2 :: v_dual_add_nc_u32 v3, v3, v5
	s_wait_loadcnt 0x1
	ds_store_b8 v4, v24
	v_dual_add_nc_u32 v2, s17, v7 :: v_dual_mov_b32 v4, v7
	s_delay_alu instid0(VALU_DEP_1)
	v_cmp_le_u32_e32 vcc_lo, s36, v2
	s_or_b32 s19, vcc_lo, s19
	s_wait_loadcnt 0x0
	v_mov_b32_e32 v24, v6
	s_and_not1_b32 exec_lo, exec_lo, s19
	s_cbranch_execnz .LBB4_40
; %bb.41:                               ;   in Loop: Header=BB4_6 Depth=1
	s_or_b32 exec_lo, exec_lo, s19
	v_dual_mov_b32 v24, v6 :: v_dual_add_nc_u32 v3, s14, v2
.LBB4_42:                               ;   in Loop: Header=BB4_6 Depth=1
	s_or_b32 exec_lo, exec_lo, s18
.LBB4_43:                               ;   in Loop: Header=BB4_6 Depth=1
	s_delay_alu instid0(SALU_CYCLE_1)
	s_or_b32 exec_lo, exec_lo, s16
	s_wait_loadcnt 0x0
	ds_store_b8 v3, v24
.LBB4_44:                               ;   in Loop: Header=BB4_6 Depth=1
	s_or_b32 exec_lo, exec_lo, s15
	s_wait_dscnt 0x0
	s_barrier_signal -1
	s_barrier_wait -1
	s_and_saveexec_b32 s14, s5
; %bb.45:                               ;   in Loop: Header=BB4_6 Depth=1
	v_mov_b32_e32 v2, s36
	ds_store_b32 v25, v2 offset:4096
; %bb.46:                               ;   in Loop: Header=BB4_6 Depth=1
	s_or_b32 exec_lo, exec_lo, s14
	s_mov_b32 s14, -1
	s_wait_dscnt 0x0
	s_barrier_signal -1
	s_barrier_wait -1
.LBB4_47:                               ;   in Loop: Header=BB4_6 Depth=1
	s_and_b32 vcc_lo, exec_lo, s14
	s_mov_b32 s44, 0
	s_cbranch_vccz .LBB4_49
; %bb.48:                               ;   in Loop: Header=BB4_6 Depth=1
	ds_load_b32 v2, v25 offset:4096
	s_wait_dscnt 0x0
	v_readfirstlane_b32 s44, v2
.LBB4_49:                               ;   in Loop: Header=BB4_6 Depth=1
	s_delay_alu instid0(VALU_DEP_1)
	s_cmp_lt_i32 s44, 1
	s_mov_b32 s14, -1
                                        ; implicit-def: $vgpr5
	s_cbranch_scc1 .LBB4_62
; %bb.50:                               ;   in Loop: Header=BB4_6 Depth=1
	s_and_b32 vcc_lo, exec_lo, s14
	s_cbranch_vccnz .LBB4_73
.LBB4_51:                               ;   in Loop: Header=BB4_6 Depth=1
	s_lshl_b32 s16, s84, 7
	s_and_saveexec_b32 s14, s2
.LBB4_52:                               ;   in Loop: Header=BB4_6 Depth=1
	v_lshl_add_u32 v6, s16, 2, v23
	ds_store_b128 v6, v[2:5]
.LBB4_53:                               ;   in Loop: Header=BB4_6 Depth=1
	s_or_b32 exec_lo, exec_lo, s14
	s_wait_dscnt 0x0
	s_barrier_signal -1
	s_barrier_wait -1
	s_and_saveexec_b32 s17, s59
	s_cbranch_execz .LBB4_86
; %bb.54:                               ;   in Loop: Header=BB4_6 Depth=1
	v_dual_add_nc_u32 v4, s16, v19 :: v_dual_mov_b32 v2, 0
	s_and_not1_b32 vcc_lo, exec_lo, s61
	s_cbranch_vccnz .LBB4_85
; %bb.55:                               ;   in Loop: Header=BB4_6 Depth=1
	s_and_not1_b32 vcc_lo, exec_lo, s64
	s_cbranch_vccnz .LBB4_82
; %bb.56:                               ;   in Loop: Header=BB4_6 Depth=1
	v_lshl_add_u32 v5, v4, 2, 0xc00
	s_and_not1_b32 vcc_lo, exec_lo, s67
	s_cbranch_vccnz .LBB4_110
; %bb.57:                               ;   in Loop: Header=BB4_6 Depth=1
	v_dual_mov_b32 v2, 0 :: v_dual_mov_b32 v3, 0
	s_mov_b32 s15, 1
	s_mov_b32 s14, 0
	;; [unrolled: 1-line block ×3, first 2 shown]
.LBB4_58:                               ;   Parent Loop BB4_6 Depth=1
                                        ; =>  This Inner Loop Header: Depth=2
	v_lshl_add_u32 v24, s15, 4, v5
	v_lshl_add_u32 v44, s14, 4, v5
	s_add_co_i32 s18, s18, -8
	s_add_co_i32 s15, s15, 16
	s_add_co_i32 s14, s14, 16
	ds_load_2addr_b32 v[6:7], v24 offset1:8
	ds_load_2addr_b32 v[8:9], v44 offset1:8
	ds_load_2addr_b32 v[10:11], v24 offset0:16 offset1:24
	ds_load_2addr_b32 v[12:13], v44 offset0:16 offset1:24
	;; [unrolled: 1-line block ×6, first 2 shown]
	s_cmp_lg_u32 s18, 0
	s_wait_dscnt 0x7
	v_add3_u32 v3, v6, v3, v7
	s_wait_dscnt 0x6
	v_add3_u32 v2, v8, v2, v9
	s_wait_dscnt 0x5
	s_delay_alu instid0(VALU_DEP_2) | instskip(SKIP_1) | instid1(VALU_DEP_2)
	v_add3_u32 v3, v10, v3, v11
	s_wait_dscnt 0x4
	v_add3_u32 v2, v12, v2, v13
	s_wait_dscnt 0x3
	s_delay_alu instid0(VALU_DEP_2) | instskip(SKIP_1) | instid1(VALU_DEP_2)
	;; [unrolled: 5-line block ×3, first 2 shown]
	v_add3_u32 v3, v42, v3, v43
	s_wait_dscnt 0x0
	v_add3_u32 v2, v44, v2, v45
	s_cbranch_scc1 .LBB4_58
; %bb.59:                               ;   in Loop: Header=BB4_6 Depth=1
	s_and_not1_b32 vcc_lo, exec_lo, s70
	s_mov_b32 s18, s66
	s_cbranch_vccnz .LBB4_61
.LBB4_60:                               ;   Parent Loop BB4_6 Depth=1
                                        ; =>  This Inner Loop Header: Depth=2
	v_lshl_add_u32 v6, s15, 4, v5
	v_lshl_add_u32 v7, s14, 4, v5
	s_add_co_i32 s18, s18, -1
	s_add_co_i32 s15, s15, 2
	s_add_co_i32 s14, s14, 2
	ds_load_b32 v6, v6
	ds_load_b32 v7, v7
	s_cmp_lg_u32 s18, 0
	s_wait_dscnt 0x0
	v_dual_add_nc_u32 v3, v6, v3 :: v_dual_add_nc_u32 v2, v7, v2
	s_cbranch_scc1 .LBB4_60
.LBB4_61:                               ;   in Loop: Header=BB4_6 Depth=1
	s_delay_alu instid0(VALU_DEP_1) | instskip(SKIP_2) | instid1(SALU_CYCLE_1)
	v_add_nc_u32_e32 v2, v2, v3
	s_mov_b32 s14, s65
	s_mov_b32 s15, s71
	s_and_b32 vcc_lo, exec_lo, s15
	s_cbranch_vccnz .LBB4_83
	s_branch .LBB4_85
.LBB4_62:                               ;   in Loop: Header=BB4_6 Depth=1
	v_dual_mov_b32 v2, 0 :: v_dual_mov_b32 v3, 0
	v_dual_mov_b32 v4, 0 :: v_dual_mov_b32 v5, 0
	s_and_saveexec_b32 s94, s11
	s_cbranch_execz .LBB4_66
; %bb.63:                               ;   in Loop: Header=BB4_6 Depth=1
	v_mov_b32_e32 v6, v1
	s_mov_b32 s95, 0
	s_mov_b32 s96, 0
	;; [unrolled: 1-line block ×6, first 2 shown]
.LBB4_64:                               ;   Parent Loop BB4_6 Depth=1
                                        ; =>  This Inner Loop Header: Depth=2
	v_dual_add_nc_u32 v2, s96, v36 :: v_dual_add_nc_u32 v3, s96, v33
	v_dual_add_nc_u32 v4, s96, v34 :: v_dual_add_nc_u32 v5, s96, v35
	s_add_co_i32 s96, s96, s80
	s_clause 0x3
	global_load_u8 v2, v2, s[38:39]
	global_load_u8 v3, v3, s[38:39]
	;; [unrolled: 1-line block ×4, first 2 shown]
	v_add_nc_u32_e32 v6, s58, v6
	s_wait_loadcnt 0x3
	v_and_b32_e32 v7, v39, v2
	v_bfe_u32 v2, v2, s81, 2
	s_wait_loadcnt 0x2
	v_and_b32_e32 v8, v39, v3
	v_bfe_u32 v3, v3, s81, 2
	;; [unrolled: 3-line block ×3, first 2 shown]
	v_cmp_eq_u32_e64 s14, v7, v32
	v_cmp_eq_u32_e64 s18, 0, v2
	s_wait_loadcnt 0x0
	v_and_b32_e32 v10, v39, v5
	v_bfe_u32 v5, v5, s81, 2
	v_cmp_eq_u32_e64 s15, v8, v32
	v_cmp_eq_u32_e64 s19, 0, v3
	;; [unrolled: 1-line block ×4, first 2 shown]
	s_and_b32 s18, s14, s18
	v_cmp_eq_u32_e64 s17, v10, v32
	v_cmp_eq_u32_e64 s21, 0, v5
	;; [unrolled: 1-line block ×5, first 2 shown]
	v_cndmask_b32_e64 v2, 0, 1, s18
	s_and_b32 s18, s15, s19
	v_cmp_eq_u32_e64 s23, 1, v3
	v_cmp_eq_u32_e64 s27, 2, v3
	v_cmp_eq_u32_e64 s31, 3, v3
	v_cndmask_b32_e64 v3, 0, 1, s18
	s_and_b32 s18, s16, s20
	v_cmp_eq_u32_e64 s24, 1, v4
	v_cmp_eq_u32_e64 s28, 2, v4
	v_cmp_eq_u32_e64 s33, 3, v4
	;; [unrolled: 5-line block ×3, first 2 shown]
	v_cndmask_b32_e64 v5, 0, 1, s18
	s_and_b32 s18, s14, s22
	v_cmp_le_u32_e32 vcc_lo, s78, v6
	v_cndmask_b32_e64 v7, 0, 1, s18
	s_and_b32 s18, s15, s23
	s_delay_alu instid0(SALU_CYCLE_1) | instskip(SKIP_1) | instid1(SALU_CYCLE_1)
	v_cndmask_b32_e64 v8, 0, 1, s18
	s_and_b32 s18, s16, s24
	v_cndmask_b32_e64 v9, 0, 1, s18
	s_and_b32 s18, s17, s25
	s_delay_alu instid0(VALU_DEP_2)
	v_cmp_ne_u32_e64 s19, 0, v8
	v_cndmask_b32_e64 v10, 0, 1, s18
	s_and_b32 s18, s14, s26
	s_and_b32 s14, s14, s30
	v_cndmask_b32_e64 v11, 0, 1, s18
	s_and_b32 s18, s15, s27
	v_cndmask_b32_e64 v15, 0, 1, s14
	;; [unrolled: 2-line block ×7, first 2 shown]
	v_cndmask_b32_e64 v24, 0, 1, s14
	v_cmp_ne_u32_e64 s14, 0, v2
	v_cmp_ne_u32_e64 s18, 0, v7
	;; [unrolled: 1-line block ×11, first 2 shown]
	s_bcnt1_i32_b32 s14, s14
	s_bcnt1_i32_b32 s18, s18
	;; [unrolled: 1-line block ×4, first 2 shown]
	v_cmp_ne_u32_e64 s17, 0, v5
	v_cmp_ne_u32_e64 s21, 0, v10
	;; [unrolled: 1-line block ×4, first 2 shown]
	s_bcnt1_i32_b32 s15, s15
	s_bcnt1_i32_b32 s19, s19
	s_bcnt1_i32_b32 s23, s23
	s_bcnt1_i32_b32 s27, s27
	s_add_co_i32 s14, s14, s100
	s_add_co_i32 s18, s18, s99
	s_add_co_i32 s22, s22, s98
	s_add_co_i32 s26, s26, s97
	s_bcnt1_i32_b32 s16, s16
	s_bcnt1_i32_b32 s20, s20
	s_bcnt1_i32_b32 s24, s24
	s_bcnt1_i32_b32 s28, s28
	s_add_co_i32 s14, s14, s15
	s_add_co_i32 s15, s18, s19
	s_add_co_i32 s18, s22, s23
	s_add_co_i32 s19, s26, s27
	;; [unrolled: 8-line block ×3, first 2 shown]
	s_add_co_i32 s100, s14, s17
	s_add_co_i32 s99, s15, s21
	;; [unrolled: 1-line block ×4, first 2 shown]
	v_dual_mov_b32 v2, s100 :: v_dual_mov_b32 v3, s99
	v_dual_mov_b32 v4, s98 :: v_dual_mov_b32 v5, s97
	s_or_b32 s95, vcc_lo, s95
	s_delay_alu instid0(SALU_CYCLE_1)
	s_and_not1_b32 exec_lo, exec_lo, s95
	s_cbranch_execnz .LBB4_64
; %bb.65:                               ;   in Loop: Header=BB4_6 Depth=1
	s_or_b32 exec_lo, exec_lo, s95
.LBB4_66:                               ;   in Loop: Header=BB4_6 Depth=1
	s_delay_alu instid0(SALU_CYCLE_1)
	s_or_b32 exec_lo, exec_lo, s94
	s_and_saveexec_b32 s18, s12
	s_cbranch_execz .LBB4_72
; %bb.67:                               ;   in Loop: Header=BB4_6 Depth=1
	global_load_u8 v9, v[26:27], off
	v_dual_mov_b32 v6, v37 :: v_dual_mov_b32 v7, v30
	s_mov_b32 s19, 0
	s_branch .LBB4_69
.LBB4_68:                               ;   in Loop: Header=BB4_69 Depth=2
	s_wait_xcnt 0x0
	s_or_b32 exec_lo, exec_lo, s15
	s_wait_loadcnt 0x0
	v_and_b32_e32 v10, 0xff, v9
	v_bitop3_b32 v9, v39, v9, 0xff bitop3:0x80
	s_and_b32 s15, exec_lo, vcc_lo
	v_add_nc_u32_e32 v6, s53, v6
	s_or_b32 s19, s15, s19
	v_bfe_u32 v10, v10, s81, 2
	v_cmp_eq_u32_e32 vcc_lo, v9, v32
	s_delay_alu instid0(VALU_DEP_2) | instskip(SKIP_4) | instid1(SALU_CYCLE_1)
	v_cmp_eq_u32_e64 s14, 0, v10
	v_cmp_eq_u32_e64 s15, 1, v10
	;; [unrolled: 1-line block ×4, first 2 shown]
	s_and_b32 s14, vcc_lo, s14
	v_cndmask_b32_e64 v9, 0, 1, s14
	s_and_b32 s14, vcc_lo, s15
	s_delay_alu instid0(SALU_CYCLE_1) | instskip(SKIP_1) | instid1(SALU_CYCLE_1)
	v_cndmask_b32_e64 v10, 0, 1, s14
	s_and_b32 s14, vcc_lo, s16
	v_cndmask_b32_e64 v11, 0, 1, s14
	s_and_b32 s14, vcc_lo, s17
	v_cmp_ne_u32_e32 vcc_lo, 0, v9
	v_cndmask_b32_e64 v12, 0, 1, s14
	v_cmp_ne_u32_e64 s14, 0, v10
	v_cmp_ne_u32_e64 s15, 0, v11
	v_mov_b32_e32 v9, v8
	s_bcnt1_i32_b32 s17, vcc_lo
	v_cmp_ne_u32_e64 s16, 0, v12
	s_bcnt1_i32_b32 s14, s14
	s_bcnt1_i32_b32 s15, s15
	v_dual_add_nc_u32 v2, s17, v2 :: v_dual_add_nc_u32 v3, s14, v3
	s_bcnt1_i32_b32 s16, s16
	s_delay_alu instid0(SALU_CYCLE_1)
	v_dual_add_nc_u32 v4, s15, v4 :: v_dual_add_nc_u32 v5, s16, v5
	s_and_not1_b32 exec_lo, exec_lo, s19
	s_cbranch_execz .LBB4_71
.LBB4_69:                               ;   Parent Loop BB4_6 Depth=1
                                        ; =>  This Inner Loop Header: Depth=2
	s_delay_alu instid0(VALU_DEP_1) | instskip(SKIP_1) | instid1(VALU_DEP_1)
	v_dual_mov_b32 v8, 0 :: v_dual_add_nc_u32 v7, s35, v7
	s_mov_b32 s15, exec_lo
	v_cmp_le_u32_e32 vcc_lo, s36, v7
	s_wait_xcnt 0x0
	v_cmpx_gt_u32_e64 s36, v7
	s_cbranch_execz .LBB4_68
; %bb.70:                               ;   in Loop: Header=BB4_69 Depth=2
	global_load_u8 v8, v6, s[38:39]
	s_branch .LBB4_68
.LBB4_71:                               ;   in Loop: Header=BB4_6 Depth=1
	s_or_b32 exec_lo, exec_lo, s19
.LBB4_72:                               ;   in Loop: Header=BB4_6 Depth=1
	s_delay_alu instid0(SALU_CYCLE_1)
	s_or_b32 exec_lo, exec_lo, s18
	s_branch .LBB4_51
.LBB4_73:                               ;   in Loop: Header=BB4_6 Depth=1
	s_mul_u64 s[14:15], s[44:45], s[46:47]
	v_dual_mov_b32 v2, 0 :: v_dual_mov_b32 v3, 0
	s_mul_i32 s14, s15, s58
	v_dual_mov_b32 v4, 0 :: v_dual_mov_b32 v5, 0
	s_sub_co_i32 s14, s44, s14
	s_mov_b32 s95, exec_lo
	s_sub_co_i32 s15, s14, s58
	s_cmp_ge_u32 s14, s58
	s_cselect_b32 s14, s15, s14
	s_delay_alu instid0(SALU_CYCLE_1) | instskip(SKIP_2) | instid1(SALU_CYCLE_1)
	s_sub_co_i32 s15, s14, s58
	s_cmp_ge_u32 s14, s58
	s_cselect_b32 s14, s15, s14
	s_sub_co_i32 s94, s44, s14
	s_delay_alu instid0(SALU_CYCLE_1)
	v_cmpx_gt_u32_e64 s94, v1
	s_cbranch_execz .LBB4_77
; %bb.74:                               ;   in Loop: Header=BB4_6 Depth=1
	v_mov_b32_e32 v6, v1
	s_mov_b32 s96, 0
	s_mov_b32 s97, 0
	;; [unrolled: 1-line block ×5, first 2 shown]
.LBB4_75:                               ;   Parent Loop BB4_6 Depth=1
                                        ; =>  This Inner Loop Header: Depth=2
	ds_load_b32 v2, v6
	s_wait_dscnt 0x0
	v_and_b32_e32 v8, 0xff, v2
	v_dual_lshrrev_b32 v3, 16, v2 :: v_dual_lshrrev_b32 v4, 8, v2
	v_bfe_u32 v9, v2, 8, 8
	v_bitop3_b32 v5, v39, v2, 0xff bitop3:0x80
	v_lshrrev_b32_e32 v7, 24, v2
	v_bfe_u32 v2, v2, 16, 8
	v_bfe_u32 v8, v8, s81, 2
	v_bitop3_b32 v4, v39, v4, 0xff bitop3:0x80
	v_bfe_u32 v9, v9, s81, 2
	v_bitop3_b32 v3, v39, v3, 0xff bitop3:0x80
	v_bfe_u32 v2, v2, s81, 2
	v_cmp_eq_u32_e64 s14, v5, v32
	v_cmp_eq_u32_e64 s18, 0, v8
	v_dual_add_nc_u32 v6, s58, v6 :: v_dual_bitop2_b32 v5, v39, v7 bitop3:0x40
	v_bfe_u32 v7, v7, s81, 2
	v_cmp_eq_u32_e64 s15, v4, v32
	v_cmp_eq_u32_e64 s19, 0, v9
	;; [unrolled: 1-line block ×4, first 2 shown]
	s_and_b32 s18, s14, s18
	v_cmp_eq_u32_e64 s17, v5, v32
	v_cmp_eq_u32_e64 s21, 0, v7
	;; [unrolled: 1-line block ×5, first 2 shown]
	v_cndmask_b32_e64 v2, 0, 1, s18
	s_and_b32 s18, s15, s19
	v_cmp_eq_u32_e64 s22, 1, v8
	v_cndmask_b32_e64 v3, 0, 1, s18
	s_and_b32 s18, s16, s20
	v_cmp_eq_u32_e64 s23, 1, v9
	;; [unrolled: 3-line block ×4, first 2 shown]
	v_cmp_eq_u32_e64 s34, 3, v7
	v_cndmask_b32_e64 v7, 0, 1, s18
	s_and_b32 s18, s15, s23
	v_cmp_eq_u32_e64 s26, 2, v8
	v_cmp_eq_u32_e64 s30, 3, v8
	v_cndmask_b32_e64 v8, 0, 1, s18
	s_and_b32 s18, s16, s24
	v_cmp_eq_u32_e64 s27, 2, v9
	v_cmp_eq_u32_e64 s31, 3, v9
	v_cndmask_b32_e64 v9, 0, 1, s18
	s_and_b32 s18, s17, s25
	v_cmp_ne_u32_e64 s19, 0, v8
	v_cndmask_b32_e64 v10, 0, 1, s18
	s_and_b32 s18, s14, s26
	s_and_b32 s14, s14, s30
	v_cndmask_b32_e64 v11, 0, 1, s18
	s_and_b32 s18, s15, s27
	v_cndmask_b32_e64 v15, 0, 1, s14
	;; [unrolled: 2-line block ×7, first 2 shown]
	v_cndmask_b32_e64 v24, 0, 1, s14
	v_cmp_ne_u32_e64 s14, 0, v2
	v_cmp_ne_u32_e64 s18, 0, v7
	;; [unrolled: 1-line block ×11, first 2 shown]
	s_bcnt1_i32_b32 s14, s14
	s_bcnt1_i32_b32 s18, s18
	;; [unrolled: 1-line block ×4, first 2 shown]
	v_cmp_ne_u32_e64 s17, 0, v5
	v_cmp_ne_u32_e64 s21, 0, v10
	;; [unrolled: 1-line block ×4, first 2 shown]
	s_bcnt1_i32_b32 s15, s15
	s_bcnt1_i32_b32 s19, s19
	s_bcnt1_i32_b32 s23, s23
	s_bcnt1_i32_b32 s27, s27
	s_add_co_i32 s14, s14, s100
	s_add_co_i32 s18, s18, s99
	s_add_co_i32 s22, s22, s98
	s_add_co_i32 s26, s26, s97
	s_bcnt1_i32_b32 s16, s16
	s_bcnt1_i32_b32 s20, s20
	s_bcnt1_i32_b32 s24, s24
	s_bcnt1_i32_b32 s28, s28
	s_add_co_i32 s14, s14, s15
	s_add_co_i32 s15, s18, s19
	s_add_co_i32 s18, s22, s23
	s_add_co_i32 s19, s26, s27
	;; [unrolled: 8-line block ×3, first 2 shown]
	v_cmp_le_u32_e32 vcc_lo, s94, v6
	s_add_co_i32 s100, s14, s17
	s_add_co_i32 s99, s15, s21
	;; [unrolled: 1-line block ×4, first 2 shown]
	v_dual_mov_b32 v2, s100 :: v_dual_mov_b32 v3, s99
	v_dual_mov_b32 v4, s98 :: v_dual_mov_b32 v5, s97
	s_or_b32 s96, vcc_lo, s96
	s_delay_alu instid0(SALU_CYCLE_1)
	s_and_not1_b32 exec_lo, exec_lo, s96
	s_cbranch_execnz .LBB4_75
; %bb.76:                               ;   in Loop: Header=BB4_6 Depth=1
	s_or_b32 exec_lo, exec_lo, s96
.LBB4_77:                               ;   in Loop: Header=BB4_6 Depth=1
	s_delay_alu instid0(SALU_CYCLE_1) | instskip(SKIP_2) | instid1(VALU_DEP_1)
	s_or_b32 exec_lo, exec_lo, s95
	v_add_nc_u32_e32 v6, s94, v0
	s_mov_b32 s19, exec_lo
	v_cmpx_gt_u32_e64 s44, v6
	s_cbranch_execz .LBB4_81
; %bb.78:                               ;   in Loop: Header=BB4_6 Depth=1
	s_mov_b32 s20, 0
.LBB4_79:                               ;   Parent Loop BB4_6 Depth=1
                                        ; =>  This Inner Loop Header: Depth=2
	ds_load_u8 v7, v6
	s_wait_dscnt 0x0
	v_dual_add_nc_u32 v6, s35, v6 :: v_dual_bitop2_b32 v8, v39, v7 bitop3:0x40
	v_bfe_u32 v7, v7, s81, 2
	s_delay_alu instid0(VALU_DEP_2) | instskip(NEXT) | instid1(VALU_DEP_3)
	v_cmp_le_u32_e32 vcc_lo, s44, v6
	v_cmp_eq_u32_e64 s14, v8, v32
	s_delay_alu instid0(VALU_DEP_3) | instskip(SKIP_4) | instid1(SALU_CYCLE_1)
	v_cmp_eq_u32_e64 s15, 0, v7
	v_cmp_eq_u32_e64 s16, 1, v7
	;; [unrolled: 1-line block ×4, first 2 shown]
	s_and_b32 s15, s14, s15
	v_cndmask_b32_e64 v7, 0, 1, s15
	s_and_b32 s15, s14, s16
	s_delay_alu instid0(SALU_CYCLE_1)
	v_cndmask_b32_e64 v8, 0, 1, s15
	s_and_b32 s15, s14, s17
	s_and_b32 s14, s14, s18
	v_cndmask_b32_e64 v9, 0, 1, s15
	v_cndmask_b32_e64 v10, 0, 1, s14
	v_cmp_ne_u32_e64 s14, 0, v7
	v_cmp_ne_u32_e64 s15, 0, v8
	s_delay_alu instid0(VALU_DEP_4) | instskip(NEXT) | instid1(VALU_DEP_4)
	v_cmp_ne_u32_e64 s16, 0, v9
	v_cmp_ne_u32_e64 s17, 0, v10
	s_bcnt1_i32_b32 s14, s14
	s_bcnt1_i32_b32 s15, s15
	s_delay_alu instid0(SALU_CYCLE_1) | instskip(SKIP_2) | instid1(SALU_CYCLE_1)
	v_dual_add_nc_u32 v2, s14, v2 :: v_dual_add_nc_u32 v3, s15, v3
	s_bcnt1_i32_b32 s16, s16
	s_bcnt1_i32_b32 s17, s17
	v_dual_add_nc_u32 v4, s16, v4 :: v_dual_add_nc_u32 v5, s17, v5
	s_or_b32 s20, vcc_lo, s20
	s_delay_alu instid0(SALU_CYCLE_1)
	s_and_not1_b32 exec_lo, exec_lo, s20
	s_cbranch_execnz .LBB4_79
; %bb.80:                               ;   in Loop: Header=BB4_6 Depth=1
	s_or_b32 exec_lo, exec_lo, s20
.LBB4_81:                               ;   in Loop: Header=BB4_6 Depth=1
	s_delay_alu instid0(SALU_CYCLE_1)
	s_or_b32 exec_lo, exec_lo, s19
	s_lshl_b32 s16, s84, 7
	s_and_saveexec_b32 s14, s2
	s_cbranch_execnz .LBB4_52
	s_branch .LBB4_53
.LBB4_82:                               ;   in Loop: Header=BB4_6 Depth=1
	v_mov_b32_e32 v2, 0
	s_mov_b32 s14, 0
	s_cbranch_execz .LBB4_85
.LBB4_83:                               ;   in Loop: Header=BB4_6 Depth=1
	s_lshl_b32 s15, s84, 9
	s_lshl_b32 s18, s14, 4
	s_sub_co_i32 s14, s63, s14
	v_add3_u32 v3, s15, s18, v38
.LBB4_84:                               ;   Parent Loop BB4_6 Depth=1
                                        ; =>  This Inner Loop Header: Depth=2
	ds_load_b32 v5, v3
	v_add_nc_u32_e32 v3, 16, v3
	s_add_co_i32 s14, s14, -1
	s_delay_alu instid0(SALU_CYCLE_1)
	s_cmp_eq_u32 s14, 0
	s_wait_dscnt 0x0
	v_add_nc_u32_e32 v2, v5, v2
	s_cbranch_scc0 .LBB4_84
.LBB4_85:                               ;   in Loop: Header=BB4_6 Depth=1
	s_delay_alu instid0(VALU_DEP_1)
	v_lshlrev_b32_e32 v3, 2, v4
	ds_store_b32 v3, v2 offset:3072
.LBB4_86:                               ;   in Loop: Header=BB4_6 Depth=1
	s_or_b32 exec_lo, exec_lo, s17
	s_lshl_b32 s14, s16, 2
	s_wait_dscnt 0x0
	v_mov_b32_e32 v2, s14
	s_barrier_signal -1
	s_barrier_wait -1
	v_cmp_eq_u32_e64 s14, 1, v41
	ds_load_b128 v[2:5], v2 offset:3072
	s_lshl_b32 s18, 3, s81
	s_mov_b32 s26, -1
	s_not_b32 s19, s18
	s_mov_b32 s16, 0
	s_and_not1_b32 vcc_lo, exec_lo, s57
	s_mov_b32 s23, 0
	s_mov_b32 s15, 0
                                        ; implicit-def: $sgpr24
                                        ; implicit-def: $sgpr25
                                        ; implicit-def: $vgpr6
	s_wait_dscnt 0x0
	v_readfirstlane_b32 s17, v2
	v_readfirstlane_b32 s20, v3
	;; [unrolled: 1-line block ×4, first 2 shown]
                                        ; implicit-def: $vgpr5
                                        ; implicit-def: $vgpr2
                                        ; implicit-def: $vgpr3
                                        ; implicit-def: $vgpr4
	s_cbranch_vccnz .LBB4_245
; %bb.87:                               ;   in Loop: Header=BB4_6 Depth=1
	s_cmp_eq_u32 s17, 1
	v_dual_mov_b32 v3, v32 :: v_dual_mov_b32 v4, v39
	v_mov_b32_e32 v6, v40
	s_cselect_b32 s15, -1, 0
	s_mov_b32 s29, -1
	s_and_b32 s28, s15, s14
                                        ; implicit-def: $sgpr25
                                        ; implicit-def: $sgpr24
	s_delay_alu instid0(SALU_CYCLE_1)
	s_and_saveexec_b32 s15, s28
	s_cbranch_execz .LBB4_114
; %bb.88:                               ;   in Loop: Header=BB4_6 Depth=1
	ds_load_b32 v2, v25 offset:4096
	s_wait_dscnt 0x0
	s_barrier_signal -1
	s_barrier_wait -1
	v_readfirstlane_b32 s26, v2
	s_and_saveexec_b32 s23, s6
; %bb.89:                               ;   in Loop: Header=BB4_6 Depth=1
	ds_store_b8 v0, v25 offset:3072
; %bb.90:                               ;   in Loop: Header=BB4_6 Depth=1
	s_or_b32 exec_lo, exec_lo, s23
	v_and_b32_e32 v3, s19, v32
	v_or_b32_e32 v4, s18, v39
	s_mov_b32 s24, -1
	s_mov_b32 s25, 0
	s_cmp_eq_u32 s26, 0
	s_mov_b32 s23, 0
	s_mov_b32 s27, -1
	s_wait_dscnt 0x0
	s_barrier_signal -1
	s_barrier_wait -1
                                        ; implicit-def: $vgpr6
	s_cbranch_scc1 .LBB4_101
; %bb.91:                               ;   in Loop: Header=BB4_6 Depth=1
	s_add_co_i32 s44, s26, s62
	s_mov_b32 s29, exec_lo
	s_mul_u64 s[30:31], s[44:45], s[48:49]
                                        ; implicit-def: $vgpr6
	s_delay_alu instid0(SALU_CYCLE_1) | instskip(NEXT) | instid1(SALU_CYCLE_1)
	s_mul_i32 s23, s31, s35
	s_sub_co_i32 s23, s44, s23
	s_delay_alu instid0(SALU_CYCLE_1) | instskip(SKIP_2) | instid1(SALU_CYCLE_1)
	s_sub_co_i32 s27, s23, s35
	s_cmp_ge_u32 s23, s35
	s_cselect_b32 s23, s27, s23
	s_sub_co_i32 s27, s23, s35
	s_cmp_ge_u32 s23, s35
	s_cselect_b32 s23, s27, s23
	s_mov_b32 s27, 0
	s_sub_co_i32 s30, s44, s23
	s_mov_b32 s23, 0
	v_cmpx_gt_u32_e64 s30, v0
	s_cbranch_execz .LBB4_100
; %bb.92:                               ;   in Loop: Header=BB4_6 Depth=1
	v_mov_b32_e32 v2, v0
                                        ; implicit-def: $sgpr31
	s_branch .LBB4_95
.LBB4_93:                               ;   in Loop: Header=BB4_95 Depth=2
	s_or_b32 exec_lo, exec_lo, s33
	s_wait_dscnt 0x0
	s_barrier_signal -1
	s_barrier_wait -1
	ds_load_u16 v5, v25 offset:3072
	s_mov_b32 s34, -1
	s_mov_b32 s33, -1
	s_wait_dscnt 0x0
	s_barrier_signal -1
	s_barrier_wait -1
	v_and_b32_e32 v6, 0xff, v5
	s_delay_alu instid0(VALU_DEP_1)
	v_cmp_ne_u32_e32 vcc_lo, 0, v6
	s_cbranch_vccz .LBB4_98
.LBB4_94:                               ;   in Loop: Header=BB4_95 Depth=2
	s_and_b32 s34, exec_lo, s34
	s_delay_alu instid0(SALU_CYCLE_1) | instskip(SKIP_2) | instid1(SALU_CYCLE_1)
	s_or_b32 s23, s34, s23
	s_and_not1_b32 s31, s31, exec_lo
	s_and_b32 s33, s33, exec_lo
	s_or_b32 s31, s31, s33
	s_and_not1_b32 exec_lo, exec_lo, s23
	s_cbranch_execz .LBB4_99
.LBB4_95:                               ;   Parent Loop BB4_6 Depth=1
                                        ; =>  This Inner Loop Header: Depth=2
	s_mov_b32 s33, exec_lo
	s_delay_alu instid0(VALU_DEP_1)
	v_cmpx_gt_u32_e64 s26, v2
	s_cbranch_execz .LBB4_93
; %bb.96:                               ;   in Loop: Header=BB4_95 Depth=2
	ds_load_u8 v5, v2
	s_wait_dscnt 0x0
	v_bitop3_b32 v6, v5, 0xff, v4 bitop3:0x80
	s_delay_alu instid0(VALU_DEP_1)
	v_cmp_eq_u32_e32 vcc_lo, v6, v3
	s_and_b32 exec_lo, exec_lo, vcc_lo
	s_cbranch_execz .LBB4_93
; %bb.97:                               ;   in Loop: Header=BB4_95 Depth=2
	v_lshlrev_b16 v5, 8, v5
	s_delay_alu instid0(VALU_DEP_1)
	v_or_b32_e32 v5, 1, v5
	ds_store_b16 v25, v5 offset:3072
	s_branch .LBB4_93
.LBB4_98:                               ;   in Loop: Header=BB4_95 Depth=2
	v_add_nc_u32_e32 v2, s35, v2
	s_mov_b32 s33, 0
	s_delay_alu instid0(VALU_DEP_1)
	v_cmp_le_u32_e32 vcc_lo, s30, v2
	s_or_not1_b32 s34, vcc_lo, exec_lo
	s_branch .LBB4_94
.LBB4_99:                               ;   in Loop: Header=BB4_6 Depth=1
	s_or_b32 exec_lo, exec_lo, s23
	v_and_b32_e32 v2, 0xffff, v5
	s_and_b32 s23, s31, exec_lo
	s_delay_alu instid0(VALU_DEP_1)
	v_lshrrev_b32_e32 v6, 8, v2
.LBB4_100:                              ;   in Loop: Header=BB4_6 Depth=1
	s_or_b32 exec_lo, exec_lo, s29
.LBB4_101:                              ;   in Loop: Header=BB4_6 Depth=1
	s_delay_alu instid0(SALU_CYCLE_1)
	s_and_b32 vcc_lo, exec_lo, s27
	s_cbranch_vccz .LBB4_113
; %bb.102:                              ;   in Loop: Header=BB4_6 Depth=1
                                        ; implicit-def: $vgpr6
	s_and_saveexec_b32 s24, s13
	s_cbranch_execz .LBB4_112
; %bb.103:                              ;   in Loop: Header=BB4_6 Depth=1
	v_dual_mov_b32 v2, v22 :: v_dual_mov_b32 v5, v0
	s_mov_b32 s26, 0
                                        ; implicit-def: $sgpr25
	s_branch .LBB4_106
.LBB4_104:                              ;   in Loop: Header=BB4_106 Depth=2
	s_or_b32 exec_lo, exec_lo, s27
	s_wait_dscnt 0x0
	s_barrier_signal -1
	s_barrier_wait -1
	ds_load_u16 v6, v25 offset:3072
	s_mov_b32 s27, -1
	s_mov_b32 s29, -1
	s_wait_dscnt 0x0
	s_barrier_signal -1
	s_barrier_wait -1
	v_and_b32_e32 v7, 0xff, v6
	s_delay_alu instid0(VALU_DEP_1)
	v_cmp_ne_u32_e32 vcc_lo, 0, v7
	s_cbranch_vccz .LBB4_109
.LBB4_105:                              ;   in Loop: Header=BB4_106 Depth=2
	s_and_b32 s27, exec_lo, s27
	s_delay_alu instid0(SALU_CYCLE_1) | instskip(SKIP_2) | instid1(SALU_CYCLE_1)
	s_or_b32 s26, s27, s26
	s_and_not1_b32 s25, s25, exec_lo
	s_and_b32 s27, s29, exec_lo
	s_or_b32 s25, s25, s27
	s_and_not1_b32 exec_lo, exec_lo, s26
	s_cbranch_execz .LBB4_111
.LBB4_106:                              ;   Parent Loop BB4_6 Depth=1
                                        ; =>  This Inner Loop Header: Depth=2
	s_mov_b32 s27, exec_lo
	s_delay_alu instid0(VALU_DEP_1)
	v_cmpx_gt_u32_e64 s36, v5
	s_cbranch_execz .LBB4_104
; %bb.107:                              ;   in Loop: Header=BB4_106 Depth=2
	global_load_u8 v6, v2, s[38:39]
	s_wait_loadcnt 0x0
	v_bitop3_b32 v7, v6, 0xff, v4 bitop3:0x80
	s_delay_alu instid0(VALU_DEP_1)
	v_cmp_eq_u32_e32 vcc_lo, v7, v3
	s_and_b32 exec_lo, exec_lo, vcc_lo
	s_cbranch_execz .LBB4_104
; %bb.108:                              ;   in Loop: Header=BB4_106 Depth=2
	v_lshlrev_b16 v6, 8, v6
	s_delay_alu instid0(VALU_DEP_1)
	v_or_b32_e32 v6, 1, v6
	ds_store_b16 v25, v6 offset:3072
	s_branch .LBB4_104
.LBB4_109:                              ;   in Loop: Header=BB4_106 Depth=2
	v_dual_add_nc_u32 v5, s35, v5 :: v_dual_add_nc_u32 v2, s53, v2
	s_mov_b32 s29, 0
	s_delay_alu instid0(VALU_DEP_1)
	v_cmp_le_u32_e32 vcc_lo, s79, v5
	s_or_not1_b32 s27, vcc_lo, exec_lo
	s_branch .LBB4_105
.LBB4_110:                              ;   in Loop: Header=BB4_6 Depth=1
	s_mov_b64 s[14:15], 0x100000000
	v_mov_b64_e32 v[2:3], 0
	s_and_not1_b32 vcc_lo, exec_lo, s70
	s_mov_b32 s18, s66
	s_cbranch_vccz .LBB4_60
	s_branch .LBB4_61
.LBB4_111:                              ;   in Loop: Header=BB4_6 Depth=1
	s_or_b32 exec_lo, exec_lo, s26
	v_and_b32_e32 v2, 0xffff, v6
	s_and_not1_b32 s23, s23, exec_lo
	s_and_b32 s25, s25, exec_lo
	s_delay_alu instid0(SALU_CYCLE_1) | instskip(NEXT) | instid1(VALU_DEP_1)
	s_or_b32 s23, s23, s25
	v_lshrrev_b32_e32 v6, 8, v2
.LBB4_112:                              ;   in Loop: Header=BB4_6 Depth=1
	s_or_b32 exec_lo, exec_lo, s24
	s_mov_b32 s24, 0
	s_mov_b32 s25, -1
.LBB4_113:                              ;   in Loop: Header=BB4_6 Depth=1
	s_or_not1_b32 s29, s23, exec_lo
.LBB4_114:                              ;   in Loop: Header=BB4_6 Depth=1
	s_or_b32 exec_lo, exec_lo, s15
	s_mov_b32 s26, 0
	s_mov_b32 s23, 0
	;; [unrolled: 1-line block ×3, first 2 shown]
                                        ; implicit-def: $vgpr5
                                        ; implicit-def: $vgpr2
	s_and_saveexec_b32 s27, s29
	s_cbranch_execz .LBB4_244
; %bb.115:                              ;   in Loop: Header=BB4_6 Depth=1
	v_dual_mov_b32 v5, 1 :: v_dual_mov_b32 v2, 1
	s_xor_b32 s23, s28, -1
	s_mov_b32 s30, 0
	s_and_saveexec_b32 s15, s23
	s_cbranch_execz .LBB4_124
; %bb.116:                              ;   in Loop: Header=BB4_6 Depth=1
	s_mov_b32 s23, exec_lo
	v_cmpx_ge_u32_e64 s17, v41
	s_xor_b32 s23, exec_lo, s23
	s_cbranch_execz .LBB4_121
; %bb.117:                              ;   in Loop: Header=BB4_6 Depth=1
	ds_load_b32 v2, v25 offset:4096
	v_and_b32_e32 v3, s19, v3
	v_or_b32_e32 v4, s18, v4
	s_wait_dscnt 0x0
	v_cmp_ne_u32_e32 vcc_lo, 0, v2
	s_cbranch_vccnz .LBB4_121
; %bb.118:                              ;   in Loop: Header=BB4_6 Depth=1
	s_and_saveexec_b32 s28, s5
; %bb.119:                              ;   in Loop: Header=BB4_6 Depth=1
	v_mov_b32_e32 v2, s17
	ds_store_b32 v25, v2 offset:4100
; %bb.120:                              ;   in Loop: Header=BB4_6 Depth=1
	s_or_b32 exec_lo, exec_lo, s28
	s_wait_dscnt 0x0
	s_barrier_signal -1
	s_barrier_wait -1
.LBB4_121:                              ;   in Loop: Header=BB4_6 Depth=1
	s_or_saveexec_b32 s23, s23
	v_dual_mov_b32 v2, 8 :: v_dual_mov_b32 v5, v41
	s_mov_b32 s28, 0
	s_xor_b32 exec_lo, exec_lo, s23
; %bb.122:                              ;   in Loop: Header=BB4_6 Depth=1
	v_subrev_nc_u32_e32 v5, s17, v41
	v_mov_b32_e32 v2, 0
	s_mov_b32 s28, exec_lo
; %bb.123:                              ;   in Loop: Header=BB4_6 Depth=1
	s_or_b32 exec_lo, exec_lo, s23
	s_delay_alu instid0(SALU_CYCLE_1)
	s_and_b32 s30, s28, exec_lo
.LBB4_124:                              ;   in Loop: Header=BB4_6 Depth=1
	s_or_b32 exec_lo, exec_lo, s15
	s_mov_b32 s29, -1
                                        ; implicit-def: $sgpr23
                                        ; implicit-def: $sgpr28
	s_and_saveexec_b32 s15, s30
	s_delay_alu instid0(SALU_CYCLE_1)
	s_xor_b32 s15, exec_lo, s15
	s_cbranch_execz .LBB4_241
; %bb.125:                              ;   in Loop: Header=BB4_6 Depth=1
	v_cmp_eq_u32_e32 vcc_lo, 1, v5
	s_cmp_eq_u32 s20, 1
	s_mov_b32 s31, -1
	s_cselect_b32 s23, -1, 0
                                        ; implicit-def: $sgpr28
	s_delay_alu instid0(SALU_CYCLE_1) | instskip(NEXT) | instid1(SALU_CYCLE_1)
	s_and_b32 s30, s23, vcc_lo
                                        ; implicit-def: $sgpr23
	s_and_saveexec_b32 s29, s30
	s_cbranch_execz .LBB4_151
; %bb.126:                              ;   in Loop: Header=BB4_6 Depth=1
	ds_load_b32 v6, v25 offset:4096
	s_wait_dscnt 0x0
	s_barrier_signal -1
	s_barrier_wait -1
	v_readfirstlane_b32 s33, v6
	s_and_saveexec_b32 s23, s6
; %bb.127:                              ;   in Loop: Header=BB4_6 Depth=1
	ds_store_b8 v0, v25 offset:3072
; %bb.128:                              ;   in Loop: Header=BB4_6 Depth=1
	s_or_b32 exec_lo, exec_lo, s23
	s_lshl_b32 s23, 1, s81
	v_or_b32_e32 v4, s18, v4
	v_and_or_b32 v3, v3, s19, s23
	s_mov_b32 s23, -1
	s_mov_b32 s28, 0
	s_cmp_eq_u32 s33, 0
	s_mov_b32 s31, 0
	s_mov_b32 s34, -1
	s_wait_dscnt 0x0
	s_barrier_signal -1
	s_barrier_wait -1
                                        ; implicit-def: $vgpr6
	s_cbranch_scc1 .LBB4_139
; %bb.129:                              ;   in Loop: Header=BB4_6 Depth=1
	s_add_co_i32 s44, s33, s62
                                        ; implicit-def: $vgpr6
	s_delay_alu instid0(SALU_CYCLE_1) | instskip(NEXT) | instid1(SALU_CYCLE_1)
	s_mul_u64 s[94:95], s[44:45], s[48:49]
	s_mul_i32 s31, s95, s35
	s_delay_alu instid0(SALU_CYCLE_1) | instskip(NEXT) | instid1(SALU_CYCLE_1)
	s_sub_co_i32 s31, s44, s31
	s_sub_co_i32 s34, s31, s35
	s_cmp_ge_u32 s31, s35
	s_cselect_b32 s31, s34, s31
	s_delay_alu instid0(SALU_CYCLE_1)
	s_sub_co_i32 s34, s31, s35
	s_cmp_ge_u32 s31, s35
	s_cselect_b32 s31, s34, s31
	s_mov_b32 s34, 0
	s_sub_co_i32 s94, s44, s31
	s_mov_b32 s31, 0
	s_mov_b32 s44, exec_lo
	v_cmpx_gt_u32_e64 s94, v0
	s_cbranch_execz .LBB4_138
; %bb.130:                              ;   in Loop: Header=BB4_6 Depth=1
	v_mov_b32_e32 v6, v0
                                        ; implicit-def: $sgpr95
	s_branch .LBB4_133
.LBB4_131:                              ;   in Loop: Header=BB4_133 Depth=2
	s_or_b32 exec_lo, exec_lo, s96
	s_wait_dscnt 0x0
	s_barrier_signal -1
	s_barrier_wait -1
	ds_load_u16 v7, v25 offset:3072
	s_mov_b32 s97, -1
	s_mov_b32 s96, -1
	s_wait_dscnt 0x0
	s_barrier_signal -1
	s_barrier_wait -1
	v_and_b32_e32 v8, 0xff, v7
	s_delay_alu instid0(VALU_DEP_1)
	v_cmp_ne_u32_e32 vcc_lo, 0, v8
	s_cbranch_vccz .LBB4_136
.LBB4_132:                              ;   in Loop: Header=BB4_133 Depth=2
	s_and_b32 s97, exec_lo, s97
	s_delay_alu instid0(SALU_CYCLE_1) | instskip(SKIP_2) | instid1(SALU_CYCLE_1)
	s_or_b32 s31, s97, s31
	s_and_not1_b32 s95, s95, exec_lo
	s_and_b32 s96, s96, exec_lo
	s_or_b32 s95, s95, s96
	s_and_not1_b32 exec_lo, exec_lo, s31
	s_cbranch_execz .LBB4_137
.LBB4_133:                              ;   Parent Loop BB4_6 Depth=1
                                        ; =>  This Inner Loop Header: Depth=2
	s_mov_b32 s96, exec_lo
	s_delay_alu instid0(VALU_DEP_1)
	v_cmpx_gt_u32_e64 s33, v6
	s_cbranch_execz .LBB4_131
; %bb.134:                              ;   in Loop: Header=BB4_133 Depth=2
	ds_load_u8 v7, v6
	s_wait_dscnt 0x0
	v_bitop3_b32 v8, v7, 0xff, v4 bitop3:0x80
	s_delay_alu instid0(VALU_DEP_1)
	v_cmp_eq_u32_e32 vcc_lo, v8, v3
	s_and_b32 exec_lo, exec_lo, vcc_lo
	s_cbranch_execz .LBB4_131
; %bb.135:                              ;   in Loop: Header=BB4_133 Depth=2
	v_lshlrev_b16 v7, 8, v7
	s_delay_alu instid0(VALU_DEP_1)
	v_or_b32_e32 v7, 1, v7
	ds_store_b16 v25, v7 offset:3072
	s_branch .LBB4_131
.LBB4_136:                              ;   in Loop: Header=BB4_133 Depth=2
	v_add_nc_u32_e32 v6, s35, v6
	s_mov_b32 s96, 0
	s_delay_alu instid0(VALU_DEP_1)
	v_cmp_le_u32_e32 vcc_lo, s94, v6
	s_or_not1_b32 s97, vcc_lo, exec_lo
	s_branch .LBB4_132
.LBB4_137:                              ;   in Loop: Header=BB4_6 Depth=1
	s_or_b32 exec_lo, exec_lo, s31
	v_and_b32_e32 v6, 0xffff, v7
	s_and_b32 s31, s95, exec_lo
	s_delay_alu instid0(VALU_DEP_1)
	v_lshrrev_b32_e32 v6, 8, v6
.LBB4_138:                              ;   in Loop: Header=BB4_6 Depth=1
	s_or_b32 exec_lo, exec_lo, s44
.LBB4_139:                              ;   in Loop: Header=BB4_6 Depth=1
	s_delay_alu instid0(SALU_CYCLE_1)
	s_and_b32 vcc_lo, exec_lo, s34
	s_cbranch_vccz .LBB4_150
; %bb.140:                              ;   in Loop: Header=BB4_6 Depth=1
                                        ; implicit-def: $vgpr6
	s_and_saveexec_b32 s23, s13
	s_cbranch_execz .LBB4_149
; %bb.141:                              ;   in Loop: Header=BB4_6 Depth=1
	v_dual_mov_b32 v6, v22 :: v_dual_mov_b32 v7, v0
	s_mov_b32 s28, 0
                                        ; implicit-def: $sgpr33
	s_branch .LBB4_144
.LBB4_142:                              ;   in Loop: Header=BB4_144 Depth=2
	s_or_b32 exec_lo, exec_lo, s34
	s_wait_dscnt 0x0
	s_barrier_signal -1
	s_barrier_wait -1
	ds_load_u16 v8, v25 offset:3072
	s_mov_b32 s34, -1
	s_mov_b32 s44, -1
	s_wait_dscnt 0x0
	s_barrier_signal -1
	s_barrier_wait -1
	v_and_b32_e32 v9, 0xff, v8
	s_delay_alu instid0(VALU_DEP_1)
	v_cmp_eq_u32_e32 vcc_lo, 0, v9
	s_cbranch_vccnz .LBB4_147
.LBB4_143:                              ;   in Loop: Header=BB4_144 Depth=2
	s_and_b32 s34, exec_lo, s34
	s_delay_alu instid0(SALU_CYCLE_1) | instskip(SKIP_2) | instid1(SALU_CYCLE_1)
	s_or_b32 s28, s34, s28
	s_and_not1_b32 s33, s33, exec_lo
	s_and_b32 s34, s44, exec_lo
	s_or_b32 s33, s33, s34
	s_and_not1_b32 exec_lo, exec_lo, s28
	s_cbranch_execz .LBB4_148
.LBB4_144:                              ;   Parent Loop BB4_6 Depth=1
                                        ; =>  This Inner Loop Header: Depth=2
	s_mov_b32 s34, exec_lo
	s_delay_alu instid0(VALU_DEP_1)
	v_cmpx_gt_u32_e64 s36, v7
	s_cbranch_execz .LBB4_142
; %bb.145:                              ;   in Loop: Header=BB4_144 Depth=2
	global_load_u8 v8, v6, s[38:39]
	s_wait_loadcnt 0x0
	v_bitop3_b32 v9, v8, 0xff, v4 bitop3:0x80
	s_delay_alu instid0(VALU_DEP_1)
	v_cmp_eq_u32_e32 vcc_lo, v9, v3
	s_and_b32 exec_lo, exec_lo, vcc_lo
	s_cbranch_execz .LBB4_142
; %bb.146:                              ;   in Loop: Header=BB4_144 Depth=2
	v_lshlrev_b16 v8, 8, v8
	s_delay_alu instid0(VALU_DEP_1)
	v_or_b32_e32 v8, 1, v8
	ds_store_b16 v25, v8 offset:3072
	s_branch .LBB4_142
.LBB4_147:                              ;   in Loop: Header=BB4_144 Depth=2
	v_dual_add_nc_u32 v7, s35, v7 :: v_dual_add_nc_u32 v6, s53, v6
	s_mov_b32 s44, 0
	s_delay_alu instid0(VALU_DEP_1)
	v_cmp_le_u32_e32 vcc_lo, s79, v7
	s_or_not1_b32 s34, vcc_lo, exec_lo
	s_branch .LBB4_143
.LBB4_148:                              ;   in Loop: Header=BB4_6 Depth=1
	s_or_b32 exec_lo, exec_lo, s28
	v_and_b32_e32 v6, 0xffff, v8
	s_and_not1_b32 s28, s31, exec_lo
	s_and_b32 s31, s33, exec_lo
	s_delay_alu instid0(SALU_CYCLE_1) | instskip(NEXT) | instid1(VALU_DEP_1)
	s_or_b32 s31, s28, s31
	v_lshrrev_b32_e32 v6, 8, v6
.LBB4_149:                              ;   in Loop: Header=BB4_6 Depth=1
	s_or_b32 exec_lo, exec_lo, s23
	s_mov_b32 s23, 0
	s_mov_b32 s28, -1
.LBB4_150:                              ;   in Loop: Header=BB4_6 Depth=1
	s_or_not1_b32 s31, s31, exec_lo
.LBB4_151:                              ;   in Loop: Header=BB4_6 Depth=1
	s_or_b32 exec_lo, exec_lo, s29
	s_mov_b32 s33, 0
	s_and_saveexec_b32 s29, s31
	s_cbranch_execz .LBB4_240
; %bb.152:                              ;   in Loop: Header=BB4_6 Depth=1
	v_dual_mov_b32 v7, 1 :: v_dual_mov_b32 v2, 1
	s_xor_b32 s31, s30, -1
	s_mov_b32 s44, 0
	s_and_saveexec_b32 s30, s31
	s_cbranch_execz .LBB4_161
; %bb.153:                              ;   in Loop: Header=BB4_6 Depth=1
	s_mov_b32 s31, exec_lo
	v_cmpx_ge_u32_e64 s20, v5
	s_xor_b32 s31, exec_lo, s31
	s_cbranch_execz .LBB4_158
; %bb.154:                              ;   in Loop: Header=BB4_6 Depth=1
	ds_load_b32 v2, v25 offset:4096
	s_lshl_b32 s33, 1, s81
	v_or_b32_e32 v4, s18, v4
	v_and_or_b32 v3, v3, s19, s33
	s_wait_dscnt 0x0
	v_cmp_ne_u32_e32 vcc_lo, 0, v2
	s_cbranch_vccnz .LBB4_158
; %bb.155:                              ;   in Loop: Header=BB4_6 Depth=1
	s_and_saveexec_b32 s33, s5
; %bb.156:                              ;   in Loop: Header=BB4_6 Depth=1
	v_mov_b32_e32 v2, s20
	ds_store_b32 v25, v2 offset:4100
; %bb.157:                              ;   in Loop: Header=BB4_6 Depth=1
	s_or_b32 exec_lo, exec_lo, s33
	s_wait_dscnt 0x0
	s_barrier_signal -1
	s_barrier_wait -1
.LBB4_158:                              ;   in Loop: Header=BB4_6 Depth=1
	s_or_saveexec_b32 s31, s31
	v_mov_b32_e32 v2, 8
	s_mov_b32 s33, 0
	s_xor_b32 exec_lo, exec_lo, s31
; %bb.159:                              ;   in Loop: Header=BB4_6 Depth=1
	v_subrev_nc_u32_e32 v5, s20, v5
	v_mov_b32_e32 v2, 0
	s_mov_b32 s33, exec_lo
; %bb.160:                              ;   in Loop: Header=BB4_6 Depth=1
	s_or_b32 exec_lo, exec_lo, s31
	s_delay_alu instid0(VALU_DEP_2)
	v_mov_b32_e32 v7, v5
	s_and_b32 s44, s33, exec_lo
.LBB4_161:                              ;   in Loop: Header=BB4_6 Depth=1
	s_or_b32 exec_lo, exec_lo, s30
	s_mov_b32 s34, -1
                                        ; implicit-def: $sgpr31
                                        ; implicit-def: $sgpr33
	s_and_saveexec_b32 s30, s44
	s_cbranch_execz .LBB4_239
; %bb.162:                              ;   in Loop: Header=BB4_6 Depth=1
	v_cmp_eq_u32_e32 vcc_lo, 1, v7
	s_cmp_eq_u32 s21, 1
	s_mov_b32 s44, -1
	s_cselect_b32 s31, -1, 0
                                        ; implicit-def: $sgpr33
	s_delay_alu instid0(SALU_CYCLE_1) | instskip(NEXT) | instid1(SALU_CYCLE_1)
	s_and_b32 s94, s31, vcc_lo
                                        ; implicit-def: $sgpr31
	s_and_saveexec_b32 s34, s94
	s_cbranch_execz .LBB4_188
; %bb.163:                              ;   in Loop: Header=BB4_6 Depth=1
	ds_load_b32 v5, v25 offset:4096
	s_wait_dscnt 0x0
	s_barrier_signal -1
	s_barrier_wait -1
	v_readfirstlane_b32 s95, v5
	s_and_saveexec_b32 s31, s6
; %bb.164:                              ;   in Loop: Header=BB4_6 Depth=1
	ds_store_b8 v0, v25 offset:3072
; %bb.165:                              ;   in Loop: Header=BB4_6 Depth=1
	s_or_b32 exec_lo, exec_lo, s31
	s_lshl_b32 s31, 2, s81
	v_or_b32_e32 v4, s18, v4
	v_and_or_b32 v3, v3, s19, s31
	s_mov_b32 s31, -1
	s_mov_b32 s33, 0
	s_cmp_eq_u32 s95, 0
	s_mov_b32 s44, 0
	s_mov_b32 s96, -1
	s_wait_dscnt 0x0
	s_barrier_signal -1
	s_barrier_wait -1
                                        ; implicit-def: $vgpr6
	s_cbranch_scc1 .LBB4_176
; %bb.166:                              ;   in Loop: Header=BB4_6 Depth=1
	s_add_co_i32 s44, s95, s62
                                        ; implicit-def: $vgpr6
	s_delay_alu instid0(SALU_CYCLE_1) | instskip(NEXT) | instid1(SALU_CYCLE_1)
	s_mul_u64 s[96:97], s[44:45], s[48:49]
	s_mul_i32 s96, s97, s35
	s_delay_alu instid0(SALU_CYCLE_1) | instskip(NEXT) | instid1(SALU_CYCLE_1)
	s_sub_co_i32 s96, s44, s96
	s_sub_co_i32 s97, s96, s35
	s_cmp_ge_u32 s96, s35
	s_cselect_b32 s96, s97, s96
	s_delay_alu instid0(SALU_CYCLE_1)
	s_sub_co_i32 s97, s96, s35
	s_cmp_ge_u32 s96, s35
	s_cselect_b32 s96, s97, s96
	s_mov_b32 s97, exec_lo
	s_sub_co_i32 s98, s44, s96
	s_mov_b32 s96, 0
	s_mov_b32 s44, 0
	v_cmpx_gt_u32_e64 s98, v0
	s_cbranch_execz .LBB4_175
; %bb.167:                              ;   in Loop: Header=BB4_6 Depth=1
	v_mov_b32_e32 v5, v0
                                        ; implicit-def: $sgpr99
	s_branch .LBB4_170
.LBB4_168:                              ;   in Loop: Header=BB4_170 Depth=2
	s_or_b32 exec_lo, exec_lo, s100
	s_wait_dscnt 0x0
	s_barrier_signal -1
	s_barrier_wait -1
	ds_load_u16 v6, v25 offset:3072
	s_mov_b32 s101, -1
	s_mov_b32 s100, -1
	s_wait_dscnt 0x0
	s_barrier_signal -1
	s_barrier_wait -1
	v_and_b32_e32 v8, 0xff, v6
	s_delay_alu instid0(VALU_DEP_1)
	v_cmp_ne_u32_e32 vcc_lo, 0, v8
	s_cbranch_vccz .LBB4_173
.LBB4_169:                              ;   in Loop: Header=BB4_170 Depth=2
	s_and_b32 s101, exec_lo, s101
	s_delay_alu instid0(SALU_CYCLE_1) | instskip(SKIP_2) | instid1(SALU_CYCLE_1)
	s_or_b32 s44, s101, s44
	s_and_not1_b32 s99, s99, exec_lo
	s_and_b32 s100, s100, exec_lo
	s_or_b32 s99, s99, s100
	s_and_not1_b32 exec_lo, exec_lo, s44
	s_cbranch_execz .LBB4_174
.LBB4_170:                              ;   Parent Loop BB4_6 Depth=1
                                        ; =>  This Inner Loop Header: Depth=2
	s_mov_b32 s100, exec_lo
	s_delay_alu instid0(VALU_DEP_1)
	v_cmpx_gt_u32_e64 s95, v5
	s_cbranch_execz .LBB4_168
; %bb.171:                              ;   in Loop: Header=BB4_170 Depth=2
	ds_load_u8 v6, v5
	s_wait_dscnt 0x0
	v_bitop3_b32 v8, v6, 0xff, v4 bitop3:0x80
	s_delay_alu instid0(VALU_DEP_1)
	v_cmp_eq_u32_e32 vcc_lo, v8, v3
	s_and_b32 exec_lo, exec_lo, vcc_lo
	s_cbranch_execz .LBB4_168
; %bb.172:                              ;   in Loop: Header=BB4_170 Depth=2
	v_lshlrev_b16 v6, 8, v6
	s_delay_alu instid0(VALU_DEP_1)
	v_or_b32_e32 v6, 1, v6
	ds_store_b16 v25, v6 offset:3072
	s_branch .LBB4_168
.LBB4_173:                              ;   in Loop: Header=BB4_170 Depth=2
	v_add_nc_u32_e32 v5, s35, v5
	s_mov_b32 s100, 0
	s_delay_alu instid0(VALU_DEP_1)
	v_cmp_le_u32_e32 vcc_lo, s98, v5
	s_or_not1_b32 s101, vcc_lo, exec_lo
	s_branch .LBB4_169
.LBB4_174:                              ;   in Loop: Header=BB4_6 Depth=1
	s_or_b32 exec_lo, exec_lo, s44
	v_and_b32_e32 v5, 0xffff, v6
	s_and_b32 s44, s99, exec_lo
	s_delay_alu instid0(VALU_DEP_1)
	v_lshrrev_b32_e32 v6, 8, v5
.LBB4_175:                              ;   in Loop: Header=BB4_6 Depth=1
	s_or_b32 exec_lo, exec_lo, s97
.LBB4_176:                              ;   in Loop: Header=BB4_6 Depth=1
	s_delay_alu instid0(SALU_CYCLE_1)
	s_and_b32 vcc_lo, exec_lo, s96
	s_cbranch_vccz .LBB4_187
; %bb.177:                              ;   in Loop: Header=BB4_6 Depth=1
                                        ; implicit-def: $vgpr6
	s_and_saveexec_b32 s31, s13
	s_cbranch_execz .LBB4_186
; %bb.178:                              ;   in Loop: Header=BB4_6 Depth=1
	v_dual_mov_b32 v5, v22 :: v_dual_mov_b32 v6, v0
	s_mov_b32 s33, 0
                                        ; implicit-def: $sgpr95
	s_branch .LBB4_181
.LBB4_179:                              ;   in Loop: Header=BB4_181 Depth=2
	s_or_b32 exec_lo, exec_lo, s96
	s_wait_dscnt 0x0
	s_barrier_signal -1
	s_barrier_wait -1
	ds_load_u16 v8, v25 offset:3072
	s_mov_b32 s96, -1
	s_mov_b32 s97, -1
	s_wait_dscnt 0x0
	s_barrier_signal -1
	s_barrier_wait -1
	v_and_b32_e32 v9, 0xff, v8
	s_delay_alu instid0(VALU_DEP_1)
	v_cmp_eq_u32_e32 vcc_lo, 0, v9
	s_cbranch_vccnz .LBB4_184
.LBB4_180:                              ;   in Loop: Header=BB4_181 Depth=2
	s_and_b32 s96, exec_lo, s96
	s_delay_alu instid0(SALU_CYCLE_1) | instskip(SKIP_2) | instid1(SALU_CYCLE_1)
	s_or_b32 s33, s96, s33
	s_and_not1_b32 s95, s95, exec_lo
	s_and_b32 s96, s97, exec_lo
	s_or_b32 s95, s95, s96
	s_and_not1_b32 exec_lo, exec_lo, s33
	s_cbranch_execz .LBB4_185
.LBB4_181:                              ;   Parent Loop BB4_6 Depth=1
                                        ; =>  This Inner Loop Header: Depth=2
	s_mov_b32 s96, exec_lo
	s_delay_alu instid0(VALU_DEP_1)
	v_cmpx_gt_u32_e64 s36, v6
	s_cbranch_execz .LBB4_179
; %bb.182:                              ;   in Loop: Header=BB4_181 Depth=2
	global_load_u8 v8, v5, s[38:39]
	s_wait_loadcnt 0x0
	v_bitop3_b32 v9, v8, 0xff, v4 bitop3:0x80
	s_delay_alu instid0(VALU_DEP_1)
	v_cmp_eq_u32_e32 vcc_lo, v9, v3
	s_and_b32 exec_lo, exec_lo, vcc_lo
	s_cbranch_execz .LBB4_179
; %bb.183:                              ;   in Loop: Header=BB4_181 Depth=2
	v_lshlrev_b16 v8, 8, v8
	s_delay_alu instid0(VALU_DEP_1)
	v_or_b32_e32 v8, 1, v8
	ds_store_b16 v25, v8 offset:3072
	s_branch .LBB4_179
.LBB4_184:                              ;   in Loop: Header=BB4_181 Depth=2
	v_dual_add_nc_u32 v6, s35, v6 :: v_dual_add_nc_u32 v5, s53, v5
	s_mov_b32 s97, 0
	s_delay_alu instid0(VALU_DEP_1)
	v_cmp_le_u32_e32 vcc_lo, s79, v6
	s_or_not1_b32 s96, vcc_lo, exec_lo
	s_branch .LBB4_180
.LBB4_185:                              ;   in Loop: Header=BB4_6 Depth=1
	s_or_b32 exec_lo, exec_lo, s33
	v_and_b32_e32 v5, 0xffff, v8
	s_and_not1_b32 s33, s44, exec_lo
	s_and_b32 s44, s95, exec_lo
	s_delay_alu instid0(SALU_CYCLE_1) | instskip(NEXT) | instid1(VALU_DEP_1)
	s_or_b32 s44, s33, s44
	v_lshrrev_b32_e32 v6, 8, v5
.LBB4_186:                              ;   in Loop: Header=BB4_6 Depth=1
	s_or_b32 exec_lo, exec_lo, s31
	s_mov_b32 s31, 0
	s_mov_b32 s33, -1
.LBB4_187:                              ;   in Loop: Header=BB4_6 Depth=1
	s_or_not1_b32 s44, s44, exec_lo
.LBB4_188:                              ;   in Loop: Header=BB4_6 Depth=1
	s_or_b32 exec_lo, exec_lo, s34
	s_mov_b32 s95, 0
	s_and_saveexec_b32 s34, s44
	s_cbranch_execz .LBB4_238
; %bb.189:                              ;   in Loop: Header=BB4_6 Depth=1
	v_dual_mov_b32 v5, 1 :: v_dual_mov_b32 v2, 1
	s_xor_b32 s94, s94, -1
	s_mov_b32 s96, 0
	s_and_saveexec_b32 s44, s94
	s_cbranch_execz .LBB4_198
; %bb.190:                              ;   in Loop: Header=BB4_6 Depth=1
	s_mov_b32 s94, exec_lo
	v_cmpx_ge_u32_e64 s21, v7
	s_xor_b32 s94, exec_lo, s94
	s_cbranch_execz .LBB4_195
; %bb.191:                              ;   in Loop: Header=BB4_6 Depth=1
	ds_load_b32 v2, v25 offset:4096
	s_lshl_b32 s95, 2, s81
	v_or_b32_e32 v4, s18, v4
	v_and_or_b32 v3, v3, s19, s95
	s_wait_dscnt 0x0
	v_cmp_ne_u32_e32 vcc_lo, 0, v2
	s_cbranch_vccnz .LBB4_195
; %bb.192:                              ;   in Loop: Header=BB4_6 Depth=1
	s_and_saveexec_b32 s95, s5
; %bb.193:                              ;   in Loop: Header=BB4_6 Depth=1
	v_mov_b32_e32 v2, s21
	ds_store_b32 v25, v2 offset:4100
; %bb.194:                              ;   in Loop: Header=BB4_6 Depth=1
	s_or_b32 exec_lo, exec_lo, s95
	s_wait_dscnt 0x0
	s_barrier_signal -1
	s_barrier_wait -1
.LBB4_195:                              ;   in Loop: Header=BB4_6 Depth=1
	s_or_saveexec_b32 s94, s94
	v_mov_b32_e32 v2, 8
	s_mov_b32 s95, 0
	s_xor_b32 exec_lo, exec_lo, s94
; %bb.196:                              ;   in Loop: Header=BB4_6 Depth=1
	v_subrev_nc_u32_e32 v7, s21, v7
	v_mov_b32_e32 v2, 0
	s_mov_b32 s95, exec_lo
; %bb.197:                              ;   in Loop: Header=BB4_6 Depth=1
	s_or_b32 exec_lo, exec_lo, s94
	s_delay_alu instid0(VALU_DEP_2)
	v_mov_b32_e32 v5, v7
	s_and_b32 s96, s95, exec_lo
.LBB4_198:                              ;   in Loop: Header=BB4_6 Depth=1
	s_or_b32 exec_lo, exec_lo, s44
	s_mov_b32 s44, -1
                                        ; implicit-def: $sgpr97
                                        ; implicit-def: $sgpr95
	s_and_saveexec_b32 s94, s96
	s_cbranch_execz .LBB4_237
; %bb.199:                              ;   in Loop: Header=BB4_6 Depth=1
	v_cmp_eq_u32_e32 vcc_lo, 1, v5
	s_cmp_eq_u32 s22, 1
	s_mov_b32 s99, -1
	s_cselect_b32 s44, -1, 0
                                        ; implicit-def: $sgpr97
                                        ; implicit-def: $sgpr95
	s_delay_alu instid0(SALU_CYCLE_1) | instskip(NEXT) | instid1(SALU_CYCLE_1)
	s_and_b32 s96, s44, vcc_lo
	s_and_saveexec_b32 s98, s96
	s_cbranch_execz .LBB4_225
; %bb.200:                              ;   in Loop: Header=BB4_6 Depth=1
	ds_load_b32 v6, v25 offset:4096
	s_wait_dscnt 0x0
	s_barrier_signal -1
	s_barrier_wait -1
	v_readfirstlane_b32 s99, v6
	s_and_saveexec_b32 s44, s6
; %bb.201:                              ;   in Loop: Header=BB4_6 Depth=1
	ds_store_b8 v0, v25 offset:3072
; %bb.202:                              ;   in Loop: Header=BB4_6 Depth=1
	s_or_b32 exec_lo, exec_lo, s44
	v_or_b32_e32 v3, s18, v3
	v_or_b32_e32 v4, s18, v4
	s_mov_b32 s95, -1
	s_mov_b32 s97, 0
	s_cmp_eq_u32 s99, 0
	s_mov_b32 s44, 0
	s_mov_b32 s100, -1
	s_wait_dscnt 0x0
	s_barrier_signal -1
	s_barrier_wait -1
                                        ; implicit-def: $vgpr6
	s_cbranch_scc1 .LBB4_213
; %bb.203:                              ;   in Loop: Header=BB4_6 Depth=1
	s_add_co_i32 s44, s99, s62
                                        ; implicit-def: $vgpr6
	s_delay_alu instid0(SALU_CYCLE_1) | instskip(NEXT) | instid1(SALU_CYCLE_1)
	s_mul_u64 s[100:101], s[44:45], s[48:49]
	s_mul_i32 s100, s101, s35
	s_delay_alu instid0(SALU_CYCLE_1) | instskip(NEXT) | instid1(SALU_CYCLE_1)
	s_sub_co_i32 s100, s44, s100
	s_sub_co_i32 s101, s100, s35
	s_cmp_ge_u32 s100, s35
	s_cselect_b32 s100, s101, s100
	s_delay_alu instid0(SALU_CYCLE_1)
	s_sub_co_i32 s101, s100, s35
	s_cmp_ge_u32 s100, s35
	s_cselect_b32 s100, s101, s100
	s_mov_b32 s101, exec_lo
	s_sub_co_i32 s102, s44, s100
	s_mov_b32 s100, 0
	s_mov_b32 s44, 0
	v_cmpx_gt_u32_e64 s102, v0
	s_cbranch_execz .LBB4_212
; %bb.204:                              ;   in Loop: Header=BB4_6 Depth=1
	v_mov_b32_e32 v6, v0
                                        ; implicit-def: $sgpr103
	s_branch .LBB4_207
.LBB4_205:                              ;   in Loop: Header=BB4_207 Depth=2
	s_or_b32 exec_lo, exec_lo, s104
	s_wait_dscnt 0x0
	s_barrier_signal -1
	s_barrier_wait -1
	ds_load_u16 v7, v25 offset:3072
	s_mov_b32 vcc_hi, -1
	s_mov_b32 s104, -1
	s_wait_dscnt 0x0
	s_barrier_signal -1
	s_barrier_wait -1
	v_and_b32_e32 v8, 0xff, v7
	s_delay_alu instid0(VALU_DEP_1)
	v_cmp_ne_u32_e32 vcc_lo, 0, v8
	s_cbranch_vccz .LBB4_210
.LBB4_206:                              ;   in Loop: Header=BB4_207 Depth=2
	s_and_b32 vcc_lo, exec_lo, vcc_hi
	s_delay_alu instid0(SALU_CYCLE_1) | instskip(SKIP_2) | instid1(SALU_CYCLE_1)
	s_or_b32 s44, vcc_lo, s44
	s_and_not1_b32 s103, s103, exec_lo
	s_and_b32 s104, s104, exec_lo
	s_or_b32 s103, s103, s104
	s_and_not1_b32 exec_lo, exec_lo, s44
	s_cbranch_execz .LBB4_211
.LBB4_207:                              ;   Parent Loop BB4_6 Depth=1
                                        ; =>  This Inner Loop Header: Depth=2
	s_mov_b32 s104, exec_lo
	s_delay_alu instid0(VALU_DEP_1)
	v_cmpx_gt_u32_e64 s99, v6
	s_cbranch_execz .LBB4_205
; %bb.208:                              ;   in Loop: Header=BB4_207 Depth=2
	ds_load_u8 v7, v6
	s_wait_dscnt 0x0
	v_bitop3_b32 v8, v7, 0xff, v4 bitop3:0x80
	s_delay_alu instid0(VALU_DEP_1)
	v_cmp_eq_u32_e32 vcc_lo, v8, v3
	s_and_b32 exec_lo, exec_lo, vcc_lo
	s_cbranch_execz .LBB4_205
; %bb.209:                              ;   in Loop: Header=BB4_207 Depth=2
	v_lshlrev_b16 v7, 8, v7
	s_delay_alu instid0(VALU_DEP_1)
	v_or_b32_e32 v7, 1, v7
	ds_store_b16 v25, v7 offset:3072
	s_branch .LBB4_205
.LBB4_210:                              ;   in Loop: Header=BB4_207 Depth=2
	v_add_nc_u32_e32 v6, s35, v6
	s_mov_b32 s104, 0
	s_delay_alu instid0(VALU_DEP_1)
	v_cmp_le_u32_e32 vcc_lo, s102, v6
	s_or_not1_b32 vcc_hi, vcc_lo, exec_lo
	s_branch .LBB4_206
.LBB4_211:                              ;   in Loop: Header=BB4_6 Depth=1
	s_or_b32 exec_lo, exec_lo, s44
	v_and_b32_e32 v6, 0xffff, v7
	s_and_b32 s44, s103, exec_lo
	s_delay_alu instid0(VALU_DEP_1)
	v_lshrrev_b32_e32 v6, 8, v6
.LBB4_212:                              ;   in Loop: Header=BB4_6 Depth=1
	s_or_b32 exec_lo, exec_lo, s101
.LBB4_213:                              ;   in Loop: Header=BB4_6 Depth=1
	s_delay_alu instid0(SALU_CYCLE_1)
	s_and_b32 vcc_lo, exec_lo, s100
	s_cbranch_vccz .LBB4_224
; %bb.214:                              ;   in Loop: Header=BB4_6 Depth=1
                                        ; implicit-def: $vgpr6
	s_and_saveexec_b32 s95, s13
	s_cbranch_execz .LBB4_223
; %bb.215:                              ;   in Loop: Header=BB4_6 Depth=1
	v_dual_mov_b32 v6, v22 :: v_dual_mov_b32 v7, v0
	s_mov_b32 s97, 0
                                        ; implicit-def: $sgpr99
	s_branch .LBB4_218
.LBB4_216:                              ;   in Loop: Header=BB4_218 Depth=2
	s_or_b32 exec_lo, exec_lo, s100
	s_wait_dscnt 0x0
	s_barrier_signal -1
	s_barrier_wait -1
	ds_load_u16 v8, v25 offset:3072
	s_mov_b32 s100, -1
	s_mov_b32 s101, -1
	s_wait_dscnt 0x0
	s_barrier_signal -1
	s_barrier_wait -1
	v_and_b32_e32 v9, 0xff, v8
	s_delay_alu instid0(VALU_DEP_1)
	v_cmp_eq_u32_e32 vcc_lo, 0, v9
	s_cbranch_vccnz .LBB4_221
.LBB4_217:                              ;   in Loop: Header=BB4_218 Depth=2
	s_and_b32 s100, exec_lo, s100
	s_delay_alu instid0(SALU_CYCLE_1) | instskip(SKIP_2) | instid1(SALU_CYCLE_1)
	s_or_b32 s97, s100, s97
	s_and_not1_b32 s99, s99, exec_lo
	s_and_b32 s100, s101, exec_lo
	s_or_b32 s99, s99, s100
	s_and_not1_b32 exec_lo, exec_lo, s97
	s_cbranch_execz .LBB4_222
.LBB4_218:                              ;   Parent Loop BB4_6 Depth=1
                                        ; =>  This Inner Loop Header: Depth=2
	s_mov_b32 s100, exec_lo
	s_delay_alu instid0(VALU_DEP_1)
	v_cmpx_gt_u32_e64 s36, v7
	s_cbranch_execz .LBB4_216
; %bb.219:                              ;   in Loop: Header=BB4_218 Depth=2
	global_load_u8 v8, v6, s[38:39]
	s_wait_loadcnt 0x0
	v_bitop3_b32 v9, v8, 0xff, v4 bitop3:0x80
	s_delay_alu instid0(VALU_DEP_1)
	v_cmp_eq_u32_e32 vcc_lo, v9, v3
	s_and_b32 exec_lo, exec_lo, vcc_lo
	s_cbranch_execz .LBB4_216
; %bb.220:                              ;   in Loop: Header=BB4_218 Depth=2
	v_lshlrev_b16 v8, 8, v8
	s_delay_alu instid0(VALU_DEP_1)
	v_or_b32_e32 v8, 1, v8
	ds_store_b16 v25, v8 offset:3072
	s_branch .LBB4_216
.LBB4_221:                              ;   in Loop: Header=BB4_218 Depth=2
	v_dual_add_nc_u32 v7, s35, v7 :: v_dual_add_nc_u32 v6, s53, v6
	s_mov_b32 s101, 0
	s_delay_alu instid0(VALU_DEP_1)
	v_cmp_le_u32_e32 vcc_lo, s79, v7
	s_or_not1_b32 s100, vcc_lo, exec_lo
	s_branch .LBB4_217
.LBB4_222:                              ;   in Loop: Header=BB4_6 Depth=1
	s_or_b32 exec_lo, exec_lo, s97
	v_and_b32_e32 v6, 0xffff, v8
	s_and_not1_b32 s44, s44, exec_lo
	s_and_b32 s97, s99, exec_lo
	s_delay_alu instid0(SALU_CYCLE_1) | instskip(NEXT) | instid1(VALU_DEP_1)
	s_or_b32 s44, s44, s97
	v_lshrrev_b32_e32 v6, 8, v6
.LBB4_223:                              ;   in Loop: Header=BB4_6 Depth=1
	s_or_b32 exec_lo, exec_lo, s95
	s_mov_b32 s95, 0
	s_mov_b32 s97, -1
.LBB4_224:                              ;   in Loop: Header=BB4_6 Depth=1
	s_or_not1_b32 s99, s44, exec_lo
.LBB4_225:                              ;   in Loop: Header=BB4_6 Depth=1
	s_or_b32 exec_lo, exec_lo, s98
	s_mov_b32 s98, 0
	s_and_saveexec_b32 s44, s99
	s_cbranch_execz .LBB4_236
; %bb.226:                              ;   in Loop: Header=BB4_6 Depth=1
	v_dual_mov_b32 v2, 1 :: v_dual_mov_b32 v7, 1
	s_xor_b32 s98, s96, -1
	s_delay_alu instid0(SALU_CYCLE_1)
	s_and_saveexec_b32 s96, s98
	s_cbranch_execz .LBB4_235
; %bb.227:                              ;   in Loop: Header=BB4_6 Depth=1
	s_mov_b32 s98, exec_lo
	v_cmpx_ge_u32_e64 s22, v5
	s_xor_b32 s98, exec_lo, s98
	s_cbranch_execz .LBB4_232
; %bb.228:                              ;   in Loop: Header=BB4_6 Depth=1
	ds_load_b32 v2, v25 offset:4096
	v_or_b32_e32 v3, s18, v3
	v_or_b32_e32 v4, s18, v4
	s_wait_dscnt 0x0
	v_cmp_ne_u32_e32 vcc_lo, 0, v2
	s_cbranch_vccnz .LBB4_232
; %bb.229:                              ;   in Loop: Header=BB4_6 Depth=1
	s_and_saveexec_b32 s99, s5
; %bb.230:                              ;   in Loop: Header=BB4_6 Depth=1
	v_mov_b32_e32 v2, s22
	ds_store_b32 v25, v2 offset:4100
; %bb.231:                              ;   in Loop: Header=BB4_6 Depth=1
	s_or_b32 exec_lo, exec_lo, s99
	s_wait_dscnt 0x0
	s_barrier_signal -1
	s_barrier_wait -1
.LBB4_232:                              ;   in Loop: Header=BB4_6 Depth=1
	s_and_not1_saveexec_b32 s98, s98
; %bb.233:                              ;   in Loop: Header=BB4_6 Depth=1
	v_subrev_nc_u32_e32 v5, s22, v5
; %bb.234:                              ;   in Loop: Header=BB4_6 Depth=1
	s_or_b32 exec_lo, exec_lo, s98
	s_delay_alu instid0(VALU_DEP_1)
	v_dual_mov_b32 v2, 8 :: v_dual_mov_b32 v7, v5
.LBB4_235:                              ;   in Loop: Header=BB4_6 Depth=1
	s_or_b32 exec_lo, exec_lo, s96
	s_delay_alu instid0(VALU_DEP_1)
	v_mov_b32_e32 v5, v7
	s_mov_b32 s98, exec_lo
.LBB4_236:                              ;   in Loop: Header=BB4_6 Depth=1
	s_or_b32 exec_lo, exec_lo, s44
	s_delay_alu instid0(SALU_CYCLE_1)
	s_or_not1_b32 s44, s98, exec_lo
.LBB4_237:                              ;   in Loop: Header=BB4_6 Depth=1
	s_or_b32 exec_lo, exec_lo, s94
	v_mov_b32_e32 v7, v5
	s_and_not1_b32 s33, s33, exec_lo
	s_and_b32 s94, s97, exec_lo
	s_and_not1_b32 s31, s31, exec_lo
	s_and_b32 s95, s95, exec_lo
	s_or_b32 s33, s33, s94
	s_or_b32 s31, s31, s95
	s_and_b32 s95, s44, exec_lo
.LBB4_238:                              ;   in Loop: Header=BB4_6 Depth=1
	s_or_b32 exec_lo, exec_lo, s34
	s_delay_alu instid0(SALU_CYCLE_1)
	s_or_not1_b32 s34, s95, exec_lo
.LBB4_239:                              ;   in Loop: Header=BB4_6 Depth=1
	s_or_b32 exec_lo, exec_lo, s30
	v_mov_b32_e32 v5, v7
	s_and_not1_b32 s28, s28, exec_lo
	s_and_b32 s30, s33, exec_lo
	s_and_not1_b32 s23, s23, exec_lo
	s_and_b32 s31, s31, exec_lo
	s_or_b32 s28, s28, s30
	s_or_b32 s23, s23, s31
	s_and_b32 s33, s34, exec_lo
.LBB4_240:                              ;   in Loop: Header=BB4_6 Depth=1
	s_or_b32 exec_lo, exec_lo, s29
	s_delay_alu instid0(SALU_CYCLE_1)
	s_or_not1_b32 s29, s33, exec_lo
.LBB4_241:                              ;   in Loop: Header=BB4_6 Depth=1
	s_or_b32 exec_lo, exec_lo, s15
	s_mov_b32 s30, 0
	s_mov_b32 s31, 0
	s_and_saveexec_b32 s15, s29
	s_delay_alu instid0(SALU_CYCLE_1)
	s_xor_b32 s29, exec_lo, s15
; %bb.242:                              ;   in Loop: Header=BB4_6 Depth=1
	v_cmp_ne_u32_e32 vcc_lo, 8, v2
	v_cmp_eq_u32_e64 s15, 8, v2
	s_and_b32 s31, vcc_lo, exec_lo
	s_and_b32 s30, s15, exec_lo
; %bb.243:                              ;   in Loop: Header=BB4_6 Depth=1
	s_or_b32 exec_lo, exec_lo, s29
	s_delay_alu instid0(SALU_CYCLE_1)
	s_and_not1_b32 s15, s25, exec_lo
	s_and_b32 s25, s28, exec_lo
	s_and_not1_b32 s24, s24, exec_lo
	s_and_b32 s23, s23, exec_lo
	s_or_b32 s25, s15, s25
	s_or_b32 s24, s24, s23
	s_and_b32 s15, s31, exec_lo
	s_and_b32 s23, s30, exec_lo
.LBB4_244:                              ;   in Loop: Header=BB4_6 Depth=1
	s_or_b32 exec_lo, exec_lo, s27
.LBB4_245:                              ;   in Loop: Header=BB4_6 Depth=1
	s_delay_alu instid0(SALU_CYCLE_1)
	s_and_b32 vcc_lo, exec_lo, s26
	s_cbranch_vccz .LBB4_258
; %bb.246:                              ;   in Loop: Header=BB4_6 Depth=1
	s_cmp_eq_u32 s22, 1
	s_mov_b32 s25, -1
	s_cselect_b32 s16, -1, 0
                                        ; implicit-def: $sgpr26
	s_delay_alu instid0(SALU_CYCLE_1) | instskip(NEXT) | instid1(SALU_CYCLE_1)
	s_and_b32 s14, s16, s14
                                        ; implicit-def: $sgpr16
	s_and_saveexec_b32 s24, s14
	s_cbranch_execz .LBB4_273
; %bb.247:                              ;   in Loop: Header=BB4_6 Depth=1
	ds_load_b32 v2, v25 offset:4096
	s_wait_dscnt 0x0
	s_barrier_signal -1
	s_barrier_wait -1
	v_readfirstlane_b32 s27, v2
	s_and_saveexec_b32 s16, s6
; %bb.248:                              ;   in Loop: Header=BB4_6 Depth=1
	ds_store_b8 v0, v25 offset:3072
; %bb.249:                              ;   in Loop: Header=BB4_6 Depth=1
	s_or_b32 exec_lo, exec_lo, s16
	v_or_b32_e32 v32, s18, v32
	v_or_b32_e32 v39, s18, v39
	s_mov_b32 s16, -1
	s_mov_b32 s26, 0
	s_cmp_eq_u32 s27, 0
	s_mov_b32 s25, 0
	s_mov_b32 s28, -1
	s_wait_dscnt 0x0
	s_barrier_signal -1
	s_barrier_wait -1
                                        ; implicit-def: $vgpr40
	s_cbranch_scc1 .LBB4_261
; %bb.250:                              ;   in Loop: Header=BB4_6 Depth=1
	s_add_co_i32 s44, s27, s62
                                        ; implicit-def: $vgpr40
	s_delay_alu instid0(SALU_CYCLE_1) | instskip(NEXT) | instid1(SALU_CYCLE_1)
	s_mul_u64 s[28:29], s[44:45], s[48:49]
	s_mul_i32 s25, s29, s35
	s_mov_b32 s29, exec_lo
	s_sub_co_i32 s25, s44, s25
	s_delay_alu instid0(SALU_CYCLE_1) | instskip(SKIP_2) | instid1(SALU_CYCLE_1)
	s_sub_co_i32 s28, s25, s35
	s_cmp_ge_u32 s25, s35
	s_cselect_b32 s25, s28, s25
	s_sub_co_i32 s28, s25, s35
	s_cmp_ge_u32 s25, s35
	s_cselect_b32 s25, s28, s25
	s_mov_b32 s28, 0
	s_sub_co_i32 s30, s44, s25
	s_mov_b32 s25, 0
	v_cmpx_gt_u32_e64 s30, v0
	s_cbranch_execz .LBB4_260
; %bb.251:                              ;   in Loop: Header=BB4_6 Depth=1
	v_mov_b32_e32 v2, v0
                                        ; implicit-def: $sgpr31
	s_branch .LBB4_254
.LBB4_252:                              ;   in Loop: Header=BB4_254 Depth=2
	s_or_b32 exec_lo, exec_lo, s33
	s_wait_dscnt 0x0
	s_barrier_signal -1
	s_barrier_wait -1
	ds_load_u16 v3, v25 offset:3072
	s_mov_b32 s34, -1
	s_mov_b32 s33, -1
	s_wait_dscnt 0x0
	s_barrier_signal -1
	s_barrier_wait -1
	v_and_b32_e32 v4, 0xff, v3
	s_delay_alu instid0(VALU_DEP_1)
	v_cmp_ne_u32_e32 vcc_lo, 0, v4
	s_cbranch_vccz .LBB4_257
.LBB4_253:                              ;   in Loop: Header=BB4_254 Depth=2
	s_and_b32 s34, exec_lo, s34
	s_delay_alu instid0(SALU_CYCLE_1) | instskip(SKIP_2) | instid1(SALU_CYCLE_1)
	s_or_b32 s25, s34, s25
	s_and_not1_b32 s31, s31, exec_lo
	s_and_b32 s33, s33, exec_lo
	s_or_b32 s31, s31, s33
	s_and_not1_b32 exec_lo, exec_lo, s25
	s_cbranch_execz .LBB4_259
.LBB4_254:                              ;   Parent Loop BB4_6 Depth=1
                                        ; =>  This Inner Loop Header: Depth=2
	s_mov_b32 s33, exec_lo
	s_delay_alu instid0(VALU_DEP_1)
	v_cmpx_gt_u32_e64 s27, v2
	s_cbranch_execz .LBB4_252
; %bb.255:                              ;   in Loop: Header=BB4_254 Depth=2
	ds_load_u8 v3, v2
	s_wait_dscnt 0x0
	v_bitop3_b32 v4, v3, 0xff, v39 bitop3:0x80
	s_delay_alu instid0(VALU_DEP_1)
	v_cmp_eq_u32_e32 vcc_lo, v4, v32
	s_and_b32 exec_lo, exec_lo, vcc_lo
	s_cbranch_execz .LBB4_252
; %bb.256:                              ;   in Loop: Header=BB4_254 Depth=2
	v_lshlrev_b16 v3, 8, v3
	s_delay_alu instid0(VALU_DEP_1)
	v_or_b32_e32 v3, 1, v3
	ds_store_b16 v25, v3 offset:3072
	s_branch .LBB4_252
.LBB4_257:                              ;   in Loop: Header=BB4_254 Depth=2
	v_add_nc_u32_e32 v2, s35, v2
	s_mov_b32 s33, 0
	s_delay_alu instid0(VALU_DEP_1)
	v_cmp_le_u32_e32 vcc_lo, s30, v2
	s_or_not1_b32 s34, vcc_lo, exec_lo
	s_branch .LBB4_253
.LBB4_258:                              ;   in Loop: Header=BB4_6 Depth=1
	v_dual_mov_b32 v32, v3 :: v_dual_mov_b32 v39, v4
	v_mov_b32_e32 v40, v6
	s_mov_b32 s26, 0
	s_and_saveexec_b32 s14, s23
	s_cbranch_execnz .LBB4_404
	s_branch .LBB4_405
.LBB4_259:                              ;   in Loop: Header=BB4_6 Depth=1
	s_or_b32 exec_lo, exec_lo, s25
	v_and_b32_e32 v2, 0xffff, v3
	s_and_b32 s25, s31, exec_lo
	s_delay_alu instid0(VALU_DEP_1)
	v_lshrrev_b32_e32 v40, 8, v2
.LBB4_260:                              ;   in Loop: Header=BB4_6 Depth=1
	s_or_b32 exec_lo, exec_lo, s29
.LBB4_261:                              ;   in Loop: Header=BB4_6 Depth=1
	s_delay_alu instid0(SALU_CYCLE_1)
	s_and_b32 vcc_lo, exec_lo, s28
	s_cbranch_vccz .LBB4_272
; %bb.262:                              ;   in Loop: Header=BB4_6 Depth=1
                                        ; implicit-def: $vgpr40
	s_and_saveexec_b32 s16, s13
	s_cbranch_execz .LBB4_271
; %bb.263:                              ;   in Loop: Header=BB4_6 Depth=1
	v_dual_mov_b32 v2, v22 :: v_dual_mov_b32 v3, v0
	s_mov_b32 s27, 0
                                        ; implicit-def: $sgpr26
	s_branch .LBB4_266
.LBB4_264:                              ;   in Loop: Header=BB4_266 Depth=2
	s_or_b32 exec_lo, exec_lo, s28
	s_wait_dscnt 0x0
	s_barrier_signal -1
	s_barrier_wait -1
	ds_load_u16 v4, v25 offset:3072
	s_mov_b32 s28, -1
	s_mov_b32 s29, -1
	s_wait_dscnt 0x0
	s_barrier_signal -1
	s_barrier_wait -1
	v_and_b32_e32 v5, 0xff, v4
	s_delay_alu instid0(VALU_DEP_1)
	v_cmp_ne_u32_e32 vcc_lo, 0, v5
	s_cbranch_vccz .LBB4_269
.LBB4_265:                              ;   in Loop: Header=BB4_266 Depth=2
	s_and_b32 s28, exec_lo, s28
	s_delay_alu instid0(SALU_CYCLE_1) | instskip(SKIP_2) | instid1(SALU_CYCLE_1)
	s_or_b32 s27, s28, s27
	s_and_not1_b32 s26, s26, exec_lo
	s_and_b32 s28, s29, exec_lo
	s_or_b32 s26, s26, s28
	s_and_not1_b32 exec_lo, exec_lo, s27
	s_cbranch_execz .LBB4_270
.LBB4_266:                              ;   Parent Loop BB4_6 Depth=1
                                        ; =>  This Inner Loop Header: Depth=2
	s_mov_b32 s28, exec_lo
	s_delay_alu instid0(VALU_DEP_1)
	v_cmpx_gt_u32_e64 s36, v3
	s_cbranch_execz .LBB4_264
; %bb.267:                              ;   in Loop: Header=BB4_266 Depth=2
	global_load_u8 v4, v2, s[38:39]
	s_wait_loadcnt 0x0
	v_bitop3_b32 v5, v4, 0xff, v39 bitop3:0x80
	s_delay_alu instid0(VALU_DEP_1)
	v_cmp_eq_u32_e32 vcc_lo, v5, v32
	s_and_b32 exec_lo, exec_lo, vcc_lo
	s_cbranch_execz .LBB4_264
; %bb.268:                              ;   in Loop: Header=BB4_266 Depth=2
	v_lshlrev_b16 v4, 8, v4
	s_delay_alu instid0(VALU_DEP_1)
	v_or_b32_e32 v4, 1, v4
	ds_store_b16 v25, v4 offset:3072
	s_branch .LBB4_264
.LBB4_269:                              ;   in Loop: Header=BB4_266 Depth=2
	v_dual_add_nc_u32 v3, s35, v3 :: v_dual_add_nc_u32 v2, s53, v2
	s_mov_b32 s29, 0
	s_delay_alu instid0(VALU_DEP_1)
	v_cmp_le_u32_e32 vcc_lo, s79, v3
	s_or_not1_b32 s28, vcc_lo, exec_lo
	s_branch .LBB4_265
.LBB4_270:                              ;   in Loop: Header=BB4_6 Depth=1
	s_or_b32 exec_lo, exec_lo, s27
	v_and_b32_e32 v2, 0xffff, v4
	s_and_not1_b32 s25, s25, exec_lo
	s_and_b32 s26, s26, exec_lo
	s_delay_alu instid0(SALU_CYCLE_1) | instskip(NEXT) | instid1(VALU_DEP_1)
	s_or_b32 s25, s25, s26
	v_lshrrev_b32_e32 v40, 8, v2
.LBB4_271:                              ;   in Loop: Header=BB4_6 Depth=1
	s_or_b32 exec_lo, exec_lo, s16
	s_mov_b32 s16, 0
	s_mov_b32 s26, -1
.LBB4_272:                              ;   in Loop: Header=BB4_6 Depth=1
	s_or_not1_b32 s25, s25, exec_lo
.LBB4_273:                              ;   in Loop: Header=BB4_6 Depth=1
	s_or_b32 exec_lo, exec_lo, s24
                                        ; implicit-def: $vgpr5
                                        ; implicit-def: $vgpr2
	s_and_saveexec_b32 s24, s25
	s_cbranch_execz .LBB4_403
; %bb.274:                              ;   in Loop: Header=BB4_6 Depth=1
	v_dual_mov_b32 v5, 1 :: v_dual_mov_b32 v2, 1
	s_xor_b32 s25, s14, -1
	s_mov_b32 s28, 0
	s_and_saveexec_b32 s14, s25
	s_cbranch_execz .LBB4_283
; %bb.275:                              ;   in Loop: Header=BB4_6 Depth=1
	s_mov_b32 s25, exec_lo
	v_cmpx_ge_u32_e64 s22, v41
	s_xor_b32 s25, exec_lo, s25
	s_cbranch_execz .LBB4_280
; %bb.276:                              ;   in Loop: Header=BB4_6 Depth=1
	ds_load_b32 v2, v25 offset:4096
	v_or_b32_e32 v32, s18, v32
	v_or_b32_e32 v39, s18, v39
	s_wait_dscnt 0x0
	v_cmp_ne_u32_e32 vcc_lo, 0, v2
	s_cbranch_vccnz .LBB4_280
; %bb.277:                              ;   in Loop: Header=BB4_6 Depth=1
	s_and_saveexec_b32 s27, s5
; %bb.278:                              ;   in Loop: Header=BB4_6 Depth=1
	v_mov_b32_e32 v2, s22
	ds_store_b32 v25, v2 offset:4100
; %bb.279:                              ;   in Loop: Header=BB4_6 Depth=1
	s_or_b32 exec_lo, exec_lo, s27
	s_wait_dscnt 0x0
	s_barrier_signal -1
	s_barrier_wait -1
.LBB4_280:                              ;   in Loop: Header=BB4_6 Depth=1
	s_or_saveexec_b32 s25, s25
	v_mov_b32_e32 v2, 5
	s_mov_b32 s27, 0
	s_xor_b32 exec_lo, exec_lo, s25
; %bb.281:                              ;   in Loop: Header=BB4_6 Depth=1
	v_subrev_nc_u32_e32 v41, s22, v41
	v_mov_b32_e32 v2, 0
	s_mov_b32 s27, exec_lo
; %bb.282:                              ;   in Loop: Header=BB4_6 Depth=1
	s_or_b32 exec_lo, exec_lo, s25
	s_delay_alu instid0(VALU_DEP_2)
	v_mov_b32_e32 v5, v41
	s_and_b32 s28, s27, exec_lo
.LBB4_283:                              ;   in Loop: Header=BB4_6 Depth=1
	s_or_b32 exec_lo, exec_lo, s14
	s_mov_b32 s27, -1
                                        ; implicit-def: $sgpr22
                                        ; implicit-def: $sgpr25
	s_and_saveexec_b32 s14, s28
	s_delay_alu instid0(SALU_CYCLE_1)
	s_xor_b32 s14, exec_lo, s14
	s_cbranch_execz .LBB4_400
; %bb.284:                              ;   in Loop: Header=BB4_6 Depth=1
	v_cmp_eq_u32_e32 vcc_lo, 1, v5
	s_cmp_eq_u32 s21, 1
	s_mov_b32 s29, -1
	s_cselect_b32 s22, -1, 0
                                        ; implicit-def: $sgpr25
	s_delay_alu instid0(SALU_CYCLE_1) | instskip(NEXT) | instid1(SALU_CYCLE_1)
	s_and_b32 s28, s22, vcc_lo
                                        ; implicit-def: $sgpr22
	s_and_saveexec_b32 s27, s28
	s_cbranch_execz .LBB4_310
; %bb.285:                              ;   in Loop: Header=BB4_6 Depth=1
	ds_load_b32 v3, v25 offset:4096
	s_wait_dscnt 0x0
	s_barrier_signal -1
	s_barrier_wait -1
	v_readfirstlane_b32 s30, v3
	s_and_saveexec_b32 s22, s6
; %bb.286:                              ;   in Loop: Header=BB4_6 Depth=1
	ds_store_b8 v0, v25 offset:3072
; %bb.287:                              ;   in Loop: Header=BB4_6 Depth=1
	s_or_b32 exec_lo, exec_lo, s22
	s_lshl_b32 s22, 2, s81
	v_or_b32_e32 v39, s18, v39
	v_and_or_b32 v32, v32, s19, s22
	s_mov_b32 s22, -1
	s_mov_b32 s25, 0
	s_cmp_eq_u32 s30, 0
	s_mov_b32 s29, 0
	s_mov_b32 s31, -1
	s_wait_dscnt 0x0
	s_barrier_signal -1
	s_barrier_wait -1
                                        ; implicit-def: $vgpr40
	s_cbranch_scc1 .LBB4_298
; %bb.288:                              ;   in Loop: Header=BB4_6 Depth=1
	s_add_co_i32 s44, s30, s62
	s_mov_b32 s33, exec_lo
	s_mul_u64 s[94:95], s[44:45], s[48:49]
                                        ; implicit-def: $vgpr40
	s_delay_alu instid0(SALU_CYCLE_1) | instskip(NEXT) | instid1(SALU_CYCLE_1)
	s_mul_i32 s29, s95, s35
	s_sub_co_i32 s29, s44, s29
	s_delay_alu instid0(SALU_CYCLE_1) | instskip(SKIP_2) | instid1(SALU_CYCLE_1)
	s_sub_co_i32 s31, s29, s35
	s_cmp_ge_u32 s29, s35
	s_cselect_b32 s29, s31, s29
	s_sub_co_i32 s31, s29, s35
	s_cmp_ge_u32 s29, s35
	s_cselect_b32 s29, s31, s29
	s_mov_b32 s31, 0
	s_sub_co_i32 s34, s44, s29
	s_mov_b32 s29, 0
	v_cmpx_gt_u32_e64 s34, v0
	s_cbranch_execz .LBB4_297
; %bb.289:                              ;   in Loop: Header=BB4_6 Depth=1
	v_mov_b32_e32 v3, v0
                                        ; implicit-def: $sgpr44
	s_branch .LBB4_292
.LBB4_290:                              ;   in Loop: Header=BB4_292 Depth=2
	s_or_b32 exec_lo, exec_lo, s94
	s_wait_dscnt 0x0
	s_barrier_signal -1
	s_barrier_wait -1
	ds_load_u16 v4, v25 offset:3072
	s_mov_b32 s95, -1
	s_mov_b32 s94, -1
	s_wait_dscnt 0x0
	s_barrier_signal -1
	s_barrier_wait -1
	v_and_b32_e32 v6, 0xff, v4
	s_delay_alu instid0(VALU_DEP_1)
	v_cmp_ne_u32_e32 vcc_lo, 0, v6
	s_cbranch_vccz .LBB4_295
.LBB4_291:                              ;   in Loop: Header=BB4_292 Depth=2
	s_and_b32 s95, exec_lo, s95
	s_delay_alu instid0(SALU_CYCLE_1) | instskip(SKIP_2) | instid1(SALU_CYCLE_1)
	s_or_b32 s29, s95, s29
	s_and_not1_b32 s44, s44, exec_lo
	s_and_b32 s94, s94, exec_lo
	s_or_b32 s44, s44, s94
	s_and_not1_b32 exec_lo, exec_lo, s29
	s_cbranch_execz .LBB4_296
.LBB4_292:                              ;   Parent Loop BB4_6 Depth=1
                                        ; =>  This Inner Loop Header: Depth=2
	s_mov_b32 s94, exec_lo
	s_delay_alu instid0(VALU_DEP_1)
	v_cmpx_gt_u32_e64 s30, v3
	s_cbranch_execz .LBB4_290
; %bb.293:                              ;   in Loop: Header=BB4_292 Depth=2
	ds_load_u8 v4, v3
	s_wait_dscnt 0x0
	v_bitop3_b32 v6, v4, 0xff, v39 bitop3:0x80
	s_delay_alu instid0(VALU_DEP_1)
	v_cmp_eq_u32_e32 vcc_lo, v6, v32
	s_and_b32 exec_lo, exec_lo, vcc_lo
	s_cbranch_execz .LBB4_290
; %bb.294:                              ;   in Loop: Header=BB4_292 Depth=2
	v_lshlrev_b16 v4, 8, v4
	s_delay_alu instid0(VALU_DEP_1)
	v_or_b32_e32 v4, 1, v4
	ds_store_b16 v25, v4 offset:3072
	s_branch .LBB4_290
.LBB4_295:                              ;   in Loop: Header=BB4_292 Depth=2
	v_add_nc_u32_e32 v3, s35, v3
	s_mov_b32 s94, 0
	s_delay_alu instid0(VALU_DEP_1)
	v_cmp_le_u32_e32 vcc_lo, s34, v3
	s_or_not1_b32 s95, vcc_lo, exec_lo
	s_branch .LBB4_291
.LBB4_296:                              ;   in Loop: Header=BB4_6 Depth=1
	s_or_b32 exec_lo, exec_lo, s29
	v_and_b32_e32 v3, 0xffff, v4
	s_and_b32 s29, s44, exec_lo
	s_delay_alu instid0(VALU_DEP_1)
	v_lshrrev_b32_e32 v40, 8, v3
.LBB4_297:                              ;   in Loop: Header=BB4_6 Depth=1
	s_or_b32 exec_lo, exec_lo, s33
.LBB4_298:                              ;   in Loop: Header=BB4_6 Depth=1
	s_delay_alu instid0(SALU_CYCLE_1)
	s_and_b32 vcc_lo, exec_lo, s31
	s_cbranch_vccz .LBB4_309
; %bb.299:                              ;   in Loop: Header=BB4_6 Depth=1
                                        ; implicit-def: $vgpr40
	s_and_saveexec_b32 s22, s13
	s_cbranch_execz .LBB4_308
; %bb.300:                              ;   in Loop: Header=BB4_6 Depth=1
	v_dual_mov_b32 v3, v22 :: v_dual_mov_b32 v4, v0
	s_mov_b32 s25, 0
                                        ; implicit-def: $sgpr30
	s_branch .LBB4_303
.LBB4_301:                              ;   in Loop: Header=BB4_303 Depth=2
	s_or_b32 exec_lo, exec_lo, s31
	s_wait_dscnt 0x0
	s_barrier_signal -1
	s_barrier_wait -1
	ds_load_u16 v6, v25 offset:3072
	s_mov_b32 s31, -1
	s_mov_b32 s33, -1
	s_wait_dscnt 0x0
	s_barrier_signal -1
	s_barrier_wait -1
	v_and_b32_e32 v7, 0xff, v6
	s_delay_alu instid0(VALU_DEP_1)
	v_cmp_eq_u32_e32 vcc_lo, 0, v7
	s_cbranch_vccnz .LBB4_306
.LBB4_302:                              ;   in Loop: Header=BB4_303 Depth=2
	s_and_b32 s31, exec_lo, s31
	s_delay_alu instid0(SALU_CYCLE_1) | instskip(SKIP_2) | instid1(SALU_CYCLE_1)
	s_or_b32 s25, s31, s25
	s_and_not1_b32 s30, s30, exec_lo
	s_and_b32 s31, s33, exec_lo
	s_or_b32 s30, s30, s31
	s_and_not1_b32 exec_lo, exec_lo, s25
	s_cbranch_execz .LBB4_307
.LBB4_303:                              ;   Parent Loop BB4_6 Depth=1
                                        ; =>  This Inner Loop Header: Depth=2
	s_mov_b32 s31, exec_lo
	s_delay_alu instid0(VALU_DEP_1)
	v_cmpx_gt_u32_e64 s36, v4
	s_cbranch_execz .LBB4_301
; %bb.304:                              ;   in Loop: Header=BB4_303 Depth=2
	global_load_u8 v6, v3, s[38:39]
	s_wait_loadcnt 0x0
	v_bitop3_b32 v7, v6, 0xff, v39 bitop3:0x80
	s_delay_alu instid0(VALU_DEP_1)
	v_cmp_eq_u32_e32 vcc_lo, v7, v32
	s_and_b32 exec_lo, exec_lo, vcc_lo
	s_cbranch_execz .LBB4_301
; %bb.305:                              ;   in Loop: Header=BB4_303 Depth=2
	v_lshlrev_b16 v6, 8, v6
	s_delay_alu instid0(VALU_DEP_1)
	v_or_b32_e32 v6, 1, v6
	ds_store_b16 v25, v6 offset:3072
	s_branch .LBB4_301
.LBB4_306:                              ;   in Loop: Header=BB4_303 Depth=2
	v_dual_add_nc_u32 v4, s35, v4 :: v_dual_add_nc_u32 v3, s53, v3
	s_mov_b32 s33, 0
	s_delay_alu instid0(VALU_DEP_1)
	v_cmp_le_u32_e32 vcc_lo, s79, v4
	s_or_not1_b32 s31, vcc_lo, exec_lo
	s_branch .LBB4_302
.LBB4_307:                              ;   in Loop: Header=BB4_6 Depth=1
	s_or_b32 exec_lo, exec_lo, s25
	v_and_b32_e32 v3, 0xffff, v6
	s_and_not1_b32 s25, s29, exec_lo
	s_and_b32 s29, s30, exec_lo
	s_delay_alu instid0(SALU_CYCLE_1) | instskip(NEXT) | instid1(VALU_DEP_1)
	s_or_b32 s29, s25, s29
	v_lshrrev_b32_e32 v40, 8, v3
.LBB4_308:                              ;   in Loop: Header=BB4_6 Depth=1
	s_or_b32 exec_lo, exec_lo, s22
	s_mov_b32 s22, 0
	s_mov_b32 s25, -1
.LBB4_309:                              ;   in Loop: Header=BB4_6 Depth=1
	s_or_not1_b32 s29, s29, exec_lo
.LBB4_310:                              ;   in Loop: Header=BB4_6 Depth=1
	s_or_b32 exec_lo, exec_lo, s27
	s_mov_b32 s30, 0
	s_and_saveexec_b32 s27, s29
	s_cbranch_execz .LBB4_399
; %bb.311:                              ;   in Loop: Header=BB4_6 Depth=1
	v_dual_mov_b32 v3, 1 :: v_dual_mov_b32 v2, 1
	s_xor_b32 s29, s28, -1
	s_mov_b32 s31, 0
	s_and_saveexec_b32 s28, s29
	s_cbranch_execz .LBB4_320
; %bb.312:                              ;   in Loop: Header=BB4_6 Depth=1
	s_mov_b32 s29, exec_lo
	v_cmpx_ge_u32_e64 s21, v5
	s_xor_b32 s29, exec_lo, s29
	s_cbranch_execz .LBB4_317
; %bb.313:                              ;   in Loop: Header=BB4_6 Depth=1
	ds_load_b32 v2, v25 offset:4096
	s_lshl_b32 s30, 2, s81
	v_or_b32_e32 v39, s18, v39
	v_and_or_b32 v32, v32, s19, s30
	s_wait_dscnt 0x0
	v_cmp_ne_u32_e32 vcc_lo, 0, v2
	s_cbranch_vccnz .LBB4_317
; %bb.314:                              ;   in Loop: Header=BB4_6 Depth=1
	s_and_saveexec_b32 s30, s5
; %bb.315:                              ;   in Loop: Header=BB4_6 Depth=1
	v_mov_b32_e32 v2, s21
	ds_store_b32 v25, v2 offset:4100
; %bb.316:                              ;   in Loop: Header=BB4_6 Depth=1
	s_or_b32 exec_lo, exec_lo, s30
	s_wait_dscnt 0x0
	s_barrier_signal -1
	s_barrier_wait -1
.LBB4_317:                              ;   in Loop: Header=BB4_6 Depth=1
	s_or_saveexec_b32 s29, s29
	v_mov_b32_e32 v2, 5
	s_mov_b32 s30, 0
	s_xor_b32 exec_lo, exec_lo, s29
; %bb.318:                              ;   in Loop: Header=BB4_6 Depth=1
	v_subrev_nc_u32_e32 v5, s21, v5
	v_mov_b32_e32 v2, 0
	s_mov_b32 s30, exec_lo
; %bb.319:                              ;   in Loop: Header=BB4_6 Depth=1
	s_or_b32 exec_lo, exec_lo, s29
	s_delay_alu instid0(VALU_DEP_2)
	v_mov_b32_e32 v3, v5
	s_and_b32 s31, s30, exec_lo
.LBB4_320:                              ;   in Loop: Header=BB4_6 Depth=1
	s_or_b32 exec_lo, exec_lo, s28
	s_mov_b32 s30, -1
                                        ; implicit-def: $sgpr28
                                        ; implicit-def: $sgpr29
	s_and_saveexec_b32 s21, s31
	s_cbranch_execz .LBB4_398
; %bb.321:                              ;   in Loop: Header=BB4_6 Depth=1
	v_cmp_eq_u32_e32 vcc_lo, 1, v3
	s_cmp_eq_u32 s20, 1
	s_mov_b32 s33, -1
	s_cselect_b32 s28, -1, 0
                                        ; implicit-def: $sgpr29
	s_delay_alu instid0(SALU_CYCLE_1) | instskip(NEXT) | instid1(SALU_CYCLE_1)
	s_and_b32 s31, s28, vcc_lo
                                        ; implicit-def: $sgpr28
	s_and_saveexec_b32 s30, s31
	s_cbranch_execz .LBB4_347
; %bb.322:                              ;   in Loop: Header=BB4_6 Depth=1
	ds_load_b32 v4, v25 offset:4096
	s_wait_dscnt 0x0
	s_barrier_signal -1
	s_barrier_wait -1
	v_readfirstlane_b32 s34, v4
	s_and_saveexec_b32 s28, s6
; %bb.323:                              ;   in Loop: Header=BB4_6 Depth=1
	ds_store_b8 v0, v25 offset:3072
; %bb.324:                              ;   in Loop: Header=BB4_6 Depth=1
	s_or_b32 exec_lo, exec_lo, s28
	s_lshl_b32 s28, 1, s81
	v_or_b32_e32 v39, s18, v39
	v_and_or_b32 v32, v32, s19, s28
	s_mov_b32 s28, -1
	s_mov_b32 s29, 0
	s_cmp_eq_u32 s34, 0
	s_mov_b32 s33, 0
	s_mov_b32 s44, -1
	s_wait_dscnt 0x0
	s_barrier_signal -1
	s_barrier_wait -1
                                        ; implicit-def: $vgpr40
	s_cbranch_scc1 .LBB4_335
; %bb.325:                              ;   in Loop: Header=BB4_6 Depth=1
	s_add_co_i32 s44, s34, s62
                                        ; implicit-def: $vgpr40
	s_delay_alu instid0(SALU_CYCLE_1) | instskip(NEXT) | instid1(SALU_CYCLE_1)
	s_mul_u64 s[94:95], s[44:45], s[48:49]
	s_mul_i32 s33, s95, s35
	s_delay_alu instid0(SALU_CYCLE_1) | instskip(NEXT) | instid1(SALU_CYCLE_1)
	s_sub_co_i32 s33, s44, s33
	s_sub_co_i32 s94, s33, s35
	s_cmp_ge_u32 s33, s35
	s_cselect_b32 s33, s94, s33
	s_delay_alu instid0(SALU_CYCLE_1)
	s_sub_co_i32 s94, s33, s35
	s_cmp_ge_u32 s33, s35
	s_cselect_b32 s33, s94, s33
	s_mov_b32 s94, exec_lo
	s_sub_co_i32 s95, s44, s33
	s_mov_b32 s44, 0
	s_mov_b32 s33, 0
	v_cmpx_gt_u32_e64 s95, v0
	s_cbranch_execz .LBB4_334
; %bb.326:                              ;   in Loop: Header=BB4_6 Depth=1
	v_mov_b32_e32 v4, v0
                                        ; implicit-def: $sgpr96
	s_branch .LBB4_329
.LBB4_327:                              ;   in Loop: Header=BB4_329 Depth=2
	s_or_b32 exec_lo, exec_lo, s97
	s_wait_dscnt 0x0
	s_barrier_signal -1
	s_barrier_wait -1
	ds_load_u16 v5, v25 offset:3072
	s_mov_b32 s98, -1
	s_mov_b32 s97, -1
	s_wait_dscnt 0x0
	s_barrier_signal -1
	s_barrier_wait -1
	v_and_b32_e32 v6, 0xff, v5
	s_delay_alu instid0(VALU_DEP_1)
	v_cmp_ne_u32_e32 vcc_lo, 0, v6
	s_cbranch_vccz .LBB4_332
.LBB4_328:                              ;   in Loop: Header=BB4_329 Depth=2
	s_and_b32 s98, exec_lo, s98
	s_delay_alu instid0(SALU_CYCLE_1) | instskip(SKIP_2) | instid1(SALU_CYCLE_1)
	s_or_b32 s33, s98, s33
	s_and_not1_b32 s96, s96, exec_lo
	s_and_b32 s97, s97, exec_lo
	s_or_b32 s96, s96, s97
	s_and_not1_b32 exec_lo, exec_lo, s33
	s_cbranch_execz .LBB4_333
.LBB4_329:                              ;   Parent Loop BB4_6 Depth=1
                                        ; =>  This Inner Loop Header: Depth=2
	s_mov_b32 s97, exec_lo
	s_delay_alu instid0(VALU_DEP_1)
	v_cmpx_gt_u32_e64 s34, v4
	s_cbranch_execz .LBB4_327
; %bb.330:                              ;   in Loop: Header=BB4_329 Depth=2
	ds_load_u8 v5, v4
	s_wait_dscnt 0x0
	v_bitop3_b32 v6, v5, 0xff, v39 bitop3:0x80
	s_delay_alu instid0(VALU_DEP_1)
	v_cmp_eq_u32_e32 vcc_lo, v6, v32
	s_and_b32 exec_lo, exec_lo, vcc_lo
	s_cbranch_execz .LBB4_327
; %bb.331:                              ;   in Loop: Header=BB4_329 Depth=2
	v_lshlrev_b16 v5, 8, v5
	s_delay_alu instid0(VALU_DEP_1)
	v_or_b32_e32 v5, 1, v5
	ds_store_b16 v25, v5 offset:3072
	s_branch .LBB4_327
.LBB4_332:                              ;   in Loop: Header=BB4_329 Depth=2
	v_add_nc_u32_e32 v4, s35, v4
	s_mov_b32 s97, 0
	s_delay_alu instid0(VALU_DEP_1)
	v_cmp_le_u32_e32 vcc_lo, s95, v4
	s_or_not1_b32 s98, vcc_lo, exec_lo
	s_branch .LBB4_328
.LBB4_333:                              ;   in Loop: Header=BB4_6 Depth=1
	s_or_b32 exec_lo, exec_lo, s33
	v_and_b32_e32 v4, 0xffff, v5
	s_and_b32 s33, s96, exec_lo
	s_delay_alu instid0(VALU_DEP_1)
	v_lshrrev_b32_e32 v40, 8, v4
.LBB4_334:                              ;   in Loop: Header=BB4_6 Depth=1
	s_or_b32 exec_lo, exec_lo, s94
.LBB4_335:                              ;   in Loop: Header=BB4_6 Depth=1
	s_delay_alu instid0(SALU_CYCLE_1)
	s_and_b32 vcc_lo, exec_lo, s44
	s_cbranch_vccz .LBB4_346
; %bb.336:                              ;   in Loop: Header=BB4_6 Depth=1
                                        ; implicit-def: $vgpr40
	s_and_saveexec_b32 s28, s13
	s_cbranch_execz .LBB4_345
; %bb.337:                              ;   in Loop: Header=BB4_6 Depth=1
	v_dual_mov_b32 v4, v22 :: v_dual_mov_b32 v5, v0
	s_mov_b32 s29, 0
                                        ; implicit-def: $sgpr34
	s_branch .LBB4_340
.LBB4_338:                              ;   in Loop: Header=BB4_340 Depth=2
	s_or_b32 exec_lo, exec_lo, s44
	s_wait_dscnt 0x0
	s_barrier_signal -1
	s_barrier_wait -1
	ds_load_u16 v6, v25 offset:3072
	s_mov_b32 s44, -1
	s_mov_b32 s94, -1
	s_wait_dscnt 0x0
	s_barrier_signal -1
	s_barrier_wait -1
	v_and_b32_e32 v7, 0xff, v6
	s_delay_alu instid0(VALU_DEP_1)
	v_cmp_eq_u32_e32 vcc_lo, 0, v7
	s_cbranch_vccnz .LBB4_343
.LBB4_339:                              ;   in Loop: Header=BB4_340 Depth=2
	s_and_b32 s44, exec_lo, s44
	s_delay_alu instid0(SALU_CYCLE_1) | instskip(SKIP_2) | instid1(SALU_CYCLE_1)
	s_or_b32 s29, s44, s29
	s_and_not1_b32 s34, s34, exec_lo
	s_and_b32 s44, s94, exec_lo
	s_or_b32 s34, s34, s44
	s_and_not1_b32 exec_lo, exec_lo, s29
	s_cbranch_execz .LBB4_344
.LBB4_340:                              ;   Parent Loop BB4_6 Depth=1
                                        ; =>  This Inner Loop Header: Depth=2
	s_mov_b32 s44, exec_lo
	s_delay_alu instid0(VALU_DEP_1)
	v_cmpx_gt_u32_e64 s36, v5
	s_cbranch_execz .LBB4_338
; %bb.341:                              ;   in Loop: Header=BB4_340 Depth=2
	global_load_u8 v6, v4, s[38:39]
	s_wait_loadcnt 0x0
	v_bitop3_b32 v7, v6, 0xff, v39 bitop3:0x80
	s_delay_alu instid0(VALU_DEP_1)
	v_cmp_eq_u32_e32 vcc_lo, v7, v32
	s_and_b32 exec_lo, exec_lo, vcc_lo
	s_cbranch_execz .LBB4_338
; %bb.342:                              ;   in Loop: Header=BB4_340 Depth=2
	v_lshlrev_b16 v6, 8, v6
	s_delay_alu instid0(VALU_DEP_1)
	v_or_b32_e32 v6, 1, v6
	ds_store_b16 v25, v6 offset:3072
	s_branch .LBB4_338
.LBB4_343:                              ;   in Loop: Header=BB4_340 Depth=2
	v_dual_add_nc_u32 v5, s35, v5 :: v_dual_add_nc_u32 v4, s53, v4
	s_mov_b32 s94, 0
	s_delay_alu instid0(VALU_DEP_1)
	v_cmp_le_u32_e32 vcc_lo, s79, v5
	s_or_not1_b32 s44, vcc_lo, exec_lo
	s_branch .LBB4_339
.LBB4_344:                              ;   in Loop: Header=BB4_6 Depth=1
	s_or_b32 exec_lo, exec_lo, s29
	v_and_b32_e32 v4, 0xffff, v6
	s_and_not1_b32 s29, s33, exec_lo
	s_and_b32 s33, s34, exec_lo
	s_delay_alu instid0(SALU_CYCLE_1) | instskip(NEXT) | instid1(VALU_DEP_1)
	s_or_b32 s33, s29, s33
	v_lshrrev_b32_e32 v40, 8, v4
.LBB4_345:                              ;   in Loop: Header=BB4_6 Depth=1
	s_or_b32 exec_lo, exec_lo, s28
	s_mov_b32 s28, 0
	s_mov_b32 s29, -1
.LBB4_346:                              ;   in Loop: Header=BB4_6 Depth=1
	s_or_not1_b32 s33, s33, exec_lo
.LBB4_347:                              ;   in Loop: Header=BB4_6 Depth=1
	s_or_b32 exec_lo, exec_lo, s30
	s_mov_b32 s34, 0
	s_and_saveexec_b32 s30, s33
	s_cbranch_execz .LBB4_397
; %bb.348:                              ;   in Loop: Header=BB4_6 Depth=1
	v_dual_mov_b32 v4, 1 :: v_dual_mov_b32 v2, 1
	s_xor_b32 s33, s31, -1
	s_mov_b32 s44, 0
	s_and_saveexec_b32 s31, s33
	s_cbranch_execz .LBB4_357
; %bb.349:                              ;   in Loop: Header=BB4_6 Depth=1
	s_mov_b32 s33, exec_lo
	v_cmpx_ge_u32_e64 s20, v3
	s_xor_b32 s33, exec_lo, s33
	s_cbranch_execz .LBB4_354
; %bb.350:                              ;   in Loop: Header=BB4_6 Depth=1
	ds_load_b32 v2, v25 offset:4096
	s_lshl_b32 s34, 1, s81
	v_or_b32_e32 v39, s18, v39
	v_and_or_b32 v32, v32, s19, s34
	s_wait_dscnt 0x0
	v_cmp_ne_u32_e32 vcc_lo, 0, v2
	s_cbranch_vccnz .LBB4_354
; %bb.351:                              ;   in Loop: Header=BB4_6 Depth=1
	s_and_saveexec_b32 s34, s5
; %bb.352:                              ;   in Loop: Header=BB4_6 Depth=1
	v_mov_b32_e32 v2, s20
	ds_store_b32 v25, v2 offset:4100
; %bb.353:                              ;   in Loop: Header=BB4_6 Depth=1
	s_or_b32 exec_lo, exec_lo, s34
	s_wait_dscnt 0x0
	s_barrier_signal -1
	s_barrier_wait -1
.LBB4_354:                              ;   in Loop: Header=BB4_6 Depth=1
	s_or_saveexec_b32 s33, s33
	v_mov_b32_e32 v2, 5
	s_mov_b32 s34, 0
	s_xor_b32 exec_lo, exec_lo, s33
; %bb.355:                              ;   in Loop: Header=BB4_6 Depth=1
	v_subrev_nc_u32_e32 v3, s20, v3
	v_mov_b32_e32 v2, 0
	s_mov_b32 s34, exec_lo
; %bb.356:                              ;   in Loop: Header=BB4_6 Depth=1
	s_or_b32 exec_lo, exec_lo, s33
	s_delay_alu instid0(VALU_DEP_2)
	v_mov_b32_e32 v4, v3
	s_and_b32 s44, s34, exec_lo
.LBB4_357:                              ;   in Loop: Header=BB4_6 Depth=1
	s_or_b32 exec_lo, exec_lo, s31
	s_mov_b32 s33, -1
                                        ; implicit-def: $sgpr34
                                        ; implicit-def: $sgpr31
	s_and_saveexec_b32 s20, s44
	s_cbranch_execz .LBB4_396
; %bb.358:                              ;   in Loop: Header=BB4_6 Depth=1
	v_cmp_eq_u32_e32 vcc_lo, 1, v4
	s_cmp_eq_u32 s17, 1
	s_mov_b32 s95, -1
	s_cselect_b32 s31, -1, 0
                                        ; implicit-def: $sgpr34
	s_delay_alu instid0(SALU_CYCLE_1) | instskip(NEXT) | instid1(SALU_CYCLE_1)
	s_and_b32 s33, s31, vcc_lo
                                        ; implicit-def: $sgpr31
	s_and_saveexec_b32 s94, s33
	s_cbranch_execz .LBB4_384
; %bb.359:                              ;   in Loop: Header=BB4_6 Depth=1
	ds_load_b32 v3, v25 offset:4096
	s_wait_dscnt 0x0
	s_barrier_signal -1
	s_barrier_wait -1
	v_readfirstlane_b32 s95, v3
	s_and_saveexec_b32 s31, s6
; %bb.360:                              ;   in Loop: Header=BB4_6 Depth=1
	ds_store_b8 v0, v25 offset:3072
; %bb.361:                              ;   in Loop: Header=BB4_6 Depth=1
	s_or_b32 exec_lo, exec_lo, s31
	v_and_b32_e32 v32, s19, v32
	v_or_b32_e32 v39, s18, v39
	s_mov_b32 s31, -1
	s_mov_b32 s34, 0
	s_cmp_eq_u32 s95, 0
	s_mov_b32 s44, 0
	s_mov_b32 s96, -1
	s_wait_dscnt 0x0
	s_barrier_signal -1
	s_barrier_wait -1
                                        ; implicit-def: $vgpr40
	s_cbranch_scc1 .LBB4_372
; %bb.362:                              ;   in Loop: Header=BB4_6 Depth=1
	s_add_co_i32 s44, s95, s62
                                        ; implicit-def: $vgpr40
	s_delay_alu instid0(SALU_CYCLE_1) | instskip(NEXT) | instid1(SALU_CYCLE_1)
	s_mul_u64 s[96:97], s[44:45], s[48:49]
	s_mul_i32 s96, s97, s35
	s_delay_alu instid0(SALU_CYCLE_1) | instskip(NEXT) | instid1(SALU_CYCLE_1)
	s_sub_co_i32 s96, s44, s96
	s_sub_co_i32 s97, s96, s35
	s_cmp_ge_u32 s96, s35
	s_cselect_b32 s96, s97, s96
	s_delay_alu instid0(SALU_CYCLE_1)
	s_sub_co_i32 s97, s96, s35
	s_cmp_ge_u32 s96, s35
	s_cselect_b32 s96, s97, s96
	s_mov_b32 s97, exec_lo
	s_sub_co_i32 s98, s44, s96
	s_mov_b32 s96, 0
	s_mov_b32 s44, 0
	v_cmpx_gt_u32_e64 s98, v0
	s_cbranch_execz .LBB4_371
; %bb.363:                              ;   in Loop: Header=BB4_6 Depth=1
	v_mov_b32_e32 v3, v0
                                        ; implicit-def: $sgpr99
	s_branch .LBB4_366
.LBB4_364:                              ;   in Loop: Header=BB4_366 Depth=2
	s_or_b32 exec_lo, exec_lo, s100
	s_wait_dscnt 0x0
	s_barrier_signal -1
	s_barrier_wait -1
	ds_load_u16 v5, v25 offset:3072
	s_mov_b32 s101, -1
	s_mov_b32 s100, -1
	s_wait_dscnt 0x0
	s_barrier_signal -1
	s_barrier_wait -1
	v_and_b32_e32 v6, 0xff, v5
	s_delay_alu instid0(VALU_DEP_1)
	v_cmp_ne_u32_e32 vcc_lo, 0, v6
	s_cbranch_vccz .LBB4_369
.LBB4_365:                              ;   in Loop: Header=BB4_366 Depth=2
	s_and_b32 s101, exec_lo, s101
	s_delay_alu instid0(SALU_CYCLE_1) | instskip(SKIP_2) | instid1(SALU_CYCLE_1)
	s_or_b32 s44, s101, s44
	s_and_not1_b32 s99, s99, exec_lo
	s_and_b32 s100, s100, exec_lo
	s_or_b32 s99, s99, s100
	s_and_not1_b32 exec_lo, exec_lo, s44
	s_cbranch_execz .LBB4_370
.LBB4_366:                              ;   Parent Loop BB4_6 Depth=1
                                        ; =>  This Inner Loop Header: Depth=2
	s_mov_b32 s100, exec_lo
	s_delay_alu instid0(VALU_DEP_1)
	v_cmpx_gt_u32_e64 s95, v3
	s_cbranch_execz .LBB4_364
; %bb.367:                              ;   in Loop: Header=BB4_366 Depth=2
	ds_load_u8 v5, v3
	s_wait_dscnt 0x0
	v_bitop3_b32 v6, v5, 0xff, v39 bitop3:0x80
	s_delay_alu instid0(VALU_DEP_1)
	v_cmp_eq_u32_e32 vcc_lo, v6, v32
	s_and_b32 exec_lo, exec_lo, vcc_lo
	s_cbranch_execz .LBB4_364
; %bb.368:                              ;   in Loop: Header=BB4_366 Depth=2
	v_lshlrev_b16 v5, 8, v5
	s_delay_alu instid0(VALU_DEP_1)
	v_or_b32_e32 v5, 1, v5
	ds_store_b16 v25, v5 offset:3072
	s_branch .LBB4_364
.LBB4_369:                              ;   in Loop: Header=BB4_366 Depth=2
	v_add_nc_u32_e32 v3, s35, v3
	s_mov_b32 s100, 0
	s_delay_alu instid0(VALU_DEP_1)
	v_cmp_le_u32_e32 vcc_lo, s98, v3
	s_or_not1_b32 s101, vcc_lo, exec_lo
	s_branch .LBB4_365
.LBB4_370:                              ;   in Loop: Header=BB4_6 Depth=1
	s_or_b32 exec_lo, exec_lo, s44
	v_and_b32_e32 v3, 0xffff, v5
	s_and_b32 s44, s99, exec_lo
	s_delay_alu instid0(VALU_DEP_1)
	v_lshrrev_b32_e32 v40, 8, v3
.LBB4_371:                              ;   in Loop: Header=BB4_6 Depth=1
	s_or_b32 exec_lo, exec_lo, s97
.LBB4_372:                              ;   in Loop: Header=BB4_6 Depth=1
	s_delay_alu instid0(SALU_CYCLE_1)
	s_and_b32 vcc_lo, exec_lo, s96
	s_cbranch_vccz .LBB4_383
; %bb.373:                              ;   in Loop: Header=BB4_6 Depth=1
                                        ; implicit-def: $vgpr40
	s_and_saveexec_b32 s31, s13
	s_cbranch_execz .LBB4_382
; %bb.374:                              ;   in Loop: Header=BB4_6 Depth=1
	v_dual_mov_b32 v3, v22 :: v_dual_mov_b32 v5, v0
	s_mov_b32 s34, 0
                                        ; implicit-def: $sgpr95
	s_branch .LBB4_377
.LBB4_375:                              ;   in Loop: Header=BB4_377 Depth=2
	s_or_b32 exec_lo, exec_lo, s96
	s_wait_dscnt 0x0
	s_barrier_signal -1
	s_barrier_wait -1
	ds_load_u16 v6, v25 offset:3072
	s_mov_b32 s96, -1
	s_mov_b32 s97, -1
	s_wait_dscnt 0x0
	s_barrier_signal -1
	s_barrier_wait -1
	v_and_b32_e32 v7, 0xff, v6
	s_delay_alu instid0(VALU_DEP_1)
	v_cmp_eq_u32_e32 vcc_lo, 0, v7
	s_cbranch_vccnz .LBB4_380
.LBB4_376:                              ;   in Loop: Header=BB4_377 Depth=2
	s_and_b32 s96, exec_lo, s96
	s_delay_alu instid0(SALU_CYCLE_1) | instskip(SKIP_2) | instid1(SALU_CYCLE_1)
	s_or_b32 s34, s96, s34
	s_and_not1_b32 s95, s95, exec_lo
	s_and_b32 s96, s97, exec_lo
	s_or_b32 s95, s95, s96
	s_and_not1_b32 exec_lo, exec_lo, s34
	s_cbranch_execz .LBB4_381
.LBB4_377:                              ;   Parent Loop BB4_6 Depth=1
                                        ; =>  This Inner Loop Header: Depth=2
	s_mov_b32 s96, exec_lo
	s_delay_alu instid0(VALU_DEP_1)
	v_cmpx_gt_u32_e64 s36, v5
	s_cbranch_execz .LBB4_375
; %bb.378:                              ;   in Loop: Header=BB4_377 Depth=2
	global_load_u8 v6, v3, s[38:39]
	s_wait_loadcnt 0x0
	v_bitop3_b32 v7, v6, 0xff, v39 bitop3:0x80
	s_delay_alu instid0(VALU_DEP_1)
	v_cmp_eq_u32_e32 vcc_lo, v7, v32
	s_and_b32 exec_lo, exec_lo, vcc_lo
	s_cbranch_execz .LBB4_375
; %bb.379:                              ;   in Loop: Header=BB4_377 Depth=2
	v_lshlrev_b16 v6, 8, v6
	s_delay_alu instid0(VALU_DEP_1)
	v_or_b32_e32 v6, 1, v6
	ds_store_b16 v25, v6 offset:3072
	s_branch .LBB4_375
.LBB4_380:                              ;   in Loop: Header=BB4_377 Depth=2
	v_dual_add_nc_u32 v5, s35, v5 :: v_dual_add_nc_u32 v3, s53, v3
	s_mov_b32 s97, 0
	s_delay_alu instid0(VALU_DEP_1)
	v_cmp_le_u32_e32 vcc_lo, s79, v5
	s_or_not1_b32 s96, vcc_lo, exec_lo
	s_branch .LBB4_376
.LBB4_381:                              ;   in Loop: Header=BB4_6 Depth=1
	s_or_b32 exec_lo, exec_lo, s34
	v_and_b32_e32 v3, 0xffff, v6
	s_and_not1_b32 s34, s44, exec_lo
	s_and_b32 s44, s95, exec_lo
	s_delay_alu instid0(SALU_CYCLE_1) | instskip(NEXT) | instid1(VALU_DEP_1)
	s_or_b32 s44, s34, s44
	v_lshrrev_b32_e32 v40, 8, v3
.LBB4_382:                              ;   in Loop: Header=BB4_6 Depth=1
	s_or_b32 exec_lo, exec_lo, s31
	s_mov_b32 s31, 0
	s_mov_b32 s34, -1
.LBB4_383:                              ;   in Loop: Header=BB4_6 Depth=1
	s_or_not1_b32 s95, s44, exec_lo
.LBB4_384:                              ;   in Loop: Header=BB4_6 Depth=1
	s_or_b32 exec_lo, exec_lo, s94
	s_mov_b32 s94, 0
	s_and_saveexec_b32 s44, s95
	s_cbranch_execz .LBB4_395
; %bb.385:                              ;   in Loop: Header=BB4_6 Depth=1
	v_dual_mov_b32 v2, 1 :: v_dual_mov_b32 v3, 1
	s_xor_b32 s94, s33, -1
	s_delay_alu instid0(SALU_CYCLE_1)
	s_and_saveexec_b32 s33, s94
	s_cbranch_execz .LBB4_394
; %bb.386:                              ;   in Loop: Header=BB4_6 Depth=1
	s_mov_b32 s94, exec_lo
	v_cmpx_ge_u32_e64 s17, v4
	s_xor_b32 s94, exec_lo, s94
	s_cbranch_execz .LBB4_391
; %bb.387:                              ;   in Loop: Header=BB4_6 Depth=1
	ds_load_b32 v2, v25 offset:4096
	v_and_b32_e32 v32, s19, v32
	v_or_b32_e32 v39, s18, v39
	s_wait_dscnt 0x0
	v_cmp_ne_u32_e32 vcc_lo, 0, v2
	s_cbranch_vccnz .LBB4_391
; %bb.388:                              ;   in Loop: Header=BB4_6 Depth=1
	s_and_saveexec_b32 s18, s5
; %bb.389:                              ;   in Loop: Header=BB4_6 Depth=1
	v_mov_b32_e32 v2, s17
	ds_store_b32 v25, v2 offset:4100
; %bb.390:                              ;   in Loop: Header=BB4_6 Depth=1
	s_or_b32 exec_lo, exec_lo, s18
	s_wait_dscnt 0x0
	s_barrier_signal -1
	s_barrier_wait -1
.LBB4_391:                              ;   in Loop: Header=BB4_6 Depth=1
	s_and_not1_saveexec_b32 s18, s94
; %bb.392:                              ;   in Loop: Header=BB4_6 Depth=1
	v_subrev_nc_u32_e32 v4, s17, v4
; %bb.393:                              ;   in Loop: Header=BB4_6 Depth=1
	s_or_b32 exec_lo, exec_lo, s18
	s_delay_alu instid0(VALU_DEP_1)
	v_dual_mov_b32 v2, 5 :: v_dual_mov_b32 v3, v4
.LBB4_394:                              ;   in Loop: Header=BB4_6 Depth=1
	s_or_b32 exec_lo, exec_lo, s33
	s_delay_alu instid0(VALU_DEP_1)
	v_mov_b32_e32 v4, v3
	s_mov_b32 s94, exec_lo
.LBB4_395:                              ;   in Loop: Header=BB4_6 Depth=1
	s_or_b32 exec_lo, exec_lo, s44
	s_delay_alu instid0(SALU_CYCLE_1)
	s_or_not1_b32 s33, s94, exec_lo
.LBB4_396:                              ;   in Loop: Header=BB4_6 Depth=1
	s_or_b32 exec_lo, exec_lo, s20
	v_mov_b32_e32 v3, v4
	s_and_not1_b32 s17, s29, exec_lo
	s_and_b32 s18, s34, exec_lo
	s_and_not1_b32 s19, s28, exec_lo
	s_and_b32 s20, s31, exec_lo
	s_or_b32 s29, s17, s18
	s_or_b32 s28, s19, s20
	s_and_b32 s34, s33, exec_lo
.LBB4_397:                              ;   in Loop: Header=BB4_6 Depth=1
	s_or_b32 exec_lo, exec_lo, s30
	s_delay_alu instid0(SALU_CYCLE_1)
	s_or_not1_b32 s30, s34, exec_lo
.LBB4_398:                              ;   in Loop: Header=BB4_6 Depth=1
	s_or_b32 exec_lo, exec_lo, s21
	v_mov_b32_e32 v5, v3
	s_and_not1_b32 s17, s25, exec_lo
	s_and_b32 s18, s29, exec_lo
	s_and_not1_b32 s19, s22, exec_lo
	s_and_b32 s20, s28, exec_lo
	s_or_b32 s25, s17, s18
	s_or_b32 s22, s19, s20
	s_and_b32 s30, s30, exec_lo
.LBB4_399:                              ;   in Loop: Header=BB4_6 Depth=1
	s_or_b32 exec_lo, exec_lo, s27
	s_delay_alu instid0(SALU_CYCLE_1)
	s_or_not1_b32 s27, s30, exec_lo
.LBB4_400:                              ;   in Loop: Header=BB4_6 Depth=1
	s_or_b32 exec_lo, exec_lo, s14
	s_mov_b32 s14, s23
	s_mov_b32 s17, s15
	s_and_saveexec_b32 s18, s27
; %bb.401:                              ;   in Loop: Header=BB4_6 Depth=1
	v_cmp_ne_u32_e32 vcc_lo, 5, v2
	v_cmp_eq_u32_e64 s14, 5, v2
	s_and_not1_b32 s17, s15, exec_lo
	s_and_not1_b32 s19, s23, exec_lo
	s_and_b32 s20, vcc_lo, exec_lo
	s_and_b32 s14, s14, exec_lo
	s_or_b32 s17, s17, s20
	s_or_b32 s14, s19, s14
; %bb.402:                              ;   in Loop: Header=BB4_6 Depth=1
	s_or_b32 exec_lo, exec_lo, s18
	s_delay_alu instid0(SALU_CYCLE_1)
	s_and_not1_b32 s18, s26, exec_lo
	s_and_b32 s19, s25, exec_lo
	s_and_not1_b32 s16, s16, exec_lo
	s_and_b32 s20, s22, exec_lo
	s_or_b32 s26, s18, s19
	s_and_not1_b32 s15, s15, exec_lo
	s_and_b32 s17, s17, exec_lo
	s_and_not1_b32 s18, s23, exec_lo
	s_and_b32 s14, s14, exec_lo
	s_or_b32 s16, s16, s20
	s_or_b32 s15, s15, s17
	;; [unrolled: 1-line block ×3, first 2 shown]
.LBB4_403:                              ;   in Loop: Header=BB4_6 Depth=1
	s_or_b32 exec_lo, exec_lo, s24
	s_mov_b32 s24, 0
	s_mov_b32 s25, 0
	s_and_saveexec_b32 s14, s23
.LBB4_404:                              ;   in Loop: Header=BB4_6 Depth=1
	v_mov_b32_e32 v2, 0
	s_or_b32 s15, s15, exec_lo
.LBB4_405:                              ;   in Loop: Header=BB4_6 Depth=1
	s_or_b32 exec_lo, exec_lo, s14
	s_delay_alu instid0(SALU_CYCLE_1)
	s_and_not1_b32 s14, s91, exec_lo
	s_and_b32 s18, s26, exec_lo
	s_and_not1_b32 s19, s89, exec_lo
	s_and_b32 s16, s16, exec_lo
	v_mov_b32_e32 v41, v5
	s_or_b32 s91, s14, s18
	s_or_b32 s89, s19, s16
	s_and_not1_b32 s14, s93, exec_lo
	s_and_b32 s16, s25, exec_lo
	s_and_not1_b32 s18, s92, exec_lo
	s_and_b32 s19, s24, exec_lo
	s_mov_b32 s17, -1
	s_and_not1_b32 s90, s90, exec_lo
	s_or_b32 s93, s14, s16
	s_or_b32 s92, s18, s19
	s_and_saveexec_b32 s14, s15
	s_delay_alu instid0(SALU_CYCLE_1)
	s_xor_b32 s14, exec_lo, s14
	s_cbranch_execz .LBB4_5
; %bb.406:                              ;   in Loop: Header=BB4_6 Depth=1
	s_mov_b32 s15, -1
	s_mov_b32 s16, -1
	s_mov_b32 s17, exec_lo
	v_cmpx_eq_u32_e32 0, v2
	s_cbranch_execz .LBB4_4
; %bb.407:                              ;   in Loop: Header=BB4_6 Depth=1
	s_xor_b32 s84, s84, 1
	s_add_co_i32 s18, s81, -2
	s_cmp_eq_u32 s81, 0
	s_mov_b32 s81, s18
	s_cselect_b32 s15, -1, 0
	s_xor_b32 s16, exec_lo, -1
	s_or_not1_b32 s15, s15, exec_lo
	s_branch .LBB4_4
.LBB4_408:
	s_or_b32 exec_lo, exec_lo, s82
	s_xor_b32 s7, s88, -1
	s_xor_b32 s9, s86, -1
	;; [unrolled: 1-line block ×5, first 2 shown]
	s_mov_b32 s8, 0
	s_and_saveexec_b32 s12, s11
	s_delay_alu instid0(SALU_CYCLE_1)
	s_xor_b32 s12, exec_lo, s12
	s_cbranch_execnz .LBB4_413
; %bb.409:
	s_and_not1_saveexec_b32 s0, s12
	s_cbranch_execnz .LBB4_432
.LBB4_410:
	s_or_b32 exec_lo, exec_lo, s0
	s_and_saveexec_b32 s0, s8
.LBB4_411:
	; divergent unreachable
.LBB4_412:
	s_sendmsg sendmsg(MSG_DEALLOC_VGPRS)
	s_endpgm
.LBB4_413:
	s_and_saveexec_b32 s11, s10
	s_delay_alu instid0(SALU_CYCLE_1)
	s_xor_b32 s13, exec_lo, s11
	s_cbranch_execz .LBB4_430
; %bb.414:
	s_and_saveexec_b32 s10, s9
	s_delay_alu instid0(SALU_CYCLE_1)
	s_xor_b32 s14, exec_lo, s10
	s_cbranch_execz .LBB4_428
; %bb.415:
	;; [unrolled: 5-line block ×3, first 2 shown]
	s_and_saveexec_b32 s7, s6
	s_delay_alu instid0(SALU_CYCLE_1)
	s_xor_b32 s6, exec_lo, s7
; %bb.417:
	v_mov_b32_e32 v40, v32
; %bb.418:
	s_or_b32 exec_lo, exec_lo, s6
	s_and_saveexec_b32 s6, s5
; %bb.419:
	v_mov_b32_e32 v1, 0
	ds_store_b32 v1, v1 offset:4108
; %bb.420:
	s_or_b32 exec_lo, exec_lo, s6
	v_mov_b32_e32 v1, 0
	s_wait_dscnt 0x0
	s_barrier_signal -1
	s_barrier_wait -1
	s_and_saveexec_b32 s5, s3
	s_cbranch_execz .LBB4_422
; %bb.421:
	global_load_u8 v1, v[20:21], off
.LBB4_422:
	s_wait_xcnt 0x0
	s_or_b32 exec_lo, exec_lo, s5
	s_clause 0x1
	s_load_b32 s5, s[0:1], 0x1c8
	s_load_b32 s16, s[0:1], 0x2a8
	s_add_co_i32 s17, s36, 31
	s_mov_b32 s11, 0
	s_and_not1_b32 s17, s17, 31
	s_wait_xcnt 0x0
	s_mul_i32 s0, s55, s54
	s_mov_b32 s1, s11
	v_cmp_gt_u32_e32 vcc_lo, s17, v0
	s_mul_i32 s10, s56, s54
	s_lshl_b64 s[0:1], s[0:1], 3
	s_add_nc_u64 s[6:7], s[42:43], s[10:11]
	s_add_nc_u64 s[8:9], s[40:41], s[0:1]
	s_mov_b32 s0, -1
	s_mov_b32 s1, 0
	s_and_saveexec_b32 s10, vcc_lo
	s_cbranch_execnz .LBB4_433
; %bb.423:
	s_or_b32 exec_lo, exec_lo, s10
	s_and_saveexec_b32 s4, s0
	s_cbranch_execnz .LBB4_448
.LBB4_424:
	s_or_b32 exec_lo, exec_lo, s4
	s_and_saveexec_b32 s0, s1
	s_delay_alu instid0(SALU_CYCLE_1)
	s_xor_b32 s0, exec_lo, s0
	s_cbranch_execnz .LBB4_471
.LBB4_425:
	s_or_b32 exec_lo, exec_lo, s0
	s_delay_alu instid0(SALU_CYCLE_1)
	s_and_b32 s8, s11, exec_lo
.LBB4_426:
	s_and_not1_saveexec_b32 s0, s15
	s_cbranch_execnz .LBB4_473
.LBB4_427:
	s_or_b32 exec_lo, exec_lo, s0
	s_delay_alu instid0(SALU_CYCLE_1)
	s_and_b32 s8, s8, exec_lo
.LBB4_428:
	s_and_not1_saveexec_b32 s0, s14
	s_cbranch_execnz .LBB4_472
.LBB4_429:
	s_or_b32 exec_lo, exec_lo, s0
	s_delay_alu instid0(SALU_CYCLE_1)
	s_and_b32 s8, s8, exec_lo
.LBB4_430:
	s_and_not1_saveexec_b32 s0, s13
	s_cbranch_execnz .LBB4_467
.LBB4_431:
	s_or_b32 exec_lo, exec_lo, s0
	s_delay_alu instid0(SALU_CYCLE_1)
	s_and_b32 s8, s8, exec_lo
	s_and_not1_saveexec_b32 s0, s12
	s_cbranch_execz .LBB4_410
.LBB4_432:
	s_or_b32 s8, s8, exec_lo
	s_trap 2
	s_or_b32 exec_lo, exec_lo, s0
	s_and_saveexec_b32 s0, s8
	s_cbranch_execnz .LBB4_411
	s_branch .LBB4_412
.LBB4_433:
	v_dual_mov_b32 v3, 0 :: v_dual_add_nc_u32 v2, s35, v0
	v_and_b32_e32 v5, 0xff, v40
	s_mov_b32 s18, 0
                                        ; implicit-def: $sgpr19
                                        ; implicit-def: $vgpr8
	s_delay_alu instid0(VALU_DEP_2)
	v_mul_lo_u32 v4, s52, v2
	v_mov_b32_e32 v2, v0
	s_branch .LBB4_435
.LBB4_434:                              ;   in Loop: Header=BB4_435 Depth=1
	s_or_b32 exec_lo, exec_lo, s21
	s_xor_b32 s0, s20, -1
	s_and_b32 s1, exec_lo, s1
	v_dual_mov_b32 v1, v7 :: v_dual_mov_b32 v2, v6
	s_or_b32 s18, s1, s18
	s_and_not1_b32 s1, s19, exec_lo
	s_and_b32 s0, s0, exec_lo
	s_delay_alu instid0(SALU_CYCLE_1)
	s_or_b32 s19, s1, s0
	s_and_not1_b32 exec_lo, exec_lo, s18
	s_cbranch_execz .LBB4_447
.LBB4_435:                              ; =>This Inner Loop Header: Depth=1
	s_delay_alu instid0(VALU_DEP_1) | instskip(SKIP_1) | instid1(VALU_DEP_1)
	v_dual_mov_b32 v7, 0 :: v_dual_add_nc_u32 v6, s35, v2
	s_mov_b32 s1, exec_lo
	v_cmpx_gt_u32_e64 s36, v6
	s_cbranch_execz .LBB4_437
; %bb.436:                              ;   in Loop: Header=BB4_435 Depth=1
	global_load_u8 v7, v4, s[38:39]
.LBB4_437:                              ;   in Loop: Header=BB4_435 Depth=1
	s_wait_xcnt 0x0
	s_or_b32 exec_lo, exec_lo, s1
	s_wait_loadcnt 0x0
	v_and_b32_e32 v9, 0xff, v1
	s_delay_alu instid0(VALU_DEP_1) | instskip(NEXT) | instid1(VALU_DEP_1)
	v_cmp_gt_u16_e64 s0, v9, v5
	v_cndmask_b32_e64 v10, 0, 1, s0
	v_cmp_lt_u16_e64 s0, v9, v5
	s_delay_alu instid0(VALU_DEP_1) | instskip(SKIP_1) | instid1(VALU_DEP_2)
	v_cndmask_b32_e64 v9, 0, 1, s0
	v_cmp_gt_u32_e64 s0, s36, v2
	v_cndmask_b32_e64 v9, v9, v10, s4
	s_delay_alu instid0(VALU_DEP_1) | instskip(NEXT) | instid1(VALU_DEP_1)
	v_and_b32_e32 v9, 1, v9
	v_cmp_eq_u32_e64 s1, 1, v9
	s_and_b32 s20, s0, s1
	s_delay_alu instid0(SALU_CYCLE_1) | instskip(NEXT) | instid1(VALU_DEP_1)
	v_cndmask_b32_e64 v9, 0, 1, s20
	v_cmp_ne_u32_e64 s0, 0, v9
	s_cmp_lg_u32 s0, 0
	s_cselect_b32 s1, -1, 0
	s_delay_alu instid0(SALU_CYCLE_1) | instskip(NEXT) | instid1(SALU_CYCLE_1)
	s_and_b32 s1, s2, s1
	s_and_saveexec_b32 s21, s1
	s_cbranch_execz .LBB4_441
; %bb.438:                              ;   in Loop: Header=BB4_435 Depth=1
	s_mov_b32 s24, exec_lo
	s_bcnt1_i32_b32 s22, s0
	s_wait_dscnt 0x0
	v_mbcnt_lo_u32_b32 v8, s24, 0
	s_mov_b32 s23, exec_lo
                                        ; implicit-def: $vgpr9
	s_delay_alu instid0(VALU_DEP_1)
	v_cmpx_eq_u32_e32 0, v8
; %bb.439:                              ;   in Loop: Header=BB4_435 Depth=1
	s_bcnt1_i32_b32 s1, s24
	s_delay_alu instid0(SALU_CYCLE_1) | instskip(NEXT) | instid1(SALU_CYCLE_1)
	s_mul_i32 s1, s22, s1
	v_mov_b32_e32 v9, s1
	ds_add_rtn_u32 v9, v3, v9 offset:4108
; %bb.440:                              ;   in Loop: Header=BB4_435 Depth=1
	s_or_b32 exec_lo, exec_lo, s23
	s_wait_dscnt 0x0
	v_readfirstlane_b32 s1, v9
	s_delay_alu instid0(VALU_DEP_1)
	v_mad_u32_u24 v8, s22, v8, s1
.LBB4_441:                              ;   in Loop: Header=BB4_435 Depth=1
	s_or_b32 exec_lo, exec_lo, s21
	s_wait_dscnt 0x0
	ds_bpermute_b32 v8, v3, v8
	s_mov_b32 s1, -1
	s_mov_b32 s22, -1
	s_and_saveexec_b32 s21, s20
	s_cbranch_execz .LBB4_445
; %bb.442:                              ;   in Loop: Header=BB4_435 Depth=1
	v_and_b32_e32 v9, s0, v18
	s_mov_b32 s20, 0
	s_mov_b32 s22, exec_lo
	s_wait_dscnt 0x0
	s_delay_alu instid0(VALU_DEP_1) | instskip(NEXT) | instid1(VALU_DEP_1)
	v_bcnt_u32_b32 v9, v9, v8
	v_cmpx_gt_u32_e64 s37, v9
	s_cbranch_execz .LBB4_444
; %bb.443:                              ;   in Loop: Header=BB4_435 Depth=1
	s_wait_kmcnt 0x0
	v_mul_lo_u32 v10, v9, s5
	v_mul_lo_u32 v9, v9, s16
	s_mov_b32 s20, exec_lo
	global_store_b8 v10, v1, s[6:7]
	global_store_b64 v9, v[2:3], s[8:9] scale_offset
.LBB4_444:                              ;   in Loop: Header=BB4_435 Depth=1
	s_wait_xcnt 0x0
	s_or_b32 exec_lo, exec_lo, s22
	s_delay_alu instid0(SALU_CYCLE_1)
	s_or_not1_b32 s22, s20, exec_lo
.LBB4_445:                              ;   in Loop: Header=BB4_435 Depth=1
	s_or_b32 exec_lo, exec_lo, s21
	s_mov_b32 s20, -1
	s_and_saveexec_b32 s21, s22
	s_cbranch_execz .LBB4_434
; %bb.446:                              ;   in Loop: Header=BB4_435 Depth=1
	v_cmp_le_u32_e64 s0, s17, v6
	v_add_nc_u32_e32 v4, s53, v4
	s_xor_b32 s20, exec_lo, -1
	s_or_not1_b32 s1, s0, exec_lo
	s_branch .LBB4_434
.LBB4_447:
	s_or_b32 exec_lo, exec_lo, s18
	s_delay_alu instid0(SALU_CYCLE_1)
	s_mov_b32 s1, exec_lo
	s_or_not1_b32 s0, s19, exec_lo
	s_or_b32 exec_lo, exec_lo, s10
	s_and_saveexec_b32 s4, s0
	s_cbranch_execz .LBB4_424
.LBB4_448:
	v_mov_b32_e32 v7, 0
	s_wait_storecnt 0x0
	s_wait_loadcnt_dscnt 0x0
	s_barrier_signal -1
	s_barrier_wait -1
	s_and_saveexec_b32 s0, s3
	s_cbranch_execz .LBB4_450
; %bb.449:
	global_load_u8 v7, v[20:21], off
.LBB4_450:
	s_wait_xcnt 0x0
	s_or_b32 exec_lo, exec_lo, s0
	s_mov_b32 s0, 0
	s_and_saveexec_b32 s3, vcc_lo
	s_cbranch_execz .LBB4_470
; %bb.451:
	v_add_nc_u32_e32 v1, s35, v0
	v_and_b32_e32 v3, 0xff, v40
	s_mov_b32 s10, 0
                                        ; implicit-def: $sgpr11
                                        ; implicit-def: $vgpr6
	s_delay_alu instid0(VALU_DEP_2)
	v_mul_lo_u32 v2, s52, v1
	v_mov_b32_e32 v1, 0
	s_branch .LBB4_454
.LBB4_452:                              ;   in Loop: Header=BB4_454 Depth=1
	s_or_b32 exec_lo, exec_lo, s20
	s_delay_alu instid0(SALU_CYCLE_1)
	s_or_not1_b32 s20, s18, exec_lo
	s_or_not1_b32 s19, s19, exec_lo
.LBB4_453:                              ;   in Loop: Header=BB4_454 Depth=1
	s_or_b32 exec_lo, exec_lo, s0
	s_xor_b32 s0, s20, -1
	s_and_b32 s18, exec_lo, s19
	v_dual_mov_b32 v0, v4 :: v_dual_mov_b32 v7, v5
	s_or_b32 s10, s18, s10
	s_and_not1_b32 s11, s11, exec_lo
	s_and_b32 s0, s0, exec_lo
	s_delay_alu instid0(SALU_CYCLE_1)
	s_or_b32 s11, s11, s0
	s_and_not1_b32 exec_lo, exec_lo, s10
	s_cbranch_execz .LBB4_468
.LBB4_454:                              ; =>This Inner Loop Header: Depth=1
	v_dual_mov_b32 v5, 0 :: v_dual_add_nc_u32 v4, s35, v0
	s_mov_b32 s0, exec_lo
	s_delay_alu instid0(VALU_DEP_1)
	v_cmpx_gt_u32_e64 s36, v4
	s_cbranch_execz .LBB4_456
; %bb.455:                              ;   in Loop: Header=BB4_454 Depth=1
	global_load_u8 v5, v2, s[38:39]
.LBB4_456:                              ;   in Loop: Header=BB4_454 Depth=1
	s_wait_xcnt 0x0
	s_or_b32 exec_lo, exec_lo, s0
	s_wait_loadcnt 0x0
	v_and_b32_e32 v7, 0xff, v7
	v_cmp_gt_u32_e32 vcc_lo, s36, v0
	s_delay_alu instid0(VALU_DEP_2) | instskip(SKIP_1) | instid1(SALU_CYCLE_1)
	v_cmp_eq_u16_e64 s0, v7, v3
	s_and_b32 s18, vcc_lo, s0
	v_cndmask_b32_e64 v7, 0, 1, s18
	s_delay_alu instid0(VALU_DEP_1) | instskip(SKIP_2) | instid1(SALU_CYCLE_1)
	v_cmp_ne_u32_e32 vcc_lo, 0, v7
	s_cmp_lg_u32 vcc_lo, 0
	s_cselect_b32 s0, -1, 0
	s_and_b32 s0, s2, s0
	s_delay_alu instid0(SALU_CYCLE_1)
	s_and_saveexec_b32 s19, s0
	s_cbranch_execz .LBB4_460
; %bb.457:                              ;   in Loop: Header=BB4_454 Depth=1
	s_mov_b32 s22, exec_lo
	s_bcnt1_i32_b32 s20, vcc_lo
	v_mbcnt_lo_u32_b32 v6, s22, 0
	s_mov_b32 s21, exec_lo
                                        ; implicit-def: $vgpr7
	s_delay_alu instid0(VALU_DEP_1)
	v_cmpx_eq_u32_e32 0, v6
; %bb.458:                              ;   in Loop: Header=BB4_454 Depth=1
	s_bcnt1_i32_b32 s0, s22
	s_delay_alu instid0(SALU_CYCLE_1) | instskip(NEXT) | instid1(SALU_CYCLE_1)
	s_mul_i32 s0, s20, s0
	v_mov_b32_e32 v7, s0
	ds_add_rtn_u32 v7, v1, v7 offset:4108
; %bb.459:                              ;   in Loop: Header=BB4_454 Depth=1
	s_or_b32 exec_lo, exec_lo, s21
	s_wait_dscnt 0x0
	v_readfirstlane_b32 s0, v7
	s_delay_alu instid0(VALU_DEP_1)
	v_mad_u32_u24 v6, s20, v6, s0
.LBB4_460:                              ;   in Loop: Header=BB4_454 Depth=1
	s_or_b32 exec_lo, exec_lo, s19
	ds_bpermute_b32 v6, v1, v6
	s_cmp_eq_u32 vcc_lo, 0
	s_mov_b32 s19, -1
	s_cselect_b32 s20, -1, 0
	s_wait_dscnt 0x0
	v_cmp_gt_u32_e64 s0, s37, v6
	s_or_b32 s21, s20, s0
	s_mov_b32 s20, -1
	s_and_saveexec_b32 s0, s21
	s_cbranch_execz .LBB4_453
; %bb.461:                              ;   in Loop: Header=BB4_454 Depth=1
	v_and_b32_e32 v7, vcc_lo, v18
	v_sub_nc_u32_e32 v8, s37, v6
	s_mov_b32 s21, -1
	s_delay_alu instid0(VALU_DEP_2) | instskip(NEXT) | instid1(VALU_DEP_1)
	v_bcnt_u32_b32 v7, v7, 0
	v_bcnt_u32_b32 v7, 0, v7
	s_delay_alu instid0(VALU_DEP_1)
	v_cmp_gt_u32_e32 vcc_lo, v8, v7
	s_and_b32 s22, s18, vcc_lo
	s_mov_b32 s18, -1
	s_and_saveexec_b32 s20, s22
	s_cbranch_execz .LBB4_465
; %bb.462:                              ;   in Loop: Header=BB4_454 Depth=1
	v_add_nc_u32_e32 v7, v6, v7
	s_mov_b32 s21, 0
	s_mov_b32 s18, exec_lo
	s_delay_alu instid0(VALU_DEP_1)
	v_cmpx_gt_u32_e64 s37, v7
	s_cbranch_execz .LBB4_464
; %bb.463:                              ;   in Loop: Header=BB4_454 Depth=1
	s_wait_kmcnt 0x0
	v_mul_lo_u32 v8, v7, s5
	v_mul_lo_u32 v7, v7, s16
	s_mov_b32 s21, exec_lo
	global_store_b8 v8, v40, s[6:7]
	global_store_b64 v7, v[0:1], s[8:9] scale_offset
.LBB4_464:                              ;   in Loop: Header=BB4_454 Depth=1
	s_wait_xcnt 0x0
	s_or_b32 exec_lo, exec_lo, s18
	s_delay_alu instid0(SALU_CYCLE_1)
	s_xor_b32 s18, exec_lo, -1
	s_or_not1_b32 s21, s21, exec_lo
.LBB4_465:                              ;   in Loop: Header=BB4_454 Depth=1
	s_or_b32 exec_lo, exec_lo, s20
	s_and_saveexec_b32 s20, s21
	s_cbranch_execz .LBB4_452
; %bb.466:                              ;   in Loop: Header=BB4_454 Depth=1
	v_cmp_le_u32_e32 vcc_lo, s17, v4
	v_add_nc_u32_e32 v2, s53, v2
	s_or_b32 s18, s18, exec_lo
	s_or_not1_b32 s19, vcc_lo, exec_lo
	s_branch .LBB4_452
.LBB4_467:
	s_or_b32 s8, s8, exec_lo
	s_trap 2
	s_branch .LBB4_431
.LBB4_468:
	s_or_b32 exec_lo, exec_lo, s10
	s_mov_b32 s0, 0
	s_and_saveexec_b32 s2, s11
	s_delay_alu instid0(SALU_CYCLE_1)
	s_xor_b32 s2, exec_lo, s2
	s_cbranch_execnz .LBB4_474
.LBB4_469:
	s_or_b32 exec_lo, exec_lo, s2
	s_delay_alu instid0(SALU_CYCLE_1)
	s_and_b32 s0, s0, exec_lo
.LBB4_470:
	s_or_b32 exec_lo, exec_lo, s3
	s_delay_alu instid0(SALU_CYCLE_1) | instskip(SKIP_3) | instid1(SALU_CYCLE_1)
	s_and_b32 s11, s0, exec_lo
	s_and_not1_b32 s1, s1, exec_lo
	s_or_b32 exec_lo, exec_lo, s4
	s_and_saveexec_b32 s0, s1
	s_xor_b32 s0, exec_lo, s0
	s_cbranch_execz .LBB4_425
.LBB4_471:
	s_or_b32 s11, s11, exec_lo
	s_trap 2
	s_branch .LBB4_425
.LBB4_472:
	s_or_b32 s8, s8, exec_lo
	s_trap 2
	s_branch .LBB4_429
.LBB4_473:
	s_or_b32 s8, s8, exec_lo
	s_trap 2
	s_branch .LBB4_427
.LBB4_474:
	s_mov_b32 s0, exec_lo
	s_trap 2
	s_branch .LBB4_469
	.section	.rodata,"a",@progbits
	.p2align	6, 0x0
	.amdhsa_kernel _ZN2at6native6sbtopk10gatherTopKIhjLi1ELb0EEEvNS_4cuda6detail10TensorInfoIKT_T0_EES8_S8_bS8_S8_NS5_IS6_S8_EES8_NS5_IlS8_EES8_PS6_
		.amdhsa_group_segment_fixed_size 4112
		.amdhsa_private_segment_fixed_size 0
		.amdhsa_kernarg_size 952
		.amdhsa_user_sgpr_count 2
		.amdhsa_user_sgpr_dispatch_ptr 0
		.amdhsa_user_sgpr_queue_ptr 0
		.amdhsa_user_sgpr_kernarg_segment_ptr 1
		.amdhsa_user_sgpr_dispatch_id 0
		.amdhsa_user_sgpr_kernarg_preload_length 0
		.amdhsa_user_sgpr_kernarg_preload_offset 0
		.amdhsa_user_sgpr_private_segment_size 0
		.amdhsa_wavefront_size32 1
		.amdhsa_uses_dynamic_stack 0
		.amdhsa_enable_private_segment 0
		.amdhsa_system_sgpr_workgroup_id_x 1
		.amdhsa_system_sgpr_workgroup_id_y 1
		.amdhsa_system_sgpr_workgroup_id_z 1
		.amdhsa_system_sgpr_workgroup_info 0
		.amdhsa_system_vgpr_workitem_id 0
		.amdhsa_next_free_vgpr 68
		.amdhsa_next_free_sgpr 105
		.amdhsa_named_barrier_count 0
		.amdhsa_reserve_vcc 1
		.amdhsa_float_round_mode_32 0
		.amdhsa_float_round_mode_16_64 0
		.amdhsa_float_denorm_mode_32 3
		.amdhsa_float_denorm_mode_16_64 3
		.amdhsa_fp16_overflow 0
		.amdhsa_memory_ordered 1
		.amdhsa_forward_progress 1
		.amdhsa_inst_pref_size 128
		.amdhsa_round_robin_scheduling 0
		.amdhsa_exception_fp_ieee_invalid_op 0
		.amdhsa_exception_fp_denorm_src 0
		.amdhsa_exception_fp_ieee_div_zero 0
		.amdhsa_exception_fp_ieee_overflow 0
		.amdhsa_exception_fp_ieee_underflow 0
		.amdhsa_exception_fp_ieee_inexact 0
		.amdhsa_exception_int_div_zero 0
	.end_amdhsa_kernel
	.section	.text._ZN2at6native6sbtopk10gatherTopKIhjLi1ELb0EEEvNS_4cuda6detail10TensorInfoIKT_T0_EES8_S8_bS8_S8_NS5_IS6_S8_EES8_NS5_IlS8_EES8_PS6_,"axG",@progbits,_ZN2at6native6sbtopk10gatherTopKIhjLi1ELb0EEEvNS_4cuda6detail10TensorInfoIKT_T0_EES8_S8_bS8_S8_NS5_IS6_S8_EES8_NS5_IlS8_EES8_PS6_,comdat
.Lfunc_end4:
	.size	_ZN2at6native6sbtopk10gatherTopKIhjLi1ELb0EEEvNS_4cuda6detail10TensorInfoIKT_T0_EES8_S8_bS8_S8_NS5_IS6_S8_EES8_NS5_IlS8_EES8_PS6_, .Lfunc_end4-_ZN2at6native6sbtopk10gatherTopKIhjLi1ELb0EEEvNS_4cuda6detail10TensorInfoIKT_T0_EES8_S8_bS8_S8_NS5_IS6_S8_EES8_NS5_IlS8_EES8_PS6_
                                        ; -- End function
	.set _ZN2at6native6sbtopk10gatherTopKIhjLi1ELb0EEEvNS_4cuda6detail10TensorInfoIKT_T0_EES8_S8_bS8_S8_NS5_IS6_S8_EES8_NS5_IlS8_EES8_PS6_.num_vgpr, 68
	.set _ZN2at6native6sbtopk10gatherTopKIhjLi1ELb0EEEvNS_4cuda6detail10TensorInfoIKT_T0_EES8_S8_bS8_S8_NS5_IS6_S8_EES8_NS5_IlS8_EES8_PS6_.num_agpr, 0
	.set _ZN2at6native6sbtopk10gatherTopKIhjLi1ELb0EEEvNS_4cuda6detail10TensorInfoIKT_T0_EES8_S8_bS8_S8_NS5_IS6_S8_EES8_NS5_IlS8_EES8_PS6_.numbered_sgpr, 105
	.set _ZN2at6native6sbtopk10gatherTopKIhjLi1ELb0EEEvNS_4cuda6detail10TensorInfoIKT_T0_EES8_S8_bS8_S8_NS5_IS6_S8_EES8_NS5_IlS8_EES8_PS6_.num_named_barrier, 0
	.set _ZN2at6native6sbtopk10gatherTopKIhjLi1ELb0EEEvNS_4cuda6detail10TensorInfoIKT_T0_EES8_S8_bS8_S8_NS5_IS6_S8_EES8_NS5_IlS8_EES8_PS6_.private_seg_size, 0
	.set _ZN2at6native6sbtopk10gatherTopKIhjLi1ELb0EEEvNS_4cuda6detail10TensorInfoIKT_T0_EES8_S8_bS8_S8_NS5_IS6_S8_EES8_NS5_IlS8_EES8_PS6_.uses_vcc, 1
	.set _ZN2at6native6sbtopk10gatherTopKIhjLi1ELb0EEEvNS_4cuda6detail10TensorInfoIKT_T0_EES8_S8_bS8_S8_NS5_IS6_S8_EES8_NS5_IlS8_EES8_PS6_.uses_flat_scratch, 0
	.set _ZN2at6native6sbtopk10gatherTopKIhjLi1ELb0EEEvNS_4cuda6detail10TensorInfoIKT_T0_EES8_S8_bS8_S8_NS5_IS6_S8_EES8_NS5_IlS8_EES8_PS6_.has_dyn_sized_stack, 0
	.set _ZN2at6native6sbtopk10gatherTopKIhjLi1ELb0EEEvNS_4cuda6detail10TensorInfoIKT_T0_EES8_S8_bS8_S8_NS5_IS6_S8_EES8_NS5_IlS8_EES8_PS6_.has_recursion, 0
	.set _ZN2at6native6sbtopk10gatherTopKIhjLi1ELb0EEEvNS_4cuda6detail10TensorInfoIKT_T0_EES8_S8_bS8_S8_NS5_IS6_S8_EES8_NS5_IlS8_EES8_PS6_.has_indirect_call, 0
	.section	.AMDGPU.csdata,"",@progbits
; Kernel info:
; codeLenInByte = 16336
; TotalNumSgprs: 107
; NumVgprs: 68
; ScratchSize: 0
; MemoryBound: 0
; FloatMode: 240
; IeeeMode: 1
; LDSByteSize: 4112 bytes/workgroup (compile time only)
; SGPRBlocks: 0
; VGPRBlocks: 4
; NumSGPRsForWavesPerEU: 107
; NumVGPRsForWavesPerEU: 68
; NamedBarCnt: 0
; Occupancy: 12
; WaveLimiterHint : 1
; COMPUTE_PGM_RSRC2:SCRATCH_EN: 0
; COMPUTE_PGM_RSRC2:USER_SGPR: 2
; COMPUTE_PGM_RSRC2:TRAP_HANDLER: 0
; COMPUTE_PGM_RSRC2:TGID_X_EN: 1
; COMPUTE_PGM_RSRC2:TGID_Y_EN: 1
; COMPUTE_PGM_RSRC2:TGID_Z_EN: 1
; COMPUTE_PGM_RSRC2:TIDIG_COMP_CNT: 0
	.section	.text._ZN2at6native6mbtopk23computeBlockDigitCountsIhjjLi2EEEvNS_4cuda6detail10TensorInfoIKT_T0_EEjPjjS8_iijT1_PSB_Ps,"axG",@progbits,_ZN2at6native6mbtopk23computeBlockDigitCountsIhjjLi2EEEvNS_4cuda6detail10TensorInfoIKT_T0_EEjPjjS8_iijT1_PSB_Ps,comdat
	.protected	_ZN2at6native6mbtopk23computeBlockDigitCountsIhjjLi2EEEvNS_4cuda6detail10TensorInfoIKT_T0_EEjPjjS8_iijT1_PSB_Ps ; -- Begin function _ZN2at6native6mbtopk23computeBlockDigitCountsIhjjLi2EEEvNS_4cuda6detail10TensorInfoIKT_T0_EEjPjjS8_iijT1_PSB_Ps
	.globl	_ZN2at6native6mbtopk23computeBlockDigitCountsIhjjLi2EEEvNS_4cuda6detail10TensorInfoIKT_T0_EEjPjjS8_iijT1_PSB_Ps
	.p2align	8
	.type	_ZN2at6native6mbtopk23computeBlockDigitCountsIhjjLi2EEEvNS_4cuda6detail10TensorInfoIKT_T0_EEjPjjS8_iijT1_PSB_Ps,@function
_ZN2at6native6mbtopk23computeBlockDigitCountsIhjjLi2EEEvNS_4cuda6detail10TensorInfoIKT_T0_EEjPjjS8_iijT1_PSB_Ps: ; @_ZN2at6native6mbtopk23computeBlockDigitCountsIhjjLi2EEEvNS_4cuda6detail10TensorInfoIKT_T0_EEjPjjS8_iijT1_PSB_Ps
; %bb.0:
	s_load_b64 s[2:3], s[0:1], 0xf8
	s_bfe_u32 s4, ttmp6, 0x40010
	s_and_b32 s6, ttmp7, 0xffff
	s_add_co_i32 s7, s4, 1
	s_bfe_u32 s8, ttmp6, 0x40004
	s_mul_i32 s7, s6, s7
	s_load_b64 s[4:5], s[0:1], 0x110
	s_add_co_i32 s7, s8, s7
	s_bfe_u32 s9, ttmp6, 0x4000c
	s_bfe_u32 s11, ttmp6, 0x40014
	s_add_co_i32 s9, s9, 1
	s_and_b32 s10, ttmp6, 15
	s_mul_i32 s9, ttmp9, s9
	s_add_co_i32 s11, s11, 1
	s_add_co_i32 s12, s10, s9
	s_bfe_u32 s10, ttmp6, 0x40008
	s_mov_b32 s15, 0
	s_wait_kmcnt 0x0
	s_cvt_f32_u32 s8, s2
	s_delay_alu instid0(SALU_CYCLE_3) | instskip(SKIP_1) | instid1(SALU_CYCLE_1)
	v_rcp_iflag_f32_e32 v1, s8
	s_lshr_b32 s8, ttmp7, 16
	s_mul_i32 s9, s8, s11
	s_getreg_b32 s11, hwreg(HW_REG_IB_STS2, 6, 4)
	s_add_co_i32 s10, s10, s9
	s_cmp_eq_u32 s11, 0
	v_nop
	v_readfirstlane_b32 s13, v1
	s_cselect_b32 s14, s8, s10
	s_load_b128 s[8:11], s[0:1], 0xe8
	s_mul_i32 s5, s5, s14
	s_cselect_b32 s12, ttmp9, s12
	s_mul_f32 s13, s13, 0x4f7ffffe
	s_cselect_b32 s6, s6, s7
	s_sub_co_i32 s7, 0, s2
	s_add_co_i32 s5, s5, s6
	s_cvt_u32_f32 s13, s13
	s_mul_i32 s16, s5, s4
	s_delay_alu instid0(SALU_CYCLE_1) | instskip(NEXT) | instid1(SALU_CYCLE_1)
	s_add_co_i32 s16, s16, s12
	s_mul_i32 s7, s7, s13
	s_delay_alu instid0(SALU_CYCLE_1) | instskip(NEXT) | instid1(SALU_CYCLE_1)
	s_mul_hi_u32 s4, s13, s7
	s_add_co_i32 s13, s13, s4
	s_delay_alu instid0(SALU_CYCLE_1) | instskip(NEXT) | instid1(SALU_CYCLE_1)
	s_mul_hi_u32 s4, s16, s13
	s_mul_i32 s5, s4, s2
	s_add_co_i32 s6, s4, 1
	s_sub_co_i32 s5, s16, s5
	s_delay_alu instid0(SALU_CYCLE_1)
	s_sub_co_i32 s7, s5, s2
	s_cmp_ge_u32 s5, s2
	s_cselect_b32 s4, s6, s4
	s_cselect_b32 s5, s7, s5
	s_add_co_i32 s6, s4, 1
	s_cmp_ge_u32 s5, s2
	s_cselect_b32 s14, s6, s4
	s_wait_kmcnt 0x0
	s_cmp_ge_u32 s14, s8
	s_cbranch_scc1 .LBB5_27
; %bb.1:
	s_load_b32 s18, s[0:1], 0xc
	v_cmp_gt_u32_e32 vcc_lo, 0x100, v0
	s_wait_kmcnt 0x0
	s_cvt_f32_u32 s4, s18
	s_delay_alu instid0(SALU_CYCLE_3) | instskip(SKIP_1) | instid1(TRANS32_DEP_1)
	v_rcp_iflag_f32_e32 v1, s4
	v_nop
	v_readfirstlane_b32 s19, v1
	v_lshlrev_b32_e32 v1, 2, v0
	s_and_saveexec_b32 s4, vcc_lo
; %bb.2:
	v_mov_b32_e32 v2, 0
	ds_store_b32 v1, v2
; %bb.3:
	s_or_b32 exec_lo, exec_lo, s4
	s_clause 0x1
	s_load_b32 s8, s[0:1], 0xd8
	s_load_b128 s[4:7], s[0:1], 0x100
	s_mul_i32 s12, s14, s2
	s_mov_b32 s13, 0
	s_sub_co_i32 s22, s16, s12
	s_wait_dscnt 0x0
	s_mul_i32 s12, s11, s22
	s_add_co_i32 s22, s22, 1
	s_lshl_b32 s17, s12, 8
	s_barrier_signal -1
	s_barrier_wait -1
	s_wait_kmcnt 0x0
	s_sub_co_i32 s12, s8, s17
	s_delay_alu instid0(SALU_CYCLE_1) | instskip(NEXT) | instid1(SALU_CYCLE_1)
	s_add_nc_u64 s[20:21], s[12:13], 0xff
	s_lshr_b64 s[20:21], s[20:21], 8
	s_cmp_lt_u32 s22, s2
	s_cselect_b32 s11, s11, s20
	s_delay_alu instid0(SALU_CYCLE_1)
	s_cmp_lt_i32 s11, 1
	s_cbranch_scc1 .LBB5_25
; %bb.4:
	s_mul_f32 s2, s19, 0x4f7ffffe
	s_sub_co_i32 s12, 0, s18
	s_mov_b32 s21, s15
	s_clause 0x1
	s_load_b64 s[22:23], s[0:1], 0x6c
	s_load_b64 s[24:25], s[0:1], 0x0
	s_cvt_u32_f32 s2, s2
	s_wait_xcnt 0x0
	s_load_b32 s1, s[4:5], s14 offset:0x0 scale_offset
	s_delay_alu instid0(SALU_CYCLE_1) | instskip(NEXT) | instid1(SALU_CYCLE_1)
	s_mul_i32 s12, s12, s2
	s_mul_hi_u32 s12, s2, s12
	s_delay_alu instid0(SALU_CYCLE_1) | instskip(NEXT) | instid1(SALU_CYCLE_1)
	s_add_co_i32 s20, s2, s12
	s_mul_u64 s[20:21], s[14:15], s[20:21]
	s_delay_alu instid0(SALU_CYCLE_1)
	s_mul_i32 s0, s21, s18
	s_add_co_i32 s2, s21, 1
	s_sub_co_i32 s0, s14, s0
	s_wait_xcnt 0x0
	s_sub_co_i32 s4, s0, s18
	s_cmp_ge_u32 s0, s18
	s_cselect_b32 s2, s2, s21
	s_cselect_b32 s0, s4, s0
	s_add_co_i32 s4, s2, 1
	s_cmp_ge_u32 s0, s18
	s_cselect_b32 s0, s4, s2
	s_delay_alu instid0(SALU_CYCLE_1) | instskip(SKIP_3) | instid1(SALU_CYCLE_1)
	s_mul_i32 s2, s0, s18
	s_wait_kmcnt 0x0
	s_mul_i32 s0, s0, s22
	s_sub_co_i32 s2, s14, s2
	s_mul_i32 s2, s2, s23
	s_delay_alu instid0(SALU_CYCLE_1)
	s_add_co_i32 s12, s0, s2
	s_and_b32 s2, s10, 0xff
	s_cmp_lt_u32 s11, 4
	s_add_nc_u64 s[4:5], s[24:25], s[12:13]
	s_cbranch_scc1 .LBB5_19
; %bb.5:
	v_dual_mov_b32 v7, 1 :: v_dual_add_nc_u32 v6, s17, v0
	s_and_b32 s13, s11, 0x7ffffffc
	s_lshl_b32 s10, s9, 10
	s_mov_b32 s12, 0
	s_delay_alu instid0(VALU_DEP_1)
	v_add_nc_u32_e32 v2, 0x300, v6
	v_add_nc_u32_e32 v4, 0x200, v6
	;; [unrolled: 1-line block ×3, first 2 shown]
	v_mul_lo_u32 v6, s9, v6
	s_mov_b32 s14, 0
	v_mul_lo_u32 v3, s9, v2
	v_mul_lo_u32 v4, s9, v4
	v_mul_lo_u32 v5, s9, v5
	s_branch .LBB5_7
.LBB5_6:                                ;   in Loop: Header=BB5_7 Depth=1
	s_or_b32 exec_lo, exec_lo, s15
	v_add_nc_u32_e32 v2, 0x400, v2
	s_add_co_i32 s14, s14, 4
	s_add_co_i32 s12, s12, s10
	s_cmp_eq_u32 s13, s14
	s_cbranch_scc1 .LBB5_19
.LBB5_7:                                ; =>This Inner Loop Header: Depth=1
	v_add_nc_u32_e32 v8, 0xfffffd00, v2
	s_mov_b32 s15, exec_lo
	s_delay_alu instid0(VALU_DEP_1)
	v_cmpx_gt_u32_e64 s8, v8
	s_cbranch_execz .LBB5_10
; %bb.8:                                ;   in Loop: Header=BB5_7 Depth=1
	v_add_nc_u32_e32 v8, s12, v6
	global_load_u8 v8, v8, s[4:5]
	s_wait_loadcnt 0x0
	v_bitop3_b32 v9, s1, s3, v8 bitop3:0x48
	s_delay_alu instid0(VALU_DEP_1)
	v_cmp_eq_u32_e64 s0, 0, v9
	s_wait_xcnt 0x0
	s_and_b32 exec_lo, exec_lo, s0
; %bb.9:                                ;   in Loop: Header=BB5_7 Depth=1
	v_lshrrev_b32_e32 v8, s2, v8
	s_delay_alu instid0(VALU_DEP_1)
	v_lshlrev_b32_e32 v8, 2, v8
	ds_add_u32 v8, v7
.LBB5_10:                               ;   in Loop: Header=BB5_7 Depth=1
	s_or_b32 exec_lo, exec_lo, s15
	v_add_nc_u32_e32 v8, 0xfffffe00, v2
	s_mov_b32 s15, exec_lo
	s_delay_alu instid0(VALU_DEP_1)
	v_cmpx_gt_u32_e64 s8, v8
	s_cbranch_execz .LBB5_13
; %bb.11:                               ;   in Loop: Header=BB5_7 Depth=1
	v_add_nc_u32_e32 v8, s12, v5
	global_load_u8 v8, v8, s[4:5]
	s_wait_loadcnt 0x0
	v_bitop3_b32 v9, s1, s3, v8 bitop3:0x48
	s_delay_alu instid0(VALU_DEP_1)
	v_cmp_eq_u32_e64 s0, 0, v9
	s_and_b32 exec_lo, exec_lo, s0
; %bb.12:                               ;   in Loop: Header=BB5_7 Depth=1
	v_lshrrev_b32_e32 v8, s2, v8
	s_delay_alu instid0(VALU_DEP_1)
	v_lshlrev_b32_e32 v8, 2, v8
	ds_add_u32 v8, v7
.LBB5_13:                               ;   in Loop: Header=BB5_7 Depth=1
	s_or_b32 exec_lo, exec_lo, s15
	v_add_nc_u32_e32 v8, 0xffffff00, v2
	s_mov_b32 s15, exec_lo
	s_delay_alu instid0(VALU_DEP_1)
	v_cmpx_gt_u32_e64 s8, v8
	s_cbranch_execz .LBB5_16
; %bb.14:                               ;   in Loop: Header=BB5_7 Depth=1
	v_add_nc_u32_e32 v8, s12, v4
	global_load_u8 v8, v8, s[4:5]
	s_wait_loadcnt 0x0
	v_bitop3_b32 v9, s1, s3, v8 bitop3:0x48
	s_delay_alu instid0(VALU_DEP_1)
	v_cmp_eq_u32_e64 s0, 0, v9
	s_and_b32 exec_lo, exec_lo, s0
; %bb.15:                               ;   in Loop: Header=BB5_7 Depth=1
	v_lshrrev_b32_e32 v8, s2, v8
	s_delay_alu instid0(VALU_DEP_1)
	v_lshlrev_b32_e32 v8, 2, v8
	ds_add_u32 v8, v7
.LBB5_16:                               ;   in Loop: Header=BB5_7 Depth=1
	s_or_b32 exec_lo, exec_lo, s15
	s_delay_alu instid0(SALU_CYCLE_1)
	s_mov_b32 s15, exec_lo
	v_cmpx_gt_u32_e64 s8, v2
	s_cbranch_execz .LBB5_6
; %bb.17:                               ;   in Loop: Header=BB5_7 Depth=1
	v_add_nc_u32_e32 v8, s12, v3
	global_load_u8 v8, v8, s[4:5]
	s_wait_loadcnt 0x0
	v_bitop3_b32 v9, s1, s3, v8 bitop3:0x48
	s_delay_alu instid0(VALU_DEP_1)
	v_cmp_eq_u32_e64 s0, 0, v9
	s_and_b32 exec_lo, exec_lo, s0
	s_cbranch_execz .LBB5_6
; %bb.18:                               ;   in Loop: Header=BB5_7 Depth=1
	v_lshrrev_b32_e32 v8, s2, v8
	s_delay_alu instid0(VALU_DEP_1)
	v_lshlrev_b32_e32 v8, 2, v8
	ds_add_u32 v8, v7
	s_branch .LBB5_6
.LBB5_19:
	s_and_b32 s10, s11, 3
	s_delay_alu instid0(SALU_CYCLE_1)
	s_cmp_eq_u32 s10, 0
	s_cbranch_scc1 .LBB5_25
; %bb.20:
	s_lshl_b32 s0, s13, 8
	v_mov_b32_e32 v4, 1
	v_add3_u32 v2, s0, s17, v0
	s_delay_alu instid0(VALU_DEP_1)
	v_mul_lo_u32 v3, s9, v2
	s_lshl_b32 s9, s9, 8
	s_branch .LBB5_22
.LBB5_21:                               ;   in Loop: Header=BB5_22 Depth=1
	s_or_b32 exec_lo, exec_lo, s11
	s_delay_alu instid0(VALU_DEP_2) | instskip(SKIP_2) | instid1(SALU_CYCLE_1)
	v_add_nc_u32_e32 v3, s9, v3
	v_add_nc_u32_e32 v2, 0x100, v2
	s_add_co_i32 s10, s10, -1
	s_cmp_lg_u32 s10, 0
	s_cbranch_scc0 .LBB5_25
.LBB5_22:                               ; =>This Inner Loop Header: Depth=1
	s_mov_b32 s11, exec_lo
	v_cmpx_gt_u32_e64 s8, v2
	s_cbranch_execz .LBB5_21
; %bb.23:                               ;   in Loop: Header=BB5_22 Depth=1
	global_load_u8 v5, v3, s[4:5]
	s_wait_loadcnt 0x0
	v_bitop3_b32 v6, s1, s3, v5 bitop3:0x48
	s_delay_alu instid0(VALU_DEP_1)
	v_cmp_eq_u32_e64 s0, 0, v6
	s_and_b32 exec_lo, exec_lo, s0
	s_cbranch_execz .LBB5_21
; %bb.24:                               ;   in Loop: Header=BB5_22 Depth=1
	v_lshrrev_b32_e32 v5, s2, v5
	s_delay_alu instid0(VALU_DEP_1)
	v_lshlrev_b32_e32 v5, 2, v5
	ds_add_u32 v5, v4
	s_branch .LBB5_21
.LBB5_25:
	s_wait_dscnt 0x0
	s_barrier_signal -1
	s_barrier_wait -1
	s_and_saveexec_b32 s0, vcc_lo
	s_cbranch_execz .LBB5_27
; %bb.26:
	ds_load_b32 v1, v1
	v_lshl_or_b32 v0, s16, 8, v0
	s_wait_dscnt 0x0
	global_store_b16 v0, v1, s[6:7] scale_offset
.LBB5_27:
	s_endpgm
	.section	.rodata,"a",@progbits
	.p2align	6, 0x0
	.amdhsa_kernel _ZN2at6native6mbtopk23computeBlockDigitCountsIhjjLi2EEEvNS_4cuda6detail10TensorInfoIKT_T0_EEjPjjS8_iijT1_PSB_Ps
		.amdhsa_group_segment_fixed_size 1024
		.amdhsa_private_segment_fixed_size 0
		.amdhsa_kernarg_size 528
		.amdhsa_user_sgpr_count 2
		.amdhsa_user_sgpr_dispatch_ptr 0
		.amdhsa_user_sgpr_queue_ptr 0
		.amdhsa_user_sgpr_kernarg_segment_ptr 1
		.amdhsa_user_sgpr_dispatch_id 0
		.amdhsa_user_sgpr_kernarg_preload_length 0
		.amdhsa_user_sgpr_kernarg_preload_offset 0
		.amdhsa_user_sgpr_private_segment_size 0
		.amdhsa_wavefront_size32 1
		.amdhsa_uses_dynamic_stack 0
		.amdhsa_enable_private_segment 0
		.amdhsa_system_sgpr_workgroup_id_x 1
		.amdhsa_system_sgpr_workgroup_id_y 1
		.amdhsa_system_sgpr_workgroup_id_z 1
		.amdhsa_system_sgpr_workgroup_info 0
		.amdhsa_system_vgpr_workitem_id 0
		.amdhsa_next_free_vgpr 10
		.amdhsa_next_free_sgpr 26
		.amdhsa_named_barrier_count 0
		.amdhsa_reserve_vcc 1
		.amdhsa_float_round_mode_32 0
		.amdhsa_float_round_mode_16_64 0
		.amdhsa_float_denorm_mode_32 3
		.amdhsa_float_denorm_mode_16_64 3
		.amdhsa_fp16_overflow 0
		.amdhsa_memory_ordered 1
		.amdhsa_forward_progress 1
		.amdhsa_inst_pref_size 11
		.amdhsa_round_robin_scheduling 0
		.amdhsa_exception_fp_ieee_invalid_op 0
		.amdhsa_exception_fp_denorm_src 0
		.amdhsa_exception_fp_ieee_div_zero 0
		.amdhsa_exception_fp_ieee_overflow 0
		.amdhsa_exception_fp_ieee_underflow 0
		.amdhsa_exception_fp_ieee_inexact 0
		.amdhsa_exception_int_div_zero 0
	.end_amdhsa_kernel
	.section	.text._ZN2at6native6mbtopk23computeBlockDigitCountsIhjjLi2EEEvNS_4cuda6detail10TensorInfoIKT_T0_EEjPjjS8_iijT1_PSB_Ps,"axG",@progbits,_ZN2at6native6mbtopk23computeBlockDigitCountsIhjjLi2EEEvNS_4cuda6detail10TensorInfoIKT_T0_EEjPjjS8_iijT1_PSB_Ps,comdat
.Lfunc_end5:
	.size	_ZN2at6native6mbtopk23computeBlockDigitCountsIhjjLi2EEEvNS_4cuda6detail10TensorInfoIKT_T0_EEjPjjS8_iijT1_PSB_Ps, .Lfunc_end5-_ZN2at6native6mbtopk23computeBlockDigitCountsIhjjLi2EEEvNS_4cuda6detail10TensorInfoIKT_T0_EEjPjjS8_iijT1_PSB_Ps
                                        ; -- End function
	.set _ZN2at6native6mbtopk23computeBlockDigitCountsIhjjLi2EEEvNS_4cuda6detail10TensorInfoIKT_T0_EEjPjjS8_iijT1_PSB_Ps.num_vgpr, 10
	.set _ZN2at6native6mbtopk23computeBlockDigitCountsIhjjLi2EEEvNS_4cuda6detail10TensorInfoIKT_T0_EEjPjjS8_iijT1_PSB_Ps.num_agpr, 0
	.set _ZN2at6native6mbtopk23computeBlockDigitCountsIhjjLi2EEEvNS_4cuda6detail10TensorInfoIKT_T0_EEjPjjS8_iijT1_PSB_Ps.numbered_sgpr, 26
	.set _ZN2at6native6mbtopk23computeBlockDigitCountsIhjjLi2EEEvNS_4cuda6detail10TensorInfoIKT_T0_EEjPjjS8_iijT1_PSB_Ps.num_named_barrier, 0
	.set _ZN2at6native6mbtopk23computeBlockDigitCountsIhjjLi2EEEvNS_4cuda6detail10TensorInfoIKT_T0_EEjPjjS8_iijT1_PSB_Ps.private_seg_size, 0
	.set _ZN2at6native6mbtopk23computeBlockDigitCountsIhjjLi2EEEvNS_4cuda6detail10TensorInfoIKT_T0_EEjPjjS8_iijT1_PSB_Ps.uses_vcc, 1
	.set _ZN2at6native6mbtopk23computeBlockDigitCountsIhjjLi2EEEvNS_4cuda6detail10TensorInfoIKT_T0_EEjPjjS8_iijT1_PSB_Ps.uses_flat_scratch, 0
	.set _ZN2at6native6mbtopk23computeBlockDigitCountsIhjjLi2EEEvNS_4cuda6detail10TensorInfoIKT_T0_EEjPjjS8_iijT1_PSB_Ps.has_dyn_sized_stack, 0
	.set _ZN2at6native6mbtopk23computeBlockDigitCountsIhjjLi2EEEvNS_4cuda6detail10TensorInfoIKT_T0_EEjPjjS8_iijT1_PSB_Ps.has_recursion, 0
	.set _ZN2at6native6mbtopk23computeBlockDigitCountsIhjjLi2EEEvNS_4cuda6detail10TensorInfoIKT_T0_EEjPjjS8_iijT1_PSB_Ps.has_indirect_call, 0
	.section	.AMDGPU.csdata,"",@progbits
; Kernel info:
; codeLenInByte = 1348
; TotalNumSgprs: 28
; NumVgprs: 10
; ScratchSize: 0
; MemoryBound: 0
; FloatMode: 240
; IeeeMode: 1
; LDSByteSize: 1024 bytes/workgroup (compile time only)
; SGPRBlocks: 0
; VGPRBlocks: 0
; NumSGPRsForWavesPerEU: 28
; NumVGPRsForWavesPerEU: 10
; NamedBarCnt: 0
; Occupancy: 16
; WaveLimiterHint : 1
; COMPUTE_PGM_RSRC2:SCRATCH_EN: 0
; COMPUTE_PGM_RSRC2:USER_SGPR: 2
; COMPUTE_PGM_RSRC2:TRAP_HANDLER: 0
; COMPUTE_PGM_RSRC2:TGID_X_EN: 1
; COMPUTE_PGM_RSRC2:TGID_Y_EN: 1
; COMPUTE_PGM_RSRC2:TGID_Z_EN: 1
; COMPUTE_PGM_RSRC2:TIDIG_COMP_CNT: 0
	.section	.text._ZN2at6native6mbtopk10gatherTopKIhjLi2EEEvNS_4cuda6detail10TensorInfoIKT_T0_EES8_S8_bjS8_NS5_IS6_S8_EES8_NS5_IlS8_EES8_jjPS6_PjSD_j,"axG",@progbits,_ZN2at6native6mbtopk10gatherTopKIhjLi2EEEvNS_4cuda6detail10TensorInfoIKT_T0_EES8_S8_bjS8_NS5_IS6_S8_EES8_NS5_IlS8_EES8_jjPS6_PjSD_j,comdat
	.protected	_ZN2at6native6mbtopk10gatherTopKIhjLi2EEEvNS_4cuda6detail10TensorInfoIKT_T0_EES8_S8_bjS8_NS5_IS6_S8_EES8_NS5_IlS8_EES8_jjPS6_PjSD_j ; -- Begin function _ZN2at6native6mbtopk10gatherTopKIhjLi2EEEvNS_4cuda6detail10TensorInfoIKT_T0_EES8_S8_bjS8_NS5_IS6_S8_EES8_NS5_IlS8_EES8_jjPS6_PjSD_j
	.globl	_ZN2at6native6mbtopk10gatherTopKIhjLi2EEEvNS_4cuda6detail10TensorInfoIKT_T0_EES8_S8_bjS8_NS5_IS6_S8_EES8_NS5_IlS8_EES8_jjPS6_PjSD_j
	.p2align	8
	.type	_ZN2at6native6mbtopk10gatherTopKIhjLi2EEEvNS_4cuda6detail10TensorInfoIKT_T0_EES8_S8_bjS8_NS5_IS6_S8_EES8_NS5_IlS8_EES8_jjPS6_PjSD_j,@function
_ZN2at6native6mbtopk10gatherTopKIhjLi2EEEvNS_4cuda6detail10TensorInfoIKT_T0_EES8_S8_bjS8_NS5_IS6_S8_EES8_NS5_IlS8_EES8_jjPS6_PjSD_j: ; @_ZN2at6native6mbtopk10gatherTopKIhjLi2EEEvNS_4cuda6detail10TensorInfoIKT_T0_EES8_S8_bjS8_NS5_IS6_S8_EES8_NS5_IlS8_EES8_jjPS6_PjSD_j
; %bb.0:
	s_bfe_u32 s2, ttmp6, 0x40010
	s_and_b32 s4, ttmp7, 0xffff
	s_add_co_i32 s5, s2, 1
	s_clause 0x1
	s_load_b32 s6, s[0:1], 0x2d0
	s_load_b64 s[2:3], s[0:1], 0x2d8
	s_bfe_u32 s8, ttmp6, 0x4000c
	s_mul_i32 s5, s4, s5
	s_bfe_u32 s7, ttmp6, 0x40004
	s_add_co_i32 s8, s8, 1
	s_bfe_u32 s9, ttmp6, 0x40014
	s_add_co_i32 s7, s7, s5
	s_and_b32 s5, ttmp6, 15
	s_mul_i32 s8, ttmp9, s8
	s_lshr_b32 s10, ttmp7, 16
	s_add_co_i32 s9, s9, 1
	s_add_co_i32 s5, s5, s8
	s_mul_i32 s8, s10, s9
	s_bfe_u32 s9, ttmp6, 0x40008
	s_getreg_b32 s11, hwreg(HW_REG_IB_STS2, 6, 4)
	s_add_co_i32 s9, s9, s8
	s_cmp_eq_u32 s11, 0
	s_mov_b32 s17, 0
	s_cselect_b32 s8, s10, s9
	s_cselect_b32 s4, s4, s7
	s_wait_kmcnt 0x0
	s_mul_i32 s3, s3, s8
	s_cselect_b32 s5, ttmp9, s5
	s_add_co_i32 s3, s3, s4
	s_delay_alu instid0(SALU_CYCLE_1) | instskip(NEXT) | instid1(SALU_CYCLE_1)
	s_mul_i32 s2, s3, s2
	s_add_co_i32 s2, s2, s5
	s_delay_alu instid0(SALU_CYCLE_1)
	s_cmp_ge_u32 s2, s6
	s_cbranch_scc1 .LBB6_40
; %bb.1:
	s_clause 0x3
	s_load_b96 s[12:14], s[0:1], 0x2a8
	s_load_b64 s[18:19], s[0:1], 0x23c
	s_load_b64 s[22:23], s[0:1], 0x6c
	;; [unrolled: 1-line block ×3, first 2 shown]
	s_mov_b32 s25, s17
	s_mov_b32 s27, s17
	s_wait_kmcnt 0x0
	s_cvt_f32_u32 s3, s14
	s_sub_co_i32 s4, 0, s14
	s_delay_alu instid0(SALU_CYCLE_2) | instskip(SKIP_1) | instid1(TRANS32_DEP_1)
	v_rcp_iflag_f32_e32 v1, s3
	v_nop
	v_readfirstlane_b32 s3, v1
	s_mul_f32 s3, s3, 0x4f7ffffe
	s_delay_alu instid0(SALU_CYCLE_3) | instskip(NEXT) | instid1(SALU_CYCLE_3)
	s_cvt_u32_f32 s3, s3
	s_mul_i32 s4, s4, s3
	s_delay_alu instid0(SALU_CYCLE_1) | instskip(NEXT) | instid1(SALU_CYCLE_1)
	s_mul_hi_u32 s4, s3, s4
	s_add_co_i32 s3, s3, s4
	s_load_b128 s[4:7], s[0:1], 0x2b8
	s_mul_hi_u32 s3, s2, s3
	s_delay_alu instid0(SALU_CYCLE_1) | instskip(SKIP_2) | instid1(SALU_CYCLE_1)
	s_mul_i32 s8, s3, s14
	s_add_co_i32 s9, s3, 1
	s_sub_co_i32 s8, s2, s8
	s_sub_co_i32 s10, s8, s14
	s_cmp_ge_u32 s8, s14
	s_cselect_b32 s3, s9, s3
	s_cselect_b32 s8, s10, s8
	s_add_co_i32 s9, s3, 1
	s_cmp_ge_u32 s8, s14
	s_cselect_b32 s16, s9, s3
	s_delay_alu instid0(SALU_CYCLE_1) | instskip(SKIP_1) | instid1(SALU_CYCLE_1)
	v_mov_b32_e32 v1, s16
	s_mul_i32 s28, s16, s14
	s_sub_co_i32 s41, s2, s28
	s_wait_kmcnt 0x0
	global_load_u8 v1, v1, s[4:5]
	s_clause 0x2
	s_load_b32 s40, s[0:1], 0xc
	s_load_b32 s33, s[0:1], 0xfc
	;; [unrolled: 1-line block ×3, first 2 shown]
	s_wait_kmcnt 0x0
	s_cvt_f32_u32 s3, s40
	s_cvt_f32_u32 s4, s33
	;; [unrolled: 1-line block ×3, first 2 shown]
	s_delay_alu instid0(SALU_CYCLE_1) | instskip(NEXT) | instid1(SALU_CYCLE_2)
	v_rcp_iflag_f32_e32 v2, s3
	v_rcp_iflag_f32_e32 v3, s5
	s_delay_alu instid0(TRANS32_DEP_2) | instskip(SKIP_1) | instid1(TRANS32_DEP_2)
	v_readfirstlane_b32 s3, v2
	v_rcp_iflag_f32_e32 v2, s4
	v_readfirstlane_b32 s8, v3
	s_sub_co_i32 s4, 0, s40
	s_mul_f32 s3, s3, 0x4f7ffffe
	s_mul_f32 s2, s8, 0x4f7ffffe
	s_delay_alu instid0(TRANS32_DEP_1) | instskip(NEXT) | instid1(SALU_CYCLE_1)
	v_readfirstlane_b32 s5, v2
	s_cvt_u32_f32 s3, s3
	s_sub_co_i32 s8, 0, s33
	s_cvt_u32_f32 s9, s2
	s_sub_co_i32 s2, 0, s15
	s_mul_i32 s4, s4, s3
	s_mul_f32 s5, s5, 0x4f7ffffe
	s_mul_hi_u32 s4, s3, s4
	s_mul_i32 s2, s2, s9
	s_add_co_i32 s4, s3, s4
	s_cvt_u32_f32 s3, s5
	s_mov_b32 s5, s17
	s_delay_alu instid0(SALU_CYCLE_2) | instskip(NEXT) | instid1(SALU_CYCLE_1)
	s_mul_i32 s8, s8, s3
	s_mul_hi_u32 s8, s3, s8
	s_delay_alu instid0(SALU_CYCLE_1)
	s_add_co_i32 s24, s3, s8
	s_mul_hi_u32 s8, s9, s2
	v_cmp_ne_u32_e64 s2, 0, v0
	v_cmp_eq_u32_e64 s3, 0, v0
	s_add_co_i32 s26, s9, s8
	s_and_saveexec_b32 s42, s3
	s_cbranch_execz .LBB6_17
; %bb.2:
	s_load_b64 s[34:35], s[0:1], 0x2c8
	s_mov_b32 s29, 0
	s_delay_alu instid0(SALU_CYCLE_1)
	s_lshl_b64 s[36:37], s[28:29], 2
	s_cmp_lt_u32 s14, 4
	s_cbranch_scc1 .LBB6_14
; %bb.3:
	s_mov_b64 s[30:31], 0
	s_mov_b32 s28, 0
.LBB6_4:                                ; =>This Inner Loop Header: Depth=1
	s_add_nc_u64 s[38:39], s[6:7], s[36:37]
	s_cmp_ge_u32 s28, s41
	s_load_b128 s[8:11], s[38:39], 0x0
	s_wait_kmcnt 0x0
	s_add_nc_u64 s[38:39], s[34:35], s[36:37]
	s_cbranch_scc0 .LBB6_11
; %bb.5:                                ;   in Loop: Header=BB6_4 Depth=1
	s_add_co_i32 s43, s28, 1
	s_delay_alu instid0(SALU_CYCLE_1)
	s_cmp_ge_u32 s43, s41
	s_cbranch_scc0 .LBB6_12
.LBB6_6:                                ;   in Loop: Header=BB6_4 Depth=1
	s_add_co_i32 s43, s43, 1
	s_delay_alu instid0(SALU_CYCLE_1)
	s_cmp_ge_u32 s43, s41
	s_cbranch_scc0 .LBB6_13
.LBB6_7:                                ;   in Loop: Header=BB6_4 Depth=1
	s_add_co_i32 s43, s43, 1
	s_delay_alu instid0(SALU_CYCLE_1)
	s_cmp_ge_u32 s43, s41
	s_cbranch_scc1 .LBB6_9
.LBB6_8:                                ;   in Loop: Header=BB6_4 Depth=1
	s_load_b32 s38, s[38:39], 0xc
	s_add_co_i32 s31, s11, s31
	s_wait_kmcnt 0x0
	s_add_co_i32 s30, s38, s30
.LBB6_9:                                ;   in Loop: Header=BB6_4 Depth=1
	s_add_co_i32 s8, s8, s29
	s_add_nc_u64 s[6:7], s[6:7], 16
	s_add_co_i32 s8, s8, s9
	s_add_co_i32 s9, s43, 4
	;; [unrolled: 1-line block ×3, first 2 shown]
	s_add_nc_u64 s[34:35], s[34:35], 16
	s_add_co_i32 s29, s8, s11
	s_add_co_i32 s8, s43, 1
	s_cmp_ge_u32 s9, s14
	s_cbranch_scc1 .LBB6_15
; %bb.10:                               ;   in Loop: Header=BB6_4 Depth=1
	s_mov_b32 s28, s8
	s_branch .LBB6_4
.LBB6_11:                               ;   in Loop: Header=BB6_4 Depth=1
	s_load_b32 s43, s[38:39], 0x0
	s_add_co_i32 s31, s8, s31
	s_wait_kmcnt 0x0
	s_add_co_i32 s30, s43, s30
	s_add_co_i32 s43, s28, 1
	s_delay_alu instid0(SALU_CYCLE_1)
	s_cmp_ge_u32 s43, s41
	s_cbranch_scc1 .LBB6_6
.LBB6_12:                               ;   in Loop: Header=BB6_4 Depth=1
	s_load_b32 s44, s[38:39], 0x4
	s_add_co_i32 s31, s9, s31
	s_wait_kmcnt 0x0
	s_add_co_i32 s30, s44, s30
	s_add_co_i32 s43, s43, 1
	s_delay_alu instid0(SALU_CYCLE_1)
	s_cmp_ge_u32 s43, s41
	s_cbranch_scc1 .LBB6_7
.LBB6_13:                               ;   in Loop: Header=BB6_4 Depth=1
	s_load_b32 s44, s[38:39], 0x8
	s_add_co_i32 s31, s10, s31
	s_wait_kmcnt 0x0
	s_add_co_i32 s30, s44, s30
	s_add_co_i32 s43, s43, 1
	s_delay_alu instid0(SALU_CYCLE_1)
	s_cmp_ge_u32 s43, s41
	s_cbranch_scc0 .LBB6_8
	s_branch .LBB6_9
.LBB6_14:
	s_mov_b64 s[30:31], 0
	s_add_nc_u64 s[6:7], s[6:7], s[36:37]
	s_wait_kmcnt 0x0
	s_add_nc_u64 s[8:9], s[34:35], s[36:37]
	s_mov_b32 s10, 0
	s_delay_alu instid0(SALU_CYCLE_1)
	s_cmp_ge_u32 s10, s14
	s_cbranch_scc0 .LBB6_38
	s_branch .LBB6_16
.LBB6_15:
	s_add_co_i32 s10, s28, 4
	s_add_nc_u64 s[8:9], s[34:35], s[36:37]
	s_add_nc_u64 s[6:7], s[6:7], s[36:37]
	s_cmp_ge_u32 s10, s14
	s_cbranch_scc0 .LBB6_38
.LBB6_16:
	v_dual_mov_b32 v2, s30 :: v_dual_mov_b32 v3, s29
	v_dual_mov_b32 v4, s31 :: v_dual_mov_b32 v5, 0
	ds_store_b96 v5, v[2:4] offset:1056
.LBB6_17:
	s_or_b32 exec_lo, exec_lo, s42
	s_mul_u64 s[6:7], s[16:17], s[26:27]
	s_mul_u64 s[34:35], s[16:17], s[4:5]
	s_clause 0x3
	s_load_b96 s[4:6], s[0:1], 0xd8
	s_load_b64 s[28:29], s[0:1], 0x1d0
	s_load_b64 s[10:11], s[0:1], 0xf0
	;; [unrolled: 1-line block ×3, first 2 shown]
	s_mul_u64 s[30:31], s[16:17], s[24:25]
	s_mul_i32 s17, s13, s41
	s_mov_b32 s25, 0
	s_lshl_b32 s17, s17, 8
	s_add_co_i32 s41, s41, 1
	s_wait_loadcnt_dscnt 0x0
	s_barrier_signal -1
	s_barrier_wait -1
	s_wait_kmcnt 0x0
	s_sub_co_i32 s24, s4, s17
	s_delay_alu instid0(SALU_CYCLE_1) | instskip(NEXT) | instid1(SALU_CYCLE_1)
	s_add_nc_u64 s[26:27], s[24:25], 0xff
	s_lshr_b64 s[26:27], s[26:27], 8
	s_cmp_lt_u32 s41, s14
	s_cselect_b32 s13, s13, s26
	s_delay_alu instid0(SALU_CYCLE_1)
	s_cmp_eq_u32 s13, 0
	s_cbranch_scc1 .LBB6_40
; %bb.18:
	s_mul_i32 s14, s35, s40
	s_add_co_i32 s24, s35, 1
	s_sub_co_i32 s14, s16, s14
	s_mul_i32 s26, s31, s33
	s_sub_co_i32 s27, s14, s40
	s_cmp_ge_u32 s14, s40
	s_mul_i32 s30, s7, s15
	s_cselect_b32 s24, s24, s35
	s_cselect_b32 s14, s27, s14
	s_add_co_i32 s34, s24, 1
	s_cmp_ge_u32 s14, s40
	v_dual_mov_b32 v7, 0 :: v_dual_lshrrev_b32 v5, 3, v0
	s_cselect_b32 s14, s34, s24
	s_sub_co_i32 s26, s16, s26
	s_mul_i32 s24, s14, s40
	s_mul_i32 s14, s14, s22
	s_sub_co_i32 s24, s16, s24
	s_add_co_i32 s34, s31, 1
	s_mul_i32 s24, s24, s23
	s_sub_co_i32 s22, s26, s33
	s_add_co_i32 s24, s14, s24
	s_cmp_ge_u32 s26, s33
	ds_load_b96 v[2:4], v7 offset:1056
	s_cselect_b32 s14, s34, s31
	s_cselect_b32 s22, s22, s26
	s_add_co_i32 s26, s14, 1
	s_cmp_ge_u32 s22, s33
	v_dual_add_nc_u32 v8, -1, v0 :: v_dual_bitop2_b32 v5, 28, v5 bitop3:0x40
	s_cselect_b32 s14, s26, s14
	s_sub_co_i32 s22, s16, s30
	s_mul_i32 s26, s14, s33
	s_mul_i32 s14, s14, s20
	s_sub_co_i32 s26, s16, s26
	s_add_co_i32 s30, s7, 1
	s_mul_i32 s26, s26, s21
	s_sub_co_i32 s20, s22, s15
	s_add_co_i32 s26, s14, s26
	s_cmp_ge_u32 s22, s15
	s_load_b32 s21, s[0:1], 0xe8
	s_cselect_b32 s7, s30, s7
	s_cselect_b32 s14, s20, s22
	s_add_co_i32 s20, s7, 1
	s_cmp_ge_u32 s14, s15
	v_dual_add_nc_u32 v6, s17, v0 :: v_dual_lshlrev_b32 v11, 5, v0
	s_cselect_b32 s7, s20, s7
	s_wait_dscnt 0x0
	v_dual_lshrrev_b32 v9, 3, v8 :: v_dual_add_nc_u32 v2, v2, v3
	s_mul_i32 s14, s7, s15
	s_mul_i32 s7, s7, s18
	s_sub_co_i32 s14, s16, s14
	v_lshl_add_u32 v3, v0, 2, v5
	s_mul_i32 s14, s14, s19
	v_and_b32_e32 v9, 0x1ffffffc, v9
	s_add_co_i32 s22, s7, s14
	s_load_b32 s14, s[0:1], 0x1c8
	s_wait_xcnt 0x0
	v_cmp_gt_u32_e64 s0, 32, v0
	v_and_b32_e32 v10, 0xfc, v0
	s_wait_kmcnt 0x0
	v_mul_lo_u32 v5, s21, v6
	v_mbcnt_lo_u32_b32 v0, -1, 0
	s_mov_b32 s23, s25
	v_lshl_add_u32 v8, v8, 2, v9
	s_lshl_b64 s[18:19], s[22:23], 3
	v_and_b32_e32 v1, 0xff, v1
	v_dual_add_nc_u32 v9, v10, v11 :: v_dual_bitop2_b32 v10, 15, v0 bitop3:0x40
	v_bfe_i32 v11, v0, 4, 1
	v_add_nc_u32_e32 v12, -1, v0
	s_mov_b32 s27, s25
	s_bitcmp1_b32 s6, 0
	s_add_nc_u64 s[8:9], s[8:9], s[24:25]
	s_add_nc_u64 s[10:11], s[10:11], s[26:27]
	;; [unrolled: 1-line block ×3, first 2 shown]
	s_cselect_b32 s1, -1, 0
	s_lshl_b32 s15, s21, 8
                                        ; implicit-def: $vgpr13
	s_branch .LBB6_21
.LBB6_19:                               ;   in Loop: Header=BB6_21 Depth=1
	s_wait_xcnt 0x0
	s_or_b32 exec_lo, exec_lo, s16
	v_add_nc_u32_e32 v2, v16, v2
.LBB6_20:                               ;   in Loop: Header=BB6_21 Depth=1
	v_dual_add_nc_u32 v4, v15, v4 :: v_dual_add_nc_u32 v5, s15, v5
	v_add_nc_u32_e32 v6, 0x100, v6
	s_add_co_i32 s13, s13, -1
	s_delay_alu instid0(SALU_CYCLE_1)
	s_cmp_lg_u32 s13, 0
	s_cbranch_scc0 .LBB6_40
.LBB6_21:                               ; =>This Inner Loop Header: Depth=1
	v_dual_mov_b32 v16, 0 :: v_dual_mov_b32 v14, 0
	s_mov_b32 s16, exec_lo
	v_cmpx_gt_u32_e64 s4, v6
	s_cbranch_execz .LBB6_23
; %bb.22:                               ;   in Loop: Header=BB6_21 Depth=1
	global_load_u8 v13, v5, s[8:9]
	s_wait_loadcnt 0x0
	v_cmp_gt_u16_e32 vcc_lo, v13, v1
	v_cndmask_b32_e64 v14, 0, 1, vcc_lo
	v_cmp_lt_u16_e32 vcc_lo, v13, v1
	v_cndmask_b32_e64 v15, 0, 1, vcc_lo
	v_cmp_eq_u16_e32 vcc_lo, v13, v1
	s_delay_alu instid0(VALU_DEP_2) | instskip(NEXT) | instid1(VALU_DEP_1)
	v_cndmask_b32_e64 v14, v15, v14, s1
	v_and_b32_e32 v16, 1, v14
	v_cndmask_b32_e64 v14, 0, 1, vcc_lo
.LBB6_23:                               ;   in Loop: Header=BB6_21 Depth=1
	s_wait_xcnt 0x0
	s_or_b32 exec_lo, exec_lo, s16
	ds_store_b32 v3, v16
	s_wait_dscnt 0x0
	s_barrier_signal -1
	s_barrier_wait -1
	s_and_saveexec_b32 s16, s0
	s_cbranch_execz .LBB6_25
; %bb.24:                               ;   in Loop: Header=BB6_21 Depth=1
	ds_load_2addr_b32 v[18:19], v9 offset1:1
	ds_load_2addr_b32 v[20:21], v9 offset0:2 offset1:3
	ds_load_2addr_b32 v[22:23], v9 offset0:4 offset1:5
	;; [unrolled: 1-line block ×3, first 2 shown]
	v_cmp_ne_u32_e32 vcc_lo, 0, v10
	; wave barrier
	s_wait_dscnt 0x3
	v_add_nc_u32_e32 v15, v19, v18
	s_wait_dscnt 0x2
	s_delay_alu instid0(VALU_DEP_1) | instskip(SKIP_1) | instid1(VALU_DEP_1)
	v_add3_u32 v15, v15, v20, v21
	s_wait_dscnt 0x1
	v_add3_u32 v15, v15, v22, v23
	s_wait_dscnt 0x0
	s_delay_alu instid0(VALU_DEP_1) | instskip(NEXT) | instid1(VALU_DEP_1)
	v_add3_u32 v15, v15, v24, v25
	v_mov_b32_dpp v17, v15 row_shr:1 row_mask:0xf bank_mask:0xf
	s_delay_alu instid0(VALU_DEP_1) | instskip(SKIP_1) | instid1(VALU_DEP_2)
	v_cndmask_b32_e32 v17, 0, v17, vcc_lo
	v_cmp_lt_u32_e32 vcc_lo, 1, v10
	v_add_nc_u32_e32 v15, v17, v15
	s_delay_alu instid0(VALU_DEP_1) | instskip(NEXT) | instid1(VALU_DEP_1)
	v_mov_b32_dpp v17, v15 row_shr:2 row_mask:0xf bank_mask:0xf
	v_cndmask_b32_e32 v17, 0, v17, vcc_lo
	v_cmp_lt_u32_e32 vcc_lo, 3, v10
	s_delay_alu instid0(VALU_DEP_2) | instskip(NEXT) | instid1(VALU_DEP_1)
	v_add_nc_u32_e32 v15, v15, v17
	v_mov_b32_dpp v17, v15 row_shr:4 row_mask:0xf bank_mask:0xf
	s_delay_alu instid0(VALU_DEP_1) | instskip(SKIP_1) | instid1(VALU_DEP_2)
	v_cndmask_b32_e32 v17, 0, v17, vcc_lo
	v_cmp_lt_u32_e32 vcc_lo, 7, v10
	v_add_nc_u32_e32 v15, v15, v17
	s_delay_alu instid0(VALU_DEP_1) | instskip(NEXT) | instid1(VALU_DEP_1)
	v_mov_b32_dpp v17, v15 row_shr:8 row_mask:0xf bank_mask:0xf
	v_cndmask_b32_e32 v17, 0, v17, vcc_lo
	v_cmp_gt_i32_e32 vcc_lo, 0, v12
	s_delay_alu instid0(VALU_DEP_2) | instskip(SKIP_3) | instid1(VALU_DEP_1)
	v_dual_add_nc_u32 v15, v15, v17 :: v_dual_cndmask_b32 v19, v12, v0, vcc_lo
	ds_swizzle_b32 v17, v15 offset:swizzle(BROADCAST,32,15)
	s_wait_dscnt 0x0
	v_dual_lshlrev_b32 v19, 2, v19 :: v_dual_bitop2_b32 v17, v11, v17 bitop3:0x40
	v_add_nc_u32_e32 v15, v15, v17
	ds_bpermute_b32 v15, v19, v15
	s_wait_dscnt 0x0
	v_add_nc_u32_e32 v15, v15, v18
	s_delay_alu instid0(VALU_DEP_1)
	v_cndmask_b32_e64 v15, v15, v16, s3
	ds_store_b32 v9, v15
	; wave barrier
	ds_load_2addr_b32 v[18:19], v9 offset0:1 offset1:2
	ds_load_2addr_b32 v[20:21], v9 offset0:3 offset1:4
	;; [unrolled: 1-line block ×3, first 2 shown]
	ds_load_b32 v17, v9 offset:28
	s_wait_dscnt 0x3
	v_add_nc_u32_e32 v15, v18, v15
	s_delay_alu instid0(VALU_DEP_1) | instskip(SKIP_1) | instid1(VALU_DEP_1)
	v_add_nc_u32_e32 v18, v19, v15
	s_wait_dscnt 0x2
	v_add_nc_u32_e32 v19, v20, v18
	s_delay_alu instid0(VALU_DEP_1) | instskip(SKIP_1) | instid1(VALU_DEP_1)
	v_add_nc_u32_e32 v20, v21, v19
	;; [unrolled: 4-line block ×3, first 2 shown]
	s_wait_dscnt 0x0
	v_add_nc_u32_e32 v17, v17, v22
	ds_store_2addr_b32 v9, v15, v18 offset0:1 offset1:2
	ds_store_2addr_b32 v9, v19, v20 offset0:3 offset1:4
	ds_store_2addr_b32 v9, v21, v22 offset0:5 offset1:6
	ds_store_b32 v9, v17 offset:28
.LBB6_25:                               ;   in Loop: Header=BB6_21 Depth=1
	s_or_b32 exec_lo, exec_lo, s16
	v_mov_b32_e32 v17, 0
	s_wait_dscnt 0x0
	s_barrier_signal -1
	s_barrier_wait -1
	s_and_saveexec_b32 s16, s2
; %bb.26:                               ;   in Loop: Header=BB6_21 Depth=1
	ds_load_b32 v17, v8
; %bb.27:                               ;   in Loop: Header=BB6_21 Depth=1
	s_or_b32 exec_lo, exec_lo, s16
	ds_load_b32 v15, v7 offset:1048
	s_mov_b32 s16, exec_lo
	s_wait_dscnt 0x0
	s_barrier_signal -1
	s_barrier_wait -1
	v_cmpx_ne_u32_e32 0, v16
	s_cbranch_execz .LBB6_29
; %bb.28:                               ;   in Loop: Header=BB6_21 Depth=1
	v_add_nc_u32_e32 v16, v17, v4
	s_delay_alu instid0(VALU_DEP_1)
	v_mul_lo_u32 v17, v16, s14
	v_mul_lo_u32 v16, v16, s12
	global_store_b8 v17, v13, s[10:11]
	global_store_b64 v16, v[6:7], s[6:7] scale_offset
.LBB6_29:                               ;   in Loop: Header=BB6_21 Depth=1
	s_wait_xcnt 0x0
	s_or_b32 exec_lo, exec_lo, s16
	v_cmp_le_u32_e32 vcc_lo, s5, v2
	s_cbranch_vccnz .LBB6_20
; %bb.30:                               ;   in Loop: Header=BB6_21 Depth=1
	ds_store_b32 v3, v14
	s_wait_storecnt_dscnt 0x0
	s_barrier_signal -1
	s_barrier_wait -1
	s_and_saveexec_b32 s16, s0
	s_cbranch_execz .LBB6_32
; %bb.31:                               ;   in Loop: Header=BB6_21 Depth=1
	ds_load_2addr_b32 v[16:17], v9 offset1:1
	ds_load_2addr_b32 v[18:19], v9 offset0:2 offset1:3
	ds_load_2addr_b32 v[20:21], v9 offset0:4 offset1:5
	;; [unrolled: 1-line block ×3, first 2 shown]
	v_cmp_ne_u32_e32 vcc_lo, 0, v10
	; wave barrier
	s_wait_dscnt 0x3
	v_add_nc_u32_e32 v17, v17, v16
	s_wait_dscnt 0x2
	s_delay_alu instid0(VALU_DEP_1) | instskip(SKIP_1) | instid1(VALU_DEP_1)
	v_add3_u32 v17, v17, v18, v19
	s_wait_dscnt 0x1
	v_add3_u32 v17, v17, v20, v21
	s_wait_dscnt 0x0
	s_delay_alu instid0(VALU_DEP_1) | instskip(NEXT) | instid1(VALU_DEP_1)
	v_add3_u32 v17, v17, v22, v23
	v_mov_b32_dpp v18, v17 row_shr:1 row_mask:0xf bank_mask:0xf
	s_delay_alu instid0(VALU_DEP_1) | instskip(SKIP_1) | instid1(VALU_DEP_2)
	v_cndmask_b32_e32 v18, 0, v18, vcc_lo
	v_cmp_lt_u32_e32 vcc_lo, 1, v10
	v_add_nc_u32_e32 v17, v18, v17
	s_delay_alu instid0(VALU_DEP_1) | instskip(NEXT) | instid1(VALU_DEP_1)
	v_mov_b32_dpp v18, v17 row_shr:2 row_mask:0xf bank_mask:0xf
	v_cndmask_b32_e32 v18, 0, v18, vcc_lo
	v_cmp_lt_u32_e32 vcc_lo, 3, v10
	s_delay_alu instid0(VALU_DEP_2) | instskip(NEXT) | instid1(VALU_DEP_1)
	v_add_nc_u32_e32 v17, v17, v18
	v_mov_b32_dpp v18, v17 row_shr:4 row_mask:0xf bank_mask:0xf
	s_delay_alu instid0(VALU_DEP_1) | instskip(SKIP_1) | instid1(VALU_DEP_2)
	v_cndmask_b32_e32 v18, 0, v18, vcc_lo
	v_cmp_lt_u32_e32 vcc_lo, 7, v10
	v_add_nc_u32_e32 v17, v17, v18
	s_delay_alu instid0(VALU_DEP_1) | instskip(NEXT) | instid1(VALU_DEP_1)
	v_mov_b32_dpp v18, v17 row_shr:8 row_mask:0xf bank_mask:0xf
	v_cndmask_b32_e32 v18, 0, v18, vcc_lo
	v_cmp_gt_i32_e32 vcc_lo, 0, v12
	s_delay_alu instid0(VALU_DEP_2) | instskip(SKIP_3) | instid1(VALU_DEP_1)
	v_dual_add_nc_u32 v17, v17, v18 :: v_dual_cndmask_b32 v19, v12, v0, vcc_lo
	ds_swizzle_b32 v18, v17 offset:swizzle(BROADCAST,32,15)
	s_wait_dscnt 0x0
	v_dual_lshlrev_b32 v19, 2, v19 :: v_dual_bitop2_b32 v18, v11, v18 bitop3:0x40
	v_add_nc_u32_e32 v17, v17, v18
	ds_bpermute_b32 v17, v19, v17
	s_wait_dscnt 0x0
	v_add_nc_u32_e32 v16, v17, v16
	s_delay_alu instid0(VALU_DEP_1)
	v_cndmask_b32_e64 v22, v16, v14, s3
	ds_store_b32 v9, v22
	; wave barrier
	ds_load_2addr_b32 v[16:17], v9 offset0:1 offset1:2
	ds_load_2addr_b32 v[18:19], v9 offset0:3 offset1:4
	ds_load_2addr_b32 v[20:21], v9 offset0:5 offset1:6
	ds_load_b32 v23, v9 offset:28
	s_wait_dscnt 0x3
	v_add_nc_u32_e32 v16, v16, v22
	s_delay_alu instid0(VALU_DEP_1) | instskip(SKIP_1) | instid1(VALU_DEP_1)
	v_add_nc_u32_e32 v17, v17, v16
	s_wait_dscnt 0x2
	v_add_nc_u32_e32 v18, v18, v17
	s_delay_alu instid0(VALU_DEP_1) | instskip(SKIP_1) | instid1(VALU_DEP_1)
	v_add_nc_u32_e32 v19, v19, v18
	;; [unrolled: 4-line block ×3, first 2 shown]
	s_wait_dscnt 0x0
	v_add_nc_u32_e32 v22, v23, v21
	ds_store_2addr_b32 v9, v16, v17 offset0:1 offset1:2
	ds_store_2addr_b32 v9, v18, v19 offset0:3 offset1:4
	;; [unrolled: 1-line block ×3, first 2 shown]
	ds_store_b32 v9, v22 offset:28
.LBB6_32:                               ;   in Loop: Header=BB6_21 Depth=1
	s_or_b32 exec_lo, exec_lo, s16
	v_mov_b32_e32 v17, 0
	s_wait_dscnt 0x0
	s_barrier_signal -1
	s_barrier_wait -1
	s_and_saveexec_b32 s16, s2
; %bb.33:                               ;   in Loop: Header=BB6_21 Depth=1
	ds_load_b32 v17, v8
; %bb.34:                               ;   in Loop: Header=BB6_21 Depth=1
	s_or_b32 exec_lo, exec_lo, s16
	ds_load_b32 v16, v7 offset:1048
	s_mov_b32 s16, exec_lo
	s_wait_dscnt 0x0
	s_barrier_signal -1
	s_barrier_wait -1
	v_cmpx_ne_u32_e32 0, v14
	s_cbranch_execz .LBB6_19
; %bb.35:                               ;   in Loop: Header=BB6_21 Depth=1
	v_add_nc_u32_e32 v14, v17, v2
	s_delay_alu instid0(VALU_DEP_1)
	v_cmp_gt_u32_e32 vcc_lo, s5, v14
	s_and_b32 exec_lo, exec_lo, vcc_lo
	s_cbranch_execz .LBB6_19
; %bb.36:                               ;   in Loop: Header=BB6_21 Depth=1
	v_mul_lo_u32 v17, v14, s14
	v_mul_lo_u32 v14, v14, s12
	global_store_b8 v17, v13, s[10:11]
	global_store_b64 v14, v[6:7], s[6:7] scale_offset
	s_branch .LBB6_19
.LBB6_37:                               ;   in Loop: Header=BB6_38 Depth=1
	s_add_co_i32 s10, s10, 1
	s_wait_kmcnt 0x0
	s_add_co_i32 s29, s11, s29
	s_add_nc_u64 s[6:7], s[6:7], 4
	s_cmp_lt_u32 s10, s14
	s_add_nc_u64 s[8:9], s[8:9], 4
	s_cbranch_scc0 .LBB6_16
.LBB6_38:                               ; =>This Inner Loop Header: Depth=1
	s_load_b32 s11, s[6:7], 0x0
	s_cmp_ge_u32 s10, s41
	s_cbranch_scc1 .LBB6_37
; %bb.39:                               ;   in Loop: Header=BB6_38 Depth=1
	s_load_b32 s28, s[8:9], 0x0
	s_wait_kmcnt 0x0
	s_add_co_i32 s31, s11, s31
	s_add_co_i32 s30, s28, s30
	s_branch .LBB6_37
.LBB6_40:
	s_endpgm
	.section	.rodata,"a",@progbits
	.p2align	6, 0x0
	.amdhsa_kernel _ZN2at6native6mbtopk10gatherTopKIhjLi2EEEvNS_4cuda6detail10TensorInfoIKT_T0_EES8_S8_bjS8_NS5_IS6_S8_EES8_NS5_IlS8_EES8_jjPS6_PjSD_j
		.amdhsa_group_segment_fixed_size 1068
		.amdhsa_private_segment_fixed_size 0
		.amdhsa_kernarg_size 984
		.amdhsa_user_sgpr_count 2
		.amdhsa_user_sgpr_dispatch_ptr 0
		.amdhsa_user_sgpr_queue_ptr 0
		.amdhsa_user_sgpr_kernarg_segment_ptr 1
		.amdhsa_user_sgpr_dispatch_id 0
		.amdhsa_user_sgpr_kernarg_preload_length 0
		.amdhsa_user_sgpr_kernarg_preload_offset 0
		.amdhsa_user_sgpr_private_segment_size 0
		.amdhsa_wavefront_size32 1
		.amdhsa_uses_dynamic_stack 0
		.amdhsa_enable_private_segment 0
		.amdhsa_system_sgpr_workgroup_id_x 1
		.amdhsa_system_sgpr_workgroup_id_y 1
		.amdhsa_system_sgpr_workgroup_id_z 1
		.amdhsa_system_sgpr_workgroup_info 0
		.amdhsa_system_vgpr_workitem_id 0
		.amdhsa_next_free_vgpr 26
		.amdhsa_next_free_sgpr 45
		.amdhsa_named_barrier_count 0
		.amdhsa_reserve_vcc 1
		.amdhsa_float_round_mode_32 0
		.amdhsa_float_round_mode_16_64 0
		.amdhsa_float_denorm_mode_32 3
		.amdhsa_float_denorm_mode_16_64 3
		.amdhsa_fp16_overflow 0
		.amdhsa_memory_ordered 1
		.amdhsa_forward_progress 1
		.amdhsa_inst_pref_size 22
		.amdhsa_round_robin_scheduling 0
		.amdhsa_exception_fp_ieee_invalid_op 0
		.amdhsa_exception_fp_denorm_src 0
		.amdhsa_exception_fp_ieee_div_zero 0
		.amdhsa_exception_fp_ieee_overflow 0
		.amdhsa_exception_fp_ieee_underflow 0
		.amdhsa_exception_fp_ieee_inexact 0
		.amdhsa_exception_int_div_zero 0
	.end_amdhsa_kernel
	.section	.text._ZN2at6native6mbtopk10gatherTopKIhjLi2EEEvNS_4cuda6detail10TensorInfoIKT_T0_EES8_S8_bjS8_NS5_IS6_S8_EES8_NS5_IlS8_EES8_jjPS6_PjSD_j,"axG",@progbits,_ZN2at6native6mbtopk10gatherTopKIhjLi2EEEvNS_4cuda6detail10TensorInfoIKT_T0_EES8_S8_bjS8_NS5_IS6_S8_EES8_NS5_IlS8_EES8_jjPS6_PjSD_j,comdat
.Lfunc_end6:
	.size	_ZN2at6native6mbtopk10gatherTopKIhjLi2EEEvNS_4cuda6detail10TensorInfoIKT_T0_EES8_S8_bjS8_NS5_IS6_S8_EES8_NS5_IlS8_EES8_jjPS6_PjSD_j, .Lfunc_end6-_ZN2at6native6mbtopk10gatherTopKIhjLi2EEEvNS_4cuda6detail10TensorInfoIKT_T0_EES8_S8_bjS8_NS5_IS6_S8_EES8_NS5_IlS8_EES8_jjPS6_PjSD_j
                                        ; -- End function
	.set _ZN2at6native6mbtopk10gatherTopKIhjLi2EEEvNS_4cuda6detail10TensorInfoIKT_T0_EES8_S8_bjS8_NS5_IS6_S8_EES8_NS5_IlS8_EES8_jjPS6_PjSD_j.num_vgpr, 26
	.set _ZN2at6native6mbtopk10gatherTopKIhjLi2EEEvNS_4cuda6detail10TensorInfoIKT_T0_EES8_S8_bjS8_NS5_IS6_S8_EES8_NS5_IlS8_EES8_jjPS6_PjSD_j.num_agpr, 0
	.set _ZN2at6native6mbtopk10gatherTopKIhjLi2EEEvNS_4cuda6detail10TensorInfoIKT_T0_EES8_S8_bjS8_NS5_IS6_S8_EES8_NS5_IlS8_EES8_jjPS6_PjSD_j.numbered_sgpr, 45
	.set _ZN2at6native6mbtopk10gatherTopKIhjLi2EEEvNS_4cuda6detail10TensorInfoIKT_T0_EES8_S8_bjS8_NS5_IS6_S8_EES8_NS5_IlS8_EES8_jjPS6_PjSD_j.num_named_barrier, 0
	.set _ZN2at6native6mbtopk10gatherTopKIhjLi2EEEvNS_4cuda6detail10TensorInfoIKT_T0_EES8_S8_bjS8_NS5_IS6_S8_EES8_NS5_IlS8_EES8_jjPS6_PjSD_j.private_seg_size, 0
	.set _ZN2at6native6mbtopk10gatherTopKIhjLi2EEEvNS_4cuda6detail10TensorInfoIKT_T0_EES8_S8_bjS8_NS5_IS6_S8_EES8_NS5_IlS8_EES8_jjPS6_PjSD_j.uses_vcc, 1
	.set _ZN2at6native6mbtopk10gatherTopKIhjLi2EEEvNS_4cuda6detail10TensorInfoIKT_T0_EES8_S8_bjS8_NS5_IS6_S8_EES8_NS5_IlS8_EES8_jjPS6_PjSD_j.uses_flat_scratch, 0
	.set _ZN2at6native6mbtopk10gatherTopKIhjLi2EEEvNS_4cuda6detail10TensorInfoIKT_T0_EES8_S8_bjS8_NS5_IS6_S8_EES8_NS5_IlS8_EES8_jjPS6_PjSD_j.has_dyn_sized_stack, 0
	.set _ZN2at6native6mbtopk10gatherTopKIhjLi2EEEvNS_4cuda6detail10TensorInfoIKT_T0_EES8_S8_bjS8_NS5_IS6_S8_EES8_NS5_IlS8_EES8_jjPS6_PjSD_j.has_recursion, 0
	.set _ZN2at6native6mbtopk10gatherTopKIhjLi2EEEvNS_4cuda6detail10TensorInfoIKT_T0_EES8_S8_bjS8_NS5_IS6_S8_EES8_NS5_IlS8_EES8_jjPS6_PjSD_j.has_indirect_call, 0
	.section	.AMDGPU.csdata,"",@progbits
; Kernel info:
; codeLenInByte = 2764
; TotalNumSgprs: 47
; NumVgprs: 26
; ScratchSize: 0
; MemoryBound: 0
; FloatMode: 240
; IeeeMode: 1
; LDSByteSize: 1068 bytes/workgroup (compile time only)
; SGPRBlocks: 0
; VGPRBlocks: 1
; NumSGPRsForWavesPerEU: 47
; NumVGPRsForWavesPerEU: 26
; NamedBarCnt: 0
; Occupancy: 16
; WaveLimiterHint : 1
; COMPUTE_PGM_RSRC2:SCRATCH_EN: 0
; COMPUTE_PGM_RSRC2:USER_SGPR: 2
; COMPUTE_PGM_RSRC2:TRAP_HANDLER: 0
; COMPUTE_PGM_RSRC2:TGID_X_EN: 1
; COMPUTE_PGM_RSRC2:TGID_Y_EN: 1
; COMPUTE_PGM_RSRC2:TGID_Z_EN: 1
; COMPUTE_PGM_RSRC2:TIDIG_COMP_CNT: 0
	.section	.text._ZN2at6native6sbtopk10gatherTopKIhjLi2ELb0EEEvNS_4cuda6detail10TensorInfoIKT_T0_EES8_S8_bS8_S8_NS5_IS6_S8_EES8_NS5_IlS8_EES8_PS6_,"axG",@progbits,_ZN2at6native6sbtopk10gatherTopKIhjLi2ELb0EEEvNS_4cuda6detail10TensorInfoIKT_T0_EES8_S8_bS8_S8_NS5_IS6_S8_EES8_NS5_IlS8_EES8_PS6_,comdat
	.protected	_ZN2at6native6sbtopk10gatherTopKIhjLi2ELb0EEEvNS_4cuda6detail10TensorInfoIKT_T0_EES8_S8_bS8_S8_NS5_IS6_S8_EES8_NS5_IlS8_EES8_PS6_ ; -- Begin function _ZN2at6native6sbtopk10gatherTopKIhjLi2ELb0EEEvNS_4cuda6detail10TensorInfoIKT_T0_EES8_S8_bS8_S8_NS5_IS6_S8_EES8_NS5_IlS8_EES8_PS6_
	.globl	_ZN2at6native6sbtopk10gatherTopKIhjLi2ELb0EEEvNS_4cuda6detail10TensorInfoIKT_T0_EES8_S8_bS8_S8_NS5_IS6_S8_EES8_NS5_IlS8_EES8_PS6_
	.p2align	8
	.type	_ZN2at6native6sbtopk10gatherTopKIhjLi2ELb0EEEvNS_4cuda6detail10TensorInfoIKT_T0_EES8_S8_bS8_S8_NS5_IS6_S8_EES8_NS5_IlS8_EES8_PS6_,@function
_ZN2at6native6sbtopk10gatherTopKIhjLi2ELb0EEEvNS_4cuda6detail10TensorInfoIKT_T0_EES8_S8_bS8_S8_NS5_IS6_S8_EES8_NS5_IlS8_EES8_PS6_: ; @_ZN2at6native6sbtopk10gatherTopKIhjLi2ELb0EEEvNS_4cuda6detail10TensorInfoIKT_T0_EES8_S8_bS8_S8_NS5_IS6_S8_EES8_NS5_IlS8_EES8_PS6_
; %bb.0:
	s_clause 0x1
	s_load_b128 s[36:39], s[0:1], 0xd8
	s_load_b64 s[8:9], s[0:1], 0x2b8
	s_bfe_u32 s2, ttmp6, 0x40010
	s_and_b32 s3, ttmp7, 0xffff
	s_add_co_i32 s2, s2, 1
	s_bfe_u32 s5, ttmp6, 0x4000c
	s_mul_i32 s2, s3, s2
	s_bfe_u32 s4, ttmp6, 0x40004
	s_add_co_i32 s5, s5, 1
	s_bfe_u32 s6, ttmp6, 0x40014
	s_add_co_i32 s4, s4, s2
	s_and_b32 s2, ttmp6, 15
	s_mul_i32 s5, ttmp9, s5
	s_lshr_b32 s7, ttmp7, 16
	s_add_co_i32 s6, s6, 1
	s_add_co_i32 s2, s2, s5
	s_mul_i32 s5, s7, s6
	s_bfe_u32 s6, ttmp6, 0x40008
	s_getreg_b32 s10, hwreg(HW_REG_IB_STS2, 6, 4)
	s_add_co_i32 s6, s6, s5
	s_cmp_eq_u32 s10, 0
	s_mov_b32 s41, 0
	s_cselect_b32 s5, s7, s6
	s_cselect_b32 s3, s3, s4
	s_wait_kmcnt 0x0
	s_mul_i32 s5, s9, s5
	s_cselect_b32 s9, ttmp9, s2
	s_add_co_i32 s2, s5, s3
	s_delay_alu instid0(SALU_CYCLE_1) | instskip(NEXT) | instid1(SALU_CYCLE_1)
	s_mul_i32 s2, s2, s8
	s_add_co_i32 s40, s2, s9
	s_delay_alu instid0(SALU_CYCLE_1)
	s_cmp_ge_u32 s40, s39
	s_cbranch_scc1 .LBB7_412
; %bb.1:
	s_clause 0x5
	s_load_b32 s4, s[0:1], 0xc
	s_load_b32 s64, s[0:1], 0xfc
	;; [unrolled: 1-line block ×3, first 2 shown]
	; meta instruction
	s_load_b32 s62, s[0:1], 0xe8
	s_load_b64 s[6:7], s[0:1], 0x6c
	s_load_b64 s[2:3], s[0:1], 0x0
	s_mov_b32 s15, s41
	s_add_nc_u64 s[52:53], s[0:1], 0x2b8
	s_wait_kmcnt 0x0
	s_cvt_f32_u32 s5, s4
	s_cvt_f32_u32 s10, s64
	;; [unrolled: 1-line block ×3, first 2 shown]
	s_sub_co_i32 s14, 0, s4
	v_rcp_iflag_f32_e32 v1, s5
	v_rcp_iflag_f32_e32 v2, s10
	;; [unrolled: 1-line block ×3, first 2 shown]
	s_load_b64 s[10:11], s[0:1], 0x23c
	s_sub_co_i32 s16, 0, s64
	s_sub_co_i32 s17, 0, s63
	v_cmp_eq_u32_e64 s5, 0, v0
	s_delay_alu instid0(TRANS32_DEP_2) | instskip(NEXT) | instid1(TRANS32_DEP_1)
	v_readfirstlane_b32 s12, v2
	v_readfirstlane_b32 s13, v3
	s_mul_f32 s12, s12, 0x4f7ffffe
	s_mul_f32 s13, s13, 0x4f7ffffe
	s_delay_alu instid0(SALU_CYCLE_2) | instskip(NEXT) | instid1(SALU_CYCLE_2)
	s_cvt_u32_f32 s12, s12
	s_cvt_u32_f32 s13, s13
	s_delay_alu instid0(SALU_CYCLE_2) | instskip(NEXT) | instid1(SALU_CYCLE_2)
	s_mul_i32 s16, s16, s12
	s_mul_i32 s17, s17, s13
	s_wait_kmcnt 0x0
	v_writelane_b32 v68, s10, 0
	s_mul_hi_u32 s16, s12, s16
	s_mul_hi_u32 s17, s13, s17
	v_writelane_b32 v68, s11, 1
	v_readfirstlane_b32 s10, v1
	s_mov_b32 s11, s41
	s_mul_f32 s10, s10, 0x4f7ffffe
	s_delay_alu instid0(SALU_CYCLE_3) | instskip(NEXT) | instid1(SALU_CYCLE_3)
	s_cvt_u32_f32 s10, s10
	s_mul_i32 s14, s14, s10
	s_delay_alu instid0(SALU_CYCLE_1) | instskip(NEXT) | instid1(SALU_CYCLE_1)
	s_mul_hi_u32 s14, s10, s14
	s_add_co_i32 s14, s10, s14
	s_add_co_i32 s10, s12, s16
	;; [unrolled: 1-line block ×3, first 2 shown]
	s_mul_u64 s[14:15], s[40:41], s[14:15]
	s_mov_b32 s13, s41
	s_and_saveexec_b32 s14, s5
; %bb.2:
	v_dual_mov_b32 v2, 0 :: v_dual_mov_b32 v3, s36
	s_delay_alu instid0(VALU_DEP_1)
	v_mov_b32_e32 v4, v2
	ds_store_b96 v2, v[2:4] offset:4096
; %bb.3:
	s_or_b32 exec_lo, exec_lo, s14
	s_mul_i32 s14, s15, s4
	s_add_co_i32 s16, s15, 1
	s_sub_co_i32 s14, s40, s14
	s_wait_dscnt 0x0
	s_sub_co_i32 s17, s14, s4
	s_cmp_ge_u32 s14, s4
	s_barrier_signal -1
	s_cselect_b32 s15, s16, s15
	s_barrier_wait -1
	s_load_b32 s16, s[52:53], 0xc
	s_cselect_b32 s14, s17, s14
	s_add_co_i32 s17, s15, 1
	s_cmp_ge_u32 s14, s4
	v_mbcnt_lo_u32_b32 v1, -1, 0
	s_cselect_b32 s14, s17, s15
	s_mov_b32 s55, 0
	s_mul_i32 s4, s14, s4
	s_mul_i32 s6, s14, s6
	s_sub_co_i32 s4, s40, s4
	v_cmp_gt_u32_e32 vcc_lo, 32, v0
	s_mul_i32 s4, s4, s7
	s_mul_u64 s[50:51], s[40:41], s[10:11]
	s_add_co_i32 s54, s6, s4
	s_bitcmp1_b32 s38, 0
	s_add_nc_u64 s[38:39], s[2:3], s[54:55]
	v_cmp_gt_i32_e64 s2, 4, v1
	s_mul_u64 s[34:35], s[40:41], s[12:13]
	s_cselect_b32 s3, -1, 0
	v_mul_lo_u32 v22, s62, v0
	s_wait_kmcnt 0x0
	s_and_b32 s41, s16, 0xffff
	s_xor_b32 s65, s3, -1
	s_lshl_b32 s66, s41, 2
	s_and_b32 s67, vcc_lo, s2
	s_cmp_gt_u32 s36, 0xc00
	v_dual_mov_b32 v25, 0 :: v_dual_lshlrev_b32 v19, 2, v0
	s_cselect_b32 s68, -1, 0
	v_add_max_u32_e64 v4, v0, 2, s36
	s_cmp_gt_u32 s41, 31
	v_lshlrev_b64_e64 v[2:3], v1, -1
	s_cselect_b32 s69, -1, 0
	s_add_co_i32 s70, s41, -1
	v_mov_b32_e32 v23, v25
	s_add_co_i32 s13, s70, s36
	v_xad_u32 v3, v0, -1, v4
	v_lshrrev_b32_e32 v4, 1, v0
	s_cmp_lt_u32 s9, s8
	s_cvt_f32_u32 s9, s66
	s_cselect_b32 s56, 12, 18
	s_bfe_u32 s71, s16, 0xb0005
	s_movk_i32 s7, 0x1f0
	s_add_co_i32 s8, s71, -2
	v_add_nc_u64_e32 v[20:21], s[38:39], v[22:23]
	v_and_or_b32 v23, v4, s7, 0xc00
	v_rcp_iflag_f32_e32 v4, s9
	s_lshr_b32 s7, s8, 1
	s_load_b64 s[18:19], s[0:1], 0x1d0
	s_add_co_i32 s10, s7, 1
	s_cmp_gt_u32 s41, 63
	v_add_nc_u32_e32 v5, -8, v3
	s_cselect_b32 s72, -1, 0
	s_and_b32 s73, s71, 0x7fe
	s_and_b32 s74, s10, 7
	s_cmp_gt_u32 s8, 13
	v_readfirstlane_b32 s8, v4
	s_cselect_b32 s76, -1, 0
	s_and_b32 s77, s10, -8
	s_cmp_lg_u32 s74, 0
	s_cvt_f32_u32 s10, s41
	s_mul_f32 s8, s8, 0x4f7ffffe
	s_cselect_b32 s79, -1, 0
	s_cmp_lg_u32 s73, s71
	v_rcp_iflag_f32_e32 v4, s10
	s_cvt_u32_f32 s8, s8
	s_cselect_b32 s80, -1, 0
	s_sub_co_i32 s9, 0, s66
	v_not_b32_e32 v18, v2
	s_mul_i32 s9, s9, s8
	v_dual_lshrrev_b32 v2, 3, v5 :: v_dual_bitop2_b32 v28, -8, v3 bitop3:0x40
	s_mul_hi_u32 s9, s8, s9
	v_readfirstlane_b32 s10, v4
	s_add_co_i32 s58, s8, s9
	s_wait_kmcnt 0x0
	v_writelane_b32 v68, s18, 2
	s_mul_hi_u32 s8, s36, s58
	v_add_nc_u32_e32 v2, 1, v2
	s_mul_i32 s8, s8, s66
	s_mul_f32 s10, s10, 0x4f7ffffe
	s_sub_co_i32 s9, s36, s8
	v_writelane_b32 v68, s19, 3
	s_sub_co_i32 s11, s9, s66
	s_cmp_ge_u32 s9, s66
	s_cvt_u32_f32 s10, s10
	s_cselect_b32 s9, s11, s9
	s_load_b64 s[18:19], s[0:1], 0xf0
	s_sub_co_i32 s11, s9, s66
	s_cmp_ge_u32 s9, s66
	v_dual_add_nc_u32 v29, v0, v28 :: v_dual_bitop2_b32 v4, 8, v5 bitop3:0x40
	s_cselect_b32 s14, s11, s9
	s_sub_co_i32 s9, 0, s41
	s_sub_co_i32 s86, s36, s14
	s_mul_i32 s9, s9, s10
	v_add_nc_u32_e32 v30, s86, v0
	s_mul_hi_u32 s9, s10, s9
	v_and_b32_e32 v31, 0x3ffffffe, v2
	s_add_co_i32 s60, s10, s9
	v_add3_u32 v2, s41, s36, v0
	s_mul_hi_u32 s10, s13, s60
	v_cmp_lt_u32_e64 s7, 31, v3
	s_mul_i32 s11, s10, s41
	v_cmp_ne_u32_e64 s10, v3, v28
	s_sub_co_i32 s12, s13, s11
	v_or_b32_e32 v3, 2, v19
	v_mul_lo_u32 v24, v30, s62
	s_sub_co_i32 s15, s12, s41
	v_cmp_eq_u32_e64 s9, 0, v4
	s_cmp_ge_u32 s12, s41
	v_dual_lshlrev_b32 v37, 2, v22 :: v_dual_bitop2_b32 v4, 3, v19 bitop3:0x54
	v_subrev_nc_u32_e32 v2, s14, v2
	s_cselect_b32 s15, s15, s12
	v_mad_u32 v33, s62, v19, s62
	s_sub_co_i32 s16, s15, s41
	s_cmp_ge_u32 s15, s41
	v_mul_lo_u32 v34, s62, v3
	v_mul_lo_u32 v35, s62, v4
	;; [unrolled: 1-line block ×3, first 2 shown]
	s_cselect_b32 s15, s16, s15
	v_add_nc_u64_e32 v[26:27], s[38:39], v[24:25]
	s_sub_co_i32 s87, s13, s15
	s_wait_kmcnt 0x0
	v_writelane_b32 v68, s18, 4
	v_cmp_eq_u32_e64 s2, 0, v1
	v_cmp_gt_u32_e64 s4, s36, v0
	v_cmp_gt_u32_e64 s6, 2, v0
	v_cmp_lt_u32_e64 s8, 7, v5
	v_cmp_gt_u32_e64 s11, s86, v19
	v_cmp_gt_u32_e64 s12, s36, v30
	;; [unrolled: 1-line block ×3, first 2 shown]
	v_lshl_or_b32 v38, v1, 2, 0xc00
	v_dual_mov_b32 v41, s37 :: v_dual_mov_b32 v40, 0
	v_dual_mov_b32 v32, 0 :: v_dual_mov_b32 v39, 0
	s_mul_i32 s50, s62, s41
	s_mov_b32 s57, s55
	s_mov_b32 s75, s62
	;; [unrolled: 1-line block ×10, first 2 shown]
	s_lshl_b32 s88, s50, 2
	s_mov_b32 s95, 6
	s_mov_b32 s89, 0
	;; [unrolled: 1-line block ×3, first 2 shown]
	v_writelane_b32 v68, s19, 5
                                        ; implicit-def: $sgpr90
                                        ; implicit-def: $sgpr94
                                        ; implicit-def: $sgpr93
                                        ; implicit-def: $sgpr96
                                        ; implicit-def: $sgpr92
                                        ; implicit-def: $sgpr100
                                        ; implicit-def: $sgpr101
                                        ; implicit-def: $sgpr97
                                        ; implicit-def: $sgpr99
                                        ; implicit-def: $sgpr98
	s_branch .LBB7_6
.LBB7_4:                                ;   in Loop: Header=BB7_6 Depth=1
	s_or_b32 exec_lo, exec_lo, s17
	v_mov_b32_e32 v41, v5
	s_and_not1_b32 s17, s98, exec_lo
	s_and_b32 s16, s16, exec_lo
	s_and_not1_b32 s99, s99, exec_lo
	s_or_b32 s98, s17, s16
	s_and_not1_b32 s97, s97, exec_lo
	s_and_not1_b32 s101, s101, exec_lo
	;; [unrolled: 1-line block ×3, first 2 shown]
	s_or_not1_b32 s17, s15, exec_lo
.LBB7_5:                                ;   in Loop: Header=BB7_6 Depth=1
	s_or_b32 exec_lo, exec_lo, s14
	s_delay_alu instid0(SALU_CYCLE_1) | instskip(NEXT) | instid1(SALU_CYCLE_1)
	s_and_b32 s14, exec_lo, s17
	s_or_b32 s89, s14, s89
	s_and_not1_b32 s14, s92, exec_lo
	s_and_b32 s15, s98, exec_lo
	s_and_not1_b32 s16, s96, exec_lo
	s_or_b32 s92, s14, s15
	s_and_b32 s14, s99, exec_lo
	s_and_not1_b32 s15, s93, exec_lo
	s_and_b32 s17, s97, exec_lo
	s_or_b32 s96, s16, s14
	s_or_b32 s93, s15, s17
	s_and_not1_b32 s14, s94, exec_lo
	s_and_b32 s15, s101, exec_lo
	s_and_not1_b32 s16, s90, exec_lo
	s_and_b32 s17, s100, exec_lo
	s_or_b32 s94, s14, s15
	s_or_b32 s90, s16, s17
	s_and_not1_b32 exec_lo, exec_lo, s89
	s_cbranch_execz .LBB7_408
.LBB7_6:                                ; =>This Loop Header: Depth=1
                                        ;     Child Loop BB7_11 Depth 2
                                        ;     Child Loop BB7_32 Depth 2
	;; [unrolled: 1-line block ×26, first 2 shown]
	ds_load_b64 v[2:3], v25 offset:4096
	s_wait_dscnt 0x0
	v_readfirstlane_b32 s54, v2
	s_cmp_lg_u32 s54, 0
	s_cbranch_scc1 .LBB7_49
; %bb.7:                                ;   in Loop: Header=BB7_6 Depth=1
	s_and_b32 vcc_lo, exec_lo, s68
	s_cbranch_vccz .LBB7_19
; %bb.8:                                ;   in Loop: Header=BB7_6 Depth=1
	v_cmp_gt_u32_e32 vcc_lo, 0xc01, v3
	s_mov_b32 s16, 0
	s_mov_b32 s14, 0
	s_cbranch_vccz .LBB7_20
; %bb.9:                                ;   in Loop: Header=BB7_6 Depth=1
	global_load_u8 v3, v[20:21], off
	s_add_nc_u64 s[14:15], s[52:53], s[56:57]
	s_mov_b32 s18, 0
	s_load_u16 s17, s[14:15], 0x0
	s_wait_kmcnt 0x0
	v_dual_mov_b32 v4, v0 :: v_dual_add_nc_u32 v2, s17, v0
	s_mul_i32 s19, s62, s17
	s_delay_alu instid0(VALU_DEP_1)
	v_mul_lo_u32 v2, s62, v2
	s_branch .LBB7_11
.LBB7_10:                               ;   in Loop: Header=BB7_11 Depth=2
	s_or_b32 exec_lo, exec_lo, s15
	v_dual_mov_b32 v3, v5 :: v_dual_add_nc_u32 v2, s19, v2
	s_and_not1_b32 exec_lo, exec_lo, s18
	s_cbranch_execz .LBB7_26
.LBB7_11:                               ;   Parent Loop BB7_6 Depth=1
                                        ; =>  This Inner Loop Header: Depth=2
	s_wait_dscnt 0x0
	v_dual_add_nc_u32 v4, s17, v4 :: v_dual_mov_b32 v6, 0
	v_mov_b32_e32 v5, 0
	s_mov_b32 s15, exec_lo
	s_delay_alu instid0(VALU_DEP_2)
	v_cmp_le_u32_e32 vcc_lo, s36, v4
	v_cmpx_gt_u32_e64 s36, v4
	s_cbranch_execz .LBB7_13
; %bb.12:                               ;   in Loop: Header=BB7_11 Depth=2
	global_load_u8 v5, v2, s[38:39]
.LBB7_13:                               ;   in Loop: Header=BB7_11 Depth=2
	s_wait_xcnt 0x0
	s_or_b32 exec_lo, exec_lo, s15
	s_wait_loadcnt 0x0
	v_bitop3_b32 v7, v3, 0xff, v39 bitop3:0x80
	s_delay_alu instid0(VALU_DEP_1) | instskip(SKIP_2) | instid1(SALU_CYCLE_1)
	v_cmp_eq_u32_e64 s14, v7, v32
	s_cmp_lg_u32 s14, 0
	s_cselect_b32 s15, -1, 0
	s_and_b32 s15, s2, s15
	s_delay_alu instid0(SALU_CYCLE_1)
	s_and_saveexec_b32 s20, s15
	s_cbranch_execz .LBB7_17
; %bb.14:                               ;   in Loop: Header=BB7_11 Depth=2
	s_mov_b32 s23, exec_lo
	s_bcnt1_i32_b32 s21, s14
	v_mbcnt_lo_u32_b32 v6, s23, 0
	s_mov_b32 s22, exec_lo
                                        ; implicit-def: $vgpr7
	s_delay_alu instid0(VALU_DEP_1)
	v_cmpx_eq_u32_e32 0, v6
; %bb.15:                               ;   in Loop: Header=BB7_11 Depth=2
	s_bcnt1_i32_b32 s15, s23
	s_delay_alu instid0(SALU_CYCLE_1) | instskip(NEXT) | instid1(SALU_CYCLE_1)
	s_mul_i32 s15, s21, s15
	v_mov_b32_e32 v7, s15
	ds_add_rtn_u32 v7, v25, v7 offset:4104
; %bb.16:                               ;   in Loop: Header=BB7_11 Depth=2
	s_or_b32 exec_lo, exec_lo, s22
	s_wait_dscnt 0x0
	v_readfirstlane_b32 s15, v7
	s_delay_alu instid0(VALU_DEP_1)
	v_mad_u32_u24 v6, s21, v6, s15
.LBB7_17:                               ;   in Loop: Header=BB7_11 Depth=2
	s_or_b32 exec_lo, exec_lo, s20
	ds_bpermute_b32 v6, v25, v6
	s_and_b32 s15, exec_lo, vcc_lo
	s_delay_alu instid0(SALU_CYCLE_1)
	s_or_b32 s18, s15, s18
	s_and_saveexec_b32 s15, s14
	s_cbranch_execz .LBB7_10
; %bb.18:                               ;   in Loop: Header=BB7_11 Depth=2
	v_and_b32_e32 v7, s14, v18
	s_wait_dscnt 0x0
	s_delay_alu instid0(VALU_DEP_1)
	v_bcnt_u32_b32 v6, v7, v6
	ds_store_b8 v6, v3
	s_branch .LBB7_10
.LBB7_19:                               ;   in Loop: Header=BB7_6 Depth=1
	s_mov_b32 s16, -1
	s_mov_b32 s14, 0
.LBB7_20:                               ;   in Loop: Header=BB7_6 Depth=1
	s_and_b32 vcc_lo, exec_lo, s16
	s_cbranch_vccz .LBB7_47
.LBB7_21:                               ;   in Loop: Header=BB7_6 Depth=1
	s_and_saveexec_b32 s15, s4
	s_cbranch_execz .LBB7_44
; %bb.22:                               ;   in Loop: Header=BB7_6 Depth=1
	global_load_u8 v24, v[20:21], off
	s_add_nc_u64 s[16:17], s[52:53], s[56:57]
	v_mov_b32_e32 v3, v0
	s_load_u16 s17, s[16:17], 0x0
	s_wait_xcnt 0x0
	s_mov_b32 s16, exec_lo
	s_wait_kmcnt 0x0
	v_add_nc_u32_e32 v2, s17, v0
	s_delay_alu instid0(VALU_DEP_1)
	v_cmpx_gt_u32_e64 s36, v2
	s_cbranch_execz .LBB7_43
; %bb.23:                               ;   in Loop: Header=BB7_6 Depth=1
	s_mov_b32 s14, 0
	s_mul_i32 s18, s62, s17
                                        ; implicit-def: $vgpr3
                                        ; implicit-def: $vgpr4
                                        ; implicit-def: $vgpr5
	s_and_saveexec_b32 s19, s7
	s_delay_alu instid0(SALU_CYCLE_1)
	s_xor_b32 s19, exec_lo, s19
	s_cbranch_execnz .LBB7_29
; %bb.24:                               ;   in Loop: Header=BB7_6 Depth=1
	s_and_not1_saveexec_b32 s19, s19
	s_cbranch_execnz .LBB7_38
.LBB7_25:                               ;   in Loop: Header=BB7_6 Depth=1
	s_or_b32 exec_lo, exec_lo, s19
	s_and_saveexec_b32 s18, s14
	s_cbranch_execnz .LBB7_39
	s_branch .LBB7_42
.LBB7_26:                               ;   in Loop: Header=BB7_6 Depth=1
	s_or_b32 exec_lo, exec_lo, s18
	s_wait_dscnt 0x0
	s_barrier_signal -1
	s_barrier_wait -1
	s_and_saveexec_b32 s14, s5
	s_cbranch_execz .LBB7_28
; %bb.27:                               ;   in Loop: Header=BB7_6 Depth=1
	ds_load_b32 v2, v25 offset:4104
	s_wait_dscnt 0x0
	ds_store_b32 v25, v2 offset:4096
.LBB7_28:                               ;   in Loop: Header=BB7_6 Depth=1
	s_or_b32 exec_lo, exec_lo, s14
	s_wait_dscnt 0x0
	s_barrier_signal -1
	s_mov_b32 s14, -1
	s_barrier_wait -1
	s_and_b32 vcc_lo, exec_lo, s16
	s_cbranch_vccnz .LBB7_21
	s_branch .LBB7_47
.LBB7_29:                               ;   in Loop: Header=BB7_6 Depth=1
	s_cvt_f32_u32 s14, s17
	v_add_max_u32_e64 v3, v2, s17, s36
	s_delay_alu instid0(SALU_CYCLE_2) | instskip(SKIP_1) | instid1(VALU_DEP_1)
	v_rcp_iflag_f32_e32 v4, s14
	s_lshl_b32 s14, s17, 1
	v_sub_nc_u32_e32 v3, v3, v0
	s_delay_alu instid0(VALU_DEP_1) | instskip(NEXT) | instid1(TRANS32_DEP_1)
	v_cmp_ne_u32_e32 vcc_lo, s14, v3
	v_readfirstlane_b32 s20, v4
	v_cndmask_b32_e64 v4, 0, 1, vcc_lo
	s_mul_f32 s20, s20, 0x4f7ffffe
	s_delay_alu instid0(VALU_DEP_1) | instskip(NEXT) | instid1(SALU_CYCLE_2)
	v_or_b32_e32 v4, s14, v4
	s_cvt_u32_f32 s14, s20
	s_sub_co_i32 s20, 0, s17
	s_delay_alu instid0(SALU_CYCLE_2) | instskip(NEXT) | instid1(VALU_DEP_1)
	s_mul_i32 s20, s20, s14
	v_sub_nc_u32_e32 v3, v3, v4
	s_mul_hi_u32 s20, s14, s20
	s_delay_alu instid0(SALU_CYCLE_1)
	s_add_co_i32 s14, s14, s20
	s_delay_alu instid0(VALU_DEP_1) | instid1(SALU_CYCLE_1)
	v_mul_hi_u32 v4, v3, s14
	s_delay_alu instid0(VALU_DEP_1) | instskip(NEXT) | instid1(VALU_DEP_1)
	v_mul_lo_u32 v5, v4, s17
	v_dual_sub_nc_u32 v3, v3, v5 :: v_dual_add_nc_u32 v5, 1, v4
	s_delay_alu instid0(VALU_DEP_1) | instskip(SKIP_1) | instid1(VALU_DEP_1)
	v_subrev_nc_u32_e32 v6, s17, v3
	v_cmp_le_u32_e64 s14, s17, v3
	v_dual_cndmask_b32 v4, v4, v5, s14 :: v_dual_cndmask_b32 v3, v3, v6, s14
	s_delay_alu instid0(VALU_DEP_1) | instskip(NEXT) | instid1(VALU_DEP_2)
	v_add_nc_u32_e32 v5, 1, v4
	v_cmp_le_u32_e64 s14, s17, v3
	s_delay_alu instid0(VALU_DEP_1) | instskip(SKIP_2) | instid1(VALU_DEP_2)
	v_cndmask_b32_e64 v3, v4, v5, s14
	v_mul_lo_u32 v4, s62, v2
	s_abs_i32 s14, s18
	v_add_co_ci_u32_e64 v3, null, 0, v3, vcc_lo
	s_delay_alu instid0(VALU_DEP_1) | instskip(SKIP_2) | instid1(SALU_CYCLE_1)
	v_mul_hi_u32 v5, s14, v3
	v_mul_lo_u32 v3, s14, v3
	s_not_b32 s14, s18
	s_ashr_i32 s14, s14, 31
	s_cmp_eq_u32 s17, 1
	s_delay_alu instid0(VALU_DEP_4) | instskip(SKIP_1) | instid1(VALU_DEP_3)
	v_xor_b32_e32 v4, s14, v4
	s_cselect_b32 s20, -1, 0
	v_cmp_eq_u32_e32 vcc_lo, 0, v5
	s_delay_alu instid0(VALU_DEP_2) | instskip(SKIP_2) | instid1(SALU_CYCLE_1)
	v_cmp_le_u32_e64 s14, v3, v4
	v_mov_b32_e32 v4, v0
                                        ; implicit-def: $vgpr3
	s_and_b32 s20, vcc_lo, s20
	s_and_b32 s21, s20, s14
	s_mov_b32 s20, -1
	s_and_saveexec_b32 s14, s21
	s_cbranch_execz .LBB7_37
; %bb.30:                               ;   in Loop: Header=BB7_6 Depth=1
	v_dual_add_nc_u32 v9, 7, v2 :: v_dual_add_nc_u32 v8, 6, v2
	v_dual_add_nc_u32 v7, 5, v2 :: v_dual_add_nc_u32 v6, 4, v2
	;; [unrolled: 1-line block ×3, first 2 shown]
	s_wait_loadcnt 0x0
	v_dual_add_nc_u32 v3, 1, v2 :: v_dual_lshlrev_b32 v42, 24, v24
	v_mov_b64_e32 v[16:17], v[8:9]
	v_mov_b64_e32 v[14:15], v[6:7]
	;; [unrolled: 1-line block ×3, first 2 shown]
	s_delay_alu instid0(VALU_DEP_4)
	v_mov_b64_e32 v[10:11], v[2:3]
	v_mov_b32_e32 v44, 0
                                        ; implicit-def: $vgpr24
	s_and_saveexec_b32 s20, s8
	s_cbranch_execz .LBB7_34
; %bb.31:                               ;   in Loop: Header=BB7_6 Depth=1
	v_mov_b64_e32 v[16:17], v[8:9]
	v_mov_b64_e32 v[14:15], v[6:7]
	v_mov_b64_e32 v[12:13], v[4:5]
	v_mov_b64_e32 v[10:11], v[2:3]
	v_mov_b32_e32 v43, v31
	s_mov_b32 s21, 0
	s_mov_b32 s22, 0
.LBB7_32:                               ;   Parent Loop BB7_6 Depth=1
                                        ; =>  This Inner Loop Header: Depth=2
	s_delay_alu instid0(VALU_DEP_2) | instskip(NEXT) | instid1(VALU_DEP_4)
	v_mul_lo_u32 v24, v10, s62
	v_dual_add_nc_u32 v56, 8, v13 :: v_dual_add_nc_u32 v58, 8, v14
	v_dual_add_nc_u32 v60, 8, v15 :: v_dual_add_nc_u32 v62, 8, v16
	v_mul_lo_u32 v44, v14, s82
	v_dual_add_nc_u32 v52, 8, v11 :: v_dual_add_nc_u32 v54, 8, v12
	v_mul_lo_u32 v6, v16, s84
	v_mul_lo_u32 v56, v56, s81
	;; [unrolled: 1-line block ×3, first 2 shown]
	v_dual_mov_b32 v5, v25 :: v_dual_add_nc_u32 v3, 8, v10
	v_mul_lo_u32 v58, v58, s82
	v_mul_lo_u32 v8, v15, s83
	v_dual_mov_b32 v53, v25 :: v_dual_add_nc_u32 v64, 8, v17
	v_mul_lo_u32 v62, v62, s84
	v_mul_lo_u32 v46, v13, s81
	;; [unrolled: 1-line block ×6, first 2 shown]
	v_dual_mov_b32 v47, v25 :: v_dual_mov_b32 v45, v25
	v_mul_lo_u32 v52, v52, s75
	v_dual_mov_b32 v9, v25 :: v_dual_mov_b32 v7, v25
	v_dual_mov_b32 v55, v25 :: v_dual_mov_b32 v57, v25
	v_add_nc_u64_e32 v[66:67], s[38:39], v[24:25]
	v_mul_lo_u32 v24, v3, s62
	v_dual_mov_b32 v59, v25 :: v_dual_mov_b32 v61, v25
	v_mul_lo_u32 v64, v64, s85
	v_dual_mov_b32 v63, v25 :: v_dual_mov_b32 v65, v25
	v_dual_mov_b32 v51, v25 :: v_dual_mov_b32 v49, v25
	v_add_nc_u64_e32 v[44:45], s[38:39], v[44:45]
	v_add_nc_u64_e32 v[6:7], s[38:39], v[6:7]
	;; [unrolled: 1-line block ×13, first 2 shown]
	s_clause 0x7
	global_load_u8 v3, v[44:45], off
	global_load_u8 v6, v[6:7], off
	;; [unrolled: 1-line block ×8, first 2 shown]
	v_add_nc_u64_e32 v[4:5], s[38:39], v[24:25]
	v_add_nc_u64_e32 v[64:65], s[38:39], v[64:65]
	s_clause 0x7
	global_load_u8 v48, v[56:57], off
	global_load_u8 v49, v[58:59], off
	;; [unrolled: 1-line block ×8, first 2 shown]
	v_dual_add_nc_u32 v43, -2, v43 :: v_dual_add_nc_u32 v12, 16, v12
	s_wait_xcnt 0x2
	v_dual_add_nc_u32 v53, s22, v0 :: v_dual_add_nc_u32 v17, 16, v17
	s_add_co_i32 s22, s22, 16
	s_delay_alu instid0(VALU_DEP_2)
	v_cmp_eq_u32_e32 vcc_lo, 0, v43
	v_dual_add_nc_u32 v16, 16, v16 :: v_dual_add_nc_u32 v15, 16, v15
	v_dual_add_nc_u32 v14, 16, v14 :: v_dual_add_nc_u32 v13, 16, v13
	;; [unrolled: 1-line block ×3, first 2 shown]
	v_mov_b32_e32 v44, s22
	s_or_b32 s21, vcc_lo, s21
	s_wait_loadcnt 0xc
	s_wait_xcnt 0x1
	v_perm_b32 v5, v8, v6, 0xc0c0004
	s_wait_loadcnt 0xb
	v_perm_b32 v3, v9, v3, 0xc0c0004
	s_wait_loadcnt 0x6
	v_perm_b32 v9, v48, v49, 0xc0c0004
	v_perm_b32 v6, v46, v45, 0xc0c0004
	;; [unrolled: 1-line block ×3, first 2 shown]
	s_wait_loadcnt 0x4
	v_perm_b32 v42, v51, v50, 0xc0c0004
	v_perm_b32 v45, v49, v51, 0xc0c0004
	s_wait_loadcnt 0x2
	v_perm_b32 v46, v52, v54, 0xc0c0004
	s_wait_loadcnt 0x1
	;; [unrolled: 2-line block ×3, first 2 shown]
	v_perm_b32 v48, v50, v24, 0xc0c0004
	v_lshl_or_b32 v5, v5, 16, v3
	v_lshl_or_b32 v4, v6, 16, v8
	;; [unrolled: 1-line block ×5, first 2 shown]
	ds_store_b128 v53, v[4:7]
	s_wait_xcnt 0x0
	s_and_not1_b32 exec_lo, exec_lo, s21
	s_cbranch_execnz .LBB7_32
; %bb.33:                               ;   in Loop: Header=BB7_6 Depth=1
	s_or_b32 exec_lo, exec_lo, s21
.LBB7_34:                               ;   in Loop: Header=BB7_6 Depth=1
	s_delay_alu instid0(SALU_CYCLE_1)
	s_or_b32 exec_lo, exec_lo, s20
	s_and_saveexec_b32 s20, s9
	s_cbranch_execz .LBB7_36
; %bb.35:                               ;   in Loop: Header=BB7_6 Depth=1
	v_mul_lo_u32 v24, v10, s62
	v_mul_lo_u32 v10, v14, s82
	;; [unrolled: 1-line block ×8, first 2 shown]
	v_dual_mov_b32 v17, v25 :: v_dual_mov_b32 v11, v25
	v_dual_mov_b32 v7, v25 :: v_dual_mov_b32 v9, v25
	;; [unrolled: 1-line block ×3, first 2 shown]
	s_delay_alu instid0(VALU_DEP_3) | instskip(NEXT) | instid1(VALU_DEP_3)
	v_add_nc_u64_e32 v[10:11], s[38:39], v[10:11]
	v_add_nc_u64_e32 v[6:7], s[38:39], v[6:7]
	s_delay_alu instid0(VALU_DEP_4) | instskip(NEXT) | instid1(VALU_DEP_4)
	v_add_nc_u64_e32 v[8:9], s[38:39], v[8:9]
	v_add_nc_u64_e32 v[14:15], s[38:39], v[14:15]
	;; [unrolled: 1-line block ×4, first 2 shown]
	v_mov_b32_e32 v5, v25
	v_add_nc_u64_e32 v[46:47], s[38:39], v[24:25]
	s_clause 0x6
	global_load_u8 v3, v[10:11], off
	global_load_u8 v6, v[6:7], off
	;; [unrolled: 1-line block ×7, first 2 shown]
	v_add_nc_u64_e32 v[4:5], s[38:39], v[4:5]
	global_load_u8 v24, v[4:5], off
	s_wait_loadcnt 0x5
	s_wait_xcnt 0x0
	v_perm_b32 v4, v7, v6, 0xc0c0004
	s_wait_loadcnt 0x4
	v_perm_b32 v3, v8, v3, 0xc0c0004
	s_wait_loadcnt 0x2
	;; [unrolled: 2-line block ×3, first 2 shown]
	v_perm_b32 v7, v42, v11, 0xc0c0007
	v_lshl_or_b32 v5, v4, 16, v3
	v_add_nc_u32_e32 v3, v0, v44
	s_delay_alu instid0(VALU_DEP_3)
	v_lshl_or_b32 v4, v6, 16, v7
	ds_store_b64 v3, v[4:5]
.LBB7_36:                               ;   in Loop: Header=BB7_6 Depth=1
	s_or_b32 exec_lo, exec_lo, s20
	v_dual_add_nc_u32 v2, v2, v28 :: v_dual_mov_b32 v4, v29
	s_or_not1_b32 s20, s10, exec_lo
	s_delay_alu instid0(VALU_DEP_1)
	v_add_nc_u32_e32 v3, -1, v2
.LBB7_37:                               ;   in Loop: Header=BB7_6 Depth=1
	s_or_b32 exec_lo, exec_lo, s14
	v_mov_b32_e32 v5, s18
	s_and_b32 s14, s20, exec_lo
	s_and_not1_saveexec_b32 s19, s19
	s_cbranch_execz .LBB7_25
.LBB7_38:                               ;   in Loop: Header=BB7_6 Depth=1
	v_dual_mov_b32 v5, s18 :: v_dual_mov_b32 v4, v0
	s_or_b32 s14, s14, exec_lo
	s_or_b32 exec_lo, exec_lo, s19
	s_and_saveexec_b32 s18, s14
	s_cbranch_execz .LBB7_42
.LBB7_39:                               ;   in Loop: Header=BB7_6 Depth=1
	v_mul_lo_u32 v3, s62, v2
	s_mov_b32 s19, 0
	s_sub_co_i32 s14, 0, s17
.LBB7_40:                               ;   Parent Loop BB7_6 Depth=1
                                        ; =>  This Inner Loop Header: Depth=2
	global_load_u8 v6, v3, s[38:39]
	s_wait_xcnt 0x0
	v_dual_mov_b32 v7, v2 :: v_dual_add_nc_u32 v3, v3, v5
	s_wait_loadcnt 0x1
	ds_store_b8 v4, v24
	v_dual_add_nc_u32 v2, s17, v7 :: v_dual_mov_b32 v4, v7
	s_delay_alu instid0(VALU_DEP_1)
	v_cmp_le_u32_e32 vcc_lo, s36, v2
	s_or_b32 s19, vcc_lo, s19
	s_wait_loadcnt 0x0
	v_mov_b32_e32 v24, v6
	s_and_not1_b32 exec_lo, exec_lo, s19
	s_cbranch_execnz .LBB7_40
; %bb.41:                               ;   in Loop: Header=BB7_6 Depth=1
	s_or_b32 exec_lo, exec_lo, s19
	v_dual_mov_b32 v24, v6 :: v_dual_add_nc_u32 v3, s14, v2
.LBB7_42:                               ;   in Loop: Header=BB7_6 Depth=1
	s_or_b32 exec_lo, exec_lo, s18
.LBB7_43:                               ;   in Loop: Header=BB7_6 Depth=1
	s_delay_alu instid0(SALU_CYCLE_1)
	s_or_b32 exec_lo, exec_lo, s16
	s_wait_loadcnt 0x0
	ds_store_b8 v3, v24
.LBB7_44:                               ;   in Loop: Header=BB7_6 Depth=1
	s_or_b32 exec_lo, exec_lo, s15
	s_wait_dscnt 0x0
	s_barrier_signal -1
	s_barrier_wait -1
	s_and_saveexec_b32 s14, s5
; %bb.45:                               ;   in Loop: Header=BB7_6 Depth=1
	v_mov_b32_e32 v2, s36
	ds_store_b32 v25, v2 offset:4096
; %bb.46:                               ;   in Loop: Header=BB7_6 Depth=1
	s_or_b32 exec_lo, exec_lo, s14
	s_mov_b32 s14, -1
	s_wait_dscnt 0x0
	s_barrier_signal -1
	s_barrier_wait -1
.LBB7_47:                               ;   in Loop: Header=BB7_6 Depth=1
	s_and_b32 vcc_lo, exec_lo, s14
	s_mov_b32 s54, 0
	s_cbranch_vccz .LBB7_49
; %bb.48:                               ;   in Loop: Header=BB7_6 Depth=1
	ds_load_b32 v2, v25 offset:4096
	s_wait_dscnt 0x0
	v_readfirstlane_b32 s54, v2
.LBB7_49:                               ;   in Loop: Header=BB7_6 Depth=1
	s_delay_alu instid0(VALU_DEP_1)
	s_cmp_lt_i32 s54, 1
	s_mov_b32 s14, -1
                                        ; implicit-def: $vgpr5
	s_cbranch_scc1 .LBB7_62
; %bb.50:                               ;   in Loop: Header=BB7_6 Depth=1
	s_and_b32 vcc_lo, exec_lo, s14
	s_cbranch_vccnz .LBB7_73
.LBB7_51:                               ;   in Loop: Header=BB7_6 Depth=1
	s_lshl_b32 s16, s91, 7
	s_and_saveexec_b32 s14, s2
.LBB7_52:                               ;   in Loop: Header=BB7_6 Depth=1
	v_lshl_add_u32 v6, s16, 2, v23
	ds_store_b128 v6, v[2:5]
.LBB7_53:                               ;   in Loop: Header=BB7_6 Depth=1
	s_or_b32 exec_lo, exec_lo, s14
	s_wait_dscnt 0x0
	s_barrier_signal -1
	s_barrier_wait -1
	s_and_saveexec_b32 s17, s67
	s_cbranch_execz .LBB7_86
; %bb.54:                               ;   in Loop: Header=BB7_6 Depth=1
	v_dual_add_nc_u32 v4, s16, v1 :: v_dual_mov_b32 v2, 0
	s_and_not1_b32 vcc_lo, exec_lo, s69
	s_cbranch_vccnz .LBB7_85
; %bb.55:                               ;   in Loop: Header=BB7_6 Depth=1
	s_and_not1_b32 vcc_lo, exec_lo, s72
	s_cbranch_vccnz .LBB7_82
; %bb.56:                               ;   in Loop: Header=BB7_6 Depth=1
	v_lshl_add_u32 v5, v4, 2, 0xc00
	s_and_not1_b32 vcc_lo, exec_lo, s76
	s_cbranch_vccnz .LBB7_110
; %bb.57:                               ;   in Loop: Header=BB7_6 Depth=1
	v_dual_mov_b32 v2, 0 :: v_dual_mov_b32 v3, 0
	s_mov_b32 s15, 1
	s_mov_b32 s14, 0
	;; [unrolled: 1-line block ×3, first 2 shown]
.LBB7_58:                               ;   Parent Loop BB7_6 Depth=1
                                        ; =>  This Inner Loop Header: Depth=2
	v_lshl_add_u32 v24, s15, 4, v5
	v_lshl_add_u32 v44, s14, 4, v5
	s_add_co_i32 s18, s18, -8
	s_add_co_i32 s15, s15, 16
	s_add_co_i32 s14, s14, 16
	ds_load_2addr_b32 v[6:7], v24 offset1:8
	ds_load_2addr_b32 v[8:9], v44 offset1:8
	ds_load_2addr_b32 v[10:11], v24 offset0:16 offset1:24
	ds_load_2addr_b32 v[12:13], v44 offset0:16 offset1:24
	;; [unrolled: 1-line block ×6, first 2 shown]
	s_cmp_lg_u32 s18, 0
	s_wait_dscnt 0x7
	v_add3_u32 v3, v6, v3, v7
	s_wait_dscnt 0x6
	v_add3_u32 v2, v8, v2, v9
	s_wait_dscnt 0x5
	s_delay_alu instid0(VALU_DEP_2) | instskip(SKIP_1) | instid1(VALU_DEP_2)
	v_add3_u32 v3, v10, v3, v11
	s_wait_dscnt 0x4
	v_add3_u32 v2, v12, v2, v13
	s_wait_dscnt 0x3
	s_delay_alu instid0(VALU_DEP_2) | instskip(SKIP_1) | instid1(VALU_DEP_2)
	v_add3_u32 v3, v14, v3, v15
	s_wait_dscnt 0x2
	v_add3_u32 v2, v16, v2, v17
	s_wait_dscnt 0x1
	s_delay_alu instid0(VALU_DEP_2) | instskip(SKIP_1) | instid1(VALU_DEP_2)
	v_add3_u32 v3, v42, v3, v43
	s_wait_dscnt 0x0
	v_add3_u32 v2, v44, v2, v45
	s_cbranch_scc1 .LBB7_58
; %bb.59:                               ;   in Loop: Header=BB7_6 Depth=1
	s_and_not1_b32 vcc_lo, exec_lo, s79
	s_mov_b32 s18, s74
	s_cbranch_vccnz .LBB7_61
.LBB7_60:                               ;   Parent Loop BB7_6 Depth=1
                                        ; =>  This Inner Loop Header: Depth=2
	v_lshl_add_u32 v6, s15, 4, v5
	v_lshl_add_u32 v7, s14, 4, v5
	s_add_co_i32 s18, s18, -1
	s_add_co_i32 s15, s15, 2
	s_add_co_i32 s14, s14, 2
	ds_load_b32 v6, v6
	ds_load_b32 v7, v7
	s_cmp_lg_u32 s18, 0
	s_wait_dscnt 0x0
	v_dual_add_nc_u32 v3, v6, v3 :: v_dual_add_nc_u32 v2, v7, v2
	s_cbranch_scc1 .LBB7_60
.LBB7_61:                               ;   in Loop: Header=BB7_6 Depth=1
	s_delay_alu instid0(VALU_DEP_1) | instskip(SKIP_2) | instid1(SALU_CYCLE_1)
	v_add_nc_u32_e32 v2, v2, v3
	s_mov_b32 s14, s73
	s_mov_b32 s15, s80
	s_and_b32 vcc_lo, exec_lo, s15
	s_cbranch_vccnz .LBB7_83
	s_branch .LBB7_85
.LBB7_62:                               ;   in Loop: Header=BB7_6 Depth=1
	v_dual_mov_b32 v2, 0 :: v_dual_mov_b32 v3, 0
	v_dual_mov_b32 v4, 0 :: v_dual_mov_b32 v5, 0
	s_and_saveexec_b32 s102, s11
	s_cbranch_execz .LBB7_66
; %bb.63:                               ;   in Loop: Header=BB7_6 Depth=1
	v_mov_b32_e32 v6, v19
	s_mov_b32 s44, 0
	s_mov_b32 s45, 0
	;; [unrolled: 1-line block ×4, first 2 shown]
	s_mov_b32 vcc_hi, 0
	s_mov_b32 s46, 0
.LBB7_64:                               ;   Parent Loop BB7_6 Depth=1
                                        ; =>  This Inner Loop Header: Depth=2
	v_dual_add_nc_u32 v2, s45, v37 :: v_dual_add_nc_u32 v4, s45, v34
	v_dual_add_nc_u32 v3, s45, v33 :: v_dual_add_nc_u32 v5, s45, v35
	s_add_co_i32 s45, s45, s88
	s_clause 0x3
	global_load_u8 v2, v2, s[38:39]
	global_load_u8 v3, v3, s[38:39]
	;; [unrolled: 1-line block ×4, first 2 shown]
	v_add_nc_u32_e32 v6, s66, v6
	s_wait_loadcnt 0x3
	v_and_b32_e32 v7, v39, v2
	v_bfe_u32 v2, v2, s95, 2
	s_wait_loadcnt 0x2
	v_and_b32_e32 v8, v39, v3
	v_bfe_u32 v3, v3, s95, 2
	;; [unrolled: 3-line block ×3, first 2 shown]
	v_cmp_eq_u32_e64 s14, v7, v32
	v_cmp_eq_u32_e64 s18, 0, v2
	s_wait_loadcnt 0x0
	v_and_b32_e32 v10, v39, v5
	v_bfe_u32 v5, v5, s95, 2
	v_cmp_eq_u32_e64 s15, v8, v32
	v_cmp_eq_u32_e64 s19, 0, v3
	;; [unrolled: 1-line block ×4, first 2 shown]
	s_and_b32 s18, s14, s18
	v_cmp_eq_u32_e64 s17, v10, v32
	v_cmp_eq_u32_e64 s21, 0, v5
	;; [unrolled: 1-line block ×5, first 2 shown]
	v_cndmask_b32_e64 v2, 0, 1, s18
	s_and_b32 s18, s15, s19
	v_cmp_eq_u32_e64 s23, 1, v3
	v_cmp_eq_u32_e64 s27, 2, v3
	v_cmp_eq_u32_e64 s31, 3, v3
	v_cndmask_b32_e64 v3, 0, 1, s18
	s_and_b32 s18, s16, s20
	v_cmp_eq_u32_e64 s24, 1, v4
	v_cmp_eq_u32_e64 s28, 2, v4
	v_cmp_eq_u32_e64 s33, 3, v4
	;; [unrolled: 5-line block ×3, first 2 shown]
	v_cndmask_b32_e64 v5, 0, 1, s18
	s_and_b32 s18, s14, s22
	v_cmp_le_u32_e32 vcc_lo, s86, v6
	v_cndmask_b32_e64 v7, 0, 1, s18
	s_and_b32 s18, s15, s23
	s_delay_alu instid0(SALU_CYCLE_1) | instskip(SKIP_1) | instid1(SALU_CYCLE_1)
	v_cndmask_b32_e64 v8, 0, 1, s18
	s_and_b32 s18, s16, s24
	v_cndmask_b32_e64 v9, 0, 1, s18
	s_and_b32 s18, s17, s25
	s_delay_alu instid0(VALU_DEP_2)
	v_cmp_ne_u32_e64 s19, 0, v8
	v_cndmask_b32_e64 v10, 0, 1, s18
	s_and_b32 s18, s14, s26
	s_and_b32 s14, s14, s30
	v_cndmask_b32_e64 v11, 0, 1, s18
	s_and_b32 s18, s15, s27
	v_cndmask_b32_e64 v15, 0, 1, s14
	;; [unrolled: 2-line block ×7, first 2 shown]
	v_cndmask_b32_e64 v24, 0, 1, s14
	v_cmp_ne_u32_e64 s14, 0, v2
	v_cmp_ne_u32_e64 s18, 0, v7
	;; [unrolled: 1-line block ×11, first 2 shown]
	s_bcnt1_i32_b32 s14, s14
	s_bcnt1_i32_b32 s18, s18
	;; [unrolled: 1-line block ×4, first 2 shown]
	v_cmp_ne_u32_e64 s17, 0, v5
	v_cmp_ne_u32_e64 s21, 0, v10
	;; [unrolled: 1-line block ×4, first 2 shown]
	s_bcnt1_i32_b32 s15, s15
	s_bcnt1_i32_b32 s19, s19
	;; [unrolled: 1-line block ×4, first 2 shown]
	s_add_co_i32 s14, s14, s46
	s_add_co_i32 s18, s18, vcc_hi
	s_add_co_i32 s22, s22, s104
	s_add_co_i32 s26, s26, s103
	s_bcnt1_i32_b32 s16, s16
	s_bcnt1_i32_b32 s20, s20
	;; [unrolled: 1-line block ×4, first 2 shown]
	s_add_co_i32 s14, s14, s15
	s_add_co_i32 s15, s18, s19
	;; [unrolled: 1-line block ×4, first 2 shown]
	s_bcnt1_i32_b32 s17, s17
	s_bcnt1_i32_b32 s21, s21
	;; [unrolled: 1-line block ×4, first 2 shown]
	s_add_co_i32 s14, s14, s16
	s_add_co_i32 s15, s15, s20
	;; [unrolled: 1-line block ×5, first 2 shown]
	s_add_co_i32 vcc_hi, s15, s21
	s_add_co_i32 s104, s16, s25
	s_add_co_i32 s103, s18, s29
	v_dual_mov_b32 v2, s46 :: v_dual_mov_b32 v3, vcc_hi
	v_dual_mov_b32 v4, s104 :: v_dual_mov_b32 v5, s103
	s_or_b32 s44, vcc_lo, s44
	s_delay_alu instid0(SALU_CYCLE_1)
	s_and_not1_b32 exec_lo, exec_lo, s44
	s_cbranch_execnz .LBB7_64
; %bb.65:                               ;   in Loop: Header=BB7_6 Depth=1
	s_or_b32 exec_lo, exec_lo, s44
.LBB7_66:                               ;   in Loop: Header=BB7_6 Depth=1
	s_delay_alu instid0(SALU_CYCLE_1)
	s_or_b32 exec_lo, exec_lo, s102
	s_and_saveexec_b32 s18, s12
	s_cbranch_execz .LBB7_72
; %bb.67:                               ;   in Loop: Header=BB7_6 Depth=1
	global_load_u8 v9, v[26:27], off
	v_dual_mov_b32 v6, v36 :: v_dual_mov_b32 v7, v30
	s_mov_b32 s19, 0
	s_branch .LBB7_69
.LBB7_68:                               ;   in Loop: Header=BB7_69 Depth=2
	s_wait_xcnt 0x0
	s_or_b32 exec_lo, exec_lo, s15
	s_wait_loadcnt 0x0
	v_and_b32_e32 v10, 0xff, v9
	v_bitop3_b32 v9, v39, v9, 0xff bitop3:0x80
	s_and_b32 s15, exec_lo, vcc_lo
	v_add_nc_u32_e32 v6, s50, v6
	s_or_b32 s19, s15, s19
	v_bfe_u32 v10, v10, s95, 2
	v_cmp_eq_u32_e32 vcc_lo, v9, v32
	s_delay_alu instid0(VALU_DEP_2) | instskip(SKIP_4) | instid1(SALU_CYCLE_1)
	v_cmp_eq_u32_e64 s14, 0, v10
	v_cmp_eq_u32_e64 s15, 1, v10
	;; [unrolled: 1-line block ×4, first 2 shown]
	s_and_b32 s14, vcc_lo, s14
	v_cndmask_b32_e64 v9, 0, 1, s14
	s_and_b32 s14, vcc_lo, s15
	s_delay_alu instid0(SALU_CYCLE_1) | instskip(SKIP_1) | instid1(SALU_CYCLE_1)
	v_cndmask_b32_e64 v10, 0, 1, s14
	s_and_b32 s14, vcc_lo, s16
	v_cndmask_b32_e64 v11, 0, 1, s14
	s_and_b32 s14, vcc_lo, s17
	v_cmp_ne_u32_e32 vcc_lo, 0, v9
	v_cndmask_b32_e64 v12, 0, 1, s14
	v_cmp_ne_u32_e64 s14, 0, v10
	v_cmp_ne_u32_e64 s15, 0, v11
	v_mov_b32_e32 v9, v8
	s_bcnt1_i32_b32 s17, vcc_lo
	v_cmp_ne_u32_e64 s16, 0, v12
	s_bcnt1_i32_b32 s14, s14
	s_bcnt1_i32_b32 s15, s15
	v_dual_add_nc_u32 v2, s17, v2 :: v_dual_add_nc_u32 v3, s14, v3
	s_bcnt1_i32_b32 s16, s16
	s_delay_alu instid0(SALU_CYCLE_1)
	v_dual_add_nc_u32 v4, s15, v4 :: v_dual_add_nc_u32 v5, s16, v5
	s_and_not1_b32 exec_lo, exec_lo, s19
	s_cbranch_execz .LBB7_71
.LBB7_69:                               ;   Parent Loop BB7_6 Depth=1
                                        ; =>  This Inner Loop Header: Depth=2
	s_delay_alu instid0(VALU_DEP_1) | instskip(SKIP_1) | instid1(VALU_DEP_1)
	v_dual_mov_b32 v8, 0 :: v_dual_add_nc_u32 v7, s41, v7
	s_mov_b32 s15, exec_lo
	v_cmp_le_u32_e32 vcc_lo, s36, v7
	s_wait_xcnt 0x0
	v_cmpx_gt_u32_e64 s36, v7
	s_cbranch_execz .LBB7_68
; %bb.70:                               ;   in Loop: Header=BB7_69 Depth=2
	global_load_u8 v8, v6, s[38:39]
	s_branch .LBB7_68
.LBB7_71:                               ;   in Loop: Header=BB7_6 Depth=1
	s_or_b32 exec_lo, exec_lo, s19
.LBB7_72:                               ;   in Loop: Header=BB7_6 Depth=1
	s_delay_alu instid0(SALU_CYCLE_1)
	s_or_b32 exec_lo, exec_lo, s18
	s_branch .LBB7_51
.LBB7_73:                               ;   in Loop: Header=BB7_6 Depth=1
	s_mul_u64 s[14:15], s[54:55], s[58:59]
	v_dual_mov_b32 v2, 0 :: v_dual_mov_b32 v3, 0
	s_mul_i32 s14, s15, s66
	v_dual_mov_b32 v4, 0 :: v_dual_mov_b32 v5, 0
	s_sub_co_i32 s14, s54, s14
	s_mov_b32 s103, exec_lo
	s_sub_co_i32 s15, s14, s66
	s_cmp_ge_u32 s14, s66
	s_cselect_b32 s14, s15, s14
	s_delay_alu instid0(SALU_CYCLE_1) | instskip(SKIP_2) | instid1(SALU_CYCLE_1)
	s_sub_co_i32 s15, s14, s66
	s_cmp_ge_u32 s14, s66
	s_cselect_b32 s14, s15, s14
	s_sub_co_i32 s102, s54, s14
	s_delay_alu instid0(SALU_CYCLE_1)
	v_cmpx_gt_u32_e64 s102, v19
	s_cbranch_execz .LBB7_77
; %bb.74:                               ;   in Loop: Header=BB7_6 Depth=1
	v_mov_b32_e32 v6, v19
	s_mov_b32 s44, 0
	s_mov_b32 s45, 0
	;; [unrolled: 1-line block ×5, first 2 shown]
.LBB7_75:                               ;   Parent Loop BB7_6 Depth=1
                                        ; =>  This Inner Loop Header: Depth=2
	ds_load_b32 v2, v6
	s_wait_dscnt 0x0
	v_and_b32_e32 v8, 0xff, v2
	v_dual_lshrrev_b32 v3, 16, v2 :: v_dual_lshrrev_b32 v4, 8, v2
	v_bfe_u32 v9, v2, 8, 8
	v_bitop3_b32 v5, v39, v2, 0xff bitop3:0x80
	v_lshrrev_b32_e32 v7, 24, v2
	v_bfe_u32 v2, v2, 16, 8
	v_bfe_u32 v8, v8, s95, 2
	v_bitop3_b32 v4, v39, v4, 0xff bitop3:0x80
	v_bfe_u32 v9, v9, s95, 2
	v_bitop3_b32 v3, v39, v3, 0xff bitop3:0x80
	v_bfe_u32 v2, v2, s95, 2
	v_cmp_eq_u32_e64 s14, v5, v32
	v_cmp_eq_u32_e64 s18, 0, v8
	v_dual_add_nc_u32 v6, s66, v6 :: v_dual_bitop2_b32 v5, v39, v7 bitop3:0x40
	v_bfe_u32 v7, v7, s95, 2
	v_cmp_eq_u32_e64 s15, v4, v32
	v_cmp_eq_u32_e64 s19, 0, v9
	;; [unrolled: 1-line block ×4, first 2 shown]
	s_and_b32 s18, s14, s18
	v_cmp_eq_u32_e64 s17, v5, v32
	v_cmp_eq_u32_e64 s21, 0, v7
	;; [unrolled: 1-line block ×5, first 2 shown]
	v_cndmask_b32_e64 v2, 0, 1, s18
	s_and_b32 s18, s15, s19
	v_cmp_eq_u32_e64 s22, 1, v8
	v_cndmask_b32_e64 v3, 0, 1, s18
	s_and_b32 s18, s16, s20
	v_cmp_eq_u32_e64 s23, 1, v9
	;; [unrolled: 3-line block ×4, first 2 shown]
	v_cmp_eq_u32_e64 s34, 3, v7
	v_cndmask_b32_e64 v7, 0, 1, s18
	s_and_b32 s18, s15, s23
	v_cmp_eq_u32_e64 s26, 2, v8
	v_cmp_eq_u32_e64 s30, 3, v8
	v_cndmask_b32_e64 v8, 0, 1, s18
	s_and_b32 s18, s16, s24
	v_cmp_eq_u32_e64 s27, 2, v9
	v_cmp_eq_u32_e64 s31, 3, v9
	v_cndmask_b32_e64 v9, 0, 1, s18
	s_and_b32 s18, s17, s25
	v_cmp_ne_u32_e64 s19, 0, v8
	v_cndmask_b32_e64 v10, 0, 1, s18
	s_and_b32 s18, s14, s26
	s_and_b32 s14, s14, s30
	v_cndmask_b32_e64 v11, 0, 1, s18
	s_and_b32 s18, s15, s27
	v_cndmask_b32_e64 v15, 0, 1, s14
	;; [unrolled: 2-line block ×7, first 2 shown]
	v_cndmask_b32_e64 v24, 0, 1, s14
	v_cmp_ne_u32_e64 s14, 0, v2
	v_cmp_ne_u32_e64 s18, 0, v7
	;; [unrolled: 1-line block ×11, first 2 shown]
	s_bcnt1_i32_b32 s14, s14
	s_bcnt1_i32_b32 s18, s18
	;; [unrolled: 1-line block ×4, first 2 shown]
	v_cmp_ne_u32_e64 s17, 0, v5
	v_cmp_ne_u32_e64 s21, 0, v10
	;; [unrolled: 1-line block ×4, first 2 shown]
	s_bcnt1_i32_b32 s15, s15
	s_bcnt1_i32_b32 s19, s19
	s_bcnt1_i32_b32 s23, s23
	s_bcnt1_i32_b32 s27, s27
	s_add_co_i32 s14, s14, s47
	s_add_co_i32 s18, s18, s46
	s_add_co_i32 s22, s22, s104
	s_add_co_i32 s26, s26, s45
	s_bcnt1_i32_b32 s16, s16
	s_bcnt1_i32_b32 s20, s20
	s_bcnt1_i32_b32 s24, s24
	s_bcnt1_i32_b32 s28, s28
	s_add_co_i32 s14, s14, s15
	s_add_co_i32 s15, s18, s19
	s_add_co_i32 s18, s22, s23
	s_add_co_i32 s19, s26, s27
	;; [unrolled: 8-line block ×3, first 2 shown]
	v_cmp_le_u32_e32 vcc_lo, s102, v6
	s_add_co_i32 s47, s14, s17
	s_add_co_i32 s46, s15, s21
	;; [unrolled: 1-line block ×4, first 2 shown]
	v_dual_mov_b32 v2, s47 :: v_dual_mov_b32 v3, s46
	v_dual_mov_b32 v4, s104 :: v_dual_mov_b32 v5, s45
	s_or_b32 s44, vcc_lo, s44
	s_delay_alu instid0(SALU_CYCLE_1)
	s_and_not1_b32 exec_lo, exec_lo, s44
	s_cbranch_execnz .LBB7_75
; %bb.76:                               ;   in Loop: Header=BB7_6 Depth=1
	s_or_b32 exec_lo, exec_lo, s44
.LBB7_77:                               ;   in Loop: Header=BB7_6 Depth=1
	s_delay_alu instid0(SALU_CYCLE_1) | instskip(SKIP_2) | instid1(VALU_DEP_1)
	s_or_b32 exec_lo, exec_lo, s103
	v_add_nc_u32_e32 v6, s102, v0
	s_mov_b32 s19, exec_lo
	v_cmpx_gt_u32_e64 s54, v6
	s_cbranch_execz .LBB7_81
; %bb.78:                               ;   in Loop: Header=BB7_6 Depth=1
	s_mov_b32 s20, 0
.LBB7_79:                               ;   Parent Loop BB7_6 Depth=1
                                        ; =>  This Inner Loop Header: Depth=2
	ds_load_u8 v7, v6
	s_wait_dscnt 0x0
	v_dual_add_nc_u32 v6, s41, v6 :: v_dual_bitop2_b32 v8, v39, v7 bitop3:0x40
	v_bfe_u32 v7, v7, s95, 2
	s_delay_alu instid0(VALU_DEP_2) | instskip(NEXT) | instid1(VALU_DEP_3)
	v_cmp_le_u32_e32 vcc_lo, s54, v6
	v_cmp_eq_u32_e64 s14, v8, v32
	s_delay_alu instid0(VALU_DEP_3) | instskip(SKIP_4) | instid1(SALU_CYCLE_1)
	v_cmp_eq_u32_e64 s15, 0, v7
	v_cmp_eq_u32_e64 s16, 1, v7
	;; [unrolled: 1-line block ×4, first 2 shown]
	s_and_b32 s15, s14, s15
	v_cndmask_b32_e64 v7, 0, 1, s15
	s_and_b32 s15, s14, s16
	s_delay_alu instid0(SALU_CYCLE_1)
	v_cndmask_b32_e64 v8, 0, 1, s15
	s_and_b32 s15, s14, s17
	s_and_b32 s14, s14, s18
	v_cndmask_b32_e64 v9, 0, 1, s15
	v_cndmask_b32_e64 v10, 0, 1, s14
	v_cmp_ne_u32_e64 s14, 0, v7
	v_cmp_ne_u32_e64 s15, 0, v8
	s_delay_alu instid0(VALU_DEP_4) | instskip(NEXT) | instid1(VALU_DEP_4)
	v_cmp_ne_u32_e64 s16, 0, v9
	v_cmp_ne_u32_e64 s17, 0, v10
	s_bcnt1_i32_b32 s14, s14
	s_bcnt1_i32_b32 s15, s15
	s_delay_alu instid0(SALU_CYCLE_1) | instskip(SKIP_2) | instid1(SALU_CYCLE_1)
	v_dual_add_nc_u32 v2, s14, v2 :: v_dual_add_nc_u32 v3, s15, v3
	s_bcnt1_i32_b32 s16, s16
	s_bcnt1_i32_b32 s17, s17
	v_dual_add_nc_u32 v4, s16, v4 :: v_dual_add_nc_u32 v5, s17, v5
	s_or_b32 s20, vcc_lo, s20
	s_delay_alu instid0(SALU_CYCLE_1)
	s_and_not1_b32 exec_lo, exec_lo, s20
	s_cbranch_execnz .LBB7_79
; %bb.80:                               ;   in Loop: Header=BB7_6 Depth=1
	s_or_b32 exec_lo, exec_lo, s20
.LBB7_81:                               ;   in Loop: Header=BB7_6 Depth=1
	s_delay_alu instid0(SALU_CYCLE_1)
	s_or_b32 exec_lo, exec_lo, s19
	s_lshl_b32 s16, s91, 7
	s_and_saveexec_b32 s14, s2
	s_cbranch_execnz .LBB7_52
	s_branch .LBB7_53
.LBB7_82:                               ;   in Loop: Header=BB7_6 Depth=1
	v_mov_b32_e32 v2, 0
	s_mov_b32 s14, 0
	s_cbranch_execz .LBB7_85
.LBB7_83:                               ;   in Loop: Header=BB7_6 Depth=1
	s_lshl_b32 s15, s91, 9
	s_lshl_b32 s18, s14, 4
	s_sub_co_i32 s14, s71, s14
	v_add3_u32 v3, s15, s18, v38
.LBB7_84:                               ;   Parent Loop BB7_6 Depth=1
                                        ; =>  This Inner Loop Header: Depth=2
	ds_load_b32 v5, v3
	v_add_nc_u32_e32 v3, 16, v3
	s_add_co_i32 s14, s14, -1
	s_delay_alu instid0(SALU_CYCLE_1)
	s_cmp_eq_u32 s14, 0
	s_wait_dscnt 0x0
	v_add_nc_u32_e32 v2, v5, v2
	s_cbranch_scc0 .LBB7_84
.LBB7_85:                               ;   in Loop: Header=BB7_6 Depth=1
	s_delay_alu instid0(VALU_DEP_1)
	v_lshlrev_b32_e32 v3, 2, v4
	ds_store_b32 v3, v2 offset:3072
.LBB7_86:                               ;   in Loop: Header=BB7_6 Depth=1
	s_or_b32 exec_lo, exec_lo, s17
	s_lshl_b32 s14, s16, 2
	s_wait_dscnt 0x0
	v_mov_b32_e32 v2, s14
	s_barrier_signal -1
	s_barrier_wait -1
	v_cmp_eq_u32_e64 s14, 1, v41
	ds_load_b128 v[2:5], v2 offset:3072
	s_lshl_b32 s18, 3, s95
	s_mov_b32 s26, -1
	s_not_b32 s19, s18
	s_mov_b32 s16, 0
	s_and_not1_b32 vcc_lo, exec_lo, s65
	s_mov_b32 s23, 0
	s_mov_b32 s15, 0
                                        ; implicit-def: $sgpr24
                                        ; implicit-def: $sgpr25
                                        ; implicit-def: $vgpr6
	s_wait_dscnt 0x0
	v_readfirstlane_b32 s17, v2
	v_readfirstlane_b32 s20, v3
	;; [unrolled: 1-line block ×4, first 2 shown]
                                        ; implicit-def: $vgpr5
                                        ; implicit-def: $vgpr2
                                        ; implicit-def: $vgpr3
                                        ; implicit-def: $vgpr4
	s_cbranch_vccnz .LBB7_245
; %bb.87:                               ;   in Loop: Header=BB7_6 Depth=1
	s_cmp_eq_u32 s17, 1
	v_dual_mov_b32 v3, v32 :: v_dual_mov_b32 v4, v39
	v_mov_b32_e32 v6, v40
	s_cselect_b32 s15, -1, 0
	s_mov_b32 s29, -1
	s_and_b32 s28, s15, s14
                                        ; implicit-def: $sgpr25
                                        ; implicit-def: $sgpr24
	s_delay_alu instid0(SALU_CYCLE_1)
	s_and_saveexec_b32 s15, s28
	s_cbranch_execz .LBB7_114
; %bb.88:                               ;   in Loop: Header=BB7_6 Depth=1
	ds_load_b32 v2, v25 offset:4096
	s_wait_dscnt 0x0
	s_barrier_signal -1
	s_barrier_wait -1
	v_readfirstlane_b32 s26, v2
	s_and_saveexec_b32 s23, s6
; %bb.89:                               ;   in Loop: Header=BB7_6 Depth=1
	ds_store_b8 v0, v25 offset:3072
; %bb.90:                               ;   in Loop: Header=BB7_6 Depth=1
	s_or_b32 exec_lo, exec_lo, s23
	v_and_b32_e32 v3, s19, v32
	v_or_b32_e32 v4, s18, v39
	s_mov_b32 s24, -1
	s_mov_b32 s25, 0
	s_cmp_eq_u32 s26, 0
	s_mov_b32 s23, 0
	s_mov_b32 s27, -1
	s_wait_dscnt 0x0
	s_barrier_signal -1
	s_barrier_wait -1
                                        ; implicit-def: $vgpr6
	s_cbranch_scc1 .LBB7_101
; %bb.91:                               ;   in Loop: Header=BB7_6 Depth=1
	s_add_co_i32 s54, s26, s70
	s_mov_b32 s29, exec_lo
	s_mul_u64 s[30:31], s[54:55], s[60:61]
                                        ; implicit-def: $vgpr6
	s_delay_alu instid0(SALU_CYCLE_1) | instskip(NEXT) | instid1(SALU_CYCLE_1)
	s_mul_i32 s23, s31, s41
	s_sub_co_i32 s23, s54, s23
	s_delay_alu instid0(SALU_CYCLE_1) | instskip(SKIP_2) | instid1(SALU_CYCLE_1)
	s_sub_co_i32 s27, s23, s41
	s_cmp_ge_u32 s23, s41
	s_cselect_b32 s23, s27, s23
	s_sub_co_i32 s27, s23, s41
	s_cmp_ge_u32 s23, s41
	s_cselect_b32 s23, s27, s23
	s_mov_b32 s27, 0
	s_sub_co_i32 s30, s54, s23
	s_mov_b32 s23, 0
	v_cmpx_gt_u32_e64 s30, v0
	s_cbranch_execz .LBB7_100
; %bb.92:                               ;   in Loop: Header=BB7_6 Depth=1
	v_mov_b32_e32 v2, v0
                                        ; implicit-def: $sgpr31
	s_branch .LBB7_95
.LBB7_93:                               ;   in Loop: Header=BB7_95 Depth=2
	s_or_b32 exec_lo, exec_lo, s33
	s_wait_dscnt 0x0
	s_barrier_signal -1
	s_barrier_wait -1
	ds_load_u16 v5, v25 offset:3072
	s_mov_b32 s34, -1
	s_mov_b32 s33, -1
	s_wait_dscnt 0x0
	s_barrier_signal -1
	s_barrier_wait -1
	v_and_b32_e32 v6, 0xff, v5
	s_delay_alu instid0(VALU_DEP_1)
	v_cmp_ne_u32_e32 vcc_lo, 0, v6
	s_cbranch_vccz .LBB7_98
.LBB7_94:                               ;   in Loop: Header=BB7_95 Depth=2
	s_and_b32 s34, exec_lo, s34
	s_delay_alu instid0(SALU_CYCLE_1) | instskip(SKIP_2) | instid1(SALU_CYCLE_1)
	s_or_b32 s23, s34, s23
	s_and_not1_b32 s31, s31, exec_lo
	s_and_b32 s33, s33, exec_lo
	s_or_b32 s31, s31, s33
	s_and_not1_b32 exec_lo, exec_lo, s23
	s_cbranch_execz .LBB7_99
.LBB7_95:                               ;   Parent Loop BB7_6 Depth=1
                                        ; =>  This Inner Loop Header: Depth=2
	s_mov_b32 s33, exec_lo
	s_delay_alu instid0(VALU_DEP_1)
	v_cmpx_gt_u32_e64 s26, v2
	s_cbranch_execz .LBB7_93
; %bb.96:                               ;   in Loop: Header=BB7_95 Depth=2
	ds_load_u8 v5, v2
	s_wait_dscnt 0x0
	v_bitop3_b32 v6, v5, 0xff, v4 bitop3:0x80
	s_delay_alu instid0(VALU_DEP_1)
	v_cmp_eq_u32_e32 vcc_lo, v6, v3
	s_and_b32 exec_lo, exec_lo, vcc_lo
	s_cbranch_execz .LBB7_93
; %bb.97:                               ;   in Loop: Header=BB7_95 Depth=2
	v_lshlrev_b16 v5, 8, v5
	s_delay_alu instid0(VALU_DEP_1)
	v_or_b32_e32 v5, 1, v5
	ds_store_b16 v25, v5 offset:3072
	s_branch .LBB7_93
.LBB7_98:                               ;   in Loop: Header=BB7_95 Depth=2
	v_add_nc_u32_e32 v2, s41, v2
	s_mov_b32 s33, 0
	s_delay_alu instid0(VALU_DEP_1)
	v_cmp_le_u32_e32 vcc_lo, s30, v2
	s_or_not1_b32 s34, vcc_lo, exec_lo
	s_branch .LBB7_94
.LBB7_99:                               ;   in Loop: Header=BB7_6 Depth=1
	s_or_b32 exec_lo, exec_lo, s23
	v_and_b32_e32 v2, 0xffff, v5
	s_and_b32 s23, s31, exec_lo
	s_delay_alu instid0(VALU_DEP_1)
	v_lshrrev_b32_e32 v6, 8, v2
.LBB7_100:                              ;   in Loop: Header=BB7_6 Depth=1
	s_or_b32 exec_lo, exec_lo, s29
.LBB7_101:                              ;   in Loop: Header=BB7_6 Depth=1
	s_delay_alu instid0(SALU_CYCLE_1)
	s_and_b32 vcc_lo, exec_lo, s27
	s_cbranch_vccz .LBB7_113
; %bb.102:                              ;   in Loop: Header=BB7_6 Depth=1
                                        ; implicit-def: $vgpr6
	s_and_saveexec_b32 s24, s13
	s_cbranch_execz .LBB7_112
; %bb.103:                              ;   in Loop: Header=BB7_6 Depth=1
	v_dual_mov_b32 v2, v22 :: v_dual_mov_b32 v5, v0
	s_mov_b32 s26, 0
                                        ; implicit-def: $sgpr25
	s_branch .LBB7_106
.LBB7_104:                              ;   in Loop: Header=BB7_106 Depth=2
	s_or_b32 exec_lo, exec_lo, s27
	s_wait_dscnt 0x0
	s_barrier_signal -1
	s_barrier_wait -1
	ds_load_u16 v6, v25 offset:3072
	s_mov_b32 s27, -1
	s_mov_b32 s29, -1
	s_wait_dscnt 0x0
	s_barrier_signal -1
	s_barrier_wait -1
	v_and_b32_e32 v7, 0xff, v6
	s_delay_alu instid0(VALU_DEP_1)
	v_cmp_ne_u32_e32 vcc_lo, 0, v7
	s_cbranch_vccz .LBB7_109
.LBB7_105:                              ;   in Loop: Header=BB7_106 Depth=2
	s_and_b32 s27, exec_lo, s27
	s_delay_alu instid0(SALU_CYCLE_1) | instskip(SKIP_2) | instid1(SALU_CYCLE_1)
	s_or_b32 s26, s27, s26
	s_and_not1_b32 s25, s25, exec_lo
	s_and_b32 s27, s29, exec_lo
	s_or_b32 s25, s25, s27
	s_and_not1_b32 exec_lo, exec_lo, s26
	s_cbranch_execz .LBB7_111
.LBB7_106:                              ;   Parent Loop BB7_6 Depth=1
                                        ; =>  This Inner Loop Header: Depth=2
	s_mov_b32 s27, exec_lo
	s_delay_alu instid0(VALU_DEP_1)
	v_cmpx_gt_u32_e64 s36, v5
	s_cbranch_execz .LBB7_104
; %bb.107:                              ;   in Loop: Header=BB7_106 Depth=2
	global_load_u8 v6, v2, s[38:39]
	s_wait_loadcnt 0x0
	v_bitop3_b32 v7, v6, 0xff, v4 bitop3:0x80
	s_delay_alu instid0(VALU_DEP_1)
	v_cmp_eq_u32_e32 vcc_lo, v7, v3
	s_and_b32 exec_lo, exec_lo, vcc_lo
	s_cbranch_execz .LBB7_104
; %bb.108:                              ;   in Loop: Header=BB7_106 Depth=2
	v_lshlrev_b16 v6, 8, v6
	s_delay_alu instid0(VALU_DEP_1)
	v_or_b32_e32 v6, 1, v6
	ds_store_b16 v25, v6 offset:3072
	s_branch .LBB7_104
.LBB7_109:                              ;   in Loop: Header=BB7_106 Depth=2
	v_dual_add_nc_u32 v5, s41, v5 :: v_dual_add_nc_u32 v2, s50, v2
	s_mov_b32 s29, 0
	s_delay_alu instid0(VALU_DEP_1)
	v_cmp_le_u32_e32 vcc_lo, s87, v5
	s_or_not1_b32 s27, vcc_lo, exec_lo
	s_branch .LBB7_105
.LBB7_110:                              ;   in Loop: Header=BB7_6 Depth=1
	s_mov_b64 s[14:15], 0x100000000
	v_mov_b64_e32 v[2:3], 0
	s_and_not1_b32 vcc_lo, exec_lo, s79
	s_mov_b32 s18, s74
	s_cbranch_vccz .LBB7_60
	s_branch .LBB7_61
.LBB7_111:                              ;   in Loop: Header=BB7_6 Depth=1
	s_or_b32 exec_lo, exec_lo, s26
	v_and_b32_e32 v2, 0xffff, v6
	s_and_not1_b32 s23, s23, exec_lo
	s_and_b32 s25, s25, exec_lo
	s_delay_alu instid0(SALU_CYCLE_1) | instskip(NEXT) | instid1(VALU_DEP_1)
	s_or_b32 s23, s23, s25
	v_lshrrev_b32_e32 v6, 8, v2
.LBB7_112:                              ;   in Loop: Header=BB7_6 Depth=1
	s_or_b32 exec_lo, exec_lo, s24
	s_mov_b32 s24, 0
	s_mov_b32 s25, -1
.LBB7_113:                              ;   in Loop: Header=BB7_6 Depth=1
	s_or_not1_b32 s29, s23, exec_lo
.LBB7_114:                              ;   in Loop: Header=BB7_6 Depth=1
	s_or_b32 exec_lo, exec_lo, s15
	s_mov_b32 s26, 0
	s_mov_b32 s23, 0
	;; [unrolled: 1-line block ×3, first 2 shown]
                                        ; implicit-def: $vgpr5
                                        ; implicit-def: $vgpr2
	s_and_saveexec_b32 s27, s29
	s_cbranch_execz .LBB7_244
; %bb.115:                              ;   in Loop: Header=BB7_6 Depth=1
	v_dual_mov_b32 v5, 1 :: v_dual_mov_b32 v2, 1
	s_xor_b32 s23, s28, -1
	s_mov_b32 s30, 0
	s_and_saveexec_b32 s15, s23
	s_cbranch_execz .LBB7_124
; %bb.116:                              ;   in Loop: Header=BB7_6 Depth=1
	s_mov_b32 s23, exec_lo
	v_cmpx_ge_u32_e64 s17, v41
	s_xor_b32 s23, exec_lo, s23
	s_cbranch_execz .LBB7_121
; %bb.117:                              ;   in Loop: Header=BB7_6 Depth=1
	ds_load_b32 v2, v25 offset:4096
	v_and_b32_e32 v3, s19, v3
	v_or_b32_e32 v4, s18, v4
	s_wait_dscnt 0x0
	v_cmp_ne_u32_e32 vcc_lo, 0, v2
	s_cbranch_vccnz .LBB7_121
; %bb.118:                              ;   in Loop: Header=BB7_6 Depth=1
	s_and_saveexec_b32 s28, s5
; %bb.119:                              ;   in Loop: Header=BB7_6 Depth=1
	v_mov_b32_e32 v2, s17
	ds_store_b32 v25, v2 offset:4100
; %bb.120:                              ;   in Loop: Header=BB7_6 Depth=1
	s_or_b32 exec_lo, exec_lo, s28
	s_wait_dscnt 0x0
	s_barrier_signal -1
	s_barrier_wait -1
.LBB7_121:                              ;   in Loop: Header=BB7_6 Depth=1
	s_or_saveexec_b32 s23, s23
	v_dual_mov_b32 v2, 8 :: v_dual_mov_b32 v5, v41
	s_mov_b32 s28, 0
	s_xor_b32 exec_lo, exec_lo, s23
; %bb.122:                              ;   in Loop: Header=BB7_6 Depth=1
	v_subrev_nc_u32_e32 v5, s17, v41
	v_mov_b32_e32 v2, 0
	s_mov_b32 s28, exec_lo
; %bb.123:                              ;   in Loop: Header=BB7_6 Depth=1
	s_or_b32 exec_lo, exec_lo, s23
	s_delay_alu instid0(SALU_CYCLE_1)
	s_and_b32 s30, s28, exec_lo
.LBB7_124:                              ;   in Loop: Header=BB7_6 Depth=1
	s_or_b32 exec_lo, exec_lo, s15
	s_mov_b32 s29, -1
                                        ; implicit-def: $sgpr23
                                        ; implicit-def: $sgpr28
	s_and_saveexec_b32 s15, s30
	s_delay_alu instid0(SALU_CYCLE_1)
	s_xor_b32 s15, exec_lo, s15
	s_cbranch_execz .LBB7_241
; %bb.125:                              ;   in Loop: Header=BB7_6 Depth=1
	v_cmp_eq_u32_e32 vcc_lo, 1, v5
	s_cmp_eq_u32 s20, 1
	s_mov_b32 s31, -1
	s_cselect_b32 s23, -1, 0
                                        ; implicit-def: $sgpr28
	s_delay_alu instid0(SALU_CYCLE_1) | instskip(NEXT) | instid1(SALU_CYCLE_1)
	s_and_b32 s30, s23, vcc_lo
                                        ; implicit-def: $sgpr23
	s_and_saveexec_b32 s29, s30
	s_cbranch_execz .LBB7_151
; %bb.126:                              ;   in Loop: Header=BB7_6 Depth=1
	ds_load_b32 v6, v25 offset:4096
	s_wait_dscnt 0x0
	s_barrier_signal -1
	s_barrier_wait -1
	v_readfirstlane_b32 s33, v6
	s_and_saveexec_b32 s23, s6
; %bb.127:                              ;   in Loop: Header=BB7_6 Depth=1
	ds_store_b8 v0, v25 offset:3072
; %bb.128:                              ;   in Loop: Header=BB7_6 Depth=1
	s_or_b32 exec_lo, exec_lo, s23
	s_lshl_b32 s23, 1, s95
	v_or_b32_e32 v4, s18, v4
	v_and_or_b32 v3, v3, s19, s23
	s_mov_b32 s23, -1
	s_mov_b32 s28, 0
	s_cmp_eq_u32 s33, 0
	s_mov_b32 s31, 0
	s_mov_b32 s34, -1
	s_wait_dscnt 0x0
	s_barrier_signal -1
	s_barrier_wait -1
                                        ; implicit-def: $vgpr6
	s_cbranch_scc1 .LBB7_139
; %bb.129:                              ;   in Loop: Header=BB7_6 Depth=1
	s_add_co_i32 s54, s33, s70
	s_mov_b32 s44, exec_lo
	s_mul_u64 s[42:43], s[54:55], s[60:61]
                                        ; implicit-def: $vgpr6
	s_delay_alu instid0(SALU_CYCLE_1) | instskip(NEXT) | instid1(SALU_CYCLE_1)
	s_mul_i32 s31, s43, s41
	s_sub_co_i32 s31, s54, s31
	s_delay_alu instid0(SALU_CYCLE_1) | instskip(SKIP_2) | instid1(SALU_CYCLE_1)
	s_sub_co_i32 s34, s31, s41
	s_cmp_ge_u32 s31, s41
	s_cselect_b32 s31, s34, s31
	s_sub_co_i32 s34, s31, s41
	s_cmp_ge_u32 s31, s41
	s_cselect_b32 s31, s34, s31
	s_mov_b32 s34, 0
	s_sub_co_i32 s45, s54, s31
	s_mov_b32 s31, 0
	v_cmpx_gt_u32_e64 s45, v0
	s_cbranch_execz .LBB7_138
; %bb.130:                              ;   in Loop: Header=BB7_6 Depth=1
	v_mov_b32_e32 v6, v0
                                        ; implicit-def: $sgpr46
	s_branch .LBB7_133
.LBB7_131:                              ;   in Loop: Header=BB7_133 Depth=2
	s_or_b32 exec_lo, exec_lo, s47
	s_wait_dscnt 0x0
	s_barrier_signal -1
	s_barrier_wait -1
	ds_load_u16 v7, v25 offset:3072
	s_mov_b32 s43, -1
	s_mov_b32 s42, -1
	s_wait_dscnt 0x0
	s_barrier_signal -1
	s_barrier_wait -1
	v_and_b32_e32 v8, 0xff, v7
	s_delay_alu instid0(VALU_DEP_1)
	v_cmp_ne_u32_e32 vcc_lo, 0, v8
	s_cbranch_vccz .LBB7_136
.LBB7_132:                              ;   in Loop: Header=BB7_133 Depth=2
	s_and_b32 s43, exec_lo, s43
	s_delay_alu instid0(SALU_CYCLE_1) | instskip(SKIP_2) | instid1(SALU_CYCLE_1)
	s_or_b32 s31, s43, s31
	s_and_not1_b32 s43, s46, exec_lo
	s_and_b32 s42, s42, exec_lo
	s_or_b32 s46, s43, s42
	s_and_not1_b32 exec_lo, exec_lo, s31
	s_cbranch_execz .LBB7_137
.LBB7_133:                              ;   Parent Loop BB7_6 Depth=1
                                        ; =>  This Inner Loop Header: Depth=2
	s_mov_b32 s47, exec_lo
	s_delay_alu instid0(VALU_DEP_1)
	v_cmpx_gt_u32_e64 s33, v6
	s_cbranch_execz .LBB7_131
; %bb.134:                              ;   in Loop: Header=BB7_133 Depth=2
	ds_load_u8 v7, v6
	s_wait_dscnt 0x0
	v_bitop3_b32 v8, v7, 0xff, v4 bitop3:0x80
	s_delay_alu instid0(VALU_DEP_1)
	v_cmp_eq_u32_e32 vcc_lo, v8, v3
	s_and_b32 exec_lo, exec_lo, vcc_lo
	s_cbranch_execz .LBB7_131
; %bb.135:                              ;   in Loop: Header=BB7_133 Depth=2
	v_lshlrev_b16 v7, 8, v7
	s_delay_alu instid0(VALU_DEP_1)
	v_or_b32_e32 v7, 1, v7
	ds_store_b16 v25, v7 offset:3072
	s_branch .LBB7_131
.LBB7_136:                              ;   in Loop: Header=BB7_133 Depth=2
	v_add_nc_u32_e32 v6, s41, v6
	s_mov_b32 s42, 0
	s_delay_alu instid0(VALU_DEP_1)
	v_cmp_le_u32_e32 vcc_lo, s45, v6
	s_or_not1_b32 s43, vcc_lo, exec_lo
	s_branch .LBB7_132
.LBB7_137:                              ;   in Loop: Header=BB7_6 Depth=1
	s_or_b32 exec_lo, exec_lo, s31
	v_and_b32_e32 v6, 0xffff, v7
	s_and_b32 s31, s46, exec_lo
	s_delay_alu instid0(VALU_DEP_1)
	v_lshrrev_b32_e32 v6, 8, v6
.LBB7_138:                              ;   in Loop: Header=BB7_6 Depth=1
	s_or_b32 exec_lo, exec_lo, s44
.LBB7_139:                              ;   in Loop: Header=BB7_6 Depth=1
	s_delay_alu instid0(SALU_CYCLE_1)
	s_and_b32 vcc_lo, exec_lo, s34
	s_cbranch_vccz .LBB7_150
; %bb.140:                              ;   in Loop: Header=BB7_6 Depth=1
                                        ; implicit-def: $vgpr6
	s_and_saveexec_b32 s23, s13
	s_cbranch_execz .LBB7_149
; %bb.141:                              ;   in Loop: Header=BB7_6 Depth=1
	v_dual_mov_b32 v6, v22 :: v_dual_mov_b32 v7, v0
	s_mov_b32 s28, 0
                                        ; implicit-def: $sgpr33
	s_branch .LBB7_144
.LBB7_142:                              ;   in Loop: Header=BB7_144 Depth=2
	s_or_b32 exec_lo, exec_lo, s34
	s_wait_dscnt 0x0
	s_barrier_signal -1
	s_barrier_wait -1
	ds_load_u16 v8, v25 offset:3072
	s_mov_b32 s34, -1
	s_mov_b32 s42, -1
	s_wait_dscnt 0x0
	s_barrier_signal -1
	s_barrier_wait -1
	v_and_b32_e32 v9, 0xff, v8
	s_delay_alu instid0(VALU_DEP_1)
	v_cmp_eq_u32_e32 vcc_lo, 0, v9
	s_cbranch_vccnz .LBB7_147
.LBB7_143:                              ;   in Loop: Header=BB7_144 Depth=2
	s_and_b32 s34, exec_lo, s34
	s_delay_alu instid0(SALU_CYCLE_1) | instskip(SKIP_2) | instid1(SALU_CYCLE_1)
	s_or_b32 s28, s34, s28
	s_and_not1_b32 s33, s33, exec_lo
	s_and_b32 s34, s42, exec_lo
	s_or_b32 s33, s33, s34
	s_and_not1_b32 exec_lo, exec_lo, s28
	s_cbranch_execz .LBB7_148
.LBB7_144:                              ;   Parent Loop BB7_6 Depth=1
                                        ; =>  This Inner Loop Header: Depth=2
	s_mov_b32 s34, exec_lo
	s_delay_alu instid0(VALU_DEP_1)
	v_cmpx_gt_u32_e64 s36, v7
	s_cbranch_execz .LBB7_142
; %bb.145:                              ;   in Loop: Header=BB7_144 Depth=2
	global_load_u8 v8, v6, s[38:39]
	s_wait_loadcnt 0x0
	v_bitop3_b32 v9, v8, 0xff, v4 bitop3:0x80
	s_delay_alu instid0(VALU_DEP_1)
	v_cmp_eq_u32_e32 vcc_lo, v9, v3
	s_and_b32 exec_lo, exec_lo, vcc_lo
	s_cbranch_execz .LBB7_142
; %bb.146:                              ;   in Loop: Header=BB7_144 Depth=2
	v_lshlrev_b16 v8, 8, v8
	s_delay_alu instid0(VALU_DEP_1)
	v_or_b32_e32 v8, 1, v8
	ds_store_b16 v25, v8 offset:3072
	s_branch .LBB7_142
.LBB7_147:                              ;   in Loop: Header=BB7_144 Depth=2
	v_dual_add_nc_u32 v7, s41, v7 :: v_dual_add_nc_u32 v6, s50, v6
	s_mov_b32 s42, 0
	s_delay_alu instid0(VALU_DEP_1)
	v_cmp_le_u32_e32 vcc_lo, s87, v7
	s_or_not1_b32 s34, vcc_lo, exec_lo
	s_branch .LBB7_143
.LBB7_148:                              ;   in Loop: Header=BB7_6 Depth=1
	s_or_b32 exec_lo, exec_lo, s28
	v_and_b32_e32 v6, 0xffff, v8
	s_and_not1_b32 s28, s31, exec_lo
	s_and_b32 s31, s33, exec_lo
	s_delay_alu instid0(SALU_CYCLE_1) | instskip(NEXT) | instid1(VALU_DEP_1)
	s_or_b32 s31, s28, s31
	v_lshrrev_b32_e32 v6, 8, v6
.LBB7_149:                              ;   in Loop: Header=BB7_6 Depth=1
	s_or_b32 exec_lo, exec_lo, s23
	s_mov_b32 s23, 0
	s_mov_b32 s28, -1
.LBB7_150:                              ;   in Loop: Header=BB7_6 Depth=1
	s_or_not1_b32 s31, s31, exec_lo
.LBB7_151:                              ;   in Loop: Header=BB7_6 Depth=1
	s_or_b32 exec_lo, exec_lo, s29
	s_mov_b32 s33, 0
	s_and_saveexec_b32 s29, s31
	s_cbranch_execz .LBB7_240
; %bb.152:                              ;   in Loop: Header=BB7_6 Depth=1
	v_dual_mov_b32 v7, 1 :: v_dual_mov_b32 v2, 1
	s_xor_b32 s31, s30, -1
	s_mov_b32 s44, 0
	s_and_saveexec_b32 s30, s31
	s_cbranch_execz .LBB7_161
; %bb.153:                              ;   in Loop: Header=BB7_6 Depth=1
	s_mov_b32 s31, exec_lo
	v_cmpx_ge_u32_e64 s20, v5
	s_xor_b32 s31, exec_lo, s31
	s_cbranch_execz .LBB7_158
; %bb.154:                              ;   in Loop: Header=BB7_6 Depth=1
	ds_load_b32 v2, v25 offset:4096
	s_lshl_b32 s33, 1, s95
	v_or_b32_e32 v4, s18, v4
	v_and_or_b32 v3, v3, s19, s33
	s_wait_dscnt 0x0
	v_cmp_ne_u32_e32 vcc_lo, 0, v2
	s_cbranch_vccnz .LBB7_158
; %bb.155:                              ;   in Loop: Header=BB7_6 Depth=1
	s_and_saveexec_b32 s33, s5
; %bb.156:                              ;   in Loop: Header=BB7_6 Depth=1
	v_mov_b32_e32 v2, s20
	ds_store_b32 v25, v2 offset:4100
; %bb.157:                              ;   in Loop: Header=BB7_6 Depth=1
	s_or_b32 exec_lo, exec_lo, s33
	s_wait_dscnt 0x0
	s_barrier_signal -1
	s_barrier_wait -1
.LBB7_158:                              ;   in Loop: Header=BB7_6 Depth=1
	s_or_saveexec_b32 s31, s31
	v_mov_b32_e32 v2, 8
	s_mov_b32 s33, 0
	s_xor_b32 exec_lo, exec_lo, s31
; %bb.159:                              ;   in Loop: Header=BB7_6 Depth=1
	v_subrev_nc_u32_e32 v5, s20, v5
	v_mov_b32_e32 v2, 0
	s_mov_b32 s33, exec_lo
; %bb.160:                              ;   in Loop: Header=BB7_6 Depth=1
	s_or_b32 exec_lo, exec_lo, s31
	s_delay_alu instid0(VALU_DEP_2)
	v_mov_b32_e32 v7, v5
	s_and_b32 s44, s33, exec_lo
.LBB7_161:                              ;   in Loop: Header=BB7_6 Depth=1
	s_or_b32 exec_lo, exec_lo, s30
	s_mov_b32 s34, -1
                                        ; implicit-def: $sgpr31
                                        ; implicit-def: $sgpr33
	s_and_saveexec_b32 s30, s44
	s_cbranch_execz .LBB7_239
; %bb.162:                              ;   in Loop: Header=BB7_6 Depth=1
	v_cmp_eq_u32_e32 vcc_lo, 1, v7
	s_cmp_eq_u32 s21, 1
	s_mov_b32 s44, -1
	s_cselect_b32 s31, -1, 0
                                        ; implicit-def: $sgpr33
	s_delay_alu instid0(SALU_CYCLE_1) | instskip(NEXT) | instid1(SALU_CYCLE_1)
	s_and_b32 s102, s31, vcc_lo
                                        ; implicit-def: $sgpr31
	s_and_saveexec_b32 s34, s102
	s_cbranch_execz .LBB7_188
; %bb.163:                              ;   in Loop: Header=BB7_6 Depth=1
	ds_load_b32 v5, v25 offset:4096
	s_wait_dscnt 0x0
	s_barrier_signal -1
	s_barrier_wait -1
	v_readfirstlane_b32 s45, v5
	s_and_saveexec_b32 s31, s6
; %bb.164:                              ;   in Loop: Header=BB7_6 Depth=1
	ds_store_b8 v0, v25 offset:3072
; %bb.165:                              ;   in Loop: Header=BB7_6 Depth=1
	s_or_b32 exec_lo, exec_lo, s31
	s_lshl_b32 s31, 2, s95
	v_or_b32_e32 v4, s18, v4
	v_and_or_b32 v3, v3, s19, s31
	s_mov_b32 s31, -1
	s_mov_b32 s33, 0
	s_cmp_eq_u32 s45, 0
	s_mov_b32 s44, 0
	s_mov_b32 s46, -1
	s_wait_dscnt 0x0
	s_barrier_signal -1
	s_barrier_wait -1
                                        ; implicit-def: $vgpr6
	s_cbranch_scc1 .LBB7_176
; %bb.166:                              ;   in Loop: Header=BB7_6 Depth=1
	s_add_co_i32 s54, s45, s70
	s_mov_b32 s46, 0
	s_mul_u64 s[42:43], s[54:55], s[60:61]
	s_mov_b32 s47, exec_lo
	s_mul_i32 s42, s43, s41
                                        ; implicit-def: $vgpr6
	s_delay_alu instid0(SALU_CYCLE_1) | instskip(NEXT) | instid1(SALU_CYCLE_1)
	s_sub_co_i32 s42, s54, s42
	s_sub_co_i32 s43, s42, s41
	s_cmp_ge_u32 s42, s41
	s_cselect_b32 s42, s43, s42
	s_delay_alu instid0(SALU_CYCLE_1) | instskip(SKIP_2) | instid1(SALU_CYCLE_1)
	s_sub_co_i32 s43, s42, s41
	s_cmp_ge_u32 s42, s41
	s_cselect_b32 s42, s43, s42
	s_sub_co_i32 s54, s54, s42
	s_delay_alu instid0(SALU_CYCLE_1)
	v_cmpx_gt_u32_e64 s54, v0
	s_cbranch_execz .LBB7_175
; %bb.167:                              ;   in Loop: Header=BB7_6 Depth=1
	v_mov_b32_e32 v5, v0
                                        ; implicit-def: $sgpr48
	s_branch .LBB7_170
.LBB7_168:                              ;   in Loop: Header=BB7_170 Depth=2
	s_or_b32 exec_lo, exec_lo, s49
	s_wait_dscnt 0x0
	s_barrier_signal -1
	s_barrier_wait -1
	ds_load_u16 v6, v25 offset:3072
	s_mov_b32 s43, -1
	s_mov_b32 s42, -1
	s_wait_dscnt 0x0
	s_barrier_signal -1
	s_barrier_wait -1
	v_and_b32_e32 v8, 0xff, v6
	s_delay_alu instid0(VALU_DEP_1)
	v_cmp_ne_u32_e32 vcc_lo, 0, v8
	s_cbranch_vccz .LBB7_173
.LBB7_169:                              ;   in Loop: Header=BB7_170 Depth=2
	s_and_b32 s43, exec_lo, s43
	s_delay_alu instid0(SALU_CYCLE_1) | instskip(SKIP_2) | instid1(SALU_CYCLE_1)
	s_or_b32 s44, s43, s44
	s_and_not1_b32 s43, s48, exec_lo
	s_and_b32 s42, s42, exec_lo
	s_or_b32 s48, s43, s42
	s_and_not1_b32 exec_lo, exec_lo, s44
	s_cbranch_execz .LBB7_174
.LBB7_170:                              ;   Parent Loop BB7_6 Depth=1
                                        ; =>  This Inner Loop Header: Depth=2
	s_mov_b32 s49, exec_lo
	s_delay_alu instid0(VALU_DEP_1)
	v_cmpx_gt_u32_e64 s45, v5
	s_cbranch_execz .LBB7_168
; %bb.171:                              ;   in Loop: Header=BB7_170 Depth=2
	ds_load_u8 v6, v5
	s_wait_dscnt 0x0
	v_bitop3_b32 v8, v6, 0xff, v4 bitop3:0x80
	s_delay_alu instid0(VALU_DEP_1)
	v_cmp_eq_u32_e32 vcc_lo, v8, v3
	s_and_b32 exec_lo, exec_lo, vcc_lo
	s_cbranch_execz .LBB7_168
; %bb.172:                              ;   in Loop: Header=BB7_170 Depth=2
	v_lshlrev_b16 v6, 8, v6
	s_delay_alu instid0(VALU_DEP_1)
	v_or_b32_e32 v6, 1, v6
	ds_store_b16 v25, v6 offset:3072
	s_branch .LBB7_168
.LBB7_173:                              ;   in Loop: Header=BB7_170 Depth=2
	v_add_nc_u32_e32 v5, s41, v5
	s_mov_b32 s42, 0
	s_delay_alu instid0(VALU_DEP_1)
	v_cmp_le_u32_e32 vcc_lo, s54, v5
	s_or_not1_b32 s43, vcc_lo, exec_lo
	s_branch .LBB7_169
.LBB7_174:                              ;   in Loop: Header=BB7_6 Depth=1
	s_or_b32 exec_lo, exec_lo, s44
	v_and_b32_e32 v5, 0xffff, v6
	s_and_b32 s44, s48, exec_lo
	s_delay_alu instid0(VALU_DEP_1)
	v_lshrrev_b32_e32 v6, 8, v5
.LBB7_175:                              ;   in Loop: Header=BB7_6 Depth=1
	s_or_b32 exec_lo, exec_lo, s47
.LBB7_176:                              ;   in Loop: Header=BB7_6 Depth=1
	s_delay_alu instid0(SALU_CYCLE_1)
	s_and_b32 vcc_lo, exec_lo, s46
	s_cbranch_vccz .LBB7_187
; %bb.177:                              ;   in Loop: Header=BB7_6 Depth=1
                                        ; implicit-def: $vgpr6
	s_and_saveexec_b32 s31, s13
	s_cbranch_execz .LBB7_186
; %bb.178:                              ;   in Loop: Header=BB7_6 Depth=1
	v_dual_mov_b32 v5, v22 :: v_dual_mov_b32 v6, v0
	s_mov_b32 s33, 0
                                        ; implicit-def: $sgpr45
	s_branch .LBB7_181
.LBB7_179:                              ;   in Loop: Header=BB7_181 Depth=2
	s_or_b32 exec_lo, exec_lo, s46
	s_wait_dscnt 0x0
	s_barrier_signal -1
	s_barrier_wait -1
	ds_load_u16 v8, v25 offset:3072
	s_mov_b32 s42, -1
	s_mov_b32 s43, -1
	s_wait_dscnt 0x0
	s_barrier_signal -1
	s_barrier_wait -1
	v_and_b32_e32 v9, 0xff, v8
	s_delay_alu instid0(VALU_DEP_1)
	v_cmp_eq_u32_e32 vcc_lo, 0, v9
	s_cbranch_vccnz .LBB7_184
.LBB7_180:                              ;   in Loop: Header=BB7_181 Depth=2
	s_and_b32 s42, exec_lo, s42
	s_delay_alu instid0(SALU_CYCLE_1) | instskip(SKIP_2) | instid1(SALU_CYCLE_1)
	s_or_b32 s33, s42, s33
	s_and_not1_b32 s42, s45, exec_lo
	s_and_b32 s43, s43, exec_lo
	s_or_b32 s45, s42, s43
	s_and_not1_b32 exec_lo, exec_lo, s33
	s_cbranch_execz .LBB7_185
.LBB7_181:                              ;   Parent Loop BB7_6 Depth=1
                                        ; =>  This Inner Loop Header: Depth=2
	s_mov_b32 s46, exec_lo
	s_delay_alu instid0(VALU_DEP_1)
	v_cmpx_gt_u32_e64 s36, v6
	s_cbranch_execz .LBB7_179
; %bb.182:                              ;   in Loop: Header=BB7_181 Depth=2
	global_load_u8 v8, v5, s[38:39]
	s_wait_loadcnt 0x0
	v_bitop3_b32 v9, v8, 0xff, v4 bitop3:0x80
	s_delay_alu instid0(VALU_DEP_1)
	v_cmp_eq_u32_e32 vcc_lo, v9, v3
	s_and_b32 exec_lo, exec_lo, vcc_lo
	s_cbranch_execz .LBB7_179
; %bb.183:                              ;   in Loop: Header=BB7_181 Depth=2
	v_lshlrev_b16 v8, 8, v8
	s_delay_alu instid0(VALU_DEP_1)
	v_or_b32_e32 v8, 1, v8
	ds_store_b16 v25, v8 offset:3072
	s_branch .LBB7_179
.LBB7_184:                              ;   in Loop: Header=BB7_181 Depth=2
	v_dual_add_nc_u32 v6, s41, v6 :: v_dual_add_nc_u32 v5, s50, v5
	s_mov_b32 s43, 0
	s_delay_alu instid0(VALU_DEP_1)
	v_cmp_le_u32_e32 vcc_lo, s87, v6
	s_or_not1_b32 s42, vcc_lo, exec_lo
	s_branch .LBB7_180
.LBB7_185:                              ;   in Loop: Header=BB7_6 Depth=1
	s_or_b32 exec_lo, exec_lo, s33
	v_and_b32_e32 v5, 0xffff, v8
	s_and_not1_b32 s33, s44, exec_lo
	s_and_b32 s42, s45, exec_lo
	s_delay_alu instid0(SALU_CYCLE_1) | instskip(NEXT) | instid1(VALU_DEP_1)
	s_or_b32 s44, s33, s42
	v_lshrrev_b32_e32 v6, 8, v5
.LBB7_186:                              ;   in Loop: Header=BB7_6 Depth=1
	s_or_b32 exec_lo, exec_lo, s31
	s_mov_b32 s31, 0
	s_mov_b32 s33, -1
.LBB7_187:                              ;   in Loop: Header=BB7_6 Depth=1
	s_or_not1_b32 s44, s44, exec_lo
.LBB7_188:                              ;   in Loop: Header=BB7_6 Depth=1
	s_or_b32 exec_lo, exec_lo, s34
	s_mov_b32 s45, 0
	s_and_saveexec_b32 s34, s44
	s_cbranch_execz .LBB7_238
; %bb.189:                              ;   in Loop: Header=BB7_6 Depth=1
	v_dual_mov_b32 v5, 1 :: v_dual_mov_b32 v2, 1
	s_xor_b32 s42, s102, -1
	s_delay_alu instid0(SALU_CYCLE_1)
	s_and_saveexec_b32 s44, s42
	s_cbranch_execz .LBB7_198
; %bb.190:                              ;   in Loop: Header=BB7_6 Depth=1
	s_mov_b32 s42, exec_lo
	v_cmpx_ge_u32_e64 s21, v7
	s_xor_b32 s45, exec_lo, s42
	s_cbranch_execz .LBB7_195
; %bb.191:                              ;   in Loop: Header=BB7_6 Depth=1
	ds_load_b32 v2, v25 offset:4096
	s_lshl_b32 s42, 2, s95
	v_or_b32_e32 v4, s18, v4
	v_and_or_b32 v3, v3, s19, s42
	s_wait_dscnt 0x0
	v_cmp_ne_u32_e32 vcc_lo, 0, v2
	s_cbranch_vccnz .LBB7_195
; %bb.192:                              ;   in Loop: Header=BB7_6 Depth=1
	s_and_saveexec_b32 s42, s5
; %bb.193:                              ;   in Loop: Header=BB7_6 Depth=1
	v_mov_b32_e32 v2, s21
	ds_store_b32 v25, v2 offset:4100
; %bb.194:                              ;   in Loop: Header=BB7_6 Depth=1
	s_or_b32 exec_lo, exec_lo, s42
	s_wait_dscnt 0x0
	s_barrier_signal -1
	s_barrier_wait -1
.LBB7_195:                              ;   in Loop: Header=BB7_6 Depth=1
	s_or_saveexec_b32 s45, s45
	v_mov_b32_e32 v2, 8
	s_mov_b32 s46, 0
	s_xor_b32 exec_lo, exec_lo, s45
; %bb.196:                              ;   in Loop: Header=BB7_6 Depth=1
	v_subrev_nc_u32_e32 v7, s21, v7
	v_mov_b32_e32 v2, 0
	s_mov_b32 s46, exec_lo
; %bb.197:                              ;   in Loop: Header=BB7_6 Depth=1
	s_or_b32 exec_lo, exec_lo, s45
	s_delay_alu instid0(VALU_DEP_2)
	v_mov_b32_e32 v5, v7
	s_and_b32 s45, s46, exec_lo
.LBB7_198:                              ;   in Loop: Header=BB7_6 Depth=1
	s_or_b32 exec_lo, exec_lo, s44
	s_mov_b32 s44, -1
                                        ; implicit-def: $vcc_hi
                                        ; implicit-def: $sgpr103
	s_and_saveexec_b32 s102, s45
	s_cbranch_execz .LBB7_237
; %bb.199:                              ;   in Loop: Header=BB7_6 Depth=1
	v_cmp_eq_u32_e32 vcc_lo, 1, v5
	s_cmp_eq_u32 s22, 1
	s_mov_b32 s45, -1
	s_cselect_b32 s42, -1, 0
                                        ; implicit-def: $vcc_hi
                                        ; implicit-def: $sgpr103
	s_delay_alu instid0(SALU_CYCLE_1) | instskip(NEXT) | instid1(SALU_CYCLE_1)
	s_and_b32 s104, s42, vcc_lo
	s_and_saveexec_b32 s44, s104
	s_cbranch_execz .LBB7_225
; %bb.200:                              ;   in Loop: Header=BB7_6 Depth=1
	ds_load_b32 v6, v25 offset:4096
	s_wait_dscnt 0x0
	s_barrier_signal -1
	s_barrier_wait -1
	v_readfirstlane_b32 s46, v6
	s_and_saveexec_b32 s42, s6
; %bb.201:                              ;   in Loop: Header=BB7_6 Depth=1
	ds_store_b8 v0, v25 offset:3072
; %bb.202:                              ;   in Loop: Header=BB7_6 Depth=1
	s_or_b32 exec_lo, exec_lo, s42
	v_or_b32_e32 v3, s18, v3
	v_or_b32_e32 v4, s18, v4
	s_mov_b32 s103, -1
	s_mov_b32 vcc_hi, 0
	s_cmp_eq_u32 s46, 0
	s_mov_b32 s45, 0
	s_mov_b32 s47, -1
	s_wait_dscnt 0x0
	s_barrier_signal -1
	s_barrier_wait -1
                                        ; implicit-def: $vgpr6
	s_cbranch_scc1 .LBB7_213
; %bb.203:                              ;   in Loop: Header=BB7_6 Depth=1
	s_add_co_i32 s54, s46, s70
	s_mov_b32 s47, 0
	s_mul_u64 s[42:43], s[54:55], s[60:61]
                                        ; implicit-def: $vgpr6
	s_delay_alu instid0(SALU_CYCLE_1) | instskip(NEXT) | instid1(SALU_CYCLE_1)
	s_mul_i32 s42, s43, s41
	s_sub_co_i32 s42, s54, s42
	s_delay_alu instid0(SALU_CYCLE_1) | instskip(SKIP_2) | instid1(SALU_CYCLE_1)
	s_sub_co_i32 s43, s42, s41
	s_cmp_ge_u32 s42, s41
	s_cselect_b32 s42, s43, s42
	s_sub_co_i32 s43, s42, s41
	s_cmp_ge_u32 s42, s41
	s_cselect_b32 s42, s43, s42
	s_delay_alu instid0(SALU_CYCLE_1)
	s_sub_co_i32 s48, s54, s42
	s_mov_b32 s54, exec_lo
	v_cmpx_gt_u32_e64 s48, v0
	s_cbranch_execz .LBB7_212
; %bb.204:                              ;   in Loop: Header=BB7_6 Depth=1
	v_mov_b32_e32 v6, v0
                                        ; implicit-def: $sgpr49
	s_branch .LBB7_207
.LBB7_205:                              ;   in Loop: Header=BB7_207 Depth=2
	s_or_b32 exec_lo, exec_lo, s42
	s_wait_dscnt 0x0
	s_barrier_signal -1
	s_barrier_wait -1
	ds_load_u16 v7, v25 offset:3072
	s_mov_b32 s43, -1
	s_mov_b32 s42, -1
	s_wait_dscnt 0x0
	s_barrier_signal -1
	s_barrier_wait -1
	v_and_b32_e32 v8, 0xff, v7
	s_delay_alu instid0(VALU_DEP_1)
	v_cmp_ne_u32_e32 vcc_lo, 0, v8
	s_cbranch_vccz .LBB7_210
.LBB7_206:                              ;   in Loop: Header=BB7_207 Depth=2
	s_and_b32 s43, exec_lo, s43
	s_delay_alu instid0(SALU_CYCLE_1) | instskip(SKIP_2) | instid1(SALU_CYCLE_1)
	s_or_b32 s45, s43, s45
	s_and_not1_b32 s43, s49, exec_lo
	s_and_b32 s42, s42, exec_lo
	s_or_b32 s49, s43, s42
	s_and_not1_b32 exec_lo, exec_lo, s45
	s_cbranch_execz .LBB7_211
.LBB7_207:                              ;   Parent Loop BB7_6 Depth=1
                                        ; =>  This Inner Loop Header: Depth=2
	s_mov_b32 s42, exec_lo
	s_delay_alu instid0(VALU_DEP_1)
	v_cmpx_gt_u32_e64 s46, v6
	s_cbranch_execz .LBB7_205
; %bb.208:                              ;   in Loop: Header=BB7_207 Depth=2
	ds_load_u8 v7, v6
	s_wait_dscnt 0x0
	v_bitop3_b32 v8, v7, 0xff, v4 bitop3:0x80
	s_delay_alu instid0(VALU_DEP_1)
	v_cmp_eq_u32_e32 vcc_lo, v8, v3
	s_and_b32 exec_lo, exec_lo, vcc_lo
	s_cbranch_execz .LBB7_205
; %bb.209:                              ;   in Loop: Header=BB7_207 Depth=2
	v_lshlrev_b16 v7, 8, v7
	s_delay_alu instid0(VALU_DEP_1)
	v_or_b32_e32 v7, 1, v7
	ds_store_b16 v25, v7 offset:3072
	s_branch .LBB7_205
.LBB7_210:                              ;   in Loop: Header=BB7_207 Depth=2
	v_add_nc_u32_e32 v6, s41, v6
	s_mov_b32 s42, 0
	s_delay_alu instid0(VALU_DEP_1)
	v_cmp_le_u32_e32 vcc_lo, s48, v6
	s_or_not1_b32 s43, vcc_lo, exec_lo
	s_branch .LBB7_206
.LBB7_211:                              ;   in Loop: Header=BB7_6 Depth=1
	s_or_b32 exec_lo, exec_lo, s45
	v_and_b32_e32 v6, 0xffff, v7
	s_and_b32 s45, s49, exec_lo
	s_delay_alu instid0(VALU_DEP_1)
	v_lshrrev_b32_e32 v6, 8, v6
.LBB7_212:                              ;   in Loop: Header=BB7_6 Depth=1
	s_or_b32 exec_lo, exec_lo, s54
.LBB7_213:                              ;   in Loop: Header=BB7_6 Depth=1
	s_delay_alu instid0(SALU_CYCLE_1)
	s_and_b32 vcc_lo, exec_lo, s47
	s_cbranch_vccz .LBB7_224
; %bb.214:                              ;   in Loop: Header=BB7_6 Depth=1
                                        ; implicit-def: $vgpr6
	s_and_saveexec_b32 s46, s13
	s_cbranch_execz .LBB7_223
; %bb.215:                              ;   in Loop: Header=BB7_6 Depth=1
	v_dual_mov_b32 v6, v22 :: v_dual_mov_b32 v7, v0
	s_mov_b32 s47, 0
                                        ; implicit-def: $sgpr48
	s_branch .LBB7_218
.LBB7_216:                              ;   in Loop: Header=BB7_218 Depth=2
	s_or_b32 exec_lo, exec_lo, s42
	s_wait_dscnt 0x0
	s_barrier_signal -1
	s_barrier_wait -1
	ds_load_u16 v8, v25 offset:3072
	s_mov_b32 s42, -1
	s_mov_b32 s43, -1
	s_wait_dscnt 0x0
	s_barrier_signal -1
	s_barrier_wait -1
	v_and_b32_e32 v9, 0xff, v8
	s_delay_alu instid0(VALU_DEP_1)
	v_cmp_eq_u32_e32 vcc_lo, 0, v9
	s_cbranch_vccnz .LBB7_221
.LBB7_217:                              ;   in Loop: Header=BB7_218 Depth=2
	s_and_b32 s42, exec_lo, s42
	s_delay_alu instid0(SALU_CYCLE_1) | instskip(SKIP_2) | instid1(SALU_CYCLE_1)
	s_or_b32 s47, s42, s47
	s_and_not1_b32 s42, s48, exec_lo
	s_and_b32 s43, s43, exec_lo
	s_or_b32 s48, s42, s43
	s_and_not1_b32 exec_lo, exec_lo, s47
	s_cbranch_execz .LBB7_222
.LBB7_218:                              ;   Parent Loop BB7_6 Depth=1
                                        ; =>  This Inner Loop Header: Depth=2
	s_mov_b32 s42, exec_lo
	s_delay_alu instid0(VALU_DEP_1)
	v_cmpx_gt_u32_e64 s36, v7
	s_cbranch_execz .LBB7_216
; %bb.219:                              ;   in Loop: Header=BB7_218 Depth=2
	global_load_u8 v8, v6, s[38:39]
	s_wait_loadcnt 0x0
	v_bitop3_b32 v9, v8, 0xff, v4 bitop3:0x80
	s_delay_alu instid0(VALU_DEP_1)
	v_cmp_eq_u32_e32 vcc_lo, v9, v3
	s_and_b32 exec_lo, exec_lo, vcc_lo
	s_cbranch_execz .LBB7_216
; %bb.220:                              ;   in Loop: Header=BB7_218 Depth=2
	v_lshlrev_b16 v8, 8, v8
	s_delay_alu instid0(VALU_DEP_1)
	v_or_b32_e32 v8, 1, v8
	ds_store_b16 v25, v8 offset:3072
	s_branch .LBB7_216
.LBB7_221:                              ;   in Loop: Header=BB7_218 Depth=2
	v_dual_add_nc_u32 v7, s41, v7 :: v_dual_add_nc_u32 v6, s50, v6
	s_mov_b32 s43, 0
	s_delay_alu instid0(VALU_DEP_1)
	v_cmp_le_u32_e32 vcc_lo, s87, v7
	s_or_not1_b32 s42, vcc_lo, exec_lo
	s_branch .LBB7_217
.LBB7_222:                              ;   in Loop: Header=BB7_6 Depth=1
	s_or_b32 exec_lo, exec_lo, s47
	v_and_b32_e32 v6, 0xffff, v8
	s_and_not1_b32 s42, s45, exec_lo
	s_and_b32 s43, s48, exec_lo
	s_delay_alu instid0(SALU_CYCLE_1) | instskip(NEXT) | instid1(VALU_DEP_1)
	s_or_b32 s45, s42, s43
	v_lshrrev_b32_e32 v6, 8, v6
.LBB7_223:                              ;   in Loop: Header=BB7_6 Depth=1
	s_or_b32 exec_lo, exec_lo, s46
	s_mov_b32 s103, 0
	s_mov_b32 vcc_hi, -1
.LBB7_224:                              ;   in Loop: Header=BB7_6 Depth=1
	s_or_not1_b32 s45, s45, exec_lo
.LBB7_225:                              ;   in Loop: Header=BB7_6 Depth=1
	s_or_b32 exec_lo, exec_lo, s44
	s_mov_b32 s46, 0
	s_and_saveexec_b32 s44, s45
	s_cbranch_execz .LBB7_236
; %bb.226:                              ;   in Loop: Header=BB7_6 Depth=1
	v_dual_mov_b32 v2, 1 :: v_dual_mov_b32 v7, 1
	s_xor_b32 s42, s104, -1
	s_delay_alu instid0(SALU_CYCLE_1)
	s_and_saveexec_b32 s45, s42
	s_cbranch_execz .LBB7_235
; %bb.227:                              ;   in Loop: Header=BB7_6 Depth=1
	s_mov_b32 s42, exec_lo
	v_cmpx_ge_u32_e64 s22, v5
	s_xor_b32 s46, exec_lo, s42
	s_cbranch_execz .LBB7_232
; %bb.228:                              ;   in Loop: Header=BB7_6 Depth=1
	ds_load_b32 v2, v25 offset:4096
	v_or_b32_e32 v3, s18, v3
	v_or_b32_e32 v4, s18, v4
	s_wait_dscnt 0x0
	v_cmp_ne_u32_e32 vcc_lo, 0, v2
	s_cbranch_vccnz .LBB7_232
; %bb.229:                              ;   in Loop: Header=BB7_6 Depth=1
	s_and_saveexec_b32 s42, s5
; %bb.230:                              ;   in Loop: Header=BB7_6 Depth=1
	v_mov_b32_e32 v2, s22
	ds_store_b32 v25, v2 offset:4100
; %bb.231:                              ;   in Loop: Header=BB7_6 Depth=1
	s_or_b32 exec_lo, exec_lo, s42
	s_wait_dscnt 0x0
	s_barrier_signal -1
	s_barrier_wait -1
.LBB7_232:                              ;   in Loop: Header=BB7_6 Depth=1
	s_and_not1_saveexec_b32 s42, s46
; %bb.233:                              ;   in Loop: Header=BB7_6 Depth=1
	v_subrev_nc_u32_e32 v5, s22, v5
; %bb.234:                              ;   in Loop: Header=BB7_6 Depth=1
	s_or_b32 exec_lo, exec_lo, s42
	s_delay_alu instid0(VALU_DEP_1)
	v_dual_mov_b32 v2, 8 :: v_dual_mov_b32 v7, v5
.LBB7_235:                              ;   in Loop: Header=BB7_6 Depth=1
	s_or_b32 exec_lo, exec_lo, s45
	s_delay_alu instid0(VALU_DEP_1)
	v_mov_b32_e32 v5, v7
	s_mov_b32 s46, exec_lo
.LBB7_236:                              ;   in Loop: Header=BB7_6 Depth=1
	s_or_b32 exec_lo, exec_lo, s44
	s_delay_alu instid0(SALU_CYCLE_1)
	s_or_not1_b32 s44, s46, exec_lo
.LBB7_237:                              ;   in Loop: Header=BB7_6 Depth=1
	s_or_b32 exec_lo, exec_lo, s102
	v_mov_b32_e32 v7, v5
	s_and_not1_b32 s33, s33, exec_lo
	s_and_b32 s42, vcc_hi, exec_lo
	s_and_not1_b32 s31, s31, exec_lo
	s_and_b32 s43, s103, exec_lo
	s_or_b32 s33, s33, s42
	s_or_b32 s31, s31, s43
	s_and_b32 s45, s44, exec_lo
.LBB7_238:                              ;   in Loop: Header=BB7_6 Depth=1
	s_or_b32 exec_lo, exec_lo, s34
	s_delay_alu instid0(SALU_CYCLE_1)
	s_or_not1_b32 s34, s45, exec_lo
.LBB7_239:                              ;   in Loop: Header=BB7_6 Depth=1
	s_or_b32 exec_lo, exec_lo, s30
	v_mov_b32_e32 v5, v7
	s_and_not1_b32 s28, s28, exec_lo
	s_and_b32 s30, s33, exec_lo
	s_and_not1_b32 s23, s23, exec_lo
	s_and_b32 s31, s31, exec_lo
	s_or_b32 s28, s28, s30
	s_or_b32 s23, s23, s31
	s_and_b32 s33, s34, exec_lo
.LBB7_240:                              ;   in Loop: Header=BB7_6 Depth=1
	s_or_b32 exec_lo, exec_lo, s29
	s_delay_alu instid0(SALU_CYCLE_1)
	s_or_not1_b32 s29, s33, exec_lo
.LBB7_241:                              ;   in Loop: Header=BB7_6 Depth=1
	s_or_b32 exec_lo, exec_lo, s15
	s_mov_b32 s30, 0
	s_mov_b32 s31, 0
	s_and_saveexec_b32 s15, s29
	s_delay_alu instid0(SALU_CYCLE_1)
	s_xor_b32 s29, exec_lo, s15
; %bb.242:                              ;   in Loop: Header=BB7_6 Depth=1
	v_cmp_ne_u32_e32 vcc_lo, 8, v2
	v_cmp_eq_u32_e64 s15, 8, v2
	s_and_b32 s31, vcc_lo, exec_lo
	s_and_b32 s30, s15, exec_lo
; %bb.243:                              ;   in Loop: Header=BB7_6 Depth=1
	s_or_b32 exec_lo, exec_lo, s29
	s_delay_alu instid0(SALU_CYCLE_1)
	s_and_not1_b32 s15, s25, exec_lo
	s_and_b32 s25, s28, exec_lo
	s_and_not1_b32 s24, s24, exec_lo
	s_and_b32 s23, s23, exec_lo
	s_or_b32 s25, s15, s25
	s_or_b32 s24, s24, s23
	s_and_b32 s15, s31, exec_lo
	s_and_b32 s23, s30, exec_lo
.LBB7_244:                              ;   in Loop: Header=BB7_6 Depth=1
	s_or_b32 exec_lo, exec_lo, s27
.LBB7_245:                              ;   in Loop: Header=BB7_6 Depth=1
	s_delay_alu instid0(SALU_CYCLE_1)
	s_and_b32 vcc_lo, exec_lo, s26
	s_cbranch_vccz .LBB7_258
; %bb.246:                              ;   in Loop: Header=BB7_6 Depth=1
	s_cmp_eq_u32 s22, 1
	s_mov_b32 s25, -1
	s_cselect_b32 s16, -1, 0
                                        ; implicit-def: $sgpr26
	s_delay_alu instid0(SALU_CYCLE_1) | instskip(NEXT) | instid1(SALU_CYCLE_1)
	s_and_b32 s14, s16, s14
                                        ; implicit-def: $sgpr16
	s_and_saveexec_b32 s24, s14
	s_cbranch_execz .LBB7_273
; %bb.247:                              ;   in Loop: Header=BB7_6 Depth=1
	ds_load_b32 v2, v25 offset:4096
	s_wait_dscnt 0x0
	s_barrier_signal -1
	s_barrier_wait -1
	v_readfirstlane_b32 s27, v2
	s_and_saveexec_b32 s16, s6
; %bb.248:                              ;   in Loop: Header=BB7_6 Depth=1
	ds_store_b8 v0, v25 offset:3072
; %bb.249:                              ;   in Loop: Header=BB7_6 Depth=1
	s_or_b32 exec_lo, exec_lo, s16
	v_or_b32_e32 v32, s18, v32
	v_or_b32_e32 v39, s18, v39
	s_mov_b32 s16, -1
	s_mov_b32 s26, 0
	s_cmp_eq_u32 s27, 0
	s_mov_b32 s25, 0
	s_mov_b32 s28, -1
	s_wait_dscnt 0x0
	s_barrier_signal -1
	s_barrier_wait -1
                                        ; implicit-def: $vgpr40
	s_cbranch_scc1 .LBB7_261
; %bb.250:                              ;   in Loop: Header=BB7_6 Depth=1
	s_add_co_i32 s54, s27, s70
                                        ; implicit-def: $vgpr40
	s_delay_alu instid0(SALU_CYCLE_1) | instskip(NEXT) | instid1(SALU_CYCLE_1)
	s_mul_u64 s[28:29], s[54:55], s[60:61]
	s_mul_i32 s25, s29, s41
	s_mov_b32 s29, exec_lo
	s_sub_co_i32 s25, s54, s25
	s_delay_alu instid0(SALU_CYCLE_1) | instskip(SKIP_2) | instid1(SALU_CYCLE_1)
	s_sub_co_i32 s28, s25, s41
	s_cmp_ge_u32 s25, s41
	s_cselect_b32 s25, s28, s25
	s_sub_co_i32 s28, s25, s41
	s_cmp_ge_u32 s25, s41
	s_cselect_b32 s25, s28, s25
	s_mov_b32 s28, 0
	s_sub_co_i32 s30, s54, s25
	s_mov_b32 s25, 0
	v_cmpx_gt_u32_e64 s30, v0
	s_cbranch_execz .LBB7_260
; %bb.251:                              ;   in Loop: Header=BB7_6 Depth=1
	v_mov_b32_e32 v2, v0
                                        ; implicit-def: $sgpr31
	s_branch .LBB7_254
.LBB7_252:                              ;   in Loop: Header=BB7_254 Depth=2
	s_or_b32 exec_lo, exec_lo, s33
	s_wait_dscnt 0x0
	s_barrier_signal -1
	s_barrier_wait -1
	ds_load_u16 v3, v25 offset:3072
	s_mov_b32 s34, -1
	s_mov_b32 s33, -1
	s_wait_dscnt 0x0
	s_barrier_signal -1
	s_barrier_wait -1
	v_and_b32_e32 v4, 0xff, v3
	s_delay_alu instid0(VALU_DEP_1)
	v_cmp_ne_u32_e32 vcc_lo, 0, v4
	s_cbranch_vccz .LBB7_257
.LBB7_253:                              ;   in Loop: Header=BB7_254 Depth=2
	s_and_b32 s34, exec_lo, s34
	s_delay_alu instid0(SALU_CYCLE_1) | instskip(SKIP_2) | instid1(SALU_CYCLE_1)
	s_or_b32 s25, s34, s25
	s_and_not1_b32 s31, s31, exec_lo
	s_and_b32 s33, s33, exec_lo
	s_or_b32 s31, s31, s33
	s_and_not1_b32 exec_lo, exec_lo, s25
	s_cbranch_execz .LBB7_259
.LBB7_254:                              ;   Parent Loop BB7_6 Depth=1
                                        ; =>  This Inner Loop Header: Depth=2
	s_mov_b32 s33, exec_lo
	s_delay_alu instid0(VALU_DEP_1)
	v_cmpx_gt_u32_e64 s27, v2
	s_cbranch_execz .LBB7_252
; %bb.255:                              ;   in Loop: Header=BB7_254 Depth=2
	ds_load_u8 v3, v2
	s_wait_dscnt 0x0
	v_bitop3_b32 v4, v3, 0xff, v39 bitop3:0x80
	s_delay_alu instid0(VALU_DEP_1)
	v_cmp_eq_u32_e32 vcc_lo, v4, v32
	s_and_b32 exec_lo, exec_lo, vcc_lo
	s_cbranch_execz .LBB7_252
; %bb.256:                              ;   in Loop: Header=BB7_254 Depth=2
	v_lshlrev_b16 v3, 8, v3
	s_delay_alu instid0(VALU_DEP_1)
	v_or_b32_e32 v3, 1, v3
	ds_store_b16 v25, v3 offset:3072
	s_branch .LBB7_252
.LBB7_257:                              ;   in Loop: Header=BB7_254 Depth=2
	v_add_nc_u32_e32 v2, s41, v2
	s_mov_b32 s33, 0
	s_delay_alu instid0(VALU_DEP_1)
	v_cmp_le_u32_e32 vcc_lo, s30, v2
	s_or_not1_b32 s34, vcc_lo, exec_lo
	s_branch .LBB7_253
.LBB7_258:                              ;   in Loop: Header=BB7_6 Depth=1
	v_dual_mov_b32 v32, v3 :: v_dual_mov_b32 v39, v4
	v_mov_b32_e32 v40, v6
	s_mov_b32 s26, 0
	s_and_saveexec_b32 s14, s23
	s_cbranch_execnz .LBB7_404
	s_branch .LBB7_405
.LBB7_259:                              ;   in Loop: Header=BB7_6 Depth=1
	s_or_b32 exec_lo, exec_lo, s25
	v_and_b32_e32 v2, 0xffff, v3
	s_and_b32 s25, s31, exec_lo
	s_delay_alu instid0(VALU_DEP_1)
	v_lshrrev_b32_e32 v40, 8, v2
.LBB7_260:                              ;   in Loop: Header=BB7_6 Depth=1
	s_or_b32 exec_lo, exec_lo, s29
.LBB7_261:                              ;   in Loop: Header=BB7_6 Depth=1
	s_delay_alu instid0(SALU_CYCLE_1)
	s_and_b32 vcc_lo, exec_lo, s28
	s_cbranch_vccz .LBB7_272
; %bb.262:                              ;   in Loop: Header=BB7_6 Depth=1
                                        ; implicit-def: $vgpr40
	s_and_saveexec_b32 s16, s13
	s_cbranch_execz .LBB7_271
; %bb.263:                              ;   in Loop: Header=BB7_6 Depth=1
	v_dual_mov_b32 v2, v22 :: v_dual_mov_b32 v3, v0
	s_mov_b32 s27, 0
                                        ; implicit-def: $sgpr26
	s_branch .LBB7_266
.LBB7_264:                              ;   in Loop: Header=BB7_266 Depth=2
	s_or_b32 exec_lo, exec_lo, s28
	s_wait_dscnt 0x0
	s_barrier_signal -1
	s_barrier_wait -1
	ds_load_u16 v4, v25 offset:3072
	s_mov_b32 s28, -1
	s_mov_b32 s29, -1
	s_wait_dscnt 0x0
	s_barrier_signal -1
	s_barrier_wait -1
	v_and_b32_e32 v5, 0xff, v4
	s_delay_alu instid0(VALU_DEP_1)
	v_cmp_ne_u32_e32 vcc_lo, 0, v5
	s_cbranch_vccz .LBB7_269
.LBB7_265:                              ;   in Loop: Header=BB7_266 Depth=2
	s_and_b32 s28, exec_lo, s28
	s_delay_alu instid0(SALU_CYCLE_1) | instskip(SKIP_2) | instid1(SALU_CYCLE_1)
	s_or_b32 s27, s28, s27
	s_and_not1_b32 s26, s26, exec_lo
	s_and_b32 s28, s29, exec_lo
	s_or_b32 s26, s26, s28
	s_and_not1_b32 exec_lo, exec_lo, s27
	s_cbranch_execz .LBB7_270
.LBB7_266:                              ;   Parent Loop BB7_6 Depth=1
                                        ; =>  This Inner Loop Header: Depth=2
	s_mov_b32 s28, exec_lo
	s_delay_alu instid0(VALU_DEP_1)
	v_cmpx_gt_u32_e64 s36, v3
	s_cbranch_execz .LBB7_264
; %bb.267:                              ;   in Loop: Header=BB7_266 Depth=2
	global_load_u8 v4, v2, s[38:39]
	s_wait_loadcnt 0x0
	v_bitop3_b32 v5, v4, 0xff, v39 bitop3:0x80
	s_delay_alu instid0(VALU_DEP_1)
	v_cmp_eq_u32_e32 vcc_lo, v5, v32
	s_and_b32 exec_lo, exec_lo, vcc_lo
	s_cbranch_execz .LBB7_264
; %bb.268:                              ;   in Loop: Header=BB7_266 Depth=2
	v_lshlrev_b16 v4, 8, v4
	s_delay_alu instid0(VALU_DEP_1)
	v_or_b32_e32 v4, 1, v4
	ds_store_b16 v25, v4 offset:3072
	s_branch .LBB7_264
.LBB7_269:                              ;   in Loop: Header=BB7_266 Depth=2
	v_dual_add_nc_u32 v3, s41, v3 :: v_dual_add_nc_u32 v2, s50, v2
	s_mov_b32 s29, 0
	s_delay_alu instid0(VALU_DEP_1)
	v_cmp_le_u32_e32 vcc_lo, s87, v3
	s_or_not1_b32 s28, vcc_lo, exec_lo
	s_branch .LBB7_265
.LBB7_270:                              ;   in Loop: Header=BB7_6 Depth=1
	s_or_b32 exec_lo, exec_lo, s27
	v_and_b32_e32 v2, 0xffff, v4
	s_and_not1_b32 s25, s25, exec_lo
	s_and_b32 s26, s26, exec_lo
	s_delay_alu instid0(SALU_CYCLE_1) | instskip(NEXT) | instid1(VALU_DEP_1)
	s_or_b32 s25, s25, s26
	v_lshrrev_b32_e32 v40, 8, v2
.LBB7_271:                              ;   in Loop: Header=BB7_6 Depth=1
	s_or_b32 exec_lo, exec_lo, s16
	s_mov_b32 s16, 0
	s_mov_b32 s26, -1
.LBB7_272:                              ;   in Loop: Header=BB7_6 Depth=1
	s_or_not1_b32 s25, s25, exec_lo
.LBB7_273:                              ;   in Loop: Header=BB7_6 Depth=1
	s_or_b32 exec_lo, exec_lo, s24
                                        ; implicit-def: $vgpr5
                                        ; implicit-def: $vgpr2
	s_and_saveexec_b32 s24, s25
	s_cbranch_execz .LBB7_403
; %bb.274:                              ;   in Loop: Header=BB7_6 Depth=1
	v_dual_mov_b32 v5, 1 :: v_dual_mov_b32 v2, 1
	s_xor_b32 s25, s14, -1
	s_mov_b32 s28, 0
	s_and_saveexec_b32 s14, s25
	s_cbranch_execz .LBB7_283
; %bb.275:                              ;   in Loop: Header=BB7_6 Depth=1
	s_mov_b32 s25, exec_lo
	v_cmpx_ge_u32_e64 s22, v41
	s_xor_b32 s25, exec_lo, s25
	s_cbranch_execz .LBB7_280
; %bb.276:                              ;   in Loop: Header=BB7_6 Depth=1
	ds_load_b32 v2, v25 offset:4096
	v_or_b32_e32 v32, s18, v32
	v_or_b32_e32 v39, s18, v39
	s_wait_dscnt 0x0
	v_cmp_ne_u32_e32 vcc_lo, 0, v2
	s_cbranch_vccnz .LBB7_280
; %bb.277:                              ;   in Loop: Header=BB7_6 Depth=1
	s_and_saveexec_b32 s27, s5
; %bb.278:                              ;   in Loop: Header=BB7_6 Depth=1
	v_mov_b32_e32 v2, s22
	ds_store_b32 v25, v2 offset:4100
; %bb.279:                              ;   in Loop: Header=BB7_6 Depth=1
	s_or_b32 exec_lo, exec_lo, s27
	s_wait_dscnt 0x0
	s_barrier_signal -1
	s_barrier_wait -1
.LBB7_280:                              ;   in Loop: Header=BB7_6 Depth=1
	s_or_saveexec_b32 s25, s25
	v_mov_b32_e32 v2, 5
	s_mov_b32 s27, 0
	s_xor_b32 exec_lo, exec_lo, s25
; %bb.281:                              ;   in Loop: Header=BB7_6 Depth=1
	v_subrev_nc_u32_e32 v41, s22, v41
	v_mov_b32_e32 v2, 0
	s_mov_b32 s27, exec_lo
; %bb.282:                              ;   in Loop: Header=BB7_6 Depth=1
	s_or_b32 exec_lo, exec_lo, s25
	s_delay_alu instid0(VALU_DEP_2)
	v_mov_b32_e32 v5, v41
	s_and_b32 s28, s27, exec_lo
.LBB7_283:                              ;   in Loop: Header=BB7_6 Depth=1
	s_or_b32 exec_lo, exec_lo, s14
	s_mov_b32 s27, -1
                                        ; implicit-def: $sgpr22
                                        ; implicit-def: $sgpr25
	s_and_saveexec_b32 s14, s28
	s_delay_alu instid0(SALU_CYCLE_1)
	s_xor_b32 s14, exec_lo, s14
	s_cbranch_execz .LBB7_400
; %bb.284:                              ;   in Loop: Header=BB7_6 Depth=1
	v_cmp_eq_u32_e32 vcc_lo, 1, v5
	s_cmp_eq_u32 s21, 1
	s_mov_b32 s29, -1
	s_cselect_b32 s22, -1, 0
                                        ; implicit-def: $sgpr25
	s_delay_alu instid0(SALU_CYCLE_1) | instskip(NEXT) | instid1(SALU_CYCLE_1)
	s_and_b32 s28, s22, vcc_lo
                                        ; implicit-def: $sgpr22
	s_and_saveexec_b32 s27, s28
	s_cbranch_execz .LBB7_310
; %bb.285:                              ;   in Loop: Header=BB7_6 Depth=1
	ds_load_b32 v3, v25 offset:4096
	s_wait_dscnt 0x0
	s_barrier_signal -1
	s_barrier_wait -1
	v_readfirstlane_b32 s30, v3
	s_and_saveexec_b32 s22, s6
; %bb.286:                              ;   in Loop: Header=BB7_6 Depth=1
	ds_store_b8 v0, v25 offset:3072
; %bb.287:                              ;   in Loop: Header=BB7_6 Depth=1
	s_or_b32 exec_lo, exec_lo, s22
	s_lshl_b32 s22, 2, s95
	v_or_b32_e32 v39, s18, v39
	v_and_or_b32 v32, v32, s19, s22
	s_mov_b32 s22, -1
	s_mov_b32 s25, 0
	s_cmp_eq_u32 s30, 0
	s_mov_b32 s29, 0
	s_mov_b32 s31, -1
	s_wait_dscnt 0x0
	s_barrier_signal -1
	s_barrier_wait -1
                                        ; implicit-def: $vgpr40
	s_cbranch_scc1 .LBB7_298
; %bb.288:                              ;   in Loop: Header=BB7_6 Depth=1
	s_add_co_i32 s54, s30, s70
	s_mov_b32 s33, exec_lo
	s_mul_u64 s[42:43], s[54:55], s[60:61]
                                        ; implicit-def: $vgpr40
	s_delay_alu instid0(SALU_CYCLE_1) | instskip(NEXT) | instid1(SALU_CYCLE_1)
	s_mul_i32 s29, s43, s41
	s_sub_co_i32 s29, s54, s29
	s_delay_alu instid0(SALU_CYCLE_1) | instskip(SKIP_2) | instid1(SALU_CYCLE_1)
	s_sub_co_i32 s31, s29, s41
	s_cmp_ge_u32 s29, s41
	s_cselect_b32 s29, s31, s29
	s_sub_co_i32 s31, s29, s41
	s_cmp_ge_u32 s29, s41
	s_cselect_b32 s29, s31, s29
	s_mov_b32 s31, 0
	s_sub_co_i32 s34, s54, s29
	s_mov_b32 s29, 0
	v_cmpx_gt_u32_e64 s34, v0
	s_cbranch_execz .LBB7_297
; %bb.289:                              ;   in Loop: Header=BB7_6 Depth=1
	v_mov_b32_e32 v3, v0
                                        ; implicit-def: $sgpr44
	s_branch .LBB7_292
.LBB7_290:                              ;   in Loop: Header=BB7_292 Depth=2
	s_or_b32 exec_lo, exec_lo, s45
	s_wait_dscnt 0x0
	s_barrier_signal -1
	s_barrier_wait -1
	ds_load_u16 v4, v25 offset:3072
	s_mov_b32 s43, -1
	s_mov_b32 s42, -1
	s_wait_dscnt 0x0
	s_barrier_signal -1
	s_barrier_wait -1
	v_and_b32_e32 v6, 0xff, v4
	s_delay_alu instid0(VALU_DEP_1)
	v_cmp_ne_u32_e32 vcc_lo, 0, v6
	s_cbranch_vccz .LBB7_295
.LBB7_291:                              ;   in Loop: Header=BB7_292 Depth=2
	s_and_b32 s43, exec_lo, s43
	s_delay_alu instid0(SALU_CYCLE_1) | instskip(SKIP_2) | instid1(SALU_CYCLE_1)
	s_or_b32 s29, s43, s29
	s_and_not1_b32 s43, s44, exec_lo
	s_and_b32 s42, s42, exec_lo
	s_or_b32 s44, s43, s42
	s_and_not1_b32 exec_lo, exec_lo, s29
	s_cbranch_execz .LBB7_296
.LBB7_292:                              ;   Parent Loop BB7_6 Depth=1
                                        ; =>  This Inner Loop Header: Depth=2
	s_mov_b32 s45, exec_lo
	s_delay_alu instid0(VALU_DEP_1)
	v_cmpx_gt_u32_e64 s30, v3
	s_cbranch_execz .LBB7_290
; %bb.293:                              ;   in Loop: Header=BB7_292 Depth=2
	ds_load_u8 v4, v3
	s_wait_dscnt 0x0
	v_bitop3_b32 v6, v4, 0xff, v39 bitop3:0x80
	s_delay_alu instid0(VALU_DEP_1)
	v_cmp_eq_u32_e32 vcc_lo, v6, v32
	s_and_b32 exec_lo, exec_lo, vcc_lo
	s_cbranch_execz .LBB7_290
; %bb.294:                              ;   in Loop: Header=BB7_292 Depth=2
	v_lshlrev_b16 v4, 8, v4
	s_delay_alu instid0(VALU_DEP_1)
	v_or_b32_e32 v4, 1, v4
	ds_store_b16 v25, v4 offset:3072
	s_branch .LBB7_290
.LBB7_295:                              ;   in Loop: Header=BB7_292 Depth=2
	v_add_nc_u32_e32 v3, s41, v3
	s_mov_b32 s42, 0
	s_delay_alu instid0(VALU_DEP_1)
	v_cmp_le_u32_e32 vcc_lo, s34, v3
	s_or_not1_b32 s43, vcc_lo, exec_lo
	s_branch .LBB7_291
.LBB7_296:                              ;   in Loop: Header=BB7_6 Depth=1
	s_or_b32 exec_lo, exec_lo, s29
	v_and_b32_e32 v3, 0xffff, v4
	s_and_b32 s29, s44, exec_lo
	s_delay_alu instid0(VALU_DEP_1)
	v_lshrrev_b32_e32 v40, 8, v3
.LBB7_297:                              ;   in Loop: Header=BB7_6 Depth=1
	s_or_b32 exec_lo, exec_lo, s33
.LBB7_298:                              ;   in Loop: Header=BB7_6 Depth=1
	s_delay_alu instid0(SALU_CYCLE_1)
	s_and_b32 vcc_lo, exec_lo, s31
	s_cbranch_vccz .LBB7_309
; %bb.299:                              ;   in Loop: Header=BB7_6 Depth=1
                                        ; implicit-def: $vgpr40
	s_and_saveexec_b32 s22, s13
	s_cbranch_execz .LBB7_308
; %bb.300:                              ;   in Loop: Header=BB7_6 Depth=1
	v_dual_mov_b32 v3, v22 :: v_dual_mov_b32 v4, v0
	s_mov_b32 s25, 0
                                        ; implicit-def: $sgpr30
	s_branch .LBB7_303
.LBB7_301:                              ;   in Loop: Header=BB7_303 Depth=2
	s_or_b32 exec_lo, exec_lo, s31
	s_wait_dscnt 0x0
	s_barrier_signal -1
	s_barrier_wait -1
	ds_load_u16 v6, v25 offset:3072
	s_mov_b32 s31, -1
	s_mov_b32 s33, -1
	s_wait_dscnt 0x0
	s_barrier_signal -1
	s_barrier_wait -1
	v_and_b32_e32 v7, 0xff, v6
	s_delay_alu instid0(VALU_DEP_1)
	v_cmp_eq_u32_e32 vcc_lo, 0, v7
	s_cbranch_vccnz .LBB7_306
.LBB7_302:                              ;   in Loop: Header=BB7_303 Depth=2
	s_and_b32 s31, exec_lo, s31
	s_delay_alu instid0(SALU_CYCLE_1) | instskip(SKIP_2) | instid1(SALU_CYCLE_1)
	s_or_b32 s25, s31, s25
	s_and_not1_b32 s30, s30, exec_lo
	s_and_b32 s31, s33, exec_lo
	s_or_b32 s30, s30, s31
	s_and_not1_b32 exec_lo, exec_lo, s25
	s_cbranch_execz .LBB7_307
.LBB7_303:                              ;   Parent Loop BB7_6 Depth=1
                                        ; =>  This Inner Loop Header: Depth=2
	s_mov_b32 s31, exec_lo
	s_delay_alu instid0(VALU_DEP_1)
	v_cmpx_gt_u32_e64 s36, v4
	s_cbranch_execz .LBB7_301
; %bb.304:                              ;   in Loop: Header=BB7_303 Depth=2
	global_load_u8 v6, v3, s[38:39]
	s_wait_loadcnt 0x0
	v_bitop3_b32 v7, v6, 0xff, v39 bitop3:0x80
	s_delay_alu instid0(VALU_DEP_1)
	v_cmp_eq_u32_e32 vcc_lo, v7, v32
	s_and_b32 exec_lo, exec_lo, vcc_lo
	s_cbranch_execz .LBB7_301
; %bb.305:                              ;   in Loop: Header=BB7_303 Depth=2
	v_lshlrev_b16 v6, 8, v6
	s_delay_alu instid0(VALU_DEP_1)
	v_or_b32_e32 v6, 1, v6
	ds_store_b16 v25, v6 offset:3072
	s_branch .LBB7_301
.LBB7_306:                              ;   in Loop: Header=BB7_303 Depth=2
	v_dual_add_nc_u32 v4, s41, v4 :: v_dual_add_nc_u32 v3, s50, v3
	s_mov_b32 s33, 0
	s_delay_alu instid0(VALU_DEP_1)
	v_cmp_le_u32_e32 vcc_lo, s87, v4
	s_or_not1_b32 s31, vcc_lo, exec_lo
	s_branch .LBB7_302
.LBB7_307:                              ;   in Loop: Header=BB7_6 Depth=1
	s_or_b32 exec_lo, exec_lo, s25
	v_and_b32_e32 v3, 0xffff, v6
	s_and_not1_b32 s25, s29, exec_lo
	s_and_b32 s29, s30, exec_lo
	s_delay_alu instid0(SALU_CYCLE_1) | instskip(NEXT) | instid1(VALU_DEP_1)
	s_or_b32 s29, s25, s29
	v_lshrrev_b32_e32 v40, 8, v3
.LBB7_308:                              ;   in Loop: Header=BB7_6 Depth=1
	s_or_b32 exec_lo, exec_lo, s22
	s_mov_b32 s22, 0
	s_mov_b32 s25, -1
.LBB7_309:                              ;   in Loop: Header=BB7_6 Depth=1
	s_or_not1_b32 s29, s29, exec_lo
.LBB7_310:                              ;   in Loop: Header=BB7_6 Depth=1
	s_or_b32 exec_lo, exec_lo, s27
	s_mov_b32 s30, 0
	s_and_saveexec_b32 s27, s29
	s_cbranch_execz .LBB7_399
; %bb.311:                              ;   in Loop: Header=BB7_6 Depth=1
	v_dual_mov_b32 v3, 1 :: v_dual_mov_b32 v2, 1
	s_xor_b32 s29, s28, -1
	s_mov_b32 s31, 0
	s_and_saveexec_b32 s28, s29
	s_cbranch_execz .LBB7_320
; %bb.312:                              ;   in Loop: Header=BB7_6 Depth=1
	s_mov_b32 s29, exec_lo
	v_cmpx_ge_u32_e64 s21, v5
	s_xor_b32 s29, exec_lo, s29
	s_cbranch_execz .LBB7_317
; %bb.313:                              ;   in Loop: Header=BB7_6 Depth=1
	ds_load_b32 v2, v25 offset:4096
	s_lshl_b32 s30, 2, s95
	v_or_b32_e32 v39, s18, v39
	v_and_or_b32 v32, v32, s19, s30
	s_wait_dscnt 0x0
	v_cmp_ne_u32_e32 vcc_lo, 0, v2
	s_cbranch_vccnz .LBB7_317
; %bb.314:                              ;   in Loop: Header=BB7_6 Depth=1
	s_and_saveexec_b32 s30, s5
; %bb.315:                              ;   in Loop: Header=BB7_6 Depth=1
	v_mov_b32_e32 v2, s21
	ds_store_b32 v25, v2 offset:4100
; %bb.316:                              ;   in Loop: Header=BB7_6 Depth=1
	s_or_b32 exec_lo, exec_lo, s30
	s_wait_dscnt 0x0
	s_barrier_signal -1
	s_barrier_wait -1
.LBB7_317:                              ;   in Loop: Header=BB7_6 Depth=1
	s_or_saveexec_b32 s29, s29
	v_mov_b32_e32 v2, 5
	s_mov_b32 s30, 0
	s_xor_b32 exec_lo, exec_lo, s29
; %bb.318:                              ;   in Loop: Header=BB7_6 Depth=1
	v_subrev_nc_u32_e32 v5, s21, v5
	v_mov_b32_e32 v2, 0
	s_mov_b32 s30, exec_lo
; %bb.319:                              ;   in Loop: Header=BB7_6 Depth=1
	s_or_b32 exec_lo, exec_lo, s29
	s_delay_alu instid0(VALU_DEP_2)
	v_mov_b32_e32 v3, v5
	s_and_b32 s31, s30, exec_lo
.LBB7_320:                              ;   in Loop: Header=BB7_6 Depth=1
	s_or_b32 exec_lo, exec_lo, s28
	s_mov_b32 s30, -1
                                        ; implicit-def: $sgpr28
                                        ; implicit-def: $sgpr29
	s_and_saveexec_b32 s21, s31
	s_cbranch_execz .LBB7_398
; %bb.321:                              ;   in Loop: Header=BB7_6 Depth=1
	v_cmp_eq_u32_e32 vcc_lo, 1, v3
	s_cmp_eq_u32 s20, 1
	s_mov_b32 s33, -1
	s_cselect_b32 s28, -1, 0
                                        ; implicit-def: $sgpr29
	s_delay_alu instid0(SALU_CYCLE_1) | instskip(NEXT) | instid1(SALU_CYCLE_1)
	s_and_b32 s31, s28, vcc_lo
                                        ; implicit-def: $sgpr28
	s_and_saveexec_b32 s30, s31
	s_cbranch_execz .LBB7_347
; %bb.322:                              ;   in Loop: Header=BB7_6 Depth=1
	ds_load_b32 v4, v25 offset:4096
	s_wait_dscnt 0x0
	s_barrier_signal -1
	s_barrier_wait -1
	v_readfirstlane_b32 s34, v4
	s_and_saveexec_b32 s28, s6
; %bb.323:                              ;   in Loop: Header=BB7_6 Depth=1
	ds_store_b8 v0, v25 offset:3072
; %bb.324:                              ;   in Loop: Header=BB7_6 Depth=1
	s_or_b32 exec_lo, exec_lo, s28
	s_lshl_b32 s28, 1, s95
	v_or_b32_e32 v39, s18, v39
	v_and_or_b32 v32, v32, s19, s28
	s_mov_b32 s28, -1
	s_mov_b32 s29, 0
	s_cmp_eq_u32 s34, 0
	s_mov_b32 s33, 0
	s_mov_b32 s44, -1
	s_wait_dscnt 0x0
	s_barrier_signal -1
	s_barrier_wait -1
                                        ; implicit-def: $vgpr40
	s_cbranch_scc1 .LBB7_335
; %bb.325:                              ;   in Loop: Header=BB7_6 Depth=1
	s_add_co_i32 s54, s34, s70
	s_mov_b32 s44, 0
	s_mul_u64 s[42:43], s[54:55], s[60:61]
	s_mov_b32 s45, exec_lo
	s_mul_i32 s33, s43, s41
                                        ; implicit-def: $vgpr40
	s_delay_alu instid0(SALU_CYCLE_1) | instskip(NEXT) | instid1(SALU_CYCLE_1)
	s_sub_co_i32 s33, s54, s33
	s_sub_co_i32 s42, s33, s41
	s_cmp_ge_u32 s33, s41
	s_cselect_b32 s33, s42, s33
	s_delay_alu instid0(SALU_CYCLE_1) | instskip(SKIP_2) | instid1(SALU_CYCLE_1)
	s_sub_co_i32 s42, s33, s41
	s_cmp_ge_u32 s33, s41
	s_cselect_b32 s33, s42, s33
	s_sub_co_i32 s46, s54, s33
	s_mov_b32 s33, 0
	v_cmpx_gt_u32_e64 s46, v0
	s_cbranch_execz .LBB7_334
; %bb.326:                              ;   in Loop: Header=BB7_6 Depth=1
	v_mov_b32_e32 v4, v0
                                        ; implicit-def: $sgpr47
	s_branch .LBB7_329
.LBB7_327:                              ;   in Loop: Header=BB7_329 Depth=2
	s_or_b32 exec_lo, exec_lo, s48
	s_wait_dscnt 0x0
	s_barrier_signal -1
	s_barrier_wait -1
	ds_load_u16 v5, v25 offset:3072
	s_mov_b32 s43, -1
	s_mov_b32 s42, -1
	s_wait_dscnt 0x0
	s_barrier_signal -1
	s_barrier_wait -1
	v_and_b32_e32 v6, 0xff, v5
	s_delay_alu instid0(VALU_DEP_1)
	v_cmp_ne_u32_e32 vcc_lo, 0, v6
	s_cbranch_vccz .LBB7_332
.LBB7_328:                              ;   in Loop: Header=BB7_329 Depth=2
	s_and_b32 s43, exec_lo, s43
	s_delay_alu instid0(SALU_CYCLE_1) | instskip(SKIP_2) | instid1(SALU_CYCLE_1)
	s_or_b32 s33, s43, s33
	s_and_not1_b32 s43, s47, exec_lo
	s_and_b32 s42, s42, exec_lo
	s_or_b32 s47, s43, s42
	s_and_not1_b32 exec_lo, exec_lo, s33
	s_cbranch_execz .LBB7_333
.LBB7_329:                              ;   Parent Loop BB7_6 Depth=1
                                        ; =>  This Inner Loop Header: Depth=2
	s_mov_b32 s48, exec_lo
	s_delay_alu instid0(VALU_DEP_1)
	v_cmpx_gt_u32_e64 s34, v4
	s_cbranch_execz .LBB7_327
; %bb.330:                              ;   in Loop: Header=BB7_329 Depth=2
	ds_load_u8 v5, v4
	s_wait_dscnt 0x0
	v_bitop3_b32 v6, v5, 0xff, v39 bitop3:0x80
	s_delay_alu instid0(VALU_DEP_1)
	v_cmp_eq_u32_e32 vcc_lo, v6, v32
	s_and_b32 exec_lo, exec_lo, vcc_lo
	s_cbranch_execz .LBB7_327
; %bb.331:                              ;   in Loop: Header=BB7_329 Depth=2
	v_lshlrev_b16 v5, 8, v5
	s_delay_alu instid0(VALU_DEP_1)
	v_or_b32_e32 v5, 1, v5
	ds_store_b16 v25, v5 offset:3072
	s_branch .LBB7_327
.LBB7_332:                              ;   in Loop: Header=BB7_329 Depth=2
	v_add_nc_u32_e32 v4, s41, v4
	s_mov_b32 s42, 0
	s_delay_alu instid0(VALU_DEP_1)
	v_cmp_le_u32_e32 vcc_lo, s46, v4
	s_or_not1_b32 s43, vcc_lo, exec_lo
	s_branch .LBB7_328
.LBB7_333:                              ;   in Loop: Header=BB7_6 Depth=1
	s_or_b32 exec_lo, exec_lo, s33
	v_and_b32_e32 v4, 0xffff, v5
	s_and_b32 s33, s47, exec_lo
	s_delay_alu instid0(VALU_DEP_1)
	v_lshrrev_b32_e32 v40, 8, v4
.LBB7_334:                              ;   in Loop: Header=BB7_6 Depth=1
	s_or_b32 exec_lo, exec_lo, s45
.LBB7_335:                              ;   in Loop: Header=BB7_6 Depth=1
	s_delay_alu instid0(SALU_CYCLE_1)
	s_and_b32 vcc_lo, exec_lo, s44
	s_cbranch_vccz .LBB7_346
; %bb.336:                              ;   in Loop: Header=BB7_6 Depth=1
                                        ; implicit-def: $vgpr40
	s_and_saveexec_b32 s28, s13
	s_cbranch_execz .LBB7_345
; %bb.337:                              ;   in Loop: Header=BB7_6 Depth=1
	v_dual_mov_b32 v4, v22 :: v_dual_mov_b32 v5, v0
	s_mov_b32 s29, 0
                                        ; implicit-def: $sgpr34
	s_branch .LBB7_340
.LBB7_338:                              ;   in Loop: Header=BB7_340 Depth=2
	s_or_b32 exec_lo, exec_lo, s44
	s_wait_dscnt 0x0
	s_barrier_signal -1
	s_barrier_wait -1
	ds_load_u16 v6, v25 offset:3072
	s_mov_b32 s42, -1
	s_mov_b32 s43, -1
	s_wait_dscnt 0x0
	s_barrier_signal -1
	s_barrier_wait -1
	v_and_b32_e32 v7, 0xff, v6
	s_delay_alu instid0(VALU_DEP_1)
	v_cmp_eq_u32_e32 vcc_lo, 0, v7
	s_cbranch_vccnz .LBB7_343
.LBB7_339:                              ;   in Loop: Header=BB7_340 Depth=2
	s_and_b32 s42, exec_lo, s42
	s_delay_alu instid0(SALU_CYCLE_1) | instskip(SKIP_2) | instid1(SALU_CYCLE_1)
	s_or_b32 s29, s42, s29
	s_and_not1_b32 s34, s34, exec_lo
	s_and_b32 s42, s43, exec_lo
	s_or_b32 s34, s34, s42
	s_and_not1_b32 exec_lo, exec_lo, s29
	s_cbranch_execz .LBB7_344
.LBB7_340:                              ;   Parent Loop BB7_6 Depth=1
                                        ; =>  This Inner Loop Header: Depth=2
	s_mov_b32 s44, exec_lo
	s_delay_alu instid0(VALU_DEP_1)
	v_cmpx_gt_u32_e64 s36, v5
	s_cbranch_execz .LBB7_338
; %bb.341:                              ;   in Loop: Header=BB7_340 Depth=2
	global_load_u8 v6, v4, s[38:39]
	s_wait_loadcnt 0x0
	v_bitop3_b32 v7, v6, 0xff, v39 bitop3:0x80
	s_delay_alu instid0(VALU_DEP_1)
	v_cmp_eq_u32_e32 vcc_lo, v7, v32
	s_and_b32 exec_lo, exec_lo, vcc_lo
	s_cbranch_execz .LBB7_338
; %bb.342:                              ;   in Loop: Header=BB7_340 Depth=2
	v_lshlrev_b16 v6, 8, v6
	s_delay_alu instid0(VALU_DEP_1)
	v_or_b32_e32 v6, 1, v6
	ds_store_b16 v25, v6 offset:3072
	s_branch .LBB7_338
.LBB7_343:                              ;   in Loop: Header=BB7_340 Depth=2
	v_dual_add_nc_u32 v5, s41, v5 :: v_dual_add_nc_u32 v4, s50, v4
	s_mov_b32 s43, 0
	s_delay_alu instid0(VALU_DEP_1)
	v_cmp_le_u32_e32 vcc_lo, s87, v5
	s_or_not1_b32 s42, vcc_lo, exec_lo
	s_branch .LBB7_339
.LBB7_344:                              ;   in Loop: Header=BB7_6 Depth=1
	s_or_b32 exec_lo, exec_lo, s29
	v_and_b32_e32 v4, 0xffff, v6
	s_and_not1_b32 s29, s33, exec_lo
	s_and_b32 s33, s34, exec_lo
	s_delay_alu instid0(SALU_CYCLE_1) | instskip(NEXT) | instid1(VALU_DEP_1)
	s_or_b32 s33, s29, s33
	v_lshrrev_b32_e32 v40, 8, v4
.LBB7_345:                              ;   in Loop: Header=BB7_6 Depth=1
	s_or_b32 exec_lo, exec_lo, s28
	s_mov_b32 s28, 0
	s_mov_b32 s29, -1
.LBB7_346:                              ;   in Loop: Header=BB7_6 Depth=1
	s_or_not1_b32 s33, s33, exec_lo
.LBB7_347:                              ;   in Loop: Header=BB7_6 Depth=1
	s_or_b32 exec_lo, exec_lo, s30
	s_mov_b32 s34, 0
	s_and_saveexec_b32 s30, s33
	s_cbranch_execz .LBB7_397
; %bb.348:                              ;   in Loop: Header=BB7_6 Depth=1
	v_dual_mov_b32 v4, 1 :: v_dual_mov_b32 v2, 1
	s_xor_b32 s33, s31, -1
	s_mov_b32 s44, 0
	s_and_saveexec_b32 s31, s33
	s_cbranch_execz .LBB7_357
; %bb.349:                              ;   in Loop: Header=BB7_6 Depth=1
	s_mov_b32 s33, exec_lo
	v_cmpx_ge_u32_e64 s20, v3
	s_xor_b32 s33, exec_lo, s33
	s_cbranch_execz .LBB7_354
; %bb.350:                              ;   in Loop: Header=BB7_6 Depth=1
	ds_load_b32 v2, v25 offset:4096
	s_lshl_b32 s34, 1, s95
	v_or_b32_e32 v39, s18, v39
	v_and_or_b32 v32, v32, s19, s34
	s_wait_dscnt 0x0
	v_cmp_ne_u32_e32 vcc_lo, 0, v2
	s_cbranch_vccnz .LBB7_354
; %bb.351:                              ;   in Loop: Header=BB7_6 Depth=1
	s_and_saveexec_b32 s34, s5
; %bb.352:                              ;   in Loop: Header=BB7_6 Depth=1
	v_mov_b32_e32 v2, s20
	ds_store_b32 v25, v2 offset:4100
; %bb.353:                              ;   in Loop: Header=BB7_6 Depth=1
	s_or_b32 exec_lo, exec_lo, s34
	s_wait_dscnt 0x0
	s_barrier_signal -1
	s_barrier_wait -1
.LBB7_354:                              ;   in Loop: Header=BB7_6 Depth=1
	s_or_saveexec_b32 s33, s33
	v_mov_b32_e32 v2, 5
	s_mov_b32 s34, 0
	s_xor_b32 exec_lo, exec_lo, s33
; %bb.355:                              ;   in Loop: Header=BB7_6 Depth=1
	v_subrev_nc_u32_e32 v3, s20, v3
	v_mov_b32_e32 v2, 0
	s_mov_b32 s34, exec_lo
; %bb.356:                              ;   in Loop: Header=BB7_6 Depth=1
	s_or_b32 exec_lo, exec_lo, s33
	s_delay_alu instid0(VALU_DEP_2)
	v_mov_b32_e32 v4, v3
	s_and_b32 s44, s34, exec_lo
.LBB7_357:                              ;   in Loop: Header=BB7_6 Depth=1
	s_or_b32 exec_lo, exec_lo, s31
	s_mov_b32 s33, -1
                                        ; implicit-def: $sgpr34
                                        ; implicit-def: $sgpr31
	s_and_saveexec_b32 s20, s44
	s_cbranch_execz .LBB7_396
; %bb.358:                              ;   in Loop: Header=BB7_6 Depth=1
	v_cmp_eq_u32_e32 vcc_lo, 1, v4
	s_cmp_eq_u32 s17, 1
	s_mov_b32 s45, -1
	s_cselect_b32 s31, -1, 0
                                        ; implicit-def: $sgpr34
	s_delay_alu instid0(SALU_CYCLE_1) | instskip(NEXT) | instid1(SALU_CYCLE_1)
	s_and_b32 s33, s31, vcc_lo
                                        ; implicit-def: $sgpr31
	s_and_saveexec_b32 s102, s33
	s_cbranch_execz .LBB7_384
; %bb.359:                              ;   in Loop: Header=BB7_6 Depth=1
	ds_load_b32 v3, v25 offset:4096
	s_wait_dscnt 0x0
	s_barrier_signal -1
	s_barrier_wait -1
	v_readfirstlane_b32 s45, v3
	s_and_saveexec_b32 s31, s6
; %bb.360:                              ;   in Loop: Header=BB7_6 Depth=1
	ds_store_b8 v0, v25 offset:3072
; %bb.361:                              ;   in Loop: Header=BB7_6 Depth=1
	s_or_b32 exec_lo, exec_lo, s31
	v_and_b32_e32 v32, s19, v32
	v_or_b32_e32 v39, s18, v39
	s_mov_b32 s31, -1
	s_mov_b32 s34, 0
	s_cmp_eq_u32 s45, 0
	s_mov_b32 s44, 0
	s_mov_b32 s46, -1
	s_wait_dscnt 0x0
	s_barrier_signal -1
	s_barrier_wait -1
                                        ; implicit-def: $vgpr40
	s_cbranch_scc1 .LBB7_372
; %bb.362:                              ;   in Loop: Header=BB7_6 Depth=1
	s_add_co_i32 s54, s45, s70
	s_mov_b32 s46, 0
	s_mul_u64 s[42:43], s[54:55], s[60:61]
	s_mov_b32 s47, exec_lo
	s_mul_i32 s42, s43, s41
                                        ; implicit-def: $vgpr40
	s_delay_alu instid0(SALU_CYCLE_1) | instskip(NEXT) | instid1(SALU_CYCLE_1)
	s_sub_co_i32 s42, s54, s42
	s_sub_co_i32 s43, s42, s41
	s_cmp_ge_u32 s42, s41
	s_cselect_b32 s42, s43, s42
	s_delay_alu instid0(SALU_CYCLE_1) | instskip(SKIP_2) | instid1(SALU_CYCLE_1)
	s_sub_co_i32 s43, s42, s41
	s_cmp_ge_u32 s42, s41
	s_cselect_b32 s42, s43, s42
	s_sub_co_i32 s54, s54, s42
	s_delay_alu instid0(SALU_CYCLE_1)
	v_cmpx_gt_u32_e64 s54, v0
	s_cbranch_execz .LBB7_371
; %bb.363:                              ;   in Loop: Header=BB7_6 Depth=1
	v_mov_b32_e32 v3, v0
                                        ; implicit-def: $sgpr48
	s_branch .LBB7_366
.LBB7_364:                              ;   in Loop: Header=BB7_366 Depth=2
	s_or_b32 exec_lo, exec_lo, s49
	s_wait_dscnt 0x0
	s_barrier_signal -1
	s_barrier_wait -1
	ds_load_u16 v5, v25 offset:3072
	s_mov_b32 s43, -1
	s_mov_b32 s42, -1
	s_wait_dscnt 0x0
	s_barrier_signal -1
	s_barrier_wait -1
	v_and_b32_e32 v6, 0xff, v5
	s_delay_alu instid0(VALU_DEP_1)
	v_cmp_ne_u32_e32 vcc_lo, 0, v6
	s_cbranch_vccz .LBB7_369
.LBB7_365:                              ;   in Loop: Header=BB7_366 Depth=2
	s_and_b32 s43, exec_lo, s43
	s_delay_alu instid0(SALU_CYCLE_1) | instskip(SKIP_2) | instid1(SALU_CYCLE_1)
	s_or_b32 s44, s43, s44
	s_and_not1_b32 s43, s48, exec_lo
	s_and_b32 s42, s42, exec_lo
	s_or_b32 s48, s43, s42
	s_and_not1_b32 exec_lo, exec_lo, s44
	s_cbranch_execz .LBB7_370
.LBB7_366:                              ;   Parent Loop BB7_6 Depth=1
                                        ; =>  This Inner Loop Header: Depth=2
	s_mov_b32 s49, exec_lo
	s_delay_alu instid0(VALU_DEP_1)
	v_cmpx_gt_u32_e64 s45, v3
	s_cbranch_execz .LBB7_364
; %bb.367:                              ;   in Loop: Header=BB7_366 Depth=2
	ds_load_u8 v5, v3
	s_wait_dscnt 0x0
	v_bitop3_b32 v6, v5, 0xff, v39 bitop3:0x80
	s_delay_alu instid0(VALU_DEP_1)
	v_cmp_eq_u32_e32 vcc_lo, v6, v32
	s_and_b32 exec_lo, exec_lo, vcc_lo
	s_cbranch_execz .LBB7_364
; %bb.368:                              ;   in Loop: Header=BB7_366 Depth=2
	v_lshlrev_b16 v5, 8, v5
	s_delay_alu instid0(VALU_DEP_1)
	v_or_b32_e32 v5, 1, v5
	ds_store_b16 v25, v5 offset:3072
	s_branch .LBB7_364
.LBB7_369:                              ;   in Loop: Header=BB7_366 Depth=2
	v_add_nc_u32_e32 v3, s41, v3
	s_mov_b32 s42, 0
	s_delay_alu instid0(VALU_DEP_1)
	v_cmp_le_u32_e32 vcc_lo, s54, v3
	s_or_not1_b32 s43, vcc_lo, exec_lo
	s_branch .LBB7_365
.LBB7_370:                              ;   in Loop: Header=BB7_6 Depth=1
	s_or_b32 exec_lo, exec_lo, s44
	v_and_b32_e32 v3, 0xffff, v5
	s_and_b32 s44, s48, exec_lo
	s_delay_alu instid0(VALU_DEP_1)
	v_lshrrev_b32_e32 v40, 8, v3
.LBB7_371:                              ;   in Loop: Header=BB7_6 Depth=1
	s_or_b32 exec_lo, exec_lo, s47
.LBB7_372:                              ;   in Loop: Header=BB7_6 Depth=1
	s_delay_alu instid0(SALU_CYCLE_1)
	s_and_b32 vcc_lo, exec_lo, s46
	s_cbranch_vccz .LBB7_383
; %bb.373:                              ;   in Loop: Header=BB7_6 Depth=1
                                        ; implicit-def: $vgpr40
	s_and_saveexec_b32 s31, s13
	s_cbranch_execz .LBB7_382
; %bb.374:                              ;   in Loop: Header=BB7_6 Depth=1
	v_dual_mov_b32 v3, v22 :: v_dual_mov_b32 v5, v0
	s_mov_b32 s34, 0
                                        ; implicit-def: $sgpr45
	s_branch .LBB7_377
.LBB7_375:                              ;   in Loop: Header=BB7_377 Depth=2
	s_or_b32 exec_lo, exec_lo, s46
	s_wait_dscnt 0x0
	s_barrier_signal -1
	s_barrier_wait -1
	ds_load_u16 v6, v25 offset:3072
	s_mov_b32 s42, -1
	s_mov_b32 s43, -1
	s_wait_dscnt 0x0
	s_barrier_signal -1
	s_barrier_wait -1
	v_and_b32_e32 v7, 0xff, v6
	s_delay_alu instid0(VALU_DEP_1)
	v_cmp_eq_u32_e32 vcc_lo, 0, v7
	s_cbranch_vccnz .LBB7_380
.LBB7_376:                              ;   in Loop: Header=BB7_377 Depth=2
	s_and_b32 s42, exec_lo, s42
	s_delay_alu instid0(SALU_CYCLE_1) | instskip(SKIP_2) | instid1(SALU_CYCLE_1)
	s_or_b32 s34, s42, s34
	s_and_not1_b32 s42, s45, exec_lo
	s_and_b32 s43, s43, exec_lo
	s_or_b32 s45, s42, s43
	s_and_not1_b32 exec_lo, exec_lo, s34
	s_cbranch_execz .LBB7_381
.LBB7_377:                              ;   Parent Loop BB7_6 Depth=1
                                        ; =>  This Inner Loop Header: Depth=2
	s_mov_b32 s46, exec_lo
	s_delay_alu instid0(VALU_DEP_1)
	v_cmpx_gt_u32_e64 s36, v5
	s_cbranch_execz .LBB7_375
; %bb.378:                              ;   in Loop: Header=BB7_377 Depth=2
	global_load_u8 v6, v3, s[38:39]
	s_wait_loadcnt 0x0
	v_bitop3_b32 v7, v6, 0xff, v39 bitop3:0x80
	s_delay_alu instid0(VALU_DEP_1)
	v_cmp_eq_u32_e32 vcc_lo, v7, v32
	s_and_b32 exec_lo, exec_lo, vcc_lo
	s_cbranch_execz .LBB7_375
; %bb.379:                              ;   in Loop: Header=BB7_377 Depth=2
	v_lshlrev_b16 v6, 8, v6
	s_delay_alu instid0(VALU_DEP_1)
	v_or_b32_e32 v6, 1, v6
	ds_store_b16 v25, v6 offset:3072
	s_branch .LBB7_375
.LBB7_380:                              ;   in Loop: Header=BB7_377 Depth=2
	v_dual_add_nc_u32 v5, s41, v5 :: v_dual_add_nc_u32 v3, s50, v3
	s_mov_b32 s43, 0
	s_delay_alu instid0(VALU_DEP_1)
	v_cmp_le_u32_e32 vcc_lo, s87, v5
	s_or_not1_b32 s42, vcc_lo, exec_lo
	s_branch .LBB7_376
.LBB7_381:                              ;   in Loop: Header=BB7_6 Depth=1
	s_or_b32 exec_lo, exec_lo, s34
	v_and_b32_e32 v3, 0xffff, v6
	s_and_not1_b32 s34, s44, exec_lo
	s_and_b32 s42, s45, exec_lo
	s_delay_alu instid0(SALU_CYCLE_1) | instskip(NEXT) | instid1(VALU_DEP_1)
	s_or_b32 s44, s34, s42
	v_lshrrev_b32_e32 v40, 8, v3
.LBB7_382:                              ;   in Loop: Header=BB7_6 Depth=1
	s_or_b32 exec_lo, exec_lo, s31
	s_mov_b32 s31, 0
	s_mov_b32 s34, -1
.LBB7_383:                              ;   in Loop: Header=BB7_6 Depth=1
	s_or_not1_b32 s45, s44, exec_lo
.LBB7_384:                              ;   in Loop: Header=BB7_6 Depth=1
	s_or_b32 exec_lo, exec_lo, s102
	s_mov_b32 s46, 0
	s_and_saveexec_b32 s44, s45
	s_cbranch_execz .LBB7_395
; %bb.385:                              ;   in Loop: Header=BB7_6 Depth=1
	v_dual_mov_b32 v2, 1 :: v_dual_mov_b32 v3, 1
	s_xor_b32 s42, s33, -1
	s_delay_alu instid0(SALU_CYCLE_1)
	s_and_saveexec_b32 s33, s42
	s_cbranch_execz .LBB7_394
; %bb.386:                              ;   in Loop: Header=BB7_6 Depth=1
	s_mov_b32 s42, exec_lo
	v_cmpx_ge_u32_e64 s17, v4
	s_xor_b32 s45, exec_lo, s42
	s_cbranch_execz .LBB7_391
; %bb.387:                              ;   in Loop: Header=BB7_6 Depth=1
	ds_load_b32 v2, v25 offset:4096
	v_and_b32_e32 v32, s19, v32
	v_or_b32_e32 v39, s18, v39
	s_wait_dscnt 0x0
	v_cmp_ne_u32_e32 vcc_lo, 0, v2
	s_cbranch_vccnz .LBB7_391
; %bb.388:                              ;   in Loop: Header=BB7_6 Depth=1
	s_and_saveexec_b32 s18, s5
; %bb.389:                              ;   in Loop: Header=BB7_6 Depth=1
	v_mov_b32_e32 v2, s17
	ds_store_b32 v25, v2 offset:4100
; %bb.390:                              ;   in Loop: Header=BB7_6 Depth=1
	s_or_b32 exec_lo, exec_lo, s18
	s_wait_dscnt 0x0
	s_barrier_signal -1
	s_barrier_wait -1
.LBB7_391:                              ;   in Loop: Header=BB7_6 Depth=1
	s_and_not1_saveexec_b32 s18, s45
; %bb.392:                              ;   in Loop: Header=BB7_6 Depth=1
	v_subrev_nc_u32_e32 v4, s17, v4
; %bb.393:                              ;   in Loop: Header=BB7_6 Depth=1
	s_or_b32 exec_lo, exec_lo, s18
	s_delay_alu instid0(VALU_DEP_1)
	v_dual_mov_b32 v2, 5 :: v_dual_mov_b32 v3, v4
.LBB7_394:                              ;   in Loop: Header=BB7_6 Depth=1
	s_or_b32 exec_lo, exec_lo, s33
	s_delay_alu instid0(VALU_DEP_1)
	v_mov_b32_e32 v4, v3
	s_mov_b32 s46, exec_lo
.LBB7_395:                              ;   in Loop: Header=BB7_6 Depth=1
	s_or_b32 exec_lo, exec_lo, s44
	s_delay_alu instid0(SALU_CYCLE_1)
	s_or_not1_b32 s33, s46, exec_lo
.LBB7_396:                              ;   in Loop: Header=BB7_6 Depth=1
	s_or_b32 exec_lo, exec_lo, s20
	v_mov_b32_e32 v3, v4
	s_and_not1_b32 s17, s29, exec_lo
	s_and_b32 s18, s34, exec_lo
	s_and_not1_b32 s19, s28, exec_lo
	s_and_b32 s20, s31, exec_lo
	s_or_b32 s29, s17, s18
	s_or_b32 s28, s19, s20
	s_and_b32 s34, s33, exec_lo
.LBB7_397:                              ;   in Loop: Header=BB7_6 Depth=1
	s_or_b32 exec_lo, exec_lo, s30
	s_delay_alu instid0(SALU_CYCLE_1)
	s_or_not1_b32 s30, s34, exec_lo
.LBB7_398:                              ;   in Loop: Header=BB7_6 Depth=1
	s_or_b32 exec_lo, exec_lo, s21
	v_mov_b32_e32 v5, v3
	s_and_not1_b32 s17, s25, exec_lo
	s_and_b32 s18, s29, exec_lo
	s_and_not1_b32 s19, s22, exec_lo
	s_and_b32 s20, s28, exec_lo
	s_or_b32 s25, s17, s18
	s_or_b32 s22, s19, s20
	s_and_b32 s30, s30, exec_lo
.LBB7_399:                              ;   in Loop: Header=BB7_6 Depth=1
	s_or_b32 exec_lo, exec_lo, s27
	s_delay_alu instid0(SALU_CYCLE_1)
	s_or_not1_b32 s27, s30, exec_lo
.LBB7_400:                              ;   in Loop: Header=BB7_6 Depth=1
	s_or_b32 exec_lo, exec_lo, s14
	s_mov_b32 s14, s23
	s_mov_b32 s17, s15
	s_and_saveexec_b32 s18, s27
; %bb.401:                              ;   in Loop: Header=BB7_6 Depth=1
	v_cmp_ne_u32_e32 vcc_lo, 5, v2
	v_cmp_eq_u32_e64 s14, 5, v2
	s_and_not1_b32 s17, s15, exec_lo
	s_and_not1_b32 s19, s23, exec_lo
	s_and_b32 s20, vcc_lo, exec_lo
	s_and_b32 s14, s14, exec_lo
	s_or_b32 s17, s17, s20
	s_or_b32 s14, s19, s14
; %bb.402:                              ;   in Loop: Header=BB7_6 Depth=1
	s_or_b32 exec_lo, exec_lo, s18
	s_delay_alu instid0(SALU_CYCLE_1)
	s_and_not1_b32 s18, s26, exec_lo
	s_and_b32 s19, s25, exec_lo
	s_and_not1_b32 s16, s16, exec_lo
	s_and_b32 s20, s22, exec_lo
	s_or_b32 s26, s18, s19
	s_and_not1_b32 s15, s15, exec_lo
	s_and_b32 s17, s17, exec_lo
	s_and_not1_b32 s18, s23, exec_lo
	s_and_b32 s14, s14, exec_lo
	s_or_b32 s16, s16, s20
	s_or_b32 s15, s15, s17
	;; [unrolled: 1-line block ×3, first 2 shown]
.LBB7_403:                              ;   in Loop: Header=BB7_6 Depth=1
	s_or_b32 exec_lo, exec_lo, s24
	s_mov_b32 s24, 0
	s_mov_b32 s25, 0
	s_and_saveexec_b32 s14, s23
.LBB7_404:                              ;   in Loop: Header=BB7_6 Depth=1
	v_mov_b32_e32 v2, 0
	s_or_b32 s15, s15, exec_lo
.LBB7_405:                              ;   in Loop: Header=BB7_6 Depth=1
	s_or_b32 exec_lo, exec_lo, s14
	s_delay_alu instid0(SALU_CYCLE_1)
	s_and_not1_b32 s14, s99, exec_lo
	s_and_b32 s18, s26, exec_lo
	s_and_not1_b32 s19, s97, exec_lo
	s_and_b32 s16, s16, exec_lo
	v_mov_b32_e32 v41, v5
	s_or_b32 s99, s14, s18
	s_or_b32 s97, s19, s16
	s_and_not1_b32 s14, s101, exec_lo
	s_and_b32 s16, s25, exec_lo
	s_and_not1_b32 s18, s100, exec_lo
	s_and_b32 s19, s24, exec_lo
	s_mov_b32 s17, -1
	s_and_not1_b32 s98, s98, exec_lo
	s_or_b32 s101, s14, s16
	s_or_b32 s100, s18, s19
	s_and_saveexec_b32 s14, s15
	s_delay_alu instid0(SALU_CYCLE_1)
	s_xor_b32 s14, exec_lo, s14
	s_cbranch_execz .LBB7_5
; %bb.406:                              ;   in Loop: Header=BB7_6 Depth=1
	s_mov_b32 s15, -1
	s_mov_b32 s16, -1
	s_mov_b32 s17, exec_lo
	v_cmpx_eq_u32_e32 0, v2
	s_cbranch_execz .LBB7_4
; %bb.407:                              ;   in Loop: Header=BB7_6 Depth=1
	s_xor_b32 s91, s91, 1
	s_add_co_i32 s18, s95, -2
	s_cmp_eq_u32 s95, 0
	s_mov_b32 s95, s18
	s_cselect_b32 s15, -1, 0
	s_xor_b32 s16, exec_lo, -1
	s_or_not1_b32 s15, s15, exec_lo
	s_branch .LBB7_4
.LBB7_408:
	s_or_b32 exec_lo, exec_lo, s89
	s_xor_b32 s7, s96, -1
	s_xor_b32 s9, s93, -1
	;; [unrolled: 1-line block ×5, first 2 shown]
	s_mov_b32 s8, 0
	s_and_saveexec_b32 s12, s11
	s_delay_alu instid0(SALU_CYCLE_1)
	s_xor_b32 s12, exec_lo, s12
	s_cbranch_execnz .LBB7_413
; %bb.409:
	s_and_not1_saveexec_b32 s0, s12
	s_cbranch_execnz .LBB7_432
.LBB7_410:
	s_or_b32 exec_lo, exec_lo, s0
	s_and_saveexec_b32 s0, s8
.LBB7_411:
	; divergent unreachable
.LBB7_412:
	s_sendmsg sendmsg(MSG_DEALLOC_VGPRS)
	s_endpgm
.LBB7_413:
	s_and_saveexec_b32 s11, s10
	s_delay_alu instid0(SALU_CYCLE_1)
	s_xor_b32 s13, exec_lo, s11
	s_cbranch_execz .LBB7_430
; %bb.414:
	s_and_saveexec_b32 s10, s9
	s_delay_alu instid0(SALU_CYCLE_1)
	s_xor_b32 s14, exec_lo, s10
	s_cbranch_execz .LBB7_428
; %bb.415:
	;; [unrolled: 5-line block ×3, first 2 shown]
	s_and_saveexec_b32 s7, s6
	s_delay_alu instid0(SALU_CYCLE_1)
	s_xor_b32 s6, exec_lo, s7
; %bb.417:
	v_mov_b32_e32 v40, v32
; %bb.418:
	s_or_b32 exec_lo, exec_lo, s6
	s_and_saveexec_b32 s6, s5
; %bb.419:
	v_mov_b32_e32 v1, 0
	ds_store_b32 v1, v1 offset:4108
; %bb.420:
	s_or_b32 exec_lo, exec_lo, s6
	v_mov_b32_e32 v1, 0
	s_wait_dscnt 0x0
	s_barrier_signal -1
	s_barrier_wait -1
	s_and_saveexec_b32 s5, s4
	s_cbranch_execz .LBB7_422
; %bb.421:
	global_load_u8 v1, v[20:21], off
.LBB7_422:
	s_wait_xcnt 0x0
	s_or_b32 exec_lo, exec_lo, s5
	s_load_b64 s[10:11], s[0:1], 0x15c
	s_mul_i32 s6, s51, s64
	s_add_co_i32 s5, s36, 31
	s_sub_co_i32 s6, s40, s6
	s_and_not1_b32 s5, s5, 31
	s_add_co_i32 s7, s51, 1
	s_sub_co_i32 s8, s6, s64
	s_cmp_ge_u32 s6, s64
	s_clause 0x1
	s_load_b32 s16, s[0:1], 0x1c8
	s_load_b32 s17, s[0:1], 0x2a8
	s_cselect_b32 s7, s7, s51
	s_cselect_b32 s6, s8, s6
	s_add_co_i32 s8, s7, 1
	s_cmp_ge_u32 s6, s64
	s_mul_i32 s6, s35, s63
	s_cselect_b32 s7, s8, s7
	s_sub_co_i32 s6, s40, s6
	s_mul_i32 s8, s7, s64
	s_add_co_i32 s9, s35, 1
	s_sub_co_i32 s8, s40, s8
	v_readlane_b32 s18, v68, 2
	s_wait_kmcnt 0x0
	s_mul_i32 s7, s7, s10
	s_mul_i32 s8, s8, s11
	s_sub_co_i32 s11, s6, s63
	s_add_co_i32 s10, s7, s8
	s_cmp_ge_u32 s6, s63
	v_readlane_b32 s19, v68, 3
	s_cselect_b32 s7, s9, s35
	s_cselect_b32 s0, s11, s6
	s_add_co_i32 s1, s7, 1
	s_cmp_ge_u32 s0, s63
	v_readlane_b32 s8, v68, 0
	s_cselect_b32 s1, s1, s7
	v_readlane_b32 s9, v68, 1
	s_mul_i32 s6, s1, s63
	s_mov_b32 s11, 0
	s_sub_co_i32 s6, s40, s6
	s_mul_i32 s1, s1, s8
	s_mul_i32 s6, s6, s9
	s_mov_b32 s7, s11
	s_add_co_i32 s6, s1, s6
	v_cmp_gt_u32_e32 vcc_lo, s5, v0
	s_lshl_b64 s[8:9], s[6:7], 3
	v_readlane_b32 s6, v68, 4
	v_readlane_b32 s7, v68, 5
	s_mov_b32 s0, -1
	s_add_nc_u64 s[8:9], s[18:19], s[8:9]
	s_mov_b32 s1, 0
	s_add_nc_u64 s[6:7], s[6:7], s[10:11]
	s_and_saveexec_b32 s10, vcc_lo
	s_cbranch_execnz .LBB7_433
; %bb.423:
	s_or_b32 exec_lo, exec_lo, s10
	s_and_saveexec_b32 s3, s0
	s_cbranch_execnz .LBB7_448
.LBB7_424:
	s_or_b32 exec_lo, exec_lo, s3
	s_and_saveexec_b32 s0, s1
	s_delay_alu instid0(SALU_CYCLE_1)
	s_xor_b32 s0, exec_lo, s0
	s_cbranch_execnz .LBB7_471
.LBB7_425:
	s_or_b32 exec_lo, exec_lo, s0
	s_delay_alu instid0(SALU_CYCLE_1)
	s_and_b32 s8, s11, exec_lo
.LBB7_426:
	s_and_not1_saveexec_b32 s0, s15
	s_cbranch_execnz .LBB7_473
.LBB7_427:
	s_or_b32 exec_lo, exec_lo, s0
	s_delay_alu instid0(SALU_CYCLE_1)
	s_and_b32 s8, s8, exec_lo
.LBB7_428:
	s_and_not1_saveexec_b32 s0, s14
	s_cbranch_execnz .LBB7_472
.LBB7_429:
	s_or_b32 exec_lo, exec_lo, s0
	s_delay_alu instid0(SALU_CYCLE_1)
	s_and_b32 s8, s8, exec_lo
.LBB7_430:
	s_and_not1_saveexec_b32 s0, s13
	s_cbranch_execnz .LBB7_467
.LBB7_431:
	s_or_b32 exec_lo, exec_lo, s0
	s_delay_alu instid0(SALU_CYCLE_1)
	s_and_b32 s8, s8, exec_lo
	s_and_not1_saveexec_b32 s0, s12
	s_cbranch_execz .LBB7_410
.LBB7_432:
	s_or_b32 s8, s8, exec_lo
	s_trap 2
	s_or_b32 exec_lo, exec_lo, s0
	s_and_saveexec_b32 s0, s8
	s_cbranch_execnz .LBB7_411
	s_branch .LBB7_412
.LBB7_433:
	v_dual_mov_b32 v3, 0 :: v_dual_add_nc_u32 v2, s41, v0
	v_and_b32_e32 v5, 0xff, v40
	s_mov_b32 s18, 0
                                        ; implicit-def: $sgpr19
                                        ; implicit-def: $vgpr8
	s_delay_alu instid0(VALU_DEP_2)
	v_mul_lo_u32 v4, s62, v2
	v_mov_b32_e32 v2, v0
	s_branch .LBB7_435
.LBB7_434:                              ;   in Loop: Header=BB7_435 Depth=1
	s_or_b32 exec_lo, exec_lo, s21
	s_xor_b32 s0, s20, -1
	s_and_b32 s1, exec_lo, s1
	v_dual_mov_b32 v1, v7 :: v_dual_mov_b32 v2, v6
	s_or_b32 s18, s1, s18
	s_and_not1_b32 s1, s19, exec_lo
	s_and_b32 s0, s0, exec_lo
	s_delay_alu instid0(SALU_CYCLE_1)
	s_or_b32 s19, s1, s0
	s_and_not1_b32 exec_lo, exec_lo, s18
	s_cbranch_execz .LBB7_447
.LBB7_435:                              ; =>This Inner Loop Header: Depth=1
	s_delay_alu instid0(VALU_DEP_1) | instskip(SKIP_1) | instid1(VALU_DEP_1)
	v_dual_mov_b32 v7, 0 :: v_dual_add_nc_u32 v6, s41, v2
	s_mov_b32 s1, exec_lo
	v_cmpx_gt_u32_e64 s36, v6
	s_cbranch_execz .LBB7_437
; %bb.436:                              ;   in Loop: Header=BB7_435 Depth=1
	global_load_u8 v7, v4, s[38:39]
.LBB7_437:                              ;   in Loop: Header=BB7_435 Depth=1
	s_wait_xcnt 0x0
	s_or_b32 exec_lo, exec_lo, s1
	s_wait_loadcnt 0x0
	v_and_b32_e32 v9, 0xff, v1
	s_delay_alu instid0(VALU_DEP_1) | instskip(NEXT) | instid1(VALU_DEP_1)
	v_cmp_gt_u16_e64 s0, v9, v5
	v_cndmask_b32_e64 v10, 0, 1, s0
	v_cmp_lt_u16_e64 s0, v9, v5
	s_delay_alu instid0(VALU_DEP_1) | instskip(SKIP_1) | instid1(VALU_DEP_2)
	v_cndmask_b32_e64 v9, 0, 1, s0
	v_cmp_gt_u32_e64 s0, s36, v2
	v_cndmask_b32_e64 v9, v9, v10, s3
	s_delay_alu instid0(VALU_DEP_1) | instskip(NEXT) | instid1(VALU_DEP_1)
	v_and_b32_e32 v9, 1, v9
	v_cmp_eq_u32_e64 s1, 1, v9
	s_and_b32 s20, s0, s1
	s_delay_alu instid0(SALU_CYCLE_1) | instskip(NEXT) | instid1(VALU_DEP_1)
	v_cndmask_b32_e64 v9, 0, 1, s20
	v_cmp_ne_u32_e64 s0, 0, v9
	s_cmp_lg_u32 s0, 0
	s_cselect_b32 s1, -1, 0
	s_delay_alu instid0(SALU_CYCLE_1) | instskip(NEXT) | instid1(SALU_CYCLE_1)
	s_and_b32 s1, s2, s1
	s_and_saveexec_b32 s21, s1
	s_cbranch_execz .LBB7_441
; %bb.438:                              ;   in Loop: Header=BB7_435 Depth=1
	s_mov_b32 s24, exec_lo
	s_bcnt1_i32_b32 s22, s0
	s_wait_dscnt 0x0
	v_mbcnt_lo_u32_b32 v8, s24, 0
	s_mov_b32 s23, exec_lo
                                        ; implicit-def: $vgpr9
	s_delay_alu instid0(VALU_DEP_1)
	v_cmpx_eq_u32_e32 0, v8
; %bb.439:                              ;   in Loop: Header=BB7_435 Depth=1
	s_bcnt1_i32_b32 s1, s24
	s_delay_alu instid0(SALU_CYCLE_1) | instskip(NEXT) | instid1(SALU_CYCLE_1)
	s_mul_i32 s1, s22, s1
	v_mov_b32_e32 v9, s1
	ds_add_rtn_u32 v9, v3, v9 offset:4108
; %bb.440:                              ;   in Loop: Header=BB7_435 Depth=1
	s_or_b32 exec_lo, exec_lo, s23
	s_wait_dscnt 0x0
	v_readfirstlane_b32 s1, v9
	s_delay_alu instid0(VALU_DEP_1)
	v_mad_u32_u24 v8, s22, v8, s1
.LBB7_441:                              ;   in Loop: Header=BB7_435 Depth=1
	s_or_b32 exec_lo, exec_lo, s21
	s_wait_dscnt 0x0
	ds_bpermute_b32 v8, v3, v8
	s_mov_b32 s1, -1
	s_mov_b32 s22, -1
	s_and_saveexec_b32 s21, s20
	s_cbranch_execz .LBB7_445
; %bb.442:                              ;   in Loop: Header=BB7_435 Depth=1
	v_and_b32_e32 v9, s0, v18
	s_mov_b32 s20, 0
	s_mov_b32 s22, exec_lo
	s_wait_dscnt 0x0
	s_delay_alu instid0(VALU_DEP_1) | instskip(NEXT) | instid1(VALU_DEP_1)
	v_bcnt_u32_b32 v9, v9, v8
	v_cmpx_gt_u32_e64 s37, v9
; %bb.443:                              ;   in Loop: Header=BB7_435 Depth=1
	v_mul_lo_u32 v10, v9, s16
	v_mul_lo_u32 v9, v9, s17
	s_mov_b32 s20, exec_lo
	global_store_b8 v10, v1, s[6:7]
	global_store_b64 v9, v[2:3], s[8:9] scale_offset
; %bb.444:                              ;   in Loop: Header=BB7_435 Depth=1
	s_wait_xcnt 0x0
	s_or_b32 exec_lo, exec_lo, s22
	s_delay_alu instid0(SALU_CYCLE_1)
	s_or_not1_b32 s22, s20, exec_lo
.LBB7_445:                              ;   in Loop: Header=BB7_435 Depth=1
	s_or_b32 exec_lo, exec_lo, s21
	s_mov_b32 s20, -1
	s_and_saveexec_b32 s21, s22
	s_cbranch_execz .LBB7_434
; %bb.446:                              ;   in Loop: Header=BB7_435 Depth=1
	v_cmp_le_u32_e64 s0, s5, v6
	v_add_nc_u32_e32 v4, s50, v4
	s_xor_b32 s20, exec_lo, -1
	s_or_not1_b32 s1, s0, exec_lo
	s_branch .LBB7_434
.LBB7_447:
	s_or_b32 exec_lo, exec_lo, s18
	s_delay_alu instid0(SALU_CYCLE_1)
	s_mov_b32 s1, exec_lo
	s_or_not1_b32 s0, s19, exec_lo
	s_or_b32 exec_lo, exec_lo, s10
	s_and_saveexec_b32 s3, s0
	s_cbranch_execz .LBB7_424
.LBB7_448:
	v_mov_b32_e32 v7, 0
	s_wait_storecnt 0x0
	s_wait_loadcnt_dscnt 0x0
	s_barrier_signal -1
	s_barrier_wait -1
	s_and_saveexec_b32 s0, s4
	s_cbranch_execz .LBB7_450
; %bb.449:
	global_load_u8 v7, v[20:21], off
.LBB7_450:
	s_wait_xcnt 0x0
	s_or_b32 exec_lo, exec_lo, s0
	s_mov_b32 s0, 0
	s_and_saveexec_b32 s4, vcc_lo
	s_cbranch_execz .LBB7_470
; %bb.451:
	v_add_nc_u32_e32 v1, s41, v0
	v_and_b32_e32 v3, 0xff, v40
	s_mov_b32 s10, 0
                                        ; implicit-def: $sgpr11
                                        ; implicit-def: $vgpr6
	s_delay_alu instid0(VALU_DEP_2)
	v_mul_lo_u32 v2, s62, v1
	v_mov_b32_e32 v1, 0
	s_branch .LBB7_454
.LBB7_452:                              ;   in Loop: Header=BB7_454 Depth=1
	s_or_b32 exec_lo, exec_lo, s20
	s_delay_alu instid0(SALU_CYCLE_1)
	s_or_not1_b32 s20, s18, exec_lo
	s_or_not1_b32 s19, s19, exec_lo
.LBB7_453:                              ;   in Loop: Header=BB7_454 Depth=1
	s_or_b32 exec_lo, exec_lo, s0
	s_xor_b32 s0, s20, -1
	s_and_b32 s18, exec_lo, s19
	v_dual_mov_b32 v0, v4 :: v_dual_mov_b32 v7, v5
	s_or_b32 s10, s18, s10
	s_and_not1_b32 s11, s11, exec_lo
	s_and_b32 s0, s0, exec_lo
	s_delay_alu instid0(SALU_CYCLE_1)
	s_or_b32 s11, s11, s0
	s_and_not1_b32 exec_lo, exec_lo, s10
	s_cbranch_execz .LBB7_468
.LBB7_454:                              ; =>This Inner Loop Header: Depth=1
	v_dual_mov_b32 v5, 0 :: v_dual_add_nc_u32 v4, s41, v0
	s_mov_b32 s0, exec_lo
	s_delay_alu instid0(VALU_DEP_1)
	v_cmpx_gt_u32_e64 s36, v4
	s_cbranch_execz .LBB7_456
; %bb.455:                              ;   in Loop: Header=BB7_454 Depth=1
	global_load_u8 v5, v2, s[38:39]
.LBB7_456:                              ;   in Loop: Header=BB7_454 Depth=1
	s_wait_xcnt 0x0
	s_or_b32 exec_lo, exec_lo, s0
	s_wait_loadcnt 0x0
	v_and_b32_e32 v7, 0xff, v7
	v_cmp_gt_u32_e32 vcc_lo, s36, v0
	s_delay_alu instid0(VALU_DEP_2) | instskip(SKIP_1) | instid1(SALU_CYCLE_1)
	v_cmp_eq_u16_e64 s0, v7, v3
	s_and_b32 s18, vcc_lo, s0
	v_cndmask_b32_e64 v7, 0, 1, s18
	s_delay_alu instid0(VALU_DEP_1) | instskip(SKIP_2) | instid1(SALU_CYCLE_1)
	v_cmp_ne_u32_e32 vcc_lo, 0, v7
	s_cmp_lg_u32 vcc_lo, 0
	s_cselect_b32 s0, -1, 0
	s_and_b32 s0, s2, s0
	s_delay_alu instid0(SALU_CYCLE_1)
	s_and_saveexec_b32 s19, s0
	s_cbranch_execz .LBB7_460
; %bb.457:                              ;   in Loop: Header=BB7_454 Depth=1
	s_mov_b32 s22, exec_lo
	s_bcnt1_i32_b32 s20, vcc_lo
	v_mbcnt_lo_u32_b32 v6, s22, 0
	s_mov_b32 s21, exec_lo
                                        ; implicit-def: $vgpr7
	s_delay_alu instid0(VALU_DEP_1)
	v_cmpx_eq_u32_e32 0, v6
; %bb.458:                              ;   in Loop: Header=BB7_454 Depth=1
	s_bcnt1_i32_b32 s0, s22
	s_delay_alu instid0(SALU_CYCLE_1) | instskip(NEXT) | instid1(SALU_CYCLE_1)
	s_mul_i32 s0, s20, s0
	v_mov_b32_e32 v7, s0
	ds_add_rtn_u32 v7, v1, v7 offset:4108
; %bb.459:                              ;   in Loop: Header=BB7_454 Depth=1
	s_or_b32 exec_lo, exec_lo, s21
	s_wait_dscnt 0x0
	v_readfirstlane_b32 s0, v7
	s_delay_alu instid0(VALU_DEP_1)
	v_mad_u32_u24 v6, s20, v6, s0
.LBB7_460:                              ;   in Loop: Header=BB7_454 Depth=1
	s_or_b32 exec_lo, exec_lo, s19
	ds_bpermute_b32 v6, v1, v6
	s_cmp_eq_u32 vcc_lo, 0
	s_mov_b32 s19, -1
	s_cselect_b32 s20, -1, 0
	s_wait_dscnt 0x0
	v_cmp_gt_u32_e64 s0, s37, v6
	s_or_b32 s21, s20, s0
	s_mov_b32 s20, -1
	s_and_saveexec_b32 s0, s21
	s_cbranch_execz .LBB7_453
; %bb.461:                              ;   in Loop: Header=BB7_454 Depth=1
	v_and_b32_e32 v7, vcc_lo, v18
	v_sub_nc_u32_e32 v8, s37, v6
	s_mov_b32 s21, -1
	s_delay_alu instid0(VALU_DEP_2) | instskip(NEXT) | instid1(VALU_DEP_1)
	v_bcnt_u32_b32 v7, v7, 0
	v_bcnt_u32_b32 v7, 0, v7
	s_delay_alu instid0(VALU_DEP_1)
	v_cmp_gt_u32_e32 vcc_lo, v8, v7
	s_and_b32 s22, s18, vcc_lo
	s_mov_b32 s18, -1
	s_and_saveexec_b32 s20, s22
	s_cbranch_execz .LBB7_465
; %bb.462:                              ;   in Loop: Header=BB7_454 Depth=1
	v_add_nc_u32_e32 v7, v6, v7
	s_mov_b32 s21, 0
	s_mov_b32 s18, exec_lo
	s_delay_alu instid0(VALU_DEP_1)
	v_cmpx_gt_u32_e64 s37, v7
; %bb.463:                              ;   in Loop: Header=BB7_454 Depth=1
	v_mul_lo_u32 v8, v7, s16
	v_mul_lo_u32 v7, v7, s17
	s_mov_b32 s21, exec_lo
	global_store_b8 v8, v40, s[6:7]
	global_store_b64 v7, v[0:1], s[8:9] scale_offset
; %bb.464:                              ;   in Loop: Header=BB7_454 Depth=1
	s_wait_xcnt 0x0
	s_or_b32 exec_lo, exec_lo, s18
	s_delay_alu instid0(SALU_CYCLE_1)
	s_xor_b32 s18, exec_lo, -1
	s_or_not1_b32 s21, s21, exec_lo
.LBB7_465:                              ;   in Loop: Header=BB7_454 Depth=1
	s_or_b32 exec_lo, exec_lo, s20
	s_and_saveexec_b32 s20, s21
	s_cbranch_execz .LBB7_452
; %bb.466:                              ;   in Loop: Header=BB7_454 Depth=1
	v_cmp_le_u32_e32 vcc_lo, s5, v4
	v_add_nc_u32_e32 v2, s50, v2
	s_or_b32 s18, s18, exec_lo
	s_or_not1_b32 s19, vcc_lo, exec_lo
	s_branch .LBB7_452
.LBB7_467:
	s_or_b32 s8, s8, exec_lo
	s_trap 2
	s_branch .LBB7_431
.LBB7_468:
	s_or_b32 exec_lo, exec_lo, s10
	s_mov_b32 s0, 0
	s_and_saveexec_b32 s2, s11
	s_delay_alu instid0(SALU_CYCLE_1)
	s_xor_b32 s2, exec_lo, s2
	s_cbranch_execnz .LBB7_474
.LBB7_469:
	s_or_b32 exec_lo, exec_lo, s2
	s_delay_alu instid0(SALU_CYCLE_1)
	s_and_b32 s0, s0, exec_lo
.LBB7_470:
	s_or_b32 exec_lo, exec_lo, s4
	s_delay_alu instid0(SALU_CYCLE_1) | instskip(SKIP_3) | instid1(SALU_CYCLE_1)
	s_and_b32 s11, s0, exec_lo
	s_and_not1_b32 s1, s1, exec_lo
	s_or_b32 exec_lo, exec_lo, s3
	s_and_saveexec_b32 s0, s1
	s_xor_b32 s0, exec_lo, s0
	s_cbranch_execz .LBB7_425
.LBB7_471:
	s_or_b32 s11, s11, exec_lo
	s_trap 2
	s_branch .LBB7_425
.LBB7_472:
	s_or_b32 s8, s8, exec_lo
	s_trap 2
	s_branch .LBB7_429
.LBB7_473:
	s_or_b32 s8, s8, exec_lo
	s_trap 2
	s_branch .LBB7_427
.LBB7_474:
	s_mov_b32 s0, exec_lo
	s_trap 2
	s_branch .LBB7_469
	.section	.rodata,"a",@progbits
	.p2align	6, 0x0
	.amdhsa_kernel _ZN2at6native6sbtopk10gatherTopKIhjLi2ELb0EEEvNS_4cuda6detail10TensorInfoIKT_T0_EES8_S8_bS8_S8_NS5_IS6_S8_EES8_NS5_IlS8_EES8_PS6_
		.amdhsa_group_segment_fixed_size 4112
		.amdhsa_private_segment_fixed_size 0
		.amdhsa_kernarg_size 952
		.amdhsa_user_sgpr_count 2
		.amdhsa_user_sgpr_dispatch_ptr 0
		.amdhsa_user_sgpr_queue_ptr 0
		.amdhsa_user_sgpr_kernarg_segment_ptr 1
		.amdhsa_user_sgpr_dispatch_id 0
		.amdhsa_user_sgpr_kernarg_preload_length 0
		.amdhsa_user_sgpr_kernarg_preload_offset 0
		.amdhsa_user_sgpr_private_segment_size 0
		.amdhsa_wavefront_size32 1
		.amdhsa_uses_dynamic_stack 0
		.amdhsa_enable_private_segment 0
		.amdhsa_system_sgpr_workgroup_id_x 1
		.amdhsa_system_sgpr_workgroup_id_y 1
		.amdhsa_system_sgpr_workgroup_id_z 1
		.amdhsa_system_sgpr_workgroup_info 0
		.amdhsa_system_vgpr_workitem_id 0
		.amdhsa_next_free_vgpr 69
		.amdhsa_next_free_sgpr 105
		.amdhsa_named_barrier_count 0
		.amdhsa_reserve_vcc 1
		.amdhsa_float_round_mode_32 0
		.amdhsa_float_round_mode_16_64 0
		.amdhsa_float_denorm_mode_32 3
		.amdhsa_float_denorm_mode_16_64 3
		.amdhsa_fp16_overflow 0
		.amdhsa_memory_ordered 1
		.amdhsa_forward_progress 1
		.amdhsa_inst_pref_size 132
		.amdhsa_round_robin_scheduling 0
		.amdhsa_exception_fp_ieee_invalid_op 0
		.amdhsa_exception_fp_denorm_src 0
		.amdhsa_exception_fp_ieee_div_zero 0
		.amdhsa_exception_fp_ieee_overflow 0
		.amdhsa_exception_fp_ieee_underflow 0
		.amdhsa_exception_fp_ieee_inexact 0
		.amdhsa_exception_int_div_zero 0
	.end_amdhsa_kernel
	.section	.text._ZN2at6native6sbtopk10gatherTopKIhjLi2ELb0EEEvNS_4cuda6detail10TensorInfoIKT_T0_EES8_S8_bS8_S8_NS5_IS6_S8_EES8_NS5_IlS8_EES8_PS6_,"axG",@progbits,_ZN2at6native6sbtopk10gatherTopKIhjLi2ELb0EEEvNS_4cuda6detail10TensorInfoIKT_T0_EES8_S8_bS8_S8_NS5_IS6_S8_EES8_NS5_IlS8_EES8_PS6_,comdat
.Lfunc_end7:
	.size	_ZN2at6native6sbtopk10gatherTopKIhjLi2ELb0EEEvNS_4cuda6detail10TensorInfoIKT_T0_EES8_S8_bS8_S8_NS5_IS6_S8_EES8_NS5_IlS8_EES8_PS6_, .Lfunc_end7-_ZN2at6native6sbtopk10gatherTopKIhjLi2ELb0EEEvNS_4cuda6detail10TensorInfoIKT_T0_EES8_S8_bS8_S8_NS5_IS6_S8_EES8_NS5_IlS8_EES8_PS6_
                                        ; -- End function
	.set _ZN2at6native6sbtopk10gatherTopKIhjLi2ELb0EEEvNS_4cuda6detail10TensorInfoIKT_T0_EES8_S8_bS8_S8_NS5_IS6_S8_EES8_NS5_IlS8_EES8_PS6_.num_vgpr, 69
	.set _ZN2at6native6sbtopk10gatherTopKIhjLi2ELb0EEEvNS_4cuda6detail10TensorInfoIKT_T0_EES8_S8_bS8_S8_NS5_IS6_S8_EES8_NS5_IlS8_EES8_PS6_.num_agpr, 0
	.set _ZN2at6native6sbtopk10gatherTopKIhjLi2ELb0EEEvNS_4cuda6detail10TensorInfoIKT_T0_EES8_S8_bS8_S8_NS5_IS6_S8_EES8_NS5_IlS8_EES8_PS6_.numbered_sgpr, 105
	.set _ZN2at6native6sbtopk10gatherTopKIhjLi2ELb0EEEvNS_4cuda6detail10TensorInfoIKT_T0_EES8_S8_bS8_S8_NS5_IS6_S8_EES8_NS5_IlS8_EES8_PS6_.num_named_barrier, 0
	.set _ZN2at6native6sbtopk10gatherTopKIhjLi2ELb0EEEvNS_4cuda6detail10TensorInfoIKT_T0_EES8_S8_bS8_S8_NS5_IS6_S8_EES8_NS5_IlS8_EES8_PS6_.private_seg_size, 0
	.set _ZN2at6native6sbtopk10gatherTopKIhjLi2ELb0EEEvNS_4cuda6detail10TensorInfoIKT_T0_EES8_S8_bS8_S8_NS5_IS6_S8_EES8_NS5_IlS8_EES8_PS6_.uses_vcc, 1
	.set _ZN2at6native6sbtopk10gatherTopKIhjLi2ELb0EEEvNS_4cuda6detail10TensorInfoIKT_T0_EES8_S8_bS8_S8_NS5_IS6_S8_EES8_NS5_IlS8_EES8_PS6_.uses_flat_scratch, 0
	.set _ZN2at6native6sbtopk10gatherTopKIhjLi2ELb0EEEvNS_4cuda6detail10TensorInfoIKT_T0_EES8_S8_bS8_S8_NS5_IS6_S8_EES8_NS5_IlS8_EES8_PS6_.has_dyn_sized_stack, 0
	.set _ZN2at6native6sbtopk10gatherTopKIhjLi2ELb0EEEvNS_4cuda6detail10TensorInfoIKT_T0_EES8_S8_bS8_S8_NS5_IS6_S8_EES8_NS5_IlS8_EES8_PS6_.has_recursion, 0
	.set _ZN2at6native6sbtopk10gatherTopKIhjLi2ELb0EEEvNS_4cuda6detail10TensorInfoIKT_T0_EES8_S8_bS8_S8_NS5_IS6_S8_EES8_NS5_IlS8_EES8_PS6_.has_indirect_call, 0
	.section	.AMDGPU.csdata,"",@progbits
; Kernel info:
; codeLenInByte = 16792
; TotalNumSgprs: 107
; NumVgprs: 69
; ScratchSize: 0
; MemoryBound: 0
; FloatMode: 240
; IeeeMode: 1
; LDSByteSize: 4112 bytes/workgroup (compile time only)
; SGPRBlocks: 0
; VGPRBlocks: 4
; NumSGPRsForWavesPerEU: 107
; NumVGPRsForWavesPerEU: 69
; NamedBarCnt: 0
; Occupancy: 12
; WaveLimiterHint : 1
; COMPUTE_PGM_RSRC2:SCRATCH_EN: 0
; COMPUTE_PGM_RSRC2:USER_SGPR: 2
; COMPUTE_PGM_RSRC2:TRAP_HANDLER: 0
; COMPUTE_PGM_RSRC2:TGID_X_EN: 1
; COMPUTE_PGM_RSRC2:TGID_Y_EN: 1
; COMPUTE_PGM_RSRC2:TGID_Z_EN: 1
; COMPUTE_PGM_RSRC2:TIDIG_COMP_CNT: 0
	.section	.text._ZN2at6native6mbtopk23computeBlockDigitCountsIhjjLi3EEEvNS_4cuda6detail10TensorInfoIKT_T0_EEjPjjS8_iijT1_PSB_Ps,"axG",@progbits,_ZN2at6native6mbtopk23computeBlockDigitCountsIhjjLi3EEEvNS_4cuda6detail10TensorInfoIKT_T0_EEjPjjS8_iijT1_PSB_Ps,comdat
	.protected	_ZN2at6native6mbtopk23computeBlockDigitCountsIhjjLi3EEEvNS_4cuda6detail10TensorInfoIKT_T0_EEjPjjS8_iijT1_PSB_Ps ; -- Begin function _ZN2at6native6mbtopk23computeBlockDigitCountsIhjjLi3EEEvNS_4cuda6detail10TensorInfoIKT_T0_EEjPjjS8_iijT1_PSB_Ps
	.globl	_ZN2at6native6mbtopk23computeBlockDigitCountsIhjjLi3EEEvNS_4cuda6detail10TensorInfoIKT_T0_EEjPjjS8_iijT1_PSB_Ps
	.p2align	8
	.type	_ZN2at6native6mbtopk23computeBlockDigitCountsIhjjLi3EEEvNS_4cuda6detail10TensorInfoIKT_T0_EEjPjjS8_iijT1_PSB_Ps,@function
_ZN2at6native6mbtopk23computeBlockDigitCountsIhjjLi3EEEvNS_4cuda6detail10TensorInfoIKT_T0_EEjPjjS8_iijT1_PSB_Ps: ; @_ZN2at6native6mbtopk23computeBlockDigitCountsIhjjLi3EEEvNS_4cuda6detail10TensorInfoIKT_T0_EEjPjjS8_iijT1_PSB_Ps
; %bb.0:
	s_load_b64 s[2:3], s[0:1], 0xf8
	s_bfe_u32 s4, ttmp6, 0x40010
	s_and_b32 s10, ttmp7, 0xffff
	s_add_co_i32 s4, s4, 1
	s_bfe_u32 s5, ttmp6, 0x40004
	s_mul_i32 s4, s10, s4
	s_load_b64 s[8:9], s[0:1], 0x110
	s_add_co_i32 s11, s5, s4
	s_bfe_u32 s6, ttmp6, 0x4000c
	s_bfe_u32 s7, ttmp6, 0x40014
	s_add_co_i32 s6, s6, 1
	s_and_b32 s5, ttmp6, 15
	s_mul_i32 s6, ttmp9, s6
	s_add_co_i32 s7, s7, 1
	s_add_co_i32 s12, s5, s6
	s_bfe_u32 s6, ttmp6, 0x40008
	s_mov_b32 s15, 0
	s_wait_kmcnt 0x0
	s_cvt_f32_u32 s4, s2
	s_delay_alu instid0(SALU_CYCLE_3) | instskip(SKIP_1) | instid1(SALU_CYCLE_1)
	v_rcp_iflag_f32_e32 v1, s4
	s_lshr_b32 s4, ttmp7, 16
	s_mul_i32 s5, s4, s7
	s_getreg_b32 s7, hwreg(HW_REG_IB_STS2, 6, 4)
	s_add_co_i32 s6, s6, s5
	s_cmp_eq_u32 s7, 0
	v_nop
	v_readfirstlane_b32 s13, v1
	s_cselect_b32 s14, s4, s6
	s_load_b128 s[4:7], s[0:1], 0xe8
	s_mul_i32 s9, s9, s14
	s_cselect_b32 s12, ttmp9, s12
	s_mul_f32 s13, s13, 0x4f7ffffe
	s_cselect_b32 s10, s10, s11
	s_sub_co_i32 s11, 0, s2
	s_add_co_i32 s9, s9, s10
	s_cvt_u32_f32 s13, s13
	s_mul_i32 s18, s9, s8
	s_delay_alu instid0(SALU_CYCLE_1) | instskip(NEXT) | instid1(SALU_CYCLE_1)
	s_add_co_i32 s18, s18, s12
	s_mul_i32 s11, s11, s13
	s_delay_alu instid0(SALU_CYCLE_1) | instskip(NEXT) | instid1(SALU_CYCLE_1)
	s_mul_hi_u32 s8, s13, s11
	s_add_co_i32 s13, s13, s8
	s_delay_alu instid0(SALU_CYCLE_1) | instskip(NEXT) | instid1(SALU_CYCLE_1)
	s_mul_hi_u32 s8, s18, s13
	s_mul_i32 s9, s8, s2
	s_add_co_i32 s10, s8, 1
	s_sub_co_i32 s9, s18, s9
	s_delay_alu instid0(SALU_CYCLE_1)
	s_sub_co_i32 s11, s9, s2
	s_cmp_ge_u32 s9, s2
	s_cselect_b32 s8, s10, s8
	s_cselect_b32 s9, s11, s9
	s_add_co_i32 s10, s8, 1
	s_cmp_ge_u32 s9, s2
	s_cselect_b32 s20, s10, s8
	s_wait_kmcnt 0x0
	s_cmp_ge_u32 s20, s4
	s_cbranch_scc1 .LBB8_27
; %bb.1:
	s_load_b64 s[16:17], s[0:1], 0xc
	v_cmp_gt_u32_e32 vcc_lo, 0x100, v0
	s_wait_kmcnt 0x0
	s_cvt_f32_u32 s4, s17
	s_sub_co_i32 s8, 0, s17
	s_cvt_f32_u32 s9, s16
	s_delay_alu instid0(SALU_CYCLE_1) | instskip(SKIP_1) | instid1(TRANS32_DEP_1)
	v_rcp_iflag_f32_e32 v1, s4
	v_nop
	v_readfirstlane_b32 s4, v1
	v_rcp_iflag_f32_e32 v1, s9
	s_mul_f32 s4, s4, 0x4f7ffffe
	v_nop
	s_delay_alu instid0(TRANS32_DEP_1) | instskip(NEXT) | instid1(SALU_CYCLE_1)
	v_readfirstlane_b32 s21, v1
	s_cvt_u32_f32 s4, s4
	v_lshlrev_b32_e32 v1, 2, v0
	s_delay_alu instid0(SALU_CYCLE_2) | instskip(NEXT) | instid1(SALU_CYCLE_1)
	s_mul_i32 s8, s8, s4
	s_mul_hi_u32 s8, s4, s8
	s_delay_alu instid0(SALU_CYCLE_1) | instskip(NEXT) | instid1(SALU_CYCLE_1)
	s_add_co_i32 s4, s4, s8
	s_mul_hi_u32 s4, s20, s4
	s_delay_alu instid0(SALU_CYCLE_1) | instskip(SKIP_2) | instid1(SALU_CYCLE_1)
	s_mul_i32 s8, s4, s17
	s_add_co_i32 s9, s4, 1
	s_sub_co_i32 s8, s20, s8
	s_sub_co_i32 s10, s8, s17
	s_cmp_ge_u32 s8, s17
	s_cselect_b32 s4, s9, s4
	s_cselect_b32 s8, s10, s8
	s_add_co_i32 s9, s4, 1
	s_cmp_ge_u32 s8, s17
	s_cselect_b32 s14, s9, s4
	s_and_saveexec_b32 s4, vcc_lo
; %bb.2:
	v_mov_b32_e32 v2, 0
	ds_store_b32 v1, v2
; %bb.3:
	s_or_b32 exec_lo, exec_lo, s4
	s_clause 0x1
	s_load_b32 s4, s[0:1], 0xd8
	s_load_b128 s[8:11], s[0:1], 0x100
	s_mul_i32 s12, s20, s2
	s_mov_b32 s13, 0
	s_sub_co_i32 s24, s18, s12
	s_wait_dscnt 0x0
	s_mul_i32 s12, s7, s24
	s_add_co_i32 s24, s24, 1
	s_lshl_b32 s19, s12, 8
	s_barrier_signal -1
	s_barrier_wait -1
	s_wait_kmcnt 0x0
	s_sub_co_i32 s12, s4, s19
	s_delay_alu instid0(SALU_CYCLE_1) | instskip(NEXT) | instid1(SALU_CYCLE_1)
	s_add_nc_u64 s[22:23], s[12:13], 0xff
	s_lshr_b64 s[22:23], s[22:23], 8
	s_cmp_lt_u32 s24, s2
	s_cselect_b32 s2, s7, s22
	s_delay_alu instid0(SALU_CYCLE_1)
	s_cmp_lt_i32 s2, 1
	s_cbranch_scc1 .LBB8_25
; %bb.4:
	s_mul_f32 s7, s21, 0x4f7ffffe
	s_sub_co_i32 s12, 0, s16
	s_mov_b32 s23, s15
	s_clause 0x1
	s_load_b96 s[24:26], s[0:1], 0x6c
	s_load_b64 s[28:29], s[0:1], 0x0
	s_cvt_u32_f32 s7, s7
	s_wait_xcnt 0x0
	s_mul_i32 s0, s14, s17
	s_delay_alu instid0(SALU_CYCLE_1) | instskip(SKIP_1) | instid1(SALU_CYCLE_1)
	s_sub_co_i32 s0, s20, s0
	s_mul_i32 s12, s12, s7
	s_mul_hi_u32 s12, s7, s12
	s_delay_alu instid0(SALU_CYCLE_1) | instskip(NEXT) | instid1(SALU_CYCLE_1)
	s_add_co_i32 s22, s7, s12
	s_mul_u64 s[22:23], s[14:15], s[22:23]
	s_delay_alu instid0(SALU_CYCLE_1)
	s_mul_i32 s1, s23, s16
	s_add_co_i32 s12, s23, 1
	s_sub_co_i32 s7, s14, s1
	s_load_b32 s1, s[8:9], s20 offset:0x0 scale_offset
	s_sub_co_i32 s15, s7, s16
	s_cmp_ge_u32 s7, s16
	s_wait_kmcnt 0x0
	s_mul_i32 s0, s0, s26
	s_cselect_b32 s8, s12, s23
	s_cselect_b32 s7, s15, s7
	s_add_co_i32 s9, s8, 1
	s_cmp_ge_u32 s7, s16
	s_cselect_b32 s7, s9, s8
	s_delay_alu instid0(SALU_CYCLE_1) | instskip(SKIP_2) | instid1(SALU_CYCLE_1)
	s_mul_i32 s8, s7, s16
	s_mul_i32 s7, s7, s24
	s_sub_co_i32 s8, s14, s8
	s_mul_i32 s8, s8, s25
	s_delay_alu instid0(SALU_CYCLE_1)
	s_add_co_i32 s0, s8, s0
	s_and_b32 s8, s6, 0xff
	s_add_co_i32 s12, s0, s7
	s_cmp_lt_u32 s2, 4
	s_add_nc_u64 s[6:7], s[28:29], s[12:13]
	s_cbranch_scc1 .LBB8_19
; %bb.5:
	v_dual_mov_b32 v7, 1 :: v_dual_add_nc_u32 v6, s19, v0
	s_and_b32 s13, s2, 0x7ffffffc
	s_lshl_b32 s9, s5, 10
	s_mov_b32 s12, 0
	s_delay_alu instid0(VALU_DEP_1)
	v_add_nc_u32_e32 v2, 0x300, v6
	v_add_nc_u32_e32 v4, 0x200, v6
	;; [unrolled: 1-line block ×3, first 2 shown]
	v_mul_lo_u32 v6, s5, v6
	s_mov_b32 s14, 0
	v_mul_lo_u32 v3, s5, v2
	v_mul_lo_u32 v4, s5, v4
	;; [unrolled: 1-line block ×3, first 2 shown]
	s_branch .LBB8_7
.LBB8_6:                                ;   in Loop: Header=BB8_7 Depth=1
	s_or_b32 exec_lo, exec_lo, s15
	v_add_nc_u32_e32 v2, 0x400, v2
	s_add_co_i32 s14, s14, 4
	s_add_co_i32 s12, s12, s9
	s_cmp_eq_u32 s13, s14
	s_cbranch_scc1 .LBB8_19
.LBB8_7:                                ; =>This Inner Loop Header: Depth=1
	v_add_nc_u32_e32 v8, 0xfffffd00, v2
	s_mov_b32 s15, exec_lo
	s_delay_alu instid0(VALU_DEP_1)
	v_cmpx_gt_u32_e64 s4, v8
	s_cbranch_execz .LBB8_10
; %bb.8:                                ;   in Loop: Header=BB8_7 Depth=1
	v_add_nc_u32_e32 v8, s12, v6
	global_load_u8 v8, v8, s[6:7]
	s_wait_loadcnt 0x0
	v_bitop3_b32 v9, s1, s3, v8 bitop3:0x48
	s_delay_alu instid0(VALU_DEP_1)
	v_cmp_eq_u32_e64 s0, 0, v9
	s_wait_xcnt 0x0
	s_and_b32 exec_lo, exec_lo, s0
; %bb.9:                                ;   in Loop: Header=BB8_7 Depth=1
	v_lshrrev_b32_e32 v8, s8, v8
	s_delay_alu instid0(VALU_DEP_1)
	v_lshlrev_b32_e32 v8, 2, v8
	ds_add_u32 v8, v7
.LBB8_10:                               ;   in Loop: Header=BB8_7 Depth=1
	s_or_b32 exec_lo, exec_lo, s15
	v_add_nc_u32_e32 v8, 0xfffffe00, v2
	s_mov_b32 s15, exec_lo
	s_delay_alu instid0(VALU_DEP_1)
	v_cmpx_gt_u32_e64 s4, v8
	s_cbranch_execz .LBB8_13
; %bb.11:                               ;   in Loop: Header=BB8_7 Depth=1
	v_add_nc_u32_e32 v8, s12, v5
	global_load_u8 v8, v8, s[6:7]
	s_wait_loadcnt 0x0
	v_bitop3_b32 v9, s1, s3, v8 bitop3:0x48
	s_delay_alu instid0(VALU_DEP_1)
	v_cmp_eq_u32_e64 s0, 0, v9
	s_and_b32 exec_lo, exec_lo, s0
; %bb.12:                               ;   in Loop: Header=BB8_7 Depth=1
	v_lshrrev_b32_e32 v8, s8, v8
	s_delay_alu instid0(VALU_DEP_1)
	v_lshlrev_b32_e32 v8, 2, v8
	ds_add_u32 v8, v7
.LBB8_13:                               ;   in Loop: Header=BB8_7 Depth=1
	s_or_b32 exec_lo, exec_lo, s15
	v_add_nc_u32_e32 v8, 0xffffff00, v2
	s_mov_b32 s15, exec_lo
	s_delay_alu instid0(VALU_DEP_1)
	v_cmpx_gt_u32_e64 s4, v8
	s_cbranch_execz .LBB8_16
; %bb.14:                               ;   in Loop: Header=BB8_7 Depth=1
	v_add_nc_u32_e32 v8, s12, v4
	global_load_u8 v8, v8, s[6:7]
	s_wait_loadcnt 0x0
	v_bitop3_b32 v9, s1, s3, v8 bitop3:0x48
	s_delay_alu instid0(VALU_DEP_1)
	v_cmp_eq_u32_e64 s0, 0, v9
	s_and_b32 exec_lo, exec_lo, s0
; %bb.15:                               ;   in Loop: Header=BB8_7 Depth=1
	v_lshrrev_b32_e32 v8, s8, v8
	s_delay_alu instid0(VALU_DEP_1)
	v_lshlrev_b32_e32 v8, 2, v8
	ds_add_u32 v8, v7
.LBB8_16:                               ;   in Loop: Header=BB8_7 Depth=1
	s_or_b32 exec_lo, exec_lo, s15
	s_delay_alu instid0(SALU_CYCLE_1)
	s_mov_b32 s15, exec_lo
	v_cmpx_gt_u32_e64 s4, v2
	s_cbranch_execz .LBB8_6
; %bb.17:                               ;   in Loop: Header=BB8_7 Depth=1
	v_add_nc_u32_e32 v8, s12, v3
	global_load_u8 v8, v8, s[6:7]
	s_wait_loadcnt 0x0
	v_bitop3_b32 v9, s1, s3, v8 bitop3:0x48
	s_delay_alu instid0(VALU_DEP_1)
	v_cmp_eq_u32_e64 s0, 0, v9
	s_and_b32 exec_lo, exec_lo, s0
	s_cbranch_execz .LBB8_6
; %bb.18:                               ;   in Loop: Header=BB8_7 Depth=1
	v_lshrrev_b32_e32 v8, s8, v8
	s_delay_alu instid0(VALU_DEP_1)
	v_lshlrev_b32_e32 v8, 2, v8
	ds_add_u32 v8, v7
	s_branch .LBB8_6
.LBB8_19:
	s_and_b32 s2, s2, 3
	s_delay_alu instid0(SALU_CYCLE_1)
	s_cmp_eq_u32 s2, 0
	s_cbranch_scc1 .LBB8_25
; %bb.20:
	s_lshl_b32 s0, s13, 8
	v_mov_b32_e32 v4, 1
	v_add3_u32 v2, s0, s19, v0
	s_delay_alu instid0(VALU_DEP_1)
	v_mul_lo_u32 v3, s5, v2
	s_lshl_b32 s5, s5, 8
	s_branch .LBB8_22
.LBB8_21:                               ;   in Loop: Header=BB8_22 Depth=1
	s_or_b32 exec_lo, exec_lo, s9
	s_delay_alu instid0(VALU_DEP_2) | instskip(SKIP_2) | instid1(SALU_CYCLE_1)
	v_add_nc_u32_e32 v3, s5, v3
	v_add_nc_u32_e32 v2, 0x100, v2
	s_add_co_i32 s2, s2, -1
	s_cmp_lg_u32 s2, 0
	s_cbranch_scc0 .LBB8_25
.LBB8_22:                               ; =>This Inner Loop Header: Depth=1
	s_mov_b32 s9, exec_lo
	v_cmpx_gt_u32_e64 s4, v2
	s_cbranch_execz .LBB8_21
; %bb.23:                               ;   in Loop: Header=BB8_22 Depth=1
	global_load_u8 v5, v3, s[6:7]
	s_wait_loadcnt 0x0
	v_bitop3_b32 v6, s1, s3, v5 bitop3:0x48
	s_delay_alu instid0(VALU_DEP_1)
	v_cmp_eq_u32_e64 s0, 0, v6
	s_and_b32 exec_lo, exec_lo, s0
	s_cbranch_execz .LBB8_21
; %bb.24:                               ;   in Loop: Header=BB8_22 Depth=1
	v_lshrrev_b32_e32 v5, s8, v5
	s_delay_alu instid0(VALU_DEP_1)
	v_lshlrev_b32_e32 v5, 2, v5
	ds_add_u32 v5, v4
	s_branch .LBB8_21
.LBB8_25:
	s_wait_dscnt 0x0
	s_barrier_signal -1
	s_barrier_wait -1
	s_and_saveexec_b32 s0, vcc_lo
	s_cbranch_execz .LBB8_27
; %bb.26:
	ds_load_b32 v1, v1
	v_lshl_or_b32 v0, s18, 8, v0
	s_wait_dscnt 0x0
	global_store_b16 v0, v1, s[10:11] scale_offset
.LBB8_27:
	s_endpgm
	.section	.rodata,"a",@progbits
	.p2align	6, 0x0
	.amdhsa_kernel _ZN2at6native6mbtopk23computeBlockDigitCountsIhjjLi3EEEvNS_4cuda6detail10TensorInfoIKT_T0_EEjPjjS8_iijT1_PSB_Ps
		.amdhsa_group_segment_fixed_size 1024
		.amdhsa_private_segment_fixed_size 0
		.amdhsa_kernarg_size 528
		.amdhsa_user_sgpr_count 2
		.amdhsa_user_sgpr_dispatch_ptr 0
		.amdhsa_user_sgpr_queue_ptr 0
		.amdhsa_user_sgpr_kernarg_segment_ptr 1
		.amdhsa_user_sgpr_dispatch_id 0
		.amdhsa_user_sgpr_kernarg_preload_length 0
		.amdhsa_user_sgpr_kernarg_preload_offset 0
		.amdhsa_user_sgpr_private_segment_size 0
		.amdhsa_wavefront_size32 1
		.amdhsa_uses_dynamic_stack 0
		.amdhsa_enable_private_segment 0
		.amdhsa_system_sgpr_workgroup_id_x 1
		.amdhsa_system_sgpr_workgroup_id_y 1
		.amdhsa_system_sgpr_workgroup_id_z 1
		.amdhsa_system_sgpr_workgroup_info 0
		.amdhsa_system_vgpr_workitem_id 0
		.amdhsa_next_free_vgpr 10
		.amdhsa_next_free_sgpr 30
		.amdhsa_named_barrier_count 0
		.amdhsa_reserve_vcc 1
		.amdhsa_float_round_mode_32 0
		.amdhsa_float_round_mode_16_64 0
		.amdhsa_float_denorm_mode_32 3
		.amdhsa_float_denorm_mode_16_64 3
		.amdhsa_fp16_overflow 0
		.amdhsa_memory_ordered 1
		.amdhsa_forward_progress 1
		.amdhsa_inst_pref_size 12
		.amdhsa_round_robin_scheduling 0
		.amdhsa_exception_fp_ieee_invalid_op 0
		.amdhsa_exception_fp_denorm_src 0
		.amdhsa_exception_fp_ieee_div_zero 0
		.amdhsa_exception_fp_ieee_overflow 0
		.amdhsa_exception_fp_ieee_underflow 0
		.amdhsa_exception_fp_ieee_inexact 0
		.amdhsa_exception_int_div_zero 0
	.end_amdhsa_kernel
	.section	.text._ZN2at6native6mbtopk23computeBlockDigitCountsIhjjLi3EEEvNS_4cuda6detail10TensorInfoIKT_T0_EEjPjjS8_iijT1_PSB_Ps,"axG",@progbits,_ZN2at6native6mbtopk23computeBlockDigitCountsIhjjLi3EEEvNS_4cuda6detail10TensorInfoIKT_T0_EEjPjjS8_iijT1_PSB_Ps,comdat
.Lfunc_end8:
	.size	_ZN2at6native6mbtopk23computeBlockDigitCountsIhjjLi3EEEvNS_4cuda6detail10TensorInfoIKT_T0_EEjPjjS8_iijT1_PSB_Ps, .Lfunc_end8-_ZN2at6native6mbtopk23computeBlockDigitCountsIhjjLi3EEEvNS_4cuda6detail10TensorInfoIKT_T0_EEjPjjS8_iijT1_PSB_Ps
                                        ; -- End function
	.set _ZN2at6native6mbtopk23computeBlockDigitCountsIhjjLi3EEEvNS_4cuda6detail10TensorInfoIKT_T0_EEjPjjS8_iijT1_PSB_Ps.num_vgpr, 10
	.set _ZN2at6native6mbtopk23computeBlockDigitCountsIhjjLi3EEEvNS_4cuda6detail10TensorInfoIKT_T0_EEjPjjS8_iijT1_PSB_Ps.num_agpr, 0
	.set _ZN2at6native6mbtopk23computeBlockDigitCountsIhjjLi3EEEvNS_4cuda6detail10TensorInfoIKT_T0_EEjPjjS8_iijT1_PSB_Ps.numbered_sgpr, 30
	.set _ZN2at6native6mbtopk23computeBlockDigitCountsIhjjLi3EEEvNS_4cuda6detail10TensorInfoIKT_T0_EEjPjjS8_iijT1_PSB_Ps.num_named_barrier, 0
	.set _ZN2at6native6mbtopk23computeBlockDigitCountsIhjjLi3EEEvNS_4cuda6detail10TensorInfoIKT_T0_EEjPjjS8_iijT1_PSB_Ps.private_seg_size, 0
	.set _ZN2at6native6mbtopk23computeBlockDigitCountsIhjjLi3EEEvNS_4cuda6detail10TensorInfoIKT_T0_EEjPjjS8_iijT1_PSB_Ps.uses_vcc, 1
	.set _ZN2at6native6mbtopk23computeBlockDigitCountsIhjjLi3EEEvNS_4cuda6detail10TensorInfoIKT_T0_EEjPjjS8_iijT1_PSB_Ps.uses_flat_scratch, 0
	.set _ZN2at6native6mbtopk23computeBlockDigitCountsIhjjLi3EEEvNS_4cuda6detail10TensorInfoIKT_T0_EEjPjjS8_iijT1_PSB_Ps.has_dyn_sized_stack, 0
	.set _ZN2at6native6mbtopk23computeBlockDigitCountsIhjjLi3EEEvNS_4cuda6detail10TensorInfoIKT_T0_EEjPjjS8_iijT1_PSB_Ps.has_recursion, 0
	.set _ZN2at6native6mbtopk23computeBlockDigitCountsIhjjLi3EEEvNS_4cuda6detail10TensorInfoIKT_T0_EEjPjjS8_iijT1_PSB_Ps.has_indirect_call, 0
	.section	.AMDGPU.csdata,"",@progbits
; Kernel info:
; codeLenInByte = 1464
; TotalNumSgprs: 32
; NumVgprs: 10
; ScratchSize: 0
; MemoryBound: 0
; FloatMode: 240
; IeeeMode: 1
; LDSByteSize: 1024 bytes/workgroup (compile time only)
; SGPRBlocks: 0
; VGPRBlocks: 0
; NumSGPRsForWavesPerEU: 32
; NumVGPRsForWavesPerEU: 10
; NamedBarCnt: 0
; Occupancy: 16
; WaveLimiterHint : 1
; COMPUTE_PGM_RSRC2:SCRATCH_EN: 0
; COMPUTE_PGM_RSRC2:USER_SGPR: 2
; COMPUTE_PGM_RSRC2:TRAP_HANDLER: 0
; COMPUTE_PGM_RSRC2:TGID_X_EN: 1
; COMPUTE_PGM_RSRC2:TGID_Y_EN: 1
; COMPUTE_PGM_RSRC2:TGID_Z_EN: 1
; COMPUTE_PGM_RSRC2:TIDIG_COMP_CNT: 0
	.section	.text._ZN2at6native6mbtopk10gatherTopKIhjLi3EEEvNS_4cuda6detail10TensorInfoIKT_T0_EES8_S8_bjS8_NS5_IS6_S8_EES8_NS5_IlS8_EES8_jjPS6_PjSD_j,"axG",@progbits,_ZN2at6native6mbtopk10gatherTopKIhjLi3EEEvNS_4cuda6detail10TensorInfoIKT_T0_EES8_S8_bjS8_NS5_IS6_S8_EES8_NS5_IlS8_EES8_jjPS6_PjSD_j,comdat
	.protected	_ZN2at6native6mbtopk10gatherTopKIhjLi3EEEvNS_4cuda6detail10TensorInfoIKT_T0_EES8_S8_bjS8_NS5_IS6_S8_EES8_NS5_IlS8_EES8_jjPS6_PjSD_j ; -- Begin function _ZN2at6native6mbtopk10gatherTopKIhjLi3EEEvNS_4cuda6detail10TensorInfoIKT_T0_EES8_S8_bjS8_NS5_IS6_S8_EES8_NS5_IlS8_EES8_jjPS6_PjSD_j
	.globl	_ZN2at6native6mbtopk10gatherTopKIhjLi3EEEvNS_4cuda6detail10TensorInfoIKT_T0_EES8_S8_bjS8_NS5_IS6_S8_EES8_NS5_IlS8_EES8_jjPS6_PjSD_j
	.p2align	8
	.type	_ZN2at6native6mbtopk10gatherTopKIhjLi3EEEvNS_4cuda6detail10TensorInfoIKT_T0_EES8_S8_bjS8_NS5_IS6_S8_EES8_NS5_IlS8_EES8_jjPS6_PjSD_j,@function
_ZN2at6native6mbtopk10gatherTopKIhjLi3EEEvNS_4cuda6detail10TensorInfoIKT_T0_EES8_S8_bjS8_NS5_IS6_S8_EES8_NS5_IlS8_EES8_jjPS6_PjSD_j: ; @_ZN2at6native6mbtopk10gatherTopKIhjLi3EEEvNS_4cuda6detail10TensorInfoIKT_T0_EES8_S8_bjS8_NS5_IS6_S8_EES8_NS5_IlS8_EES8_jjPS6_PjSD_j
; %bb.0:
	s_bfe_u32 s2, ttmp6, 0x40010
	s_and_b32 s4, ttmp7, 0xffff
	s_add_co_i32 s5, s2, 1
	s_clause 0x1
	s_load_b32 s6, s[0:1], 0x2d0
	s_load_b64 s[2:3], s[0:1], 0x2d8
	s_bfe_u32 s8, ttmp6, 0x4000c
	s_mul_i32 s5, s4, s5
	s_bfe_u32 s7, ttmp6, 0x40004
	s_add_co_i32 s8, s8, 1
	s_bfe_u32 s9, ttmp6, 0x40014
	s_add_co_i32 s7, s7, s5
	s_and_b32 s5, ttmp6, 15
	s_mul_i32 s8, ttmp9, s8
	s_lshr_b32 s10, ttmp7, 16
	s_add_co_i32 s9, s9, 1
	s_add_co_i32 s5, s5, s8
	s_mul_i32 s8, s10, s9
	s_bfe_u32 s9, ttmp6, 0x40008
	s_getreg_b32 s11, hwreg(HW_REG_IB_STS2, 6, 4)
	s_add_co_i32 s9, s9, s8
	s_cmp_eq_u32 s11, 0
	s_mov_b32 s25, 0
	s_cselect_b32 s8, s10, s9
	s_cselect_b32 s4, s4, s7
	s_wait_kmcnt 0x0
	s_mul_i32 s3, s3, s8
	s_cselect_b32 s5, ttmp9, s5
	s_add_co_i32 s3, s3, s4
	s_delay_alu instid0(SALU_CYCLE_1) | instskip(NEXT) | instid1(SALU_CYCLE_1)
	s_mul_i32 s2, s3, s2
	s_add_co_i32 s2, s2, s5
	s_delay_alu instid0(SALU_CYCLE_1)
	s_cmp_ge_u32 s2, s6
	s_cbranch_scc1 .LBB9_40
; %bb.1:
	s_clause 0x4
	s_load_b96 s[12:14], s[0:1], 0x2a8
	s_load_b128 s[4:7], s[0:1], 0x2b8
	s_load_b64 s[30:31], s[0:1], 0xc
	s_load_b64 s[28:29], s[0:1], 0xfc
	;; [unrolled: 1-line block ×3, first 2 shown]
	s_mov_b32 s39, s25
	s_mov_b32 s37, s25
	s_mov_b32 s41, s25
	s_mov_b32 s35, s25
	s_mov_b32 s43, s25
	s_wait_kmcnt 0x0
	s_cvt_f32_u32 s3, s14
	s_sub_co_i32 s8, 0, s14
	s_delay_alu instid0(SALU_CYCLE_2) | instskip(SKIP_1) | instid1(TRANS32_DEP_1)
	v_rcp_iflag_f32_e32 v1, s3
	v_nop
	v_readfirstlane_b32 s3, v1
	s_mul_f32 s3, s3, 0x4f7ffffe
	s_delay_alu instid0(SALU_CYCLE_3) | instskip(NEXT) | instid1(SALU_CYCLE_3)
	s_cvt_u32_f32 s3, s3
	s_mul_i32 s8, s8, s3
	s_delay_alu instid0(SALU_CYCLE_1) | instskip(NEXT) | instid1(SALU_CYCLE_1)
	s_mul_hi_u32 s8, s3, s8
	s_add_co_i32 s3, s3, s8
	s_delay_alu instid0(SALU_CYCLE_1) | instskip(NEXT) | instid1(SALU_CYCLE_1)
	s_mul_hi_u32 s3, s2, s3
	s_mul_i32 s8, s3, s14
	s_add_co_i32 s9, s3, 1
	s_sub_co_i32 s8, s2, s8
	s_delay_alu instid0(SALU_CYCLE_1)
	s_sub_co_i32 s10, s8, s14
	s_cmp_ge_u32 s8, s14
	s_cselect_b32 s3, s9, s3
	s_cselect_b32 s8, s10, s8
	s_add_co_i32 s9, s3, 1
	s_cmp_ge_u32 s8, s14
	s_cvt_f32_u32 s10, s28
	s_cselect_b32 s15, s9, s3
	s_cvt_f32_u32 s3, s31
	v_mov_b32_e32 v1, s15
	s_cvt_f32_u32 s9, s30
	s_delay_alu instid0(SALU_CYCLE_1) | instskip(NEXT) | instid1(SALU_CYCLE_2)
	v_rcp_iflag_f32_e32 v2, s3
	v_rcp_iflag_f32_e32 v3, s9
	global_load_u8 v1, v1, s[4:5]
	s_wait_xcnt 0x0
	s_sub_co_i32 s4, 0, s31
	s_cvt_f32_u32 s5, s29
	v_readfirstlane_b32 s3, v2
	s_delay_alu instid0(SALU_CYCLE_2) | instskip(SKIP_2) | instid1(TRANS32_DEP_1)
	v_rcp_iflag_f32_e32 v2, s5
	s_mul_f32 s3, s3, 0x4f7ffffe
	v_nop
	v_readfirstlane_b32 s9, v2
	s_delay_alu instid0(SALU_CYCLE_1) | instskip(SKIP_1) | instid1(SALU_CYCLE_2)
	s_cvt_u32_f32 s3, s3
	s_mul_f32 s9, s9, 0x4f7ffffe
	s_mul_i32 s4, s4, s3
	s_delay_alu instid0(SALU_CYCLE_1) | instskip(NEXT) | instid1(SALU_CYCLE_1)
	s_mul_hi_u32 s4, s3, s4
	s_add_co_i32 s3, s3, s4
	s_mul_i32 s4, s15, s14
	s_mul_hi_u32 s3, s15, s3
	s_sub_co_i32 s33, s2, s4
	s_mul_i32 s8, s3, s31
	s_add_co_i32 s5, s3, 1
	s_sub_co_i32 s2, s15, s8
	s_delay_alu instid0(SALU_CYCLE_1)
	s_sub_co_i32 s8, s2, s31
	s_cmp_ge_u32 s2, s31
	s_cselect_b32 s3, s5, s3
	s_cselect_b32 s2, s8, s2
	v_readfirstlane_b32 s8, v3
	s_add_co_i32 s5, s3, 1
	s_cmp_ge_u32 s2, s31
	s_cvt_u32_f32 s2, s9
	s_cselect_b32 s24, s5, s3
	s_mul_f32 s3, s8, 0x4f7ffffe
	s_sub_co_i32 s5, 0, s29
	s_sub_co_i32 s8, 0, s30
	s_mul_i32 s5, s5, s2
	s_cvt_u32_f32 s3, s3
	s_mul_hi_u32 s5, s2, s5
	s_cvt_f32_u32 s9, s27
	s_add_co_i32 s2, s2, s5
	s_mul_i32 s8, s8, s3
	s_mul_hi_u32 s2, s15, s2
	s_mul_hi_u32 s5, s3, s8
	s_mul_i32 s8, s2, s29
	v_rcp_iflag_f32_e32 v2, s9
	s_add_co_i32 s38, s3, s5
	s_sub_co_i32 s3, s15, s8
	v_rcp_iflag_f32_e32 v3, s10
	s_add_co_i32 s5, s2, 1
	s_sub_co_i32 s8, s3, s29
	s_cmp_ge_u32 s3, s29
	s_cselect_b32 s2, s5, s2
	v_readfirstlane_b32 s5, v2
	s_delay_alu instid0(TRANS32_DEP_1)
	v_readfirstlane_b32 s9, v3
	s_cselect_b32 s3, s8, s3
	s_add_co_i32 s8, s2, 1
	s_cmp_ge_u32 s3, s29
	s_mul_f32 s3, s5, 0x4f7ffffe
	s_mul_f32 s5, s9, 0x4f7ffffe
	s_cselect_b32 s36, s8, s2
	s_cvt_f32_u32 s9, s26
	s_cvt_u32_f32 s2, s3
	s_cvt_u32_f32 s3, s5
	s_sub_co_i32 s5, 0, s27
	v_rcp_iflag_f32_e32 v2, s9
	s_mul_i32 s5, s5, s2
	s_sub_co_i32 s8, 0, s28
	s_mul_hi_u32 s5, s2, s5
	s_mul_i32 s8, s8, s3
	s_add_co_i32 s2, s2, s5
	s_mul_hi_u32 s5, s3, s8
	s_mul_hi_u32 s2, s15, s2
	s_add_co_i32 s40, s3, s5
	s_mul_i32 s8, s2, s27
	s_add_co_i32 s5, s2, 1
	s_sub_co_i32 s3, s15, s8
	v_nop
	v_readfirstlane_b32 s8, v2
	s_sub_co_i32 s9, s3, s27
	s_cmp_ge_u32 s3, s27
	s_cselect_b32 s2, s5, s2
	s_mul_f32 s5, s8, 0x4f7ffffe
	s_cselect_b32 s3, s9, s3
	s_add_co_i32 s8, s2, 1
	s_cmp_ge_u32 s3, s27
	s_cvt_u32_f32 s5, s5
	s_cselect_b32 s34, s8, s2
	s_sub_co_i32 s2, 0, s26
	v_cmp_eq_u32_e64 s3, 0, v0
	s_mul_i32 s2, s2, s5
	s_delay_alu instid0(SALU_CYCLE_1)
	s_mul_hi_u32 s8, s5, s2
	v_cmp_ne_u32_e64 s2, 0, v0
	s_add_co_i32 s42, s5, s8
	s_and_saveexec_b32 s44, s3
	s_cbranch_execz .LBB9_17
; %bb.2:
	s_load_b64 s[18:19], s[0:1], 0x2c8
	s_mov_b32 s5, 0
	s_delay_alu instid0(SALU_CYCLE_1)
	s_lshl_b64 s[20:21], s[4:5], 2
	s_cmp_lt_u32 s14, 4
	s_cbranch_scc1 .LBB9_14
; %bb.3:
	s_mov_b64 s[16:17], 0
	s_mov_b32 s4, 0
.LBB9_4:                                ; =>This Inner Loop Header: Depth=1
	s_add_nc_u64 s[22:23], s[6:7], s[20:21]
	s_cmp_ge_u32 s4, s33
	s_load_b128 s[8:11], s[22:23], 0x0
	s_wait_kmcnt 0x0
	s_add_nc_u64 s[22:23], s[18:19], s[20:21]
	s_cbranch_scc0 .LBB9_11
; %bb.5:                                ;   in Loop: Header=BB9_4 Depth=1
	s_add_co_i32 s45, s4, 1
	s_delay_alu instid0(SALU_CYCLE_1)
	s_cmp_ge_u32 s45, s33
	s_cbranch_scc0 .LBB9_12
.LBB9_6:                                ;   in Loop: Header=BB9_4 Depth=1
	s_add_co_i32 s45, s45, 1
	s_delay_alu instid0(SALU_CYCLE_1)
	s_cmp_ge_u32 s45, s33
	s_cbranch_scc0 .LBB9_13
.LBB9_7:                                ;   in Loop: Header=BB9_4 Depth=1
	s_add_co_i32 s45, s45, 1
	s_delay_alu instid0(SALU_CYCLE_1)
	s_cmp_ge_u32 s45, s33
	s_cbranch_scc1 .LBB9_9
.LBB9_8:                                ;   in Loop: Header=BB9_4 Depth=1
	s_load_b32 s22, s[22:23], 0xc
	s_add_co_i32 s17, s11, s17
	s_wait_kmcnt 0x0
	s_add_co_i32 s16, s22, s16
.LBB9_9:                                ;   in Loop: Header=BB9_4 Depth=1
	s_add_co_i32 s5, s8, s5
	s_add_co_i32 s8, s45, 1
	;; [unrolled: 1-line block ×5, first 2 shown]
	s_add_nc_u64 s[6:7], s[6:7], 16
	s_add_co_i32 s5, s5, s11
	s_cmp_ge_u32 s9, s14
	s_add_nc_u64 s[18:19], s[18:19], 16
	s_cbranch_scc1 .LBB9_15
; %bb.10:                               ;   in Loop: Header=BB9_4 Depth=1
	s_mov_b32 s4, s8
	s_branch .LBB9_4
.LBB9_11:                               ;   in Loop: Header=BB9_4 Depth=1
	s_load_b32 s45, s[22:23], 0x0
	s_add_co_i32 s17, s8, s17
	s_wait_kmcnt 0x0
	s_add_co_i32 s16, s45, s16
	s_add_co_i32 s45, s4, 1
	s_delay_alu instid0(SALU_CYCLE_1)
	s_cmp_ge_u32 s45, s33
	s_cbranch_scc1 .LBB9_6
.LBB9_12:                               ;   in Loop: Header=BB9_4 Depth=1
	s_load_b32 s46, s[22:23], 0x4
	s_add_co_i32 s17, s9, s17
	s_wait_kmcnt 0x0
	s_add_co_i32 s16, s46, s16
	s_add_co_i32 s45, s45, 1
	s_delay_alu instid0(SALU_CYCLE_1)
	s_cmp_ge_u32 s45, s33
	s_cbranch_scc1 .LBB9_7
.LBB9_13:                               ;   in Loop: Header=BB9_4 Depth=1
	s_load_b32 s46, s[22:23], 0x8
	s_add_co_i32 s17, s10, s17
	s_wait_kmcnt 0x0
	s_add_co_i32 s16, s46, s16
	s_add_co_i32 s45, s45, 1
	s_delay_alu instid0(SALU_CYCLE_1)
	s_cmp_ge_u32 s45, s33
	s_cbranch_scc0 .LBB9_8
	s_branch .LBB9_9
.LBB9_14:
	s_mov_b64 s[16:17], 0
	s_add_nc_u64 s[6:7], s[6:7], s[20:21]
	s_wait_kmcnt 0x0
	s_add_nc_u64 s[8:9], s[18:19], s[20:21]
	s_mov_b32 s4, 0
	s_delay_alu instid0(SALU_CYCLE_1)
	s_cmp_ge_u32 s4, s14
	s_cbranch_scc0 .LBB9_38
	s_branch .LBB9_16
.LBB9_15:
	s_add_co_i32 s4, s4, 4
	s_add_nc_u64 s[8:9], s[18:19], s[20:21]
	s_add_nc_u64 s[6:7], s[6:7], s[20:21]
	s_cmp_ge_u32 s4, s14
	s_cbranch_scc0 .LBB9_38
.LBB9_16:
	v_dual_mov_b32 v2, s16 :: v_dual_mov_b32 v3, s5
	v_dual_mov_b32 v4, s17 :: v_dual_mov_b32 v5, 0
	ds_store_b96 v5, v[2:4] offset:1056
.LBB9_17:
	s_or_b32 exec_lo, exec_lo, s44
	s_mul_u64 s[6:7], s[34:35], s[42:43]
	s_clause 0x6
	s_load_b96 s[4:6], s[0:1], 0xd8
	s_load_b96 s[8:10], s[0:1], 0x23c
	s_load_b64 s[44:45], s[0:1], 0x1d0
	s_load_b96 s[16:18], s[0:1], 0x15c
	s_load_b64 s[46:47], s[0:1], 0xf0
	;; [unrolled: 2-line block ×3, first 2 shown]
	s_mul_i32 s11, s13, s33
	s_mul_u64 s[50:51], s[24:25], s[38:39]
	s_lshl_b32 s19, s11, 8
	s_mov_b32 s39, 0
	s_add_co_i32 s33, s33, 1
	s_mul_u64 s[40:41], s[36:37], s[40:41]
	s_wait_loadcnt_dscnt 0x0
	s_barrier_signal -1
	s_barrier_wait -1
	s_wait_kmcnt 0x0
	s_sub_co_i32 s38, s4, s19
	s_delay_alu instid0(SALU_CYCLE_1) | instskip(NEXT) | instid1(SALU_CYCLE_1)
	s_add_nc_u64 s[42:43], s[38:39], 0xff
	s_lshr_b64 s[42:43], s[42:43], 8
	s_cmp_lt_u32 s33, s14
	s_cselect_b32 s13, s13, s42
	s_delay_alu instid0(SALU_CYCLE_1)
	s_cmp_eq_u32 s13, 0
	s_cbranch_scc1 .LBB9_40
; %bb.18:
	s_mul_i32 s14, s51, s30
	s_mul_i32 s11, s24, s31
	s_sub_co_i32 s14, s24, s14
	s_sub_co_i32 s11, s15, s11
	s_add_co_i32 s23, s51, 1
	s_sub_co_i32 s25, s14, s30
	s_cmp_ge_u32 s14, s30
	s_mul_i32 s11, s11, s22
	s_cselect_b32 s23, s23, s51
	s_cselect_b32 s14, s25, s14
	s_add_co_i32 s25, s23, 1
	s_cmp_ge_u32 s14, s30
	s_mul_i32 s14, s36, s29
	s_cselect_b32 s23, s25, s23
	s_mul_i32 s25, s41, s28
	s_mul_i32 s29, s23, s30
	;; [unrolled: 1-line block ×3, first 2 shown]
	s_sub_co_i32 s22, s24, s29
	s_sub_co_i32 s20, s36, s25
	s_mul_i32 s21, s22, s21
	s_sub_co_i32 s14, s15, s14
	s_add_co_i32 s11, s21, s11
	s_sub_co_i32 s21, s20, s28
	s_add_co_i32 s38, s11, s23
	s_add_co_i32 s11, s41, 1
	s_cmp_ge_u32 s20, s28
	s_mul_i32 s14, s14, s18
	s_cselect_b32 s11, s11, s41
	s_cselect_b32 s20, s21, s20
	s_add_co_i32 s21, s11, 1
	s_cmp_ge_u32 s20, s28
	s_mul_i32 s22, s7, s26
	s_cselect_b32 s11, s21, s11
	s_mul_i32 s20, s34, s27
	s_mul_i32 s21, s11, s28
	;; [unrolled: 1-line block ×3, first 2 shown]
	s_sub_co_i32 s21, s36, s21
	s_sub_co_i32 s15, s15, s20
	s_mul_i32 s17, s21, s17
	s_add_co_i32 s16, s7, 1
	s_add_co_i32 s14, s17, s14
	v_dual_mov_b32 v7, 0 :: v_dual_lshrrev_b32 v5, 3, v0
	s_add_co_i32 s14, s14, s11
	s_sub_co_i32 s11, s34, s22
	s_load_b32 s18, s[0:1], 0xe8
	s_sub_co_i32 s17, s11, s26
	s_cmp_ge_u32 s11, s26
	ds_load_b96 v[2:4], v7 offset:1056
	s_cselect_b32 s7, s16, s7
	s_cselect_b32 s11, s17, s11
	s_add_co_i32 s16, s7, 1
	s_cmp_ge_u32 s11, s26
	s_mul_i32 s15, s15, s10
	s_cselect_b32 s7, s16, s7
	v_dual_add_nc_u32 v8, -1, v0 :: v_dual_bitop2_b32 v5, 28, v5 bitop3:0x40
	s_mul_i32 s11, s7, s26
	s_mul_i32 s7, s7, s8
	s_sub_co_i32 s11, s34, s11
	v_dual_add_nc_u32 v6, s19, v0 :: v_dual_lshlrev_b32 v11, 5, v0
	s_mul_i32 s9, s11, s9
	v_lshrrev_b32_e32 v9, 3, v8
	s_add_co_i32 s8, s9, s15
	s_mov_b32 s15, s39
	v_and_b32_e32 v10, 0xfc, v0
	s_add_nc_u64 s[10:11], s[46:47], s[14:15]
	s_load_b32 s14, s[0:1], 0x1c8
	s_wait_dscnt 0x0
	v_add_nc_u32_e32 v2, v2, v3
	v_lshl_add_u32 v3, v0, 2, v5
	s_wait_kmcnt 0x0
	v_mul_lo_u32 v5, s18, v6
	v_cmp_gt_u32_e64 s0, 32, v0
	v_and_b32_e32 v9, 0x1ffffffc, v9
	v_mbcnt_lo_u32_b32 v0, -1, 0
	s_add_co_i32 s16, s8, s7
	s_mov_b32 s17, s39
	v_and_b32_e32 v1, 0xff, v1
	s_lshl_b64 s[16:17], s[16:17], 3
	v_lshl_add_u32 v8, v8, 2, v9
	v_dual_add_nc_u32 v9, v10, v11 :: v_dual_bitop2_b32 v10, 15, v0 bitop3:0x40
	v_bfe_i32 v11, v0, 4, 1
	v_add_nc_u32_e32 v12, -1, v0
	s_bitcmp1_b32 s6, 0
	s_add_nc_u64 s[8:9], s[48:49], s[38:39]
	s_add_nc_u64 s[6:7], s[44:45], s[16:17]
	s_cselect_b32 s1, -1, 0
	s_lshl_b32 s15, s18, 8
                                        ; implicit-def: $vgpr13
	s_branch .LBB9_21
.LBB9_19:                               ;   in Loop: Header=BB9_21 Depth=1
	s_wait_xcnt 0x0
	s_or_b32 exec_lo, exec_lo, s16
	v_add_nc_u32_e32 v2, v16, v2
.LBB9_20:                               ;   in Loop: Header=BB9_21 Depth=1
	v_dual_add_nc_u32 v4, v15, v4 :: v_dual_add_nc_u32 v5, s15, v5
	v_add_nc_u32_e32 v6, 0x100, v6
	s_add_co_i32 s13, s13, -1
	s_delay_alu instid0(SALU_CYCLE_1)
	s_cmp_lg_u32 s13, 0
	s_cbranch_scc0 .LBB9_40
.LBB9_21:                               ; =>This Inner Loop Header: Depth=1
	v_dual_mov_b32 v16, 0 :: v_dual_mov_b32 v14, 0
	s_mov_b32 s16, exec_lo
	v_cmpx_gt_u32_e64 s4, v6
	s_cbranch_execz .LBB9_23
; %bb.22:                               ;   in Loop: Header=BB9_21 Depth=1
	global_load_u8 v13, v5, s[8:9]
	s_wait_loadcnt 0x0
	v_cmp_gt_u16_e32 vcc_lo, v13, v1
	v_cndmask_b32_e64 v14, 0, 1, vcc_lo
	v_cmp_lt_u16_e32 vcc_lo, v13, v1
	v_cndmask_b32_e64 v15, 0, 1, vcc_lo
	v_cmp_eq_u16_e32 vcc_lo, v13, v1
	s_delay_alu instid0(VALU_DEP_2) | instskip(NEXT) | instid1(VALU_DEP_1)
	v_cndmask_b32_e64 v14, v15, v14, s1
	v_and_b32_e32 v16, 1, v14
	v_cndmask_b32_e64 v14, 0, 1, vcc_lo
.LBB9_23:                               ;   in Loop: Header=BB9_21 Depth=1
	s_wait_xcnt 0x0
	s_or_b32 exec_lo, exec_lo, s16
	ds_store_b32 v3, v16
	s_wait_dscnt 0x0
	s_barrier_signal -1
	s_barrier_wait -1
	s_and_saveexec_b32 s16, s0
	s_cbranch_execz .LBB9_25
; %bb.24:                               ;   in Loop: Header=BB9_21 Depth=1
	ds_load_2addr_b32 v[18:19], v9 offset1:1
	ds_load_2addr_b32 v[20:21], v9 offset0:2 offset1:3
	ds_load_2addr_b32 v[22:23], v9 offset0:4 offset1:5
	;; [unrolled: 1-line block ×3, first 2 shown]
	v_cmp_ne_u32_e32 vcc_lo, 0, v10
	; wave barrier
	s_wait_dscnt 0x3
	v_add_nc_u32_e32 v15, v19, v18
	s_wait_dscnt 0x2
	s_delay_alu instid0(VALU_DEP_1) | instskip(SKIP_1) | instid1(VALU_DEP_1)
	v_add3_u32 v15, v15, v20, v21
	s_wait_dscnt 0x1
	v_add3_u32 v15, v15, v22, v23
	s_wait_dscnt 0x0
	s_delay_alu instid0(VALU_DEP_1) | instskip(NEXT) | instid1(VALU_DEP_1)
	v_add3_u32 v15, v15, v24, v25
	v_mov_b32_dpp v17, v15 row_shr:1 row_mask:0xf bank_mask:0xf
	s_delay_alu instid0(VALU_DEP_1) | instskip(SKIP_1) | instid1(VALU_DEP_2)
	v_cndmask_b32_e32 v17, 0, v17, vcc_lo
	v_cmp_lt_u32_e32 vcc_lo, 1, v10
	v_add_nc_u32_e32 v15, v17, v15
	s_delay_alu instid0(VALU_DEP_1) | instskip(NEXT) | instid1(VALU_DEP_1)
	v_mov_b32_dpp v17, v15 row_shr:2 row_mask:0xf bank_mask:0xf
	v_cndmask_b32_e32 v17, 0, v17, vcc_lo
	v_cmp_lt_u32_e32 vcc_lo, 3, v10
	s_delay_alu instid0(VALU_DEP_2) | instskip(NEXT) | instid1(VALU_DEP_1)
	v_add_nc_u32_e32 v15, v15, v17
	v_mov_b32_dpp v17, v15 row_shr:4 row_mask:0xf bank_mask:0xf
	s_delay_alu instid0(VALU_DEP_1) | instskip(SKIP_1) | instid1(VALU_DEP_2)
	v_cndmask_b32_e32 v17, 0, v17, vcc_lo
	v_cmp_lt_u32_e32 vcc_lo, 7, v10
	v_add_nc_u32_e32 v15, v15, v17
	s_delay_alu instid0(VALU_DEP_1) | instskip(NEXT) | instid1(VALU_DEP_1)
	v_mov_b32_dpp v17, v15 row_shr:8 row_mask:0xf bank_mask:0xf
	v_cndmask_b32_e32 v17, 0, v17, vcc_lo
	v_cmp_gt_i32_e32 vcc_lo, 0, v12
	s_delay_alu instid0(VALU_DEP_2) | instskip(SKIP_3) | instid1(VALU_DEP_1)
	v_dual_add_nc_u32 v15, v15, v17 :: v_dual_cndmask_b32 v19, v12, v0, vcc_lo
	ds_swizzle_b32 v17, v15 offset:swizzle(BROADCAST,32,15)
	s_wait_dscnt 0x0
	v_dual_lshlrev_b32 v19, 2, v19 :: v_dual_bitop2_b32 v17, v11, v17 bitop3:0x40
	v_add_nc_u32_e32 v15, v15, v17
	ds_bpermute_b32 v15, v19, v15
	s_wait_dscnt 0x0
	v_add_nc_u32_e32 v15, v15, v18
	s_delay_alu instid0(VALU_DEP_1)
	v_cndmask_b32_e64 v15, v15, v16, s3
	ds_store_b32 v9, v15
	; wave barrier
	ds_load_2addr_b32 v[18:19], v9 offset0:1 offset1:2
	ds_load_2addr_b32 v[20:21], v9 offset0:3 offset1:4
	;; [unrolled: 1-line block ×3, first 2 shown]
	ds_load_b32 v17, v9 offset:28
	s_wait_dscnt 0x3
	v_add_nc_u32_e32 v15, v18, v15
	s_delay_alu instid0(VALU_DEP_1) | instskip(SKIP_1) | instid1(VALU_DEP_1)
	v_add_nc_u32_e32 v18, v19, v15
	s_wait_dscnt 0x2
	v_add_nc_u32_e32 v19, v20, v18
	s_delay_alu instid0(VALU_DEP_1) | instskip(SKIP_1) | instid1(VALU_DEP_1)
	v_add_nc_u32_e32 v20, v21, v19
	;; [unrolled: 4-line block ×3, first 2 shown]
	s_wait_dscnt 0x0
	v_add_nc_u32_e32 v17, v17, v22
	ds_store_2addr_b32 v9, v15, v18 offset0:1 offset1:2
	ds_store_2addr_b32 v9, v19, v20 offset0:3 offset1:4
	;; [unrolled: 1-line block ×3, first 2 shown]
	ds_store_b32 v9, v17 offset:28
.LBB9_25:                               ;   in Loop: Header=BB9_21 Depth=1
	s_or_b32 exec_lo, exec_lo, s16
	v_mov_b32_e32 v17, 0
	s_wait_dscnt 0x0
	s_barrier_signal -1
	s_barrier_wait -1
	s_and_saveexec_b32 s16, s2
; %bb.26:                               ;   in Loop: Header=BB9_21 Depth=1
	ds_load_b32 v17, v8
; %bb.27:                               ;   in Loop: Header=BB9_21 Depth=1
	s_or_b32 exec_lo, exec_lo, s16
	ds_load_b32 v15, v7 offset:1048
	s_mov_b32 s16, exec_lo
	s_wait_dscnt 0x0
	s_barrier_signal -1
	s_barrier_wait -1
	v_cmpx_ne_u32_e32 0, v16
	s_cbranch_execz .LBB9_29
; %bb.28:                               ;   in Loop: Header=BB9_21 Depth=1
	v_add_nc_u32_e32 v16, v17, v4
	s_delay_alu instid0(VALU_DEP_1)
	v_mul_lo_u32 v17, v16, s14
	v_mul_lo_u32 v16, v16, s12
	global_store_b8 v17, v13, s[10:11]
	global_store_b64 v16, v[6:7], s[6:7] scale_offset
.LBB9_29:                               ;   in Loop: Header=BB9_21 Depth=1
	s_wait_xcnt 0x0
	s_or_b32 exec_lo, exec_lo, s16
	v_cmp_le_u32_e32 vcc_lo, s5, v2
	s_cbranch_vccnz .LBB9_20
; %bb.30:                               ;   in Loop: Header=BB9_21 Depth=1
	ds_store_b32 v3, v14
	s_wait_storecnt_dscnt 0x0
	s_barrier_signal -1
	s_barrier_wait -1
	s_and_saveexec_b32 s16, s0
	s_cbranch_execz .LBB9_32
; %bb.31:                               ;   in Loop: Header=BB9_21 Depth=1
	ds_load_2addr_b32 v[16:17], v9 offset1:1
	ds_load_2addr_b32 v[18:19], v9 offset0:2 offset1:3
	ds_load_2addr_b32 v[20:21], v9 offset0:4 offset1:5
	;; [unrolled: 1-line block ×3, first 2 shown]
	v_cmp_ne_u32_e32 vcc_lo, 0, v10
	; wave barrier
	s_wait_dscnt 0x3
	v_add_nc_u32_e32 v17, v17, v16
	s_wait_dscnt 0x2
	s_delay_alu instid0(VALU_DEP_1) | instskip(SKIP_1) | instid1(VALU_DEP_1)
	v_add3_u32 v17, v17, v18, v19
	s_wait_dscnt 0x1
	v_add3_u32 v17, v17, v20, v21
	s_wait_dscnt 0x0
	s_delay_alu instid0(VALU_DEP_1) | instskip(NEXT) | instid1(VALU_DEP_1)
	v_add3_u32 v17, v17, v22, v23
	v_mov_b32_dpp v18, v17 row_shr:1 row_mask:0xf bank_mask:0xf
	s_delay_alu instid0(VALU_DEP_1) | instskip(SKIP_1) | instid1(VALU_DEP_2)
	v_cndmask_b32_e32 v18, 0, v18, vcc_lo
	v_cmp_lt_u32_e32 vcc_lo, 1, v10
	v_add_nc_u32_e32 v17, v18, v17
	s_delay_alu instid0(VALU_DEP_1) | instskip(NEXT) | instid1(VALU_DEP_1)
	v_mov_b32_dpp v18, v17 row_shr:2 row_mask:0xf bank_mask:0xf
	v_cndmask_b32_e32 v18, 0, v18, vcc_lo
	v_cmp_lt_u32_e32 vcc_lo, 3, v10
	s_delay_alu instid0(VALU_DEP_2) | instskip(NEXT) | instid1(VALU_DEP_1)
	v_add_nc_u32_e32 v17, v17, v18
	v_mov_b32_dpp v18, v17 row_shr:4 row_mask:0xf bank_mask:0xf
	s_delay_alu instid0(VALU_DEP_1) | instskip(SKIP_1) | instid1(VALU_DEP_2)
	v_cndmask_b32_e32 v18, 0, v18, vcc_lo
	v_cmp_lt_u32_e32 vcc_lo, 7, v10
	v_add_nc_u32_e32 v17, v17, v18
	s_delay_alu instid0(VALU_DEP_1) | instskip(NEXT) | instid1(VALU_DEP_1)
	v_mov_b32_dpp v18, v17 row_shr:8 row_mask:0xf bank_mask:0xf
	v_cndmask_b32_e32 v18, 0, v18, vcc_lo
	v_cmp_gt_i32_e32 vcc_lo, 0, v12
	s_delay_alu instid0(VALU_DEP_2) | instskip(SKIP_3) | instid1(VALU_DEP_1)
	v_dual_add_nc_u32 v17, v17, v18 :: v_dual_cndmask_b32 v19, v12, v0, vcc_lo
	ds_swizzle_b32 v18, v17 offset:swizzle(BROADCAST,32,15)
	s_wait_dscnt 0x0
	v_dual_lshlrev_b32 v19, 2, v19 :: v_dual_bitop2_b32 v18, v11, v18 bitop3:0x40
	v_add_nc_u32_e32 v17, v17, v18
	ds_bpermute_b32 v17, v19, v17
	s_wait_dscnt 0x0
	v_add_nc_u32_e32 v16, v17, v16
	s_delay_alu instid0(VALU_DEP_1)
	v_cndmask_b32_e64 v22, v16, v14, s3
	ds_store_b32 v9, v22
	; wave barrier
	ds_load_2addr_b32 v[16:17], v9 offset0:1 offset1:2
	ds_load_2addr_b32 v[18:19], v9 offset0:3 offset1:4
	;; [unrolled: 1-line block ×3, first 2 shown]
	ds_load_b32 v23, v9 offset:28
	s_wait_dscnt 0x3
	v_add_nc_u32_e32 v16, v16, v22
	s_delay_alu instid0(VALU_DEP_1) | instskip(SKIP_1) | instid1(VALU_DEP_1)
	v_add_nc_u32_e32 v17, v17, v16
	s_wait_dscnt 0x2
	v_add_nc_u32_e32 v18, v18, v17
	s_delay_alu instid0(VALU_DEP_1) | instskip(SKIP_1) | instid1(VALU_DEP_1)
	v_add_nc_u32_e32 v19, v19, v18
	;; [unrolled: 4-line block ×3, first 2 shown]
	s_wait_dscnt 0x0
	v_add_nc_u32_e32 v22, v23, v21
	ds_store_2addr_b32 v9, v16, v17 offset0:1 offset1:2
	ds_store_2addr_b32 v9, v18, v19 offset0:3 offset1:4
	;; [unrolled: 1-line block ×3, first 2 shown]
	ds_store_b32 v9, v22 offset:28
.LBB9_32:                               ;   in Loop: Header=BB9_21 Depth=1
	s_or_b32 exec_lo, exec_lo, s16
	v_mov_b32_e32 v17, 0
	s_wait_dscnt 0x0
	s_barrier_signal -1
	s_barrier_wait -1
	s_and_saveexec_b32 s16, s2
; %bb.33:                               ;   in Loop: Header=BB9_21 Depth=1
	ds_load_b32 v17, v8
; %bb.34:                               ;   in Loop: Header=BB9_21 Depth=1
	s_or_b32 exec_lo, exec_lo, s16
	ds_load_b32 v16, v7 offset:1048
	s_mov_b32 s16, exec_lo
	s_wait_dscnt 0x0
	s_barrier_signal -1
	s_barrier_wait -1
	v_cmpx_ne_u32_e32 0, v14
	s_cbranch_execz .LBB9_19
; %bb.35:                               ;   in Loop: Header=BB9_21 Depth=1
	v_add_nc_u32_e32 v14, v17, v2
	s_delay_alu instid0(VALU_DEP_1)
	v_cmp_gt_u32_e32 vcc_lo, s5, v14
	s_and_b32 exec_lo, exec_lo, vcc_lo
	s_cbranch_execz .LBB9_19
; %bb.36:                               ;   in Loop: Header=BB9_21 Depth=1
	v_mul_lo_u32 v17, v14, s14
	v_mul_lo_u32 v14, v14, s12
	global_store_b8 v17, v13, s[10:11]
	global_store_b64 v14, v[6:7], s[6:7] scale_offset
	s_branch .LBB9_19
.LBB9_37:                               ;   in Loop: Header=BB9_38 Depth=1
	s_add_co_i32 s4, s4, 1
	s_wait_kmcnt 0x0
	s_add_co_i32 s5, s10, s5
	s_add_nc_u64 s[6:7], s[6:7], 4
	s_cmp_lt_u32 s4, s14
	s_add_nc_u64 s[8:9], s[8:9], 4
	s_cbranch_scc0 .LBB9_16
.LBB9_38:                               ; =>This Inner Loop Header: Depth=1
	s_load_b32 s10, s[6:7], 0x0
	s_cmp_ge_u32 s4, s33
	s_cbranch_scc1 .LBB9_37
; %bb.39:                               ;   in Loop: Header=BB9_38 Depth=1
	s_load_b32 s11, s[8:9], 0x0
	s_wait_kmcnt 0x0
	s_add_co_i32 s17, s10, s17
	s_add_co_i32 s16, s11, s16
	s_branch .LBB9_37
.LBB9_40:
	s_endpgm
	.section	.rodata,"a",@progbits
	.p2align	6, 0x0
	.amdhsa_kernel _ZN2at6native6mbtopk10gatherTopKIhjLi3EEEvNS_4cuda6detail10TensorInfoIKT_T0_EES8_S8_bjS8_NS5_IS6_S8_EES8_NS5_IlS8_EES8_jjPS6_PjSD_j
		.amdhsa_group_segment_fixed_size 1068
		.amdhsa_private_segment_fixed_size 0
		.amdhsa_kernarg_size 984
		.amdhsa_user_sgpr_count 2
		.amdhsa_user_sgpr_dispatch_ptr 0
		.amdhsa_user_sgpr_queue_ptr 0
		.amdhsa_user_sgpr_kernarg_segment_ptr 1
		.amdhsa_user_sgpr_dispatch_id 0
		.amdhsa_user_sgpr_kernarg_preload_length 0
		.amdhsa_user_sgpr_kernarg_preload_offset 0
		.amdhsa_user_sgpr_private_segment_size 0
		.amdhsa_wavefront_size32 1
		.amdhsa_uses_dynamic_stack 0
		.amdhsa_enable_private_segment 0
		.amdhsa_system_sgpr_workgroup_id_x 1
		.amdhsa_system_sgpr_workgroup_id_y 1
		.amdhsa_system_sgpr_workgroup_id_z 1
		.amdhsa_system_sgpr_workgroup_info 0
		.amdhsa_system_vgpr_workitem_id 0
		.amdhsa_next_free_vgpr 26
		.amdhsa_next_free_sgpr 52
		.amdhsa_named_barrier_count 0
		.amdhsa_reserve_vcc 1
		.amdhsa_float_round_mode_32 0
		.amdhsa_float_round_mode_16_64 0
		.amdhsa_float_denorm_mode_32 3
		.amdhsa_float_denorm_mode_16_64 3
		.amdhsa_fp16_overflow 0
		.amdhsa_memory_ordered 1
		.amdhsa_forward_progress 1
		.amdhsa_inst_pref_size 24
		.amdhsa_round_robin_scheduling 0
		.amdhsa_exception_fp_ieee_invalid_op 0
		.amdhsa_exception_fp_denorm_src 0
		.amdhsa_exception_fp_ieee_div_zero 0
		.amdhsa_exception_fp_ieee_overflow 0
		.amdhsa_exception_fp_ieee_underflow 0
		.amdhsa_exception_fp_ieee_inexact 0
		.amdhsa_exception_int_div_zero 0
	.end_amdhsa_kernel
	.section	.text._ZN2at6native6mbtopk10gatherTopKIhjLi3EEEvNS_4cuda6detail10TensorInfoIKT_T0_EES8_S8_bjS8_NS5_IS6_S8_EES8_NS5_IlS8_EES8_jjPS6_PjSD_j,"axG",@progbits,_ZN2at6native6mbtopk10gatherTopKIhjLi3EEEvNS_4cuda6detail10TensorInfoIKT_T0_EES8_S8_bjS8_NS5_IS6_S8_EES8_NS5_IlS8_EES8_jjPS6_PjSD_j,comdat
.Lfunc_end9:
	.size	_ZN2at6native6mbtopk10gatherTopKIhjLi3EEEvNS_4cuda6detail10TensorInfoIKT_T0_EES8_S8_bjS8_NS5_IS6_S8_EES8_NS5_IlS8_EES8_jjPS6_PjSD_j, .Lfunc_end9-_ZN2at6native6mbtopk10gatherTopKIhjLi3EEEvNS_4cuda6detail10TensorInfoIKT_T0_EES8_S8_bjS8_NS5_IS6_S8_EES8_NS5_IlS8_EES8_jjPS6_PjSD_j
                                        ; -- End function
	.set _ZN2at6native6mbtopk10gatherTopKIhjLi3EEEvNS_4cuda6detail10TensorInfoIKT_T0_EES8_S8_bjS8_NS5_IS6_S8_EES8_NS5_IlS8_EES8_jjPS6_PjSD_j.num_vgpr, 26
	.set _ZN2at6native6mbtopk10gatherTopKIhjLi3EEEvNS_4cuda6detail10TensorInfoIKT_T0_EES8_S8_bjS8_NS5_IS6_S8_EES8_NS5_IlS8_EES8_jjPS6_PjSD_j.num_agpr, 0
	.set _ZN2at6native6mbtopk10gatherTopKIhjLi3EEEvNS_4cuda6detail10TensorInfoIKT_T0_EES8_S8_bjS8_NS5_IS6_S8_EES8_NS5_IlS8_EES8_jjPS6_PjSD_j.numbered_sgpr, 52
	.set _ZN2at6native6mbtopk10gatherTopKIhjLi3EEEvNS_4cuda6detail10TensorInfoIKT_T0_EES8_S8_bjS8_NS5_IS6_S8_EES8_NS5_IlS8_EES8_jjPS6_PjSD_j.num_named_barrier, 0
	.set _ZN2at6native6mbtopk10gatherTopKIhjLi3EEEvNS_4cuda6detail10TensorInfoIKT_T0_EES8_S8_bjS8_NS5_IS6_S8_EES8_NS5_IlS8_EES8_jjPS6_PjSD_j.private_seg_size, 0
	.set _ZN2at6native6mbtopk10gatherTopKIhjLi3EEEvNS_4cuda6detail10TensorInfoIKT_T0_EES8_S8_bjS8_NS5_IS6_S8_EES8_NS5_IlS8_EES8_jjPS6_PjSD_j.uses_vcc, 1
	.set _ZN2at6native6mbtopk10gatherTopKIhjLi3EEEvNS_4cuda6detail10TensorInfoIKT_T0_EES8_S8_bjS8_NS5_IS6_S8_EES8_NS5_IlS8_EES8_jjPS6_PjSD_j.uses_flat_scratch, 0
	.set _ZN2at6native6mbtopk10gatherTopKIhjLi3EEEvNS_4cuda6detail10TensorInfoIKT_T0_EES8_S8_bjS8_NS5_IS6_S8_EES8_NS5_IlS8_EES8_jjPS6_PjSD_j.has_dyn_sized_stack, 0
	.set _ZN2at6native6mbtopk10gatherTopKIhjLi3EEEvNS_4cuda6detail10TensorInfoIKT_T0_EES8_S8_bjS8_NS5_IS6_S8_EES8_NS5_IlS8_EES8_jjPS6_PjSD_j.has_recursion, 0
	.set _ZN2at6native6mbtopk10gatherTopKIhjLi3EEEvNS_4cuda6detail10TensorInfoIKT_T0_EES8_S8_bjS8_NS5_IS6_S8_EES8_NS5_IlS8_EES8_jjPS6_PjSD_j.has_indirect_call, 0
	.section	.AMDGPU.csdata,"",@progbits
; Kernel info:
; codeLenInByte = 3072
; TotalNumSgprs: 54
; NumVgprs: 26
; ScratchSize: 0
; MemoryBound: 0
; FloatMode: 240
; IeeeMode: 1
; LDSByteSize: 1068 bytes/workgroup (compile time only)
; SGPRBlocks: 0
; VGPRBlocks: 1
; NumSGPRsForWavesPerEU: 54
; NumVGPRsForWavesPerEU: 26
; NamedBarCnt: 0
; Occupancy: 16
; WaveLimiterHint : 1
; COMPUTE_PGM_RSRC2:SCRATCH_EN: 0
; COMPUTE_PGM_RSRC2:USER_SGPR: 2
; COMPUTE_PGM_RSRC2:TRAP_HANDLER: 0
; COMPUTE_PGM_RSRC2:TGID_X_EN: 1
; COMPUTE_PGM_RSRC2:TGID_Y_EN: 1
; COMPUTE_PGM_RSRC2:TGID_Z_EN: 1
; COMPUTE_PGM_RSRC2:TIDIG_COMP_CNT: 0
	.section	.text._ZN2at6native6sbtopk10gatherTopKIhjLi3ELb0EEEvNS_4cuda6detail10TensorInfoIKT_T0_EES8_S8_bS8_S8_NS5_IS6_S8_EES8_NS5_IlS8_EES8_PS6_,"axG",@progbits,_ZN2at6native6sbtopk10gatherTopKIhjLi3ELb0EEEvNS_4cuda6detail10TensorInfoIKT_T0_EES8_S8_bS8_S8_NS5_IS6_S8_EES8_NS5_IlS8_EES8_PS6_,comdat
	.protected	_ZN2at6native6sbtopk10gatherTopKIhjLi3ELb0EEEvNS_4cuda6detail10TensorInfoIKT_T0_EES8_S8_bS8_S8_NS5_IS6_S8_EES8_NS5_IlS8_EES8_PS6_ ; -- Begin function _ZN2at6native6sbtopk10gatherTopKIhjLi3ELb0EEEvNS_4cuda6detail10TensorInfoIKT_T0_EES8_S8_bS8_S8_NS5_IS6_S8_EES8_NS5_IlS8_EES8_PS6_
	.globl	_ZN2at6native6sbtopk10gatherTopKIhjLi3ELb0EEEvNS_4cuda6detail10TensorInfoIKT_T0_EES8_S8_bS8_S8_NS5_IS6_S8_EES8_NS5_IlS8_EES8_PS6_
	.p2align	8
	.type	_ZN2at6native6sbtopk10gatherTopKIhjLi3ELb0EEEvNS_4cuda6detail10TensorInfoIKT_T0_EES8_S8_bS8_S8_NS5_IS6_S8_EES8_NS5_IlS8_EES8_PS6_,@function
_ZN2at6native6sbtopk10gatherTopKIhjLi3ELb0EEEvNS_4cuda6detail10TensorInfoIKT_T0_EES8_S8_bS8_S8_NS5_IS6_S8_EES8_NS5_IlS8_EES8_PS6_: ; @_ZN2at6native6sbtopk10gatherTopKIhjLi3ELb0EEEvNS_4cuda6detail10TensorInfoIKT_T0_EES8_S8_bS8_S8_NS5_IS6_S8_EES8_NS5_IlS8_EES8_PS6_
; %bb.0:
	s_clause 0x1
	s_load_b128 s[36:39], s[0:1], 0xd8
	s_load_b64 s[12:13], s[0:1], 0x2b8
	s_bfe_u32 s2, ttmp6, 0x40010
	s_and_b32 s3, ttmp7, 0xffff
	s_add_co_i32 s2, s2, 1
	s_bfe_u32 s5, ttmp6, 0x4000c
	s_mul_i32 s2, s3, s2
	s_bfe_u32 s4, ttmp6, 0x40004
	s_add_co_i32 s5, s5, 1
	s_bfe_u32 s6, ttmp6, 0x40014
	s_add_co_i32 s4, s4, s2
	s_and_b32 s2, ttmp6, 15
	s_mul_i32 s5, ttmp9, s5
	s_lshr_b32 s7, ttmp7, 16
	s_add_co_i32 s6, s6, 1
	s_add_co_i32 s2, s2, s5
	s_mul_i32 s5, s7, s6
	s_bfe_u32 s6, ttmp6, 0x40008
	s_getreg_b32 s8, hwreg(HW_REG_IB_STS2, 6, 4)
	s_add_co_i32 s6, s6, s5
	s_cmp_eq_u32 s8, 0
	s_mov_b32 s51, 0
	s_cselect_b32 s5, s7, s6
	s_cselect_b32 s3, s3, s4
	s_wait_kmcnt 0x0
	s_mul_i32 s5, s13, s5
	s_cselect_b32 s11, ttmp9, s2
	s_add_co_i32 s2, s5, s3
	s_delay_alu instid0(SALU_CYCLE_1) | instskip(NEXT) | instid1(SALU_CYCLE_1)
	s_mul_i32 s72, s2, s12
	s_add_co_i32 s72, s72, s11
	s_delay_alu instid0(SALU_CYCLE_1)
	s_cmp_ge_u32 s72, s39
	s_cbranch_scc1 .LBB10_412
; %bb.1:
	s_clause 0x2
	s_load_b64 s[6:7], s[0:1], 0xc
	s_load_b64 s[52:53], s[0:1], 0xfc
	;; [unrolled: 1-line block ×3, first 2 shown]
	s_mov_b32 s5, s51
	s_clause 0x2
	s_load_b64 s[2:3], s[0:1], 0x0
	s_load_b32 s43, s[0:1], 0xe8
	s_load_b96 s[8:10], s[0:1], 0x6c
	s_add_nc_u64 s[54:55], s[0:1], 0x2b8
	s_mov_b32 s57, s51
	s_wait_kmcnt 0x0
	s_cvt_f32_u32 s4, s7
	s_cvt_f32_u32 s13, s6
	;; [unrolled: 1-line block ×4, first 2 shown]
	v_rcp_iflag_f32_e32 v1, s4
	s_sub_co_i32 s4, 0, s7
	v_rcp_iflag_f32_e32 v2, s15
	v_rcp_iflag_f32_e32 v3, s16
	s_cvt_f32_u32 s17, s49
	s_delay_alu instid0(TRANS32_DEP_3) | instskip(SKIP_1) | instid1(TRANS32_DEP_3)
	v_readfirstlane_b32 s14, v1
	v_rcp_iflag_f32_e32 v1, s13
	v_readfirstlane_b32 s15, v2
	s_delay_alu instid0(TRANS32_DEP_2)
	v_readfirstlane_b32 s16, v3
	v_rcp_iflag_f32_e32 v4, s17
	s_mul_f32 s13, s14, 0x4f7ffffe
	s_cvt_f32_u32 s14, s48
	s_mul_f32 s15, s15, 0x4f7ffffe
	s_mul_f32 s20, s16, 0x4f7ffffe
	s_cvt_u32_f32 s13, s13
	v_rcp_iflag_f32_e32 v5, s14
	v_nop
	v_readfirstlane_b32 s14, v1
	v_readfirstlane_b32 s17, v4
	s_mul_i32 s4, s4, s13
	s_delay_alu instid0(SALU_CYCLE_1) | instskip(NEXT) | instid1(SALU_CYCLE_1)
	s_mul_hi_u32 s4, s13, s4
	s_add_co_i32 s13, s13, s4
	s_delay_alu instid0(SALU_CYCLE_1)
	s_mul_hi_u32 s4, s72, s13
	s_mul_f32 s13, s14, 0x4f7ffffe
	s_mul_i32 s14, s4, s7
	s_add_co_i32 s18, s4, 1
	s_sub_co_i32 s14, s72, s14
	s_cvt_u32_f32 s13, s13
	s_sub_co_i32 s19, s14, s7
	s_cmp_ge_u32 s14, s7
	s_cselect_b32 s4, s18, s4
	s_cselect_b32 s14, s19, s14
	s_add_co_i32 s16, s4, 1
	s_cmp_ge_u32 s14, s7
	s_cvt_u32_f32 s14, s15
	s_cselect_b32 s4, s16, s4
	s_sub_co_i32 s15, 0, s53
	s_mul_f32 s16, s17, 0x4f7ffffe
	s_mul_i32 s15, s15, s14
	s_sub_co_i32 s17, 0, s6
	s_mul_hi_u32 s15, s14, s15
	s_mul_i32 s17, s17, s13
	s_add_co_i32 s14, s14, s15
	s_mul_hi_u32 s15, s13, s17
	s_mul_hi_u32 s14, s72, s14
	s_add_co_i32 s50, s13, s15
	s_mul_i32 s17, s14, s53
	s_add_co_i32 s15, s14, 1
	s_sub_co_i32 s13, s72, s17
	s_cvt_u32_f32 s18, s16
	s_sub_co_i32 s17, s13, s53
	s_cmp_ge_u32 s13, s53
	s_mov_b32 s19, s51
	s_cselect_b32 s14, s15, s14
	s_cselect_b32 s13, s17, s13
	s_add_co_i32 s15, s14, 1
	s_cmp_ge_u32 s13, s53
	s_mul_u64 s[16:17], s[4:5], s[50:51]
	s_cselect_b32 s50, s15, s14
	s_sub_co_i32 s5, 0, s49
	s_cvt_u32_f32 s14, s20
	s_mul_i32 s5, s5, s18
	s_sub_co_i32 s15, 0, s52
	s_mul_hi_u32 s5, s18, s5
	s_mul_i32 s15, s15, s14
	s_add_co_i32 s18, s18, s5
	s_mul_hi_u32 s15, s14, s15
	s_mul_hi_u32 s5, s72, s18
	v_readfirstlane_b32 s13, v5
	s_mul_i32 s16, s5, s49
	s_add_co_i32 s14, s14, s15
	s_sub_co_i32 s15, s72, s16
	s_add_co_i32 s16, s5, 1
	s_sub_co_i32 s18, s15, s49
	s_cmp_ge_u32 s15, s49
	s_mul_f32 s13, s13, 0x4f7ffffe
	s_cselect_b32 s5, s16, s5
	s_cselect_b32 s15, s18, s15
	s_add_co_i32 s16, s5, 1
	s_cmp_ge_u32 s15, s49
	s_cvt_u32_f32 s13, s13
	s_cselect_b32 s56, s16, s5
	s_sub_co_i32 s5, 0, s48
	s_mov_b32 s15, s51
	s_mul_i32 s16, s5, s13
	v_cmp_eq_u32_e64 s5, 0, v0
	s_mul_hi_u32 s16, s13, s16
	s_delay_alu instid0(SALU_CYCLE_1)
	s_add_co_i32 s18, s13, s16
	s_and_saveexec_b32 s13, s5
; %bb.2:
	v_dual_mov_b32 v2, 0 :: v_dual_mov_b32 v3, s36
	s_delay_alu instid0(VALU_DEP_1)
	v_mov_b32_e32 v4, v2
	ds_store_b96 v2, v[2:4] offset:4096
; %bb.3:
	s_or_b32 exec_lo, exec_lo, s13
	s_mul_i32 s13, s17, s6
	s_mul_i32 s7, s4, s7
	s_sub_co_i32 s13, s4, s13
	s_sub_co_i32 s7, s72, s7
	s_add_co_i32 s16, s17, 1
	s_sub_co_i32 s20, s13, s6
	s_cmp_ge_u32 s13, s6
                                        ; implicit-def: $vgpr68 : SGPR spill to VGPR lane
	s_wait_dscnt 0x0
	s_cselect_b32 s13, s20, s13
	s_load_b96 s[20:22], s[0:1], 0x23c
	s_cselect_b32 s16, s16, s17
	s_barrier_signal -1
	s_add_co_i32 s17, s16, 1
	s_cmp_ge_u32 s13, s6
	s_barrier_wait -1
	s_load_b32 s13, s[54:55], 0xc
	s_cselect_b32 s16, s17, s16
	s_mul_i32 s7, s7, s10
	s_mul_i32 s6, s16, s6
	v_mbcnt_lo_u32_b32 v1, -1, 0
	s_sub_co_i32 s4, s4, s6
	s_mul_i32 s16, s16, s8
	s_mul_i32 s4, s4, s9
	s_mov_b32 s65, 0
	s_add_co_i32 s4, s4, s7
	s_mul_u64 s[14:15], s[50:51], s[14:15]
	s_add_co_i32 s64, s4, s16
	s_bitcmp1_b32 s38, 0
	s_wait_kmcnt 0x0
	v_writelane_b32 v68, s20, 0
	s_add_nc_u64 s[38:39], s[2:3], s[64:65]
	v_cmp_gt_u32_e32 vcc_lo, 32, v0
	v_cmp_gt_i32_e64 s2, 4, v1
	s_cselect_b32 s3, -1, 0
	v_writelane_b32 v68, s21, 1
	s_mul_u64 s[6:7], s[56:57], s[18:19]
	s_and_b32 s47, s13, 0xffff
	s_xor_b32 s57, s3, -1
	s_lshl_b32 s62, s47, 2
	v_writelane_b32 v68, s22, 2
	s_load_b64 s[20:21], s[0:1], 0x1d0
	s_and_b32 s73, vcc_lo, s2
	s_cmp_gt_u32 s36, 0xc00
	v_mul_lo_u32 v22, s43, v0
	v_dual_mov_b32 v25, 0 :: v_dual_lshlrev_b32 v19, 2, v0
	s_cselect_b32 s74, -1, 0
	v_add_max_u32_e64 v4, v0, 2, s36
	s_cmp_gt_u32 s47, 31
	v_lshlrev_b64_e64 v[2:3], v1, -1
	s_cselect_b32 s75, -1, 0
	s_add_co_i32 s76, s47, -1
	v_mov_b32_e32 v23, v25
	s_add_co_i32 s8, s76, s36
	v_xad_u32 v3, v0, -1, v4
	v_lshrrev_b32_e32 v4, 1, v0
	s_cmp_lt_u32 s11, s12
	s_cvt_f32_u32 s10, s62
	s_cselect_b32 s66, 12, 18
	s_bfe_u32 s77, s13, 0xb0005
	s_wait_kmcnt 0x0
	v_writelane_b32 v68, s20, 3
	s_add_co_i32 s9, s77, -2
	v_add_nc_u64_e32 v[20:21], s[38:39], v[22:23]
	v_add_nc_u32_e32 v5, -8, v3
	v_not_b32_e32 v18, v2
	v_writelane_b32 v68, s21, 4
	s_load_b64 s[20:21], s[0:1], 0xf0
	s_delay_alu instid0(VALU_DEP_3)
	v_dual_lshrrev_b32 v2, 3, v5 :: v_dual_bitop2_b32 v28, -8, v3 bitop3:0x40
	v_mad_u32 v33, s43, v19, s43
	v_cmp_eq_u32_e64 s2, 0, v1
	v_cmp_gt_u32_e64 s4, s36, v0
	v_lshl_or_b32 v38, v1, 2, 0xc00
	v_dual_add_nc_u32 v2, 1, v2 :: v_dual_add_nc_u32 v29, v0, v28
	v_cmp_lt_u32_e64 s12, 7, v5
	v_dual_mov_b32 v41, s37 :: v_dual_mov_b32 v40, 0
	s_delay_alu instid0(VALU_DEP_3)
	v_and_b32_e32 v31, 0x3ffffffe, v2
	v_add3_u32 v2, s47, s36, v0
	v_dual_mov_b32 v32, 0 :: v_dual_mov_b32 v39, 0
	s_mul_i32 s51, s43, s47
	s_mov_b32 s67, s65
	s_mov_b32 s81, s43
	;; [unrolled: 1-line block ×3, first 2 shown]
	s_wait_kmcnt 0x0
	v_writelane_b32 v68, s20, 5
	s_mov_b32 s87, s43
	s_mov_b32 s88, s43
	;; [unrolled: 1-line block ×4, first 2 shown]
	v_writelane_b32 v68, s21, 6
	s_mov_b32 s91, s43
	s_mov_b32 s69, s65
	;; [unrolled: 1-line block ×4, first 2 shown]
	v_writelane_b32 v68, s14, 7
	s_mov_b32 s95, 0
	s_mov_b32 s97, 0
                                        ; implicit-def: $sgpr96
                                        ; implicit-def: $sgpr100
                                        ; implicit-def: $sgpr99
                                        ; implicit-def: $sgpr102
                                        ; implicit-def: $sgpr98
                                        ; implicit-def: $sgpr44
                                        ; implicit-def: $sgpr45
                                        ; implicit-def: $sgpr103
                                        ; implicit-def: $vcc_hi
                                        ; implicit-def: $sgpr104
	v_lshlrev_b32_e32 v37, 2, v22
	v_writelane_b32 v68, s15, 8
	v_writelane_b32 v68, s6, 9
	;; [unrolled: 1-line block ×3, first 2 shown]
	s_movk_i32 s7, 0x1f0
	v_cmp_gt_u32_e64 s6, 2, v0
	v_and_or_b32 v23, v4, s7, 0xc00
	v_rcp_iflag_f32_e32 v4, s10
	s_lshr_b32 s7, s9, 1
	v_writelane_b32 v68, s12, 11
	s_add_co_i32 s11, s7, 1
	s_cmp_gt_u32 s47, 63
	v_cmp_lt_u32_e64 s7, 31, v3
	s_cselect_b32 s78, -1, 0
	s_and_b32 s79, s77, 0x7fe
	s_and_b32 s80, s11, 7
	s_cmp_gt_u32 s9, 13
	v_readfirstlane_b32 s9, v4
	s_cselect_b32 s82, -1, 0
	s_and_b32 s83, s11, -8
	s_cmp_lg_u32 s80, 0
	s_cvt_f32_u32 s11, s47
	s_mul_f32 s9, s9, 0x4f7ffffe
	s_cselect_b32 s85, -1, 0
	s_cmp_lg_u32 s79, s77
	v_rcp_iflag_f32_e32 v4, s11
	s_cvt_u32_f32 s9, s9
	s_cselect_b32 s86, -1, 0
	s_sub_co_i32 s10, 0, s62
	s_delay_alu instid0(SALU_CYCLE_1) | instskip(NEXT) | instid1(SALU_CYCLE_1)
	s_mul_i32 s10, s10, s9
	s_mul_hi_u32 s10, s9, s10
	s_delay_alu instid0(SALU_CYCLE_1)
	s_add_co_i32 s68, s9, s10
	v_nop
	v_readfirstlane_b32 s10, v4
	s_mul_hi_u32 s9, s36, s68
	v_and_b32_e32 v4, 8, v5
	s_mul_i32 s9, s9, s62
	s_delay_alu instid0(SALU_CYCLE_1)
	s_sub_co_i32 s9, s36, s9
	s_mul_f32 s10, s10, 0x4f7ffffe
	s_sub_co_i32 s11, s9, s62
	s_cmp_ge_u32 s9, s62
	s_cselect_b32 s9, s11, s9
	s_cvt_u32_f32 s10, s10
	s_sub_co_i32 s11, s9, s62
	s_cmp_ge_u32 s9, s62
	s_cselect_b32 s9, s11, s9
	s_sub_co_i32 s11, 0, s47
	s_sub_co_i32 s92, s36, s9
	s_mul_i32 s11, s11, s10
	v_add_nc_u32_e32 v30, s92, v0
	s_mul_hi_u32 s11, s10, s11
	v_subrev_nc_u32_e32 v2, s9, v2
	s_add_co_i32 s70, s10, s11
	v_cmp_eq_u32_e64 s10, 0, v4
	v_or_b32_e32 v4, 3, v19
	s_delay_alu instid0(VALU_DEP_3) | instskip(NEXT) | instid1(VALU_DEP_3)
	v_mul_lo_u32 v36, s43, v2
	v_writelane_b32 v68, s10, 12
	s_mul_hi_u32 s10, s8, s70
	s_delay_alu instid0(VALU_DEP_3)
	v_mul_lo_u32 v35, s43, v4
	s_mul_i32 s11, s10, s47
	v_cmp_ne_u32_e64 s10, v3, v28
	s_sub_co_i32 s12, s8, s11
	v_or_b32_e32 v3, 2, v19
	v_mul_lo_u32 v24, v30, s43
	s_sub_co_i32 s13, s12, s47
	s_cmp_ge_u32 s12, s47
	v_cmp_gt_u32_e64 s11, s92, v19
	s_cselect_b32 s13, s13, s12
	v_mul_lo_u32 v34, s43, v3
	s_sub_co_i32 s14, s13, s47
	s_cmp_ge_u32 s13, s47
	v_cmp_gt_u32_e64 s12, s36, v30
	s_cselect_b32 s13, s14, s13
	s_lshl_b32 s94, s51, 2
	v_add_nc_u64_e32 v[26:27], s[38:39], v[24:25]
	s_sub_co_i32 s93, s8, s13
	s_delay_alu instid0(SALU_CYCLE_1)
	v_cmp_gt_u32_e64 s13, s93, v0
	s_branch .LBB10_6
.LBB10_4:                               ;   in Loop: Header=BB10_6 Depth=1
	s_or_b32 exec_lo, exec_lo, s8
	v_mov_b32_e32 v41, v5
	s_and_not1_b32 s8, s104, exec_lo
	s_and_b32 s9, s16, exec_lo
	s_and_not1_b32 vcc_hi, vcc_hi, exec_lo
	s_or_b32 s104, s8, s9
	s_and_not1_b32 s103, s103, exec_lo
	s_and_not1_b32 s45, s45, exec_lo
	s_and_not1_b32 s44, s44, exec_lo
	s_or_not1_b32 s17, s15, exec_lo
.LBB10_5:                               ;   in Loop: Header=BB10_6 Depth=1
	s_or_b32 exec_lo, exec_lo, s14
	s_delay_alu instid0(SALU_CYCLE_1) | instskip(NEXT) | instid1(SALU_CYCLE_1)
	s_and_b32 s8, exec_lo, s17
	s_or_b32 s95, s8, s95
	s_and_not1_b32 s8, s98, exec_lo
	s_and_b32 s9, s104, exec_lo
	s_and_not1_b32 s14, s102, exec_lo
	s_or_b32 s98, s8, s9
	s_and_b32 s8, vcc_hi, exec_lo
	s_and_not1_b32 s9, s99, exec_lo
	s_and_b32 s15, s103, exec_lo
	s_or_b32 s102, s14, s8
	s_or_b32 s99, s9, s15
	s_and_not1_b32 s8, s100, exec_lo
	s_and_b32 s9, s45, exec_lo
	s_and_not1_b32 s14, s96, exec_lo
	s_and_b32 s15, s44, exec_lo
	s_or_b32 s100, s8, s9
	s_or_b32 s96, s14, s15
	s_and_not1_b32 exec_lo, exec_lo, s95
	s_cbranch_execz .LBB10_408
.LBB10_6:                               ; =>This Loop Header: Depth=1
                                        ;     Child Loop BB10_11 Depth 2
                                        ;     Child Loop BB10_32 Depth 2
                                        ;     Child Loop BB10_40 Depth 2
                                        ;     Child Loop BB10_75 Depth 2
                                        ;     Child Loop BB10_79 Depth 2
                                        ;     Child Loop BB10_64 Depth 2
                                        ;     Child Loop BB10_69 Depth 2
                                        ;     Child Loop BB10_58 Depth 2
                                        ;     Child Loop BB10_60 Depth 2
                                        ;     Child Loop BB10_84 Depth 2
                                        ;     Child Loop BB10_95 Depth 2
                                        ;     Child Loop BB10_106 Depth 2
                                        ;     Child Loop BB10_133 Depth 2
                                        ;     Child Loop BB10_144 Depth 2
                                        ;     Child Loop BB10_170 Depth 2
                                        ;     Child Loop BB10_181 Depth 2
                                        ;     Child Loop BB10_207 Depth 2
                                        ;     Child Loop BB10_218 Depth 2
                                        ;     Child Loop BB10_254 Depth 2
                                        ;     Child Loop BB10_266 Depth 2
                                        ;     Child Loop BB10_292 Depth 2
                                        ;     Child Loop BB10_303 Depth 2
                                        ;     Child Loop BB10_329 Depth 2
                                        ;     Child Loop BB10_340 Depth 2
                                        ;     Child Loop BB10_366 Depth 2
                                        ;     Child Loop BB10_377 Depth 2
	ds_load_b64 v[2:3], v25 offset:4096
	s_wait_dscnt 0x0
	v_readfirstlane_b32 s64, v2
	s_cmp_lg_u32 s64, 0
	s_cbranch_scc1 .LBB10_49
; %bb.7:                                ;   in Loop: Header=BB10_6 Depth=1
	s_and_b32 vcc_lo, exec_lo, s74
	s_cbranch_vccz .LBB10_19
; %bb.8:                                ;   in Loop: Header=BB10_6 Depth=1
	v_cmp_gt_u32_e32 vcc_lo, 0xc01, v3
	s_mov_b32 s16, 0
	s_mov_b32 s14, 0
	s_cbranch_vccz .LBB10_20
; %bb.9:                                ;   in Loop: Header=BB10_6 Depth=1
	global_load_u8 v3, v[20:21], off
	s_add_nc_u64 s[8:9], s[54:55], s[66:67]
	s_mov_b32 s18, 0
	s_load_u16 s17, s[8:9], 0x0
	s_wait_kmcnt 0x0
	v_dual_mov_b32 v4, v0 :: v_dual_add_nc_u32 v2, s17, v0
	s_mul_i32 s19, s43, s17
	s_delay_alu instid0(VALU_DEP_1)
	v_mul_lo_u32 v2, s43, v2
	s_branch .LBB10_11
.LBB10_10:                              ;   in Loop: Header=BB10_11 Depth=2
	s_or_b32 exec_lo, exec_lo, s8
	v_dual_mov_b32 v3, v5 :: v_dual_add_nc_u32 v2, s19, v2
	s_and_not1_b32 exec_lo, exec_lo, s18
	s_cbranch_execz .LBB10_26
.LBB10_11:                              ;   Parent Loop BB10_6 Depth=1
                                        ; =>  This Inner Loop Header: Depth=2
	s_wait_dscnt 0x0
	v_dual_add_nc_u32 v4, s17, v4 :: v_dual_mov_b32 v6, 0
	v_mov_b32_e32 v5, 0
	s_mov_b32 s8, exec_lo
	s_delay_alu instid0(VALU_DEP_2)
	v_cmp_le_u32_e32 vcc_lo, s36, v4
	v_cmpx_gt_u32_e64 s36, v4
	s_cbranch_execz .LBB10_13
; %bb.12:                               ;   in Loop: Header=BB10_11 Depth=2
	global_load_u8 v5, v2, s[38:39]
.LBB10_13:                              ;   in Loop: Header=BB10_11 Depth=2
	s_wait_xcnt 0x0
	s_or_b32 exec_lo, exec_lo, s8
	s_wait_loadcnt 0x0
	v_bitop3_b32 v7, v3, 0xff, v39 bitop3:0x80
	s_delay_alu instid0(VALU_DEP_1) | instskip(SKIP_2) | instid1(SALU_CYCLE_1)
	v_cmp_eq_u32_e64 s14, v7, v32
	s_cmp_lg_u32 s14, 0
	s_cselect_b32 s8, -1, 0
	s_and_b32 s8, s2, s8
	s_delay_alu instid0(SALU_CYCLE_1)
	s_and_saveexec_b32 s20, s8
	s_cbranch_execz .LBB10_17
; %bb.14:                               ;   in Loop: Header=BB10_11 Depth=2
	s_mov_b32 s21, exec_lo
	s_bcnt1_i32_b32 s8, s14
	v_mbcnt_lo_u32_b32 v6, s21, 0
	s_mov_b32 s9, exec_lo
                                        ; implicit-def: $vgpr7
	s_delay_alu instid0(VALU_DEP_1)
	v_cmpx_eq_u32_e32 0, v6
; %bb.15:                               ;   in Loop: Header=BB10_11 Depth=2
	s_bcnt1_i32_b32 s15, s21
	s_delay_alu instid0(SALU_CYCLE_1) | instskip(NEXT) | instid1(SALU_CYCLE_1)
	s_mul_i32 s15, s8, s15
	v_mov_b32_e32 v7, s15
	ds_add_rtn_u32 v7, v25, v7 offset:4104
; %bb.16:                               ;   in Loop: Header=BB10_11 Depth=2
	s_or_b32 exec_lo, exec_lo, s9
	s_wait_dscnt 0x0
	v_readfirstlane_b32 s9, v7
	s_delay_alu instid0(VALU_DEP_1)
	v_mad_u32_u24 v6, s8, v6, s9
.LBB10_17:                              ;   in Loop: Header=BB10_11 Depth=2
	s_or_b32 exec_lo, exec_lo, s20
	ds_bpermute_b32 v6, v25, v6
	s_and_b32 s8, exec_lo, vcc_lo
	s_delay_alu instid0(SALU_CYCLE_1)
	s_or_b32 s18, s8, s18
	s_and_saveexec_b32 s8, s14
	s_cbranch_execz .LBB10_10
; %bb.18:                               ;   in Loop: Header=BB10_11 Depth=2
	v_and_b32_e32 v7, s14, v18
	s_wait_dscnt 0x0
	s_delay_alu instid0(VALU_DEP_1)
	v_bcnt_u32_b32 v6, v7, v6
	ds_store_b8 v6, v3
	s_branch .LBB10_10
.LBB10_19:                              ;   in Loop: Header=BB10_6 Depth=1
	s_mov_b32 s16, -1
	s_mov_b32 s14, 0
.LBB10_20:                              ;   in Loop: Header=BB10_6 Depth=1
	s_and_b32 vcc_lo, exec_lo, s16
	s_cbranch_vccz .LBB10_47
.LBB10_21:                              ;   in Loop: Header=BB10_6 Depth=1
	s_and_saveexec_b32 s15, s4
	s_cbranch_execz .LBB10_44
; %bb.22:                               ;   in Loop: Header=BB10_6 Depth=1
	global_load_u8 v24, v[20:21], off
	s_add_nc_u64 s[8:9], s[54:55], s[66:67]
	s_mov_b32 s16, exec_lo
	s_load_u16 s17, s[8:9], 0x0
	s_wait_kmcnt 0x0
	v_dual_mov_b32 v3, v0 :: v_dual_add_nc_u32 v2, s17, v0
	s_delay_alu instid0(VALU_DEP_1)
	v_cmpx_gt_u32_e64 s36, v2
	s_cbranch_execz .LBB10_43
; %bb.23:                               ;   in Loop: Header=BB10_6 Depth=1
	s_mov_b32 s14, 0
	s_mul_i32 s18, s43, s17
                                        ; implicit-def: $vgpr3
                                        ; implicit-def: $vgpr4
                                        ; implicit-def: $vgpr5
	s_and_saveexec_b32 s8, s7
	s_delay_alu instid0(SALU_CYCLE_1)
	s_xor_b32 s19, exec_lo, s8
	s_cbranch_execnz .LBB10_29
; %bb.24:                               ;   in Loop: Header=BB10_6 Depth=1
	s_and_not1_saveexec_b32 s19, s19
	s_cbranch_execnz .LBB10_38
.LBB10_25:                              ;   in Loop: Header=BB10_6 Depth=1
	s_or_b32 exec_lo, exec_lo, s19
	s_and_saveexec_b32 s18, s14
	s_cbranch_execnz .LBB10_39
	s_branch .LBB10_42
.LBB10_26:                              ;   in Loop: Header=BB10_6 Depth=1
	s_or_b32 exec_lo, exec_lo, s18
	s_wait_dscnt 0x0
	s_barrier_signal -1
	s_barrier_wait -1
	s_and_saveexec_b32 s8, s5
	s_cbranch_execz .LBB10_28
; %bb.27:                               ;   in Loop: Header=BB10_6 Depth=1
	ds_load_b32 v2, v25 offset:4104
	s_wait_dscnt 0x0
	ds_store_b32 v25, v2 offset:4096
.LBB10_28:                              ;   in Loop: Header=BB10_6 Depth=1
	s_or_b32 exec_lo, exec_lo, s8
	s_wait_dscnt 0x0
	s_barrier_signal -1
	s_mov_b32 s14, -1
	s_barrier_wait -1
	s_and_b32 vcc_lo, exec_lo, s16
	s_cbranch_vccnz .LBB10_21
	s_branch .LBB10_47
.LBB10_29:                              ;   in Loop: Header=BB10_6 Depth=1
	s_cvt_f32_u32 s8, s17
	v_add_max_u32_e64 v3, v2, s17, s36
	s_delay_alu instid0(SALU_CYCLE_2) | instskip(SKIP_1) | instid1(VALU_DEP_1)
	v_rcp_iflag_f32_e32 v4, s8
	s_lshl_b32 s8, s17, 1
	v_sub_nc_u32_e32 v3, v3, v0
	s_delay_alu instid0(VALU_DEP_1) | instskip(NEXT) | instid1(TRANS32_DEP_1)
	v_cmp_ne_u32_e32 vcc_lo, s8, v3
	v_readfirstlane_b32 s9, v4
	v_cndmask_b32_e64 v4, 0, 1, vcc_lo
	s_mul_f32 s9, s9, 0x4f7ffffe
	s_delay_alu instid0(VALU_DEP_1) | instskip(NEXT) | instid1(SALU_CYCLE_2)
	v_or_b32_e32 v4, s8, v4
	s_cvt_u32_f32 s8, s9
	s_sub_co_i32 s9, 0, s17
	s_delay_alu instid0(SALU_CYCLE_2) | instskip(NEXT) | instid1(VALU_DEP_1)
	s_mul_i32 s9, s9, s8
	v_sub_nc_u32_e32 v3, v3, v4
	s_mul_hi_u32 s9, s8, s9
	s_delay_alu instid0(SALU_CYCLE_1)
	s_add_co_i32 s8, s8, s9
	s_delay_alu instid0(VALU_DEP_1) | instid1(SALU_CYCLE_1)
	v_mul_hi_u32 v4, v3, s8
	s_abs_i32 s8, s18
	s_delay_alu instid0(VALU_DEP_1) | instskip(NEXT) | instid1(VALU_DEP_1)
	v_mul_lo_u32 v5, v4, s17
	v_dual_sub_nc_u32 v3, v3, v5 :: v_dual_add_nc_u32 v5, 1, v4
	s_delay_alu instid0(VALU_DEP_1) | instskip(SKIP_1) | instid1(VALU_DEP_1)
	v_subrev_nc_u32_e32 v6, s17, v3
	v_cmp_le_u32_e64 s14, s17, v3
	v_dual_cndmask_b32 v4, v4, v5, s14 :: v_dual_cndmask_b32 v3, v3, v6, s14
	s_delay_alu instid0(VALU_DEP_1) | instskip(NEXT) | instid1(VALU_DEP_2)
	v_add_nc_u32_e32 v5, 1, v4
	v_cmp_le_u32_e64 s14, s17, v3
	s_delay_alu instid0(VALU_DEP_1) | instskip(SKIP_1) | instid1(VALU_DEP_2)
	v_cndmask_b32_e64 v3, v4, v5, s14
	v_mul_lo_u32 v4, s43, v2
	v_add_co_ci_u32_e64 v3, null, 0, v3, vcc_lo
	s_delay_alu instid0(VALU_DEP_1) | instskip(SKIP_2) | instid1(SALU_CYCLE_1)
	v_mul_hi_u32 v5, s8, v3
	v_mul_lo_u32 v3, s8, v3
	s_not_b32 s8, s18
	s_ashr_i32 s8, s8, 31
	s_cmp_eq_u32 s17, 1
	s_delay_alu instid0(VALU_DEP_4) | instskip(SKIP_1) | instid1(VALU_DEP_3)
	v_xor_b32_e32 v4, s8, v4
	s_cselect_b32 s8, -1, 0
	v_cmp_eq_u32_e32 vcc_lo, 0, v5
	s_delay_alu instid0(VALU_DEP_2) | instskip(SKIP_2) | instid1(SALU_CYCLE_1)
	v_cmp_le_u32_e64 s14, v3, v4
	v_mov_b32_e32 v4, v0
                                        ; implicit-def: $vgpr3
	s_and_b32 s8, vcc_lo, s8
	s_and_b32 s9, s8, s14
	s_mov_b32 s8, -1
	s_and_saveexec_b32 s14, s9
	s_cbranch_execz .LBB10_37
; %bb.30:                               ;   in Loop: Header=BB10_6 Depth=1
	v_dual_add_nc_u32 v9, 7, v2 :: v_dual_add_nc_u32 v8, 6, v2
	v_dual_add_nc_u32 v7, 5, v2 :: v_dual_add_nc_u32 v6, 4, v2
	;; [unrolled: 1-line block ×3, first 2 shown]
	s_wait_loadcnt 0x0
	v_dual_add_nc_u32 v3, 1, v2 :: v_dual_lshlrev_b32 v42, 24, v24
	v_mov_b64_e32 v[16:17], v[8:9]
	v_mov_b64_e32 v[14:15], v[6:7]
	;; [unrolled: 1-line block ×3, first 2 shown]
	s_delay_alu instid0(VALU_DEP_4) | instskip(SKIP_4) | instid1(SALU_CYCLE_1)
	v_mov_b64_e32 v[10:11], v[2:3]
	v_mov_b32_e32 v44, 0
                                        ; implicit-def: $vgpr24
	s_mov_b32 s20, exec_lo
	v_readlane_b32 s8, v68, 11
	s_and_b32 s8, s20, s8
	s_mov_b32 exec_lo, s8
	s_cbranch_execz .LBB10_34
; %bb.31:                               ;   in Loop: Header=BB10_6 Depth=1
	v_mov_b64_e32 v[16:17], v[8:9]
	v_mov_b64_e32 v[14:15], v[6:7]
	;; [unrolled: 1-line block ×4, first 2 shown]
	v_mov_b32_e32 v43, v31
	s_mov_b32 s21, 0
	s_mov_b32 s22, 0
.LBB10_32:                              ;   Parent Loop BB10_6 Depth=1
                                        ; =>  This Inner Loop Header: Depth=2
	s_delay_alu instid0(VALU_DEP_2) | instskip(NEXT) | instid1(VALU_DEP_4)
	v_mul_lo_u32 v24, v10, s43
	v_dual_add_nc_u32 v56, 8, v13 :: v_dual_add_nc_u32 v58, 8, v14
	v_dual_add_nc_u32 v60, 8, v15 :: v_dual_add_nc_u32 v62, 8, v16
	v_mul_lo_u32 v44, v14, s88
	v_dual_add_nc_u32 v52, 8, v11 :: v_dual_add_nc_u32 v54, 8, v12
	v_mul_lo_u32 v6, v16, s90
	v_mul_lo_u32 v56, v56, s87
	;; [unrolled: 1-line block ×3, first 2 shown]
	v_dual_mov_b32 v5, v25 :: v_dual_add_nc_u32 v3, 8, v10
	v_mul_lo_u32 v58, v58, s88
	v_mul_lo_u32 v8, v15, s89
	v_dual_mov_b32 v53, v25 :: v_dual_add_nc_u32 v64, 8, v17
	v_mul_lo_u32 v62, v62, s90
	v_mul_lo_u32 v46, v13, s87
	;; [unrolled: 1-line block ×6, first 2 shown]
	v_dual_mov_b32 v47, v25 :: v_dual_mov_b32 v45, v25
	v_mul_lo_u32 v52, v52, s81
	v_dual_mov_b32 v9, v25 :: v_dual_mov_b32 v7, v25
	v_dual_mov_b32 v55, v25 :: v_dual_mov_b32 v57, v25
	v_add_nc_u64_e32 v[66:67], s[38:39], v[24:25]
	v_mul_lo_u32 v24, v3, s43
	v_dual_mov_b32 v59, v25 :: v_dual_mov_b32 v61, v25
	v_mul_lo_u32 v64, v64, s91
	v_dual_mov_b32 v63, v25 :: v_dual_mov_b32 v65, v25
	v_dual_mov_b32 v51, v25 :: v_dual_mov_b32 v49, v25
	v_add_nc_u64_e32 v[44:45], s[38:39], v[44:45]
	v_add_nc_u64_e32 v[6:7], s[38:39], v[6:7]
	;; [unrolled: 1-line block ×13, first 2 shown]
	s_clause 0x7
	global_load_u8 v3, v[44:45], off
	global_load_u8 v6, v[6:7], off
	;; [unrolled: 1-line block ×8, first 2 shown]
	v_add_nc_u64_e32 v[4:5], s[38:39], v[24:25]
	v_add_nc_u64_e32 v[64:65], s[38:39], v[64:65]
	s_clause 0x7
	global_load_u8 v48, v[56:57], off
	global_load_u8 v49, v[58:59], off
	;; [unrolled: 1-line block ×8, first 2 shown]
	v_dual_add_nc_u32 v43, -2, v43 :: v_dual_add_nc_u32 v12, 16, v12
	s_wait_xcnt 0x2
	v_dual_add_nc_u32 v53, s22, v0 :: v_dual_add_nc_u32 v17, 16, v17
	s_add_co_i32 s22, s22, 16
	s_delay_alu instid0(VALU_DEP_2)
	v_cmp_eq_u32_e32 vcc_lo, 0, v43
	v_dual_add_nc_u32 v16, 16, v16 :: v_dual_add_nc_u32 v15, 16, v15
	v_dual_add_nc_u32 v14, 16, v14 :: v_dual_add_nc_u32 v13, 16, v13
	;; [unrolled: 1-line block ×3, first 2 shown]
	v_mov_b32_e32 v44, s22
	s_or_b32 s21, vcc_lo, s21
	s_wait_loadcnt 0xc
	s_wait_xcnt 0x1
	v_perm_b32 v5, v8, v6, 0xc0c0004
	s_wait_loadcnt 0xb
	v_perm_b32 v3, v9, v3, 0xc0c0004
	s_wait_loadcnt 0x6
	v_perm_b32 v9, v48, v49, 0xc0c0004
	v_perm_b32 v6, v46, v45, 0xc0c0004
	;; [unrolled: 1-line block ×3, first 2 shown]
	s_wait_loadcnt 0x4
	v_perm_b32 v42, v51, v50, 0xc0c0004
	v_perm_b32 v45, v49, v51, 0xc0c0004
	s_wait_loadcnt 0x2
	v_perm_b32 v46, v52, v54, 0xc0c0004
	s_wait_loadcnt 0x1
	;; [unrolled: 2-line block ×3, first 2 shown]
	v_perm_b32 v48, v50, v24, 0xc0c0004
	v_lshl_or_b32 v5, v5, 16, v3
	v_lshl_or_b32 v4, v6, 16, v8
	;; [unrolled: 1-line block ×5, first 2 shown]
	ds_store_b128 v53, v[4:7]
	s_wait_xcnt 0x0
	s_and_not1_b32 exec_lo, exec_lo, s21
	s_cbranch_execnz .LBB10_32
; %bb.33:                               ;   in Loop: Header=BB10_6 Depth=1
	s_or_b32 exec_lo, exec_lo, s21
.LBB10_34:                              ;   in Loop: Header=BB10_6 Depth=1
	s_delay_alu instid0(SALU_CYCLE_1) | instskip(NEXT) | instid1(SALU_CYCLE_1)
	s_or_b32 exec_lo, exec_lo, s20
	s_mov_b32 s20, exec_lo
	v_readlane_b32 s8, v68, 12
	s_and_b32 s8, s20, s8
	s_delay_alu instid0(SALU_CYCLE_1)
	s_mov_b32 exec_lo, s8
	s_cbranch_execz .LBB10_36
; %bb.35:                               ;   in Loop: Header=BB10_6 Depth=1
	v_mul_lo_u32 v24, v10, s43
	v_mul_lo_u32 v10, v14, s88
	;; [unrolled: 1-line block ×8, first 2 shown]
	v_dual_mov_b32 v17, v25 :: v_dual_mov_b32 v11, v25
	v_dual_mov_b32 v7, v25 :: v_dual_mov_b32 v9, v25
	;; [unrolled: 1-line block ×3, first 2 shown]
	s_delay_alu instid0(VALU_DEP_3) | instskip(NEXT) | instid1(VALU_DEP_3)
	v_add_nc_u64_e32 v[10:11], s[38:39], v[10:11]
	v_add_nc_u64_e32 v[6:7], s[38:39], v[6:7]
	s_delay_alu instid0(VALU_DEP_4) | instskip(NEXT) | instid1(VALU_DEP_4)
	v_add_nc_u64_e32 v[8:9], s[38:39], v[8:9]
	v_add_nc_u64_e32 v[14:15], s[38:39], v[14:15]
	;; [unrolled: 1-line block ×4, first 2 shown]
	v_mov_b32_e32 v5, v25
	v_add_nc_u64_e32 v[46:47], s[38:39], v[24:25]
	s_clause 0x6
	global_load_u8 v3, v[10:11], off
	global_load_u8 v6, v[6:7], off
	;; [unrolled: 1-line block ×7, first 2 shown]
	v_add_nc_u64_e32 v[4:5], s[38:39], v[4:5]
	global_load_u8 v24, v[4:5], off
	s_wait_loadcnt 0x5
	s_wait_xcnt 0x0
	v_perm_b32 v4, v7, v6, 0xc0c0004
	s_wait_loadcnt 0x4
	v_perm_b32 v3, v8, v3, 0xc0c0004
	s_wait_loadcnt 0x2
	;; [unrolled: 2-line block ×3, first 2 shown]
	v_perm_b32 v7, v42, v11, 0xc0c0007
	v_lshl_or_b32 v5, v4, 16, v3
	v_add_nc_u32_e32 v3, v0, v44
	s_delay_alu instid0(VALU_DEP_3)
	v_lshl_or_b32 v4, v6, 16, v7
	ds_store_b64 v3, v[4:5]
.LBB10_36:                              ;   in Loop: Header=BB10_6 Depth=1
	s_or_b32 exec_lo, exec_lo, s20
	v_dual_add_nc_u32 v2, v2, v28 :: v_dual_mov_b32 v4, v29
	s_or_not1_b32 s8, s10, exec_lo
	s_delay_alu instid0(VALU_DEP_1)
	v_add_nc_u32_e32 v3, -1, v2
.LBB10_37:                              ;   in Loop: Header=BB10_6 Depth=1
	s_or_b32 exec_lo, exec_lo, s14
	v_mov_b32_e32 v5, s18
	s_and_b32 s14, s8, exec_lo
	s_and_not1_saveexec_b32 s19, s19
	s_cbranch_execz .LBB10_25
.LBB10_38:                              ;   in Loop: Header=BB10_6 Depth=1
	v_dual_mov_b32 v5, s18 :: v_dual_mov_b32 v4, v0
	s_or_b32 s14, s14, exec_lo
	s_or_b32 exec_lo, exec_lo, s19
	s_and_saveexec_b32 s18, s14
	s_cbranch_execz .LBB10_42
.LBB10_39:                              ;   in Loop: Header=BB10_6 Depth=1
	v_mul_lo_u32 v3, s43, v2
	s_mov_b32 s19, 0
	s_sub_co_i32 s14, 0, s17
.LBB10_40:                              ;   Parent Loop BB10_6 Depth=1
                                        ; =>  This Inner Loop Header: Depth=2
	global_load_u8 v6, v3, s[38:39]
	s_wait_xcnt 0x0
	v_dual_mov_b32 v7, v2 :: v_dual_add_nc_u32 v3, v3, v5
	s_wait_loadcnt 0x1
	ds_store_b8 v4, v24
	v_dual_add_nc_u32 v2, s17, v7 :: v_dual_mov_b32 v4, v7
	s_delay_alu instid0(VALU_DEP_1)
	v_cmp_le_u32_e32 vcc_lo, s36, v2
	s_or_b32 s19, vcc_lo, s19
	s_wait_loadcnt 0x0
	v_mov_b32_e32 v24, v6
	s_and_not1_b32 exec_lo, exec_lo, s19
	s_cbranch_execnz .LBB10_40
; %bb.41:                               ;   in Loop: Header=BB10_6 Depth=1
	s_or_b32 exec_lo, exec_lo, s19
	v_dual_mov_b32 v24, v6 :: v_dual_add_nc_u32 v3, s14, v2
.LBB10_42:                              ;   in Loop: Header=BB10_6 Depth=1
	s_or_b32 exec_lo, exec_lo, s18
.LBB10_43:                              ;   in Loop: Header=BB10_6 Depth=1
	s_delay_alu instid0(SALU_CYCLE_1)
	s_or_b32 exec_lo, exec_lo, s16
	s_wait_loadcnt 0x0
	ds_store_b8 v3, v24
.LBB10_44:                              ;   in Loop: Header=BB10_6 Depth=1
	s_or_b32 exec_lo, exec_lo, s15
	s_wait_dscnt 0x0
	s_barrier_signal -1
	s_barrier_wait -1
	s_and_saveexec_b32 s8, s5
; %bb.45:                               ;   in Loop: Header=BB10_6 Depth=1
	v_mov_b32_e32 v2, s36
	ds_store_b32 v25, v2 offset:4096
; %bb.46:                               ;   in Loop: Header=BB10_6 Depth=1
	s_or_b32 exec_lo, exec_lo, s8
	s_mov_b32 s14, -1
	s_wait_dscnt 0x0
	s_barrier_signal -1
	s_barrier_wait -1
.LBB10_47:                              ;   in Loop: Header=BB10_6 Depth=1
	s_and_b32 vcc_lo, exec_lo, s14
	s_mov_b32 s64, 0
	s_cbranch_vccz .LBB10_49
; %bb.48:                               ;   in Loop: Header=BB10_6 Depth=1
	ds_load_b32 v2, v25 offset:4096
	s_wait_dscnt 0x0
	v_readfirstlane_b32 s64, v2
.LBB10_49:                              ;   in Loop: Header=BB10_6 Depth=1
	s_delay_alu instid0(VALU_DEP_1)
	s_cmp_lt_i32 s64, 1
	s_mov_b32 s8, -1
                                        ; implicit-def: $vgpr5
	s_cbranch_scc1 .LBB10_62
; %bb.50:                               ;   in Loop: Header=BB10_6 Depth=1
	s_and_b32 vcc_lo, exec_lo, s8
	s_cbranch_vccnz .LBB10_73
.LBB10_51:                              ;   in Loop: Header=BB10_6 Depth=1
	s_lshl_b32 s16, s97, 7
	s_and_saveexec_b32 s8, s2
.LBB10_52:                              ;   in Loop: Header=BB10_6 Depth=1
	v_lshl_add_u32 v6, s16, 2, v23
	ds_store_b128 v6, v[2:5]
.LBB10_53:                              ;   in Loop: Header=BB10_6 Depth=1
	s_or_b32 exec_lo, exec_lo, s8
	s_wait_dscnt 0x0
	s_barrier_signal -1
	s_barrier_wait -1
	s_and_saveexec_b32 s17, s73
	s_cbranch_execz .LBB10_86
; %bb.54:                               ;   in Loop: Header=BB10_6 Depth=1
	v_dual_add_nc_u32 v4, s16, v1 :: v_dual_mov_b32 v2, 0
	s_and_not1_b32 vcc_lo, exec_lo, s75
	s_cbranch_vccnz .LBB10_85
; %bb.55:                               ;   in Loop: Header=BB10_6 Depth=1
	s_and_not1_b32 vcc_lo, exec_lo, s78
	s_cbranch_vccnz .LBB10_82
; %bb.56:                               ;   in Loop: Header=BB10_6 Depth=1
	v_lshl_add_u32 v5, v4, 2, 0xc00
	s_and_not1_b32 vcc_lo, exec_lo, s82
	s_cbranch_vccnz .LBB10_110
; %bb.57:                               ;   in Loop: Header=BB10_6 Depth=1
	v_dual_mov_b32 v2, 0 :: v_dual_mov_b32 v3, 0
	s_mov_b32 s15, 1
	s_mov_b32 s14, 0
	s_mov_b32 s18, s83
.LBB10_58:                              ;   Parent Loop BB10_6 Depth=1
                                        ; =>  This Inner Loop Header: Depth=2
	v_lshl_add_u32 v24, s15, 4, v5
	v_lshl_add_u32 v44, s14, 4, v5
	s_add_co_i32 s18, s18, -8
	s_add_co_i32 s15, s15, 16
	s_add_co_i32 s14, s14, 16
	ds_load_2addr_b32 v[6:7], v24 offset1:8
	ds_load_2addr_b32 v[8:9], v44 offset1:8
	ds_load_2addr_b32 v[10:11], v24 offset0:16 offset1:24
	ds_load_2addr_b32 v[12:13], v44 offset0:16 offset1:24
	;; [unrolled: 1-line block ×6, first 2 shown]
	s_cmp_lg_u32 s18, 0
	s_wait_dscnt 0x7
	v_add3_u32 v3, v6, v3, v7
	s_wait_dscnt 0x6
	v_add3_u32 v2, v8, v2, v9
	s_wait_dscnt 0x5
	s_delay_alu instid0(VALU_DEP_2) | instskip(SKIP_1) | instid1(VALU_DEP_2)
	v_add3_u32 v3, v10, v3, v11
	s_wait_dscnt 0x4
	v_add3_u32 v2, v12, v2, v13
	s_wait_dscnt 0x3
	s_delay_alu instid0(VALU_DEP_2) | instskip(SKIP_1) | instid1(VALU_DEP_2)
	;; [unrolled: 5-line block ×3, first 2 shown]
	v_add3_u32 v3, v42, v3, v43
	s_wait_dscnt 0x0
	v_add3_u32 v2, v44, v2, v45
	s_cbranch_scc1 .LBB10_58
; %bb.59:                               ;   in Loop: Header=BB10_6 Depth=1
	s_and_not1_b32 vcc_lo, exec_lo, s85
	s_mov_b32 s18, s80
	s_cbranch_vccnz .LBB10_61
.LBB10_60:                              ;   Parent Loop BB10_6 Depth=1
                                        ; =>  This Inner Loop Header: Depth=2
	v_lshl_add_u32 v6, s15, 4, v5
	v_lshl_add_u32 v7, s14, 4, v5
	s_add_co_i32 s18, s18, -1
	s_add_co_i32 s15, s15, 2
	s_add_co_i32 s14, s14, 2
	ds_load_b32 v6, v6
	ds_load_b32 v7, v7
	s_cmp_lg_u32 s18, 0
	s_wait_dscnt 0x0
	v_dual_add_nc_u32 v3, v6, v3 :: v_dual_add_nc_u32 v2, v7, v2
	s_cbranch_scc1 .LBB10_60
.LBB10_61:                              ;   in Loop: Header=BB10_6 Depth=1
	s_delay_alu instid0(VALU_DEP_1) | instskip(SKIP_2) | instid1(SALU_CYCLE_1)
	v_add_nc_u32_e32 v2, v2, v3
	s_mov_b32 s14, s79
	s_mov_b32 s8, s86
	s_and_b32 vcc_lo, exec_lo, s8
	s_cbranch_vccnz .LBB10_83
	s_branch .LBB10_85
.LBB10_62:                              ;   in Loop: Header=BB10_6 Depth=1
	v_dual_mov_b32 v2, 0 :: v_dual_mov_b32 v3, 0
	v_dual_mov_b32 v4, 0 :: v_dual_mov_b32 v5, 0
	s_and_saveexec_b32 s46, s11
	s_cbranch_execz .LBB10_66
; %bb.63:                               ;   in Loop: Header=BB10_6 Depth=1
	v_mov_b32_e32 v6, v19
	s_mov_b32 s58, 0
	s_mov_b32 s59, 0
	;; [unrolled: 1-line block ×6, first 2 shown]
.LBB10_64:                              ;   Parent Loop BB10_6 Depth=1
                                        ; =>  This Inner Loop Header: Depth=2
	v_dual_add_nc_u32 v2, s59, v37 :: v_dual_add_nc_u32 v4, s59, v34
	v_dual_add_nc_u32 v3, s59, v33 :: v_dual_add_nc_u32 v5, s59, v35
	s_add_co_i32 s59, s59, s94
	s_clause 0x3
	global_load_u8 v2, v2, s[38:39]
	global_load_u8 v3, v3, s[38:39]
	;; [unrolled: 1-line block ×4, first 2 shown]
	v_add_nc_u32_e32 v6, s62, v6
	s_wait_loadcnt 0x3
	v_and_b32_e32 v7, v39, v2
	v_bfe_u32 v2, v2, s101, 2
	s_wait_loadcnt 0x2
	v_and_b32_e32 v8, v39, v3
	v_bfe_u32 v3, v3, s101, 2
	;; [unrolled: 3-line block ×3, first 2 shown]
	v_cmp_eq_u32_e64 s14, v7, v32
	v_cmp_eq_u32_e64 s18, 0, v2
	s_wait_loadcnt 0x0
	v_and_b32_e32 v10, v39, v5
	v_bfe_u32 v5, v5, s101, 2
	v_cmp_eq_u32_e64 s15, v8, v32
	v_cmp_eq_u32_e64 s19, 0, v3
	;; [unrolled: 1-line block ×4, first 2 shown]
	s_and_b32 s8, s14, s18
	v_cmp_eq_u32_e64 s17, v10, v32
	v_cmp_eq_u32_e64 s21, 0, v5
	;; [unrolled: 1-line block ×5, first 2 shown]
	v_cndmask_b32_e64 v2, 0, 1, s8
	s_and_b32 s8, s15, s19
	v_cmp_eq_u32_e64 s23, 1, v3
	v_cmp_eq_u32_e64 s27, 2, v3
	v_cmp_eq_u32_e64 s31, 3, v3
	v_cndmask_b32_e64 v3, 0, 1, s8
	s_and_b32 s8, s16, s20
	v_cmp_eq_u32_e64 s24, 1, v4
	v_cmp_eq_u32_e64 s28, 2, v4
	v_cmp_eq_u32_e64 s33, 3, v4
	;; [unrolled: 5-line block ×3, first 2 shown]
	v_cndmask_b32_e64 v5, 0, 1, s8
	s_and_b32 s8, s14, s22
	v_cmp_le_u32_e32 vcc_lo, s92, v6
	v_cndmask_b32_e64 v7, 0, 1, s8
	s_and_b32 s8, s15, s23
	s_delay_alu instid0(SALU_CYCLE_1) | instskip(SKIP_1) | instid1(VALU_DEP_2)
	v_cndmask_b32_e64 v8, 0, 1, s8
	s_and_b32 s8, s16, s24
	v_cmp_ne_u32_e64 s18, 0, v7
	v_cndmask_b32_e64 v9, 0, 1, s8
	s_and_b32 s8, s17, s25
	v_cmp_ne_u32_e64 s19, 0, v8
	;; [unrolled: 3-line block ×10, first 2 shown]
	v_cndmask_b32_e64 v24, 0, 1, s8
	v_cmp_ne_u32_e64 s15, 0, v3
	v_cmp_ne_u32_e64 s17, 0, v5
	;; [unrolled: 1-line block ×5, first 2 shown]
	s_bcnt1_i32_b32 s8, s14
	s_bcnt1_i32_b32 s14, s16
	;; [unrolled: 1-line block ×7, first 2 shown]
	v_cmp_ne_u32_e64 s29, 0, v24
	s_bcnt1_i32_b32 s9, s15
	s_bcnt1_i32_b32 s15, s17
	;; [unrolled: 1-line block ×7, first 2 shown]
	s_add_co_i32 s8, s8, s41
	s_add_co_i32 s16, s16, s40
	;; [unrolled: 1-line block ×4, first 2 shown]
	s_bcnt1_i32_b32 s26, s28
	s_add_co_i32 s8, s8, s9
	s_add_co_i32 s9, s16, s17
	;; [unrolled: 1-line block ×4, first 2 shown]
	s_bcnt1_i32_b32 s27, s29
	s_add_co_i32 s8, s8, s14
	s_add_co_i32 s9, s9, s18
	s_add_co_i32 s14, s16, s22
	s_add_co_i32 s16, s17, s26
	s_add_co_i32 s41, s8, s15
	s_add_co_i32 s40, s9, s19
	s_add_co_i32 s61, s14, s23
	s_add_co_i32 s60, s16, s27
	v_dual_mov_b32 v2, s41 :: v_dual_mov_b32 v3, s40
	v_dual_mov_b32 v4, s61 :: v_dual_mov_b32 v5, s60
	s_or_b32 s58, vcc_lo, s58
	s_delay_alu instid0(SALU_CYCLE_1)
	s_and_not1_b32 exec_lo, exec_lo, s58
	s_cbranch_execnz .LBB10_64
; %bb.65:                               ;   in Loop: Header=BB10_6 Depth=1
	s_or_b32 exec_lo, exec_lo, s58
.LBB10_66:                              ;   in Loop: Header=BB10_6 Depth=1
	s_delay_alu instid0(SALU_CYCLE_1)
	s_or_b32 exec_lo, exec_lo, s46
	s_and_saveexec_b32 s18, s12
	s_cbranch_execz .LBB10_72
; %bb.67:                               ;   in Loop: Header=BB10_6 Depth=1
	global_load_u8 v9, v[26:27], off
	v_dual_mov_b32 v6, v36 :: v_dual_mov_b32 v7, v30
	s_mov_b32 s19, 0
	s_branch .LBB10_69
.LBB10_68:                              ;   in Loop: Header=BB10_69 Depth=2
	s_wait_xcnt 0x0
	s_or_b32 exec_lo, exec_lo, s8
	s_wait_loadcnt 0x0
	v_and_b32_e32 v10, 0xff, v9
	v_bitop3_b32 v9, v39, v9, 0xff bitop3:0x80
	s_and_b32 s8, exec_lo, vcc_lo
	v_add_nc_u32_e32 v6, s51, v6
	s_or_b32 s19, s8, s19
	v_bfe_u32 v10, v10, s101, 2
	v_cmp_eq_u32_e32 vcc_lo, v9, v32
	s_delay_alu instid0(VALU_DEP_2) | instskip(SKIP_4) | instid1(SALU_CYCLE_1)
	v_cmp_eq_u32_e64 s14, 0, v10
	v_cmp_eq_u32_e64 s15, 1, v10
	;; [unrolled: 1-line block ×4, first 2 shown]
	s_and_b32 s8, vcc_lo, s14
	v_cndmask_b32_e64 v9, 0, 1, s8
	s_and_b32 s8, vcc_lo, s15
	s_delay_alu instid0(SALU_CYCLE_1) | instskip(SKIP_1) | instid1(SALU_CYCLE_1)
	v_cndmask_b32_e64 v10, 0, 1, s8
	s_and_b32 s8, vcc_lo, s16
	v_cndmask_b32_e64 v11, 0, 1, s8
	s_and_b32 s8, vcc_lo, s17
	v_cmp_ne_u32_e32 vcc_lo, 0, v9
	v_cndmask_b32_e64 v12, 0, 1, s8
	v_cmp_ne_u32_e64 s14, 0, v10
	v_cmp_ne_u32_e64 s15, 0, v11
	v_mov_b32_e32 v9, v8
	s_bcnt1_i32_b32 s8, vcc_lo
	v_cmp_ne_u32_e64 s16, 0, v12
	s_bcnt1_i32_b32 s9, s14
	s_bcnt1_i32_b32 s14, s15
	v_dual_add_nc_u32 v2, s8, v2 :: v_dual_add_nc_u32 v3, s9, v3
	s_bcnt1_i32_b32 s15, s16
	s_delay_alu instid0(SALU_CYCLE_1)
	v_dual_add_nc_u32 v4, s14, v4 :: v_dual_add_nc_u32 v5, s15, v5
	s_and_not1_b32 exec_lo, exec_lo, s19
	s_cbranch_execz .LBB10_71
.LBB10_69:                              ;   Parent Loop BB10_6 Depth=1
                                        ; =>  This Inner Loop Header: Depth=2
	s_delay_alu instid0(VALU_DEP_1) | instskip(SKIP_1) | instid1(VALU_DEP_1)
	v_dual_mov_b32 v8, 0 :: v_dual_add_nc_u32 v7, s47, v7
	s_mov_b32 s8, exec_lo
	v_cmp_le_u32_e32 vcc_lo, s36, v7
	s_wait_xcnt 0x0
	v_cmpx_gt_u32_e64 s36, v7
	s_cbranch_execz .LBB10_68
; %bb.70:                               ;   in Loop: Header=BB10_69 Depth=2
	global_load_u8 v8, v6, s[38:39]
	s_branch .LBB10_68
.LBB10_71:                              ;   in Loop: Header=BB10_6 Depth=1
	s_or_b32 exec_lo, exec_lo, s19
.LBB10_72:                              ;   in Loop: Header=BB10_6 Depth=1
	s_delay_alu instid0(SALU_CYCLE_1)
	s_or_b32 exec_lo, exec_lo, s18
	s_branch .LBB10_51
.LBB10_73:                              ;   in Loop: Header=BB10_6 Depth=1
	s_mul_u64 s[8:9], s[64:65], s[68:69]
	v_dual_mov_b32 v2, 0 :: v_dual_mov_b32 v3, 0
	s_mul_i32 s8, s9, s62
	v_dual_mov_b32 v4, 0 :: v_dual_mov_b32 v5, 0
	s_sub_co_i32 s8, s64, s8
	s_mov_b32 s58, exec_lo
	s_sub_co_i32 s9, s8, s62
	s_cmp_ge_u32 s8, s62
	s_cselect_b32 s8, s9, s8
	s_delay_alu instid0(SALU_CYCLE_1) | instskip(SKIP_2) | instid1(SALU_CYCLE_1)
	s_sub_co_i32 s9, s8, s62
	s_cmp_ge_u32 s8, s62
	s_cselect_b32 s8, s9, s8
	s_sub_co_i32 s46, s64, s8
	s_delay_alu instid0(SALU_CYCLE_1)
	v_cmpx_gt_u32_e64 s46, v19
	s_cbranch_execz .LBB10_77
; %bb.74:                               ;   in Loop: Header=BB10_6 Depth=1
	v_mov_b32_e32 v6, v19
	s_mov_b32 s59, 0
	s_mov_b32 s60, 0
	;; [unrolled: 1-line block ×5, first 2 shown]
.LBB10_75:                              ;   Parent Loop BB10_6 Depth=1
                                        ; =>  This Inner Loop Header: Depth=2
	ds_load_b32 v2, v6
	s_wait_dscnt 0x0
	v_and_b32_e32 v8, 0xff, v2
	v_dual_lshrrev_b32 v3, 16, v2 :: v_dual_lshrrev_b32 v4, 8, v2
	v_bfe_u32 v9, v2, 8, 8
	v_bitop3_b32 v5, v39, v2, 0xff bitop3:0x80
	v_lshrrev_b32_e32 v7, 24, v2
	v_bfe_u32 v2, v2, 16, 8
	v_bfe_u32 v8, v8, s101, 2
	v_bitop3_b32 v4, v39, v4, 0xff bitop3:0x80
	v_bfe_u32 v9, v9, s101, 2
	v_bitop3_b32 v3, v39, v3, 0xff bitop3:0x80
	v_bfe_u32 v2, v2, s101, 2
	v_cmp_eq_u32_e64 s14, v5, v32
	v_cmp_eq_u32_e64 s18, 0, v8
	v_dual_add_nc_u32 v6, s62, v6 :: v_dual_bitop2_b32 v5, v39, v7 bitop3:0x40
	v_bfe_u32 v7, v7, s101, 2
	v_cmp_eq_u32_e64 s15, v4, v32
	v_cmp_eq_u32_e64 s19, 0, v9
	;; [unrolled: 1-line block ×4, first 2 shown]
	s_and_b32 s8, s14, s18
	v_cmp_eq_u32_e64 s17, v5, v32
	v_cmp_eq_u32_e64 s21, 0, v7
	v_cmp_eq_u32_e64 s24, 1, v2
	v_cmp_eq_u32_e64 s28, 2, v2
	v_cmp_eq_u32_e64 s33, 3, v2
	v_cndmask_b32_e64 v2, 0, 1, s8
	s_and_b32 s8, s15, s19
	v_cmp_eq_u32_e64 s22, 1, v8
	v_cndmask_b32_e64 v3, 0, 1, s8
	s_and_b32 s8, s16, s20
	v_cmp_eq_u32_e64 s23, 1, v9
	;; [unrolled: 3-line block ×4, first 2 shown]
	v_cmp_eq_u32_e64 s34, 3, v7
	v_cndmask_b32_e64 v7, 0, 1, s8
	s_and_b32 s8, s15, s23
	v_cmp_eq_u32_e64 s26, 2, v8
	v_cmp_eq_u32_e64 s30, 3, v8
	v_cndmask_b32_e64 v8, 0, 1, s8
	s_and_b32 s8, s16, s24
	v_cmp_eq_u32_e64 s27, 2, v9
	v_cmp_eq_u32_e64 s31, 3, v9
	v_cndmask_b32_e64 v9, 0, 1, s8
	s_and_b32 s8, s17, s25
	v_cmp_ne_u32_e64 s18, 0, v7
	v_cndmask_b32_e64 v10, 0, 1, s8
	s_and_b32 s8, s14, s26
	v_cmp_ne_u32_e64 s20, 0, v9
	;; [unrolled: 3-line block ×9, first 2 shown]
	v_cndmask_b32_e64 v24, 0, 1, s8
	v_cmp_ne_u32_e64 s15, 0, v3
	v_cmp_ne_u32_e64 s17, 0, v5
	;; [unrolled: 1-line block ×6, first 2 shown]
	s_bcnt1_i32_b32 s8, s14
	s_bcnt1_i32_b32 s14, s16
	;; [unrolled: 1-line block ×7, first 2 shown]
	v_cmp_ne_u32_e64 s29, 0, v24
	s_bcnt1_i32_b32 s9, s15
	s_bcnt1_i32_b32 s15, s17
	s_bcnt1_i32_b32 s17, s19
	s_bcnt1_i32_b32 s19, s21
	s_bcnt1_i32_b32 s21, s23
	s_bcnt1_i32_b32 s23, s25
	s_bcnt1_i32_b32 s25, s27
	s_add_co_i32 s8, s8, s42
	s_add_co_i32 s16, s16, s41
	;; [unrolled: 1-line block ×4, first 2 shown]
	s_bcnt1_i32_b32 s26, s28
	s_add_co_i32 s8, s8, s9
	s_add_co_i32 s9, s16, s17
	;; [unrolled: 1-line block ×4, first 2 shown]
	s_bcnt1_i32_b32 s27, s29
	s_add_co_i32 s8, s8, s14
	s_add_co_i32 s9, s9, s18
	;; [unrolled: 1-line block ×4, first 2 shown]
	v_cmp_le_u32_e32 vcc_lo, s46, v6
	s_add_co_i32 s42, s8, s15
	s_add_co_i32 s41, s9, s19
	s_add_co_i32 s40, s14, s23
	s_add_co_i32 s60, s16, s27
	v_dual_mov_b32 v2, s42 :: v_dual_mov_b32 v3, s41
	v_dual_mov_b32 v4, s40 :: v_dual_mov_b32 v5, s60
	s_or_b32 s59, vcc_lo, s59
	s_delay_alu instid0(SALU_CYCLE_1)
	s_and_not1_b32 exec_lo, exec_lo, s59
	s_cbranch_execnz .LBB10_75
; %bb.76:                               ;   in Loop: Header=BB10_6 Depth=1
	s_or_b32 exec_lo, exec_lo, s59
.LBB10_77:                              ;   in Loop: Header=BB10_6 Depth=1
	s_delay_alu instid0(SALU_CYCLE_1) | instskip(SKIP_2) | instid1(VALU_DEP_1)
	s_or_b32 exec_lo, exec_lo, s58
	v_add_nc_u32_e32 v6, s46, v0
	s_mov_b32 s19, exec_lo
	v_cmpx_gt_u32_e64 s64, v6
	s_cbranch_execz .LBB10_81
; %bb.78:                               ;   in Loop: Header=BB10_6 Depth=1
	s_mov_b32 s20, 0
.LBB10_79:                              ;   Parent Loop BB10_6 Depth=1
                                        ; =>  This Inner Loop Header: Depth=2
	ds_load_u8 v7, v6
	s_wait_dscnt 0x0
	v_dual_add_nc_u32 v6, s47, v6 :: v_dual_bitop2_b32 v8, v39, v7 bitop3:0x40
	v_bfe_u32 v7, v7, s101, 2
	s_delay_alu instid0(VALU_DEP_2) | instskip(NEXT) | instid1(VALU_DEP_3)
	v_cmp_le_u32_e32 vcc_lo, s64, v6
	v_cmp_eq_u32_e64 s14, v8, v32
	s_delay_alu instid0(VALU_DEP_3) | instskip(SKIP_4) | instid1(SALU_CYCLE_1)
	v_cmp_eq_u32_e64 s15, 0, v7
	v_cmp_eq_u32_e64 s16, 1, v7
	;; [unrolled: 1-line block ×4, first 2 shown]
	s_and_b32 s8, s14, s15
	v_cndmask_b32_e64 v7, 0, 1, s8
	s_and_b32 s8, s14, s16
	s_delay_alu instid0(SALU_CYCLE_1) | instskip(SKIP_1) | instid1(SALU_CYCLE_1)
	v_cndmask_b32_e64 v8, 0, 1, s8
	s_and_b32 s8, s14, s17
	v_cndmask_b32_e64 v9, 0, 1, s8
	s_and_b32 s8, s14, s18
	v_cmp_ne_u32_e64 s14, 0, v7
	v_cndmask_b32_e64 v10, 0, 1, s8
	v_cmp_ne_u32_e64 s15, 0, v8
	v_cmp_ne_u32_e64 s16, 0, v9
	s_bcnt1_i32_b32 s8, s14
	v_cmp_ne_u32_e64 s17, 0, v10
	s_bcnt1_i32_b32 s9, s15
	s_bcnt1_i32_b32 s14, s16
	v_dual_add_nc_u32 v2, s8, v2 :: v_dual_add_nc_u32 v3, s9, v3
	s_bcnt1_i32_b32 s15, s17
	s_delay_alu instid0(SALU_CYCLE_1) | instskip(SKIP_1) | instid1(SALU_CYCLE_1)
	v_dual_add_nc_u32 v4, s14, v4 :: v_dual_add_nc_u32 v5, s15, v5
	s_or_b32 s20, vcc_lo, s20
	s_and_not1_b32 exec_lo, exec_lo, s20
	s_cbranch_execnz .LBB10_79
; %bb.80:                               ;   in Loop: Header=BB10_6 Depth=1
	s_or_b32 exec_lo, exec_lo, s20
.LBB10_81:                              ;   in Loop: Header=BB10_6 Depth=1
	s_delay_alu instid0(SALU_CYCLE_1)
	s_or_b32 exec_lo, exec_lo, s19
	s_lshl_b32 s16, s97, 7
	s_and_saveexec_b32 s8, s2
	s_cbranch_execnz .LBB10_52
	s_branch .LBB10_53
.LBB10_82:                              ;   in Loop: Header=BB10_6 Depth=1
	v_mov_b32_e32 v2, 0
	s_mov_b32 s14, 0
	s_cbranch_execz .LBB10_85
.LBB10_83:                              ;   in Loop: Header=BB10_6 Depth=1
	s_lshl_b32 s8, s97, 9
	s_lshl_b32 s9, s14, 4
	s_sub_co_i32 s14, s77, s14
	v_add3_u32 v3, s8, s9, v38
.LBB10_84:                              ;   Parent Loop BB10_6 Depth=1
                                        ; =>  This Inner Loop Header: Depth=2
	ds_load_b32 v5, v3
	v_add_nc_u32_e32 v3, 16, v3
	s_add_co_i32 s14, s14, -1
	s_delay_alu instid0(SALU_CYCLE_1)
	s_cmp_eq_u32 s14, 0
	s_wait_dscnt 0x0
	v_add_nc_u32_e32 v2, v5, v2
	s_cbranch_scc0 .LBB10_84
.LBB10_85:                              ;   in Loop: Header=BB10_6 Depth=1
	s_delay_alu instid0(VALU_DEP_1)
	v_lshlrev_b32_e32 v3, 2, v4
	ds_store_b32 v3, v2 offset:3072
.LBB10_86:                              ;   in Loop: Header=BB10_6 Depth=1
	s_or_b32 exec_lo, exec_lo, s17
	s_lshl_b32 s8, s16, 2
	s_wait_dscnt 0x0
	v_mov_b32_e32 v2, s8
	s_barrier_signal -1
	s_barrier_wait -1
	v_cmp_eq_u32_e64 s14, 1, v41
	ds_load_b128 v[2:5], v2 offset:3072
	s_lshl_b32 s18, 3, s101
	s_mov_b32 s26, -1
	s_not_b32 s19, s18
	s_mov_b32 s16, 0
	s_and_not1_b32 vcc_lo, exec_lo, s57
	s_mov_b32 s23, 0
	s_mov_b32 s15, 0
                                        ; implicit-def: $sgpr24
                                        ; implicit-def: $sgpr25
                                        ; implicit-def: $vgpr6
	s_wait_dscnt 0x0
	v_readfirstlane_b32 s17, v2
	v_readfirstlane_b32 s20, v3
	;; [unrolled: 1-line block ×4, first 2 shown]
                                        ; implicit-def: $vgpr5
                                        ; implicit-def: $vgpr2
                                        ; implicit-def: $vgpr3
                                        ; implicit-def: $vgpr4
	s_cbranch_vccnz .LBB10_245
; %bb.87:                               ;   in Loop: Header=BB10_6 Depth=1
	s_cmp_eq_u32 s17, 1
	v_dual_mov_b32 v3, v32 :: v_dual_mov_b32 v4, v39
	v_mov_b32_e32 v6, v40
	s_cselect_b32 s8, -1, 0
	s_mov_b32 s29, -1
	s_and_b32 s28, s8, s14
                                        ; implicit-def: $sgpr25
                                        ; implicit-def: $sgpr24
	s_delay_alu instid0(SALU_CYCLE_1)
	s_and_saveexec_b32 s15, s28
	s_cbranch_execz .LBB10_114
; %bb.88:                               ;   in Loop: Header=BB10_6 Depth=1
	ds_load_b32 v2, v25 offset:4096
	s_wait_dscnt 0x0
	s_barrier_signal -1
	s_barrier_wait -1
	v_readfirstlane_b32 s26, v2
	s_and_saveexec_b32 s8, s6
; %bb.89:                               ;   in Loop: Header=BB10_6 Depth=1
	ds_store_b8 v0, v25 offset:3072
; %bb.90:                               ;   in Loop: Header=BB10_6 Depth=1
	s_or_b32 exec_lo, exec_lo, s8
	v_and_b32_e32 v3, s19, v32
	v_or_b32_e32 v4, s18, v39
	s_mov_b32 s24, -1
	s_mov_b32 s25, 0
	s_cmp_eq_u32 s26, 0
	s_mov_b32 s27, -1
	s_wait_dscnt 0x0
	s_barrier_signal -1
	s_barrier_wait -1
                                        ; implicit-def: $vgpr6
	s_cbranch_scc1 .LBB10_101
; %bb.91:                               ;   in Loop: Header=BB10_6 Depth=1
	s_add_co_i32 s64, s26, s76
	s_mov_b32 s27, 0
	s_mul_u64 s[8:9], s[64:65], s[70:71]
	s_mov_b32 s29, exec_lo
	s_mul_i32 s8, s9, s47
                                        ; implicit-def: $vgpr6
	s_delay_alu instid0(SALU_CYCLE_1) | instskip(NEXT) | instid1(SALU_CYCLE_1)
	s_sub_co_i32 s8, s64, s8
	s_sub_co_i32 s9, s8, s47
	s_cmp_ge_u32 s8, s47
	s_cselect_b32 s8, s9, s8
	s_delay_alu instid0(SALU_CYCLE_1) | instskip(SKIP_2) | instid1(SALU_CYCLE_1)
	s_sub_co_i32 s9, s8, s47
	s_cmp_ge_u32 s8, s47
	s_cselect_b32 s8, s9, s8
	s_sub_co_i32 s30, s64, s8
	s_delay_alu instid0(SALU_CYCLE_1)
	v_cmpx_gt_u32_e64 s30, v0
	s_cbranch_execz .LBB10_100
; %bb.92:                               ;   in Loop: Header=BB10_6 Depth=1
	v_mov_b32_e32 v2, v0
                                        ; implicit-def: $sgpr31
	s_branch .LBB10_95
.LBB10_93:                              ;   in Loop: Header=BB10_95 Depth=2
	s_or_b32 exec_lo, exec_lo, s8
	s_wait_dscnt 0x0
	s_barrier_signal -1
	s_barrier_wait -1
	ds_load_u16 v5, v25 offset:3072
	s_mov_b32 s33, -1
	s_mov_b32 s8, -1
	s_wait_dscnt 0x0
	s_barrier_signal -1
	s_barrier_wait -1
	v_and_b32_e32 v6, 0xff, v5
	s_delay_alu instid0(VALU_DEP_1)
	v_cmp_ne_u32_e32 vcc_lo, 0, v6
	s_cbranch_vccz .LBB10_98
.LBB10_94:                              ;   in Loop: Header=BB10_95 Depth=2
	s_and_b32 s9, exec_lo, s33
	s_delay_alu instid0(SALU_CYCLE_1) | instskip(SKIP_2) | instid1(SALU_CYCLE_1)
	s_or_b32 s23, s9, s23
	s_and_not1_b32 s9, s31, exec_lo
	s_and_b32 s8, s8, exec_lo
	s_or_b32 s31, s9, s8
	s_and_not1_b32 exec_lo, exec_lo, s23
	s_cbranch_execz .LBB10_99
.LBB10_95:                              ;   Parent Loop BB10_6 Depth=1
                                        ; =>  This Inner Loop Header: Depth=2
	s_mov_b32 s8, exec_lo
	s_delay_alu instid0(VALU_DEP_1)
	v_cmpx_gt_u32_e64 s26, v2
	s_cbranch_execz .LBB10_93
; %bb.96:                               ;   in Loop: Header=BB10_95 Depth=2
	ds_load_u8 v5, v2
	s_wait_dscnt 0x0
	v_bitop3_b32 v6, v5, 0xff, v4 bitop3:0x80
	s_delay_alu instid0(VALU_DEP_1)
	v_cmp_eq_u32_e32 vcc_lo, v6, v3
	s_and_b32 exec_lo, exec_lo, vcc_lo
	s_cbranch_execz .LBB10_93
; %bb.97:                               ;   in Loop: Header=BB10_95 Depth=2
	v_lshlrev_b16 v5, 8, v5
	s_delay_alu instid0(VALU_DEP_1)
	v_or_b32_e32 v5, 1, v5
	ds_store_b16 v25, v5 offset:3072
	s_branch .LBB10_93
.LBB10_98:                              ;   in Loop: Header=BB10_95 Depth=2
	v_add_nc_u32_e32 v2, s47, v2
	s_mov_b32 s8, 0
	s_delay_alu instid0(VALU_DEP_1)
	v_cmp_le_u32_e32 vcc_lo, s30, v2
	s_or_not1_b32 s33, vcc_lo, exec_lo
	s_branch .LBB10_94
.LBB10_99:                              ;   in Loop: Header=BB10_6 Depth=1
	s_or_b32 exec_lo, exec_lo, s23
	v_and_b32_e32 v2, 0xffff, v5
	s_and_b32 s23, s31, exec_lo
	s_delay_alu instid0(VALU_DEP_1)
	v_lshrrev_b32_e32 v6, 8, v2
.LBB10_100:                             ;   in Loop: Header=BB10_6 Depth=1
	s_or_b32 exec_lo, exec_lo, s29
.LBB10_101:                             ;   in Loop: Header=BB10_6 Depth=1
	s_delay_alu instid0(SALU_CYCLE_1)
	s_and_b32 vcc_lo, exec_lo, s27
	s_cbranch_vccz .LBB10_113
; %bb.102:                              ;   in Loop: Header=BB10_6 Depth=1
                                        ; implicit-def: $vgpr6
	s_and_saveexec_b32 s24, s13
	s_cbranch_execz .LBB10_112
; %bb.103:                              ;   in Loop: Header=BB10_6 Depth=1
	v_dual_mov_b32 v2, v22 :: v_dual_mov_b32 v5, v0
	s_mov_b32 s26, 0
                                        ; implicit-def: $sgpr25
	s_branch .LBB10_106
.LBB10_104:                             ;   in Loop: Header=BB10_106 Depth=2
	s_or_b32 exec_lo, exec_lo, s8
	s_wait_dscnt 0x0
	s_barrier_signal -1
	s_barrier_wait -1
	ds_load_u16 v6, v25 offset:3072
	s_mov_b32 s8, -1
	s_mov_b32 s27, -1
	s_wait_dscnt 0x0
	s_barrier_signal -1
	s_barrier_wait -1
	v_and_b32_e32 v7, 0xff, v6
	s_delay_alu instid0(VALU_DEP_1)
	v_cmp_ne_u32_e32 vcc_lo, 0, v7
	s_cbranch_vccz .LBB10_109
.LBB10_105:                             ;   in Loop: Header=BB10_106 Depth=2
	s_and_b32 s8, exec_lo, s8
	s_delay_alu instid0(SALU_CYCLE_1) | instskip(SKIP_2) | instid1(SALU_CYCLE_1)
	s_or_b32 s26, s8, s26
	s_and_not1_b32 s8, s25, exec_lo
	s_and_b32 s9, s27, exec_lo
	s_or_b32 s25, s8, s9
	s_and_not1_b32 exec_lo, exec_lo, s26
	s_cbranch_execz .LBB10_111
.LBB10_106:                             ;   Parent Loop BB10_6 Depth=1
                                        ; =>  This Inner Loop Header: Depth=2
	s_mov_b32 s8, exec_lo
	s_delay_alu instid0(VALU_DEP_1)
	v_cmpx_gt_u32_e64 s36, v5
	s_cbranch_execz .LBB10_104
; %bb.107:                              ;   in Loop: Header=BB10_106 Depth=2
	global_load_u8 v6, v2, s[38:39]
	s_wait_loadcnt 0x0
	v_bitop3_b32 v7, v6, 0xff, v4 bitop3:0x80
	s_delay_alu instid0(VALU_DEP_1)
	v_cmp_eq_u32_e32 vcc_lo, v7, v3
	s_and_b32 exec_lo, exec_lo, vcc_lo
	s_cbranch_execz .LBB10_104
; %bb.108:                              ;   in Loop: Header=BB10_106 Depth=2
	v_lshlrev_b16 v6, 8, v6
	s_delay_alu instid0(VALU_DEP_1)
	v_or_b32_e32 v6, 1, v6
	ds_store_b16 v25, v6 offset:3072
	s_branch .LBB10_104
.LBB10_109:                             ;   in Loop: Header=BB10_106 Depth=2
	v_dual_add_nc_u32 v5, s47, v5 :: v_dual_add_nc_u32 v2, s51, v2
	s_mov_b32 s27, 0
	s_delay_alu instid0(VALU_DEP_1)
	v_cmp_le_u32_e32 vcc_lo, s93, v5
	s_or_not1_b32 s8, vcc_lo, exec_lo
	s_branch .LBB10_105
.LBB10_110:                             ;   in Loop: Header=BB10_6 Depth=1
	s_mov_b64 s[14:15], 0x100000000
	v_mov_b64_e32 v[2:3], 0
	s_and_not1_b32 vcc_lo, exec_lo, s85
	s_mov_b32 s18, s80
	s_cbranch_vccz .LBB10_60
	s_branch .LBB10_61
.LBB10_111:                             ;   in Loop: Header=BB10_6 Depth=1
	s_or_b32 exec_lo, exec_lo, s26
	v_and_b32_e32 v2, 0xffff, v6
	s_and_not1_b32 s8, s23, exec_lo
	s_and_b32 s9, s25, exec_lo
	s_delay_alu instid0(SALU_CYCLE_1) | instskip(NEXT) | instid1(VALU_DEP_1)
	s_or_b32 s23, s8, s9
	v_lshrrev_b32_e32 v6, 8, v2
.LBB10_112:                             ;   in Loop: Header=BB10_6 Depth=1
	s_or_b32 exec_lo, exec_lo, s24
	s_mov_b32 s24, 0
	s_mov_b32 s25, -1
.LBB10_113:                             ;   in Loop: Header=BB10_6 Depth=1
	s_or_not1_b32 s29, s23, exec_lo
.LBB10_114:                             ;   in Loop: Header=BB10_6 Depth=1
	s_or_b32 exec_lo, exec_lo, s15
	s_mov_b32 s26, 0
	s_mov_b32 s23, 0
	;; [unrolled: 1-line block ×3, first 2 shown]
                                        ; implicit-def: $vgpr5
                                        ; implicit-def: $vgpr2
	s_and_saveexec_b32 s27, s29
	s_cbranch_execz .LBB10_244
; %bb.115:                              ;   in Loop: Header=BB10_6 Depth=1
	v_dual_mov_b32 v5, 1 :: v_dual_mov_b32 v2, 1
	s_xor_b32 s8, s28, -1
	s_mov_b32 s30, 0
	s_and_saveexec_b32 s15, s8
	s_cbranch_execz .LBB10_124
; %bb.116:                              ;   in Loop: Header=BB10_6 Depth=1
	s_mov_b32 s8, exec_lo
	v_cmpx_ge_u32_e64 s17, v41
	s_xor_b32 s23, exec_lo, s8
	s_cbranch_execz .LBB10_121
; %bb.117:                              ;   in Loop: Header=BB10_6 Depth=1
	ds_load_b32 v2, v25 offset:4096
	v_and_b32_e32 v3, s19, v3
	v_or_b32_e32 v4, s18, v4
	s_wait_dscnt 0x0
	v_cmp_ne_u32_e32 vcc_lo, 0, v2
	s_cbranch_vccnz .LBB10_121
; %bb.118:                              ;   in Loop: Header=BB10_6 Depth=1
	s_and_saveexec_b32 s8, s5
; %bb.119:                              ;   in Loop: Header=BB10_6 Depth=1
	v_mov_b32_e32 v2, s17
	ds_store_b32 v25, v2 offset:4100
; %bb.120:                              ;   in Loop: Header=BB10_6 Depth=1
	s_or_b32 exec_lo, exec_lo, s8
	s_wait_dscnt 0x0
	s_barrier_signal -1
	s_barrier_wait -1
.LBB10_121:                             ;   in Loop: Header=BB10_6 Depth=1
	s_or_saveexec_b32 s23, s23
	v_dual_mov_b32 v2, 8 :: v_dual_mov_b32 v5, v41
	s_mov_b32 s28, 0
	s_xor_b32 exec_lo, exec_lo, s23
; %bb.122:                              ;   in Loop: Header=BB10_6 Depth=1
	v_subrev_nc_u32_e32 v5, s17, v41
	v_mov_b32_e32 v2, 0
	s_mov_b32 s28, exec_lo
; %bb.123:                              ;   in Loop: Header=BB10_6 Depth=1
	s_or_b32 exec_lo, exec_lo, s23
	s_delay_alu instid0(SALU_CYCLE_1)
	s_and_b32 s30, s28, exec_lo
.LBB10_124:                             ;   in Loop: Header=BB10_6 Depth=1
	s_or_b32 exec_lo, exec_lo, s15
	s_mov_b32 s29, -1
                                        ; implicit-def: $sgpr23
                                        ; implicit-def: $sgpr28
	s_and_saveexec_b32 s8, s30
	s_delay_alu instid0(SALU_CYCLE_1)
	s_xor_b32 s15, exec_lo, s8
	s_cbranch_execz .LBB10_241
; %bb.125:                              ;   in Loop: Header=BB10_6 Depth=1
	v_cmp_eq_u32_e32 vcc_lo, 1, v5
	s_cmp_eq_u32 s20, 1
	s_mov_b32 s31, -1
	s_cselect_b32 s8, -1, 0
                                        ; implicit-def: $sgpr28
                                        ; implicit-def: $sgpr23
	s_delay_alu instid0(SALU_CYCLE_1) | instskip(NEXT) | instid1(SALU_CYCLE_1)
	s_and_b32 s30, s8, vcc_lo
	s_and_saveexec_b32 s29, s30
	s_cbranch_execz .LBB10_151
; %bb.126:                              ;   in Loop: Header=BB10_6 Depth=1
	ds_load_b32 v6, v25 offset:4096
	s_wait_dscnt 0x0
	s_barrier_signal -1
	s_barrier_wait -1
	v_readfirstlane_b32 s33, v6
	s_and_saveexec_b32 s8, s6
; %bb.127:                              ;   in Loop: Header=BB10_6 Depth=1
	ds_store_b8 v0, v25 offset:3072
; %bb.128:                              ;   in Loop: Header=BB10_6 Depth=1
	s_or_b32 exec_lo, exec_lo, s8
	s_lshl_b32 s8, 1, s101
	v_or_b32_e32 v4, s18, v4
	v_and_or_b32 v3, v3, s19, s8
	s_mov_b32 s23, -1
	s_mov_b32 s28, 0
	s_cmp_eq_u32 s33, 0
	s_mov_b32 s31, 0
	s_mov_b32 s34, -1
	s_wait_dscnt 0x0
	s_barrier_signal -1
	s_barrier_wait -1
                                        ; implicit-def: $vgpr6
	s_cbranch_scc1 .LBB10_139
; %bb.129:                              ;   in Loop: Header=BB10_6 Depth=1
	s_add_co_i32 s64, s33, s76
	s_mov_b32 s34, 0
	s_mul_u64 s[8:9], s[64:65], s[70:71]
	s_mov_b32 s40, exec_lo
	s_mul_i32 s8, s9, s47
                                        ; implicit-def: $vgpr6
	s_delay_alu instid0(SALU_CYCLE_1) | instskip(NEXT) | instid1(SALU_CYCLE_1)
	s_sub_co_i32 s8, s64, s8
	s_sub_co_i32 s9, s8, s47
	s_cmp_ge_u32 s8, s47
	s_cselect_b32 s8, s9, s8
	s_delay_alu instid0(SALU_CYCLE_1) | instskip(SKIP_2) | instid1(SALU_CYCLE_1)
	s_sub_co_i32 s9, s8, s47
	s_cmp_ge_u32 s8, s47
	s_cselect_b32 s8, s9, s8
	s_sub_co_i32 s41, s64, s8
	s_delay_alu instid0(SALU_CYCLE_1)
	v_cmpx_gt_u32_e64 s41, v0
	s_cbranch_execz .LBB10_138
; %bb.130:                              ;   in Loop: Header=BB10_6 Depth=1
	v_mov_b32_e32 v6, v0
                                        ; implicit-def: $sgpr35
	s_branch .LBB10_133
.LBB10_131:                             ;   in Loop: Header=BB10_133 Depth=2
	s_or_b32 exec_lo, exec_lo, s42
	s_wait_dscnt 0x0
	s_barrier_signal -1
	s_barrier_wait -1
	ds_load_u16 v7, v25 offset:3072
	s_mov_b32 s42, -1
	s_mov_b32 s8, -1
	s_wait_dscnt 0x0
	s_barrier_signal -1
	s_barrier_wait -1
	v_and_b32_e32 v8, 0xff, v7
	s_delay_alu instid0(VALU_DEP_1)
	v_cmp_ne_u32_e32 vcc_lo, 0, v8
	s_cbranch_vccz .LBB10_136
.LBB10_132:                             ;   in Loop: Header=BB10_133 Depth=2
	s_and_b32 s9, exec_lo, s42
	s_delay_alu instid0(SALU_CYCLE_1) | instskip(SKIP_2) | instid1(SALU_CYCLE_1)
	s_or_b32 s31, s9, s31
	s_and_not1_b32 s9, s35, exec_lo
	s_and_b32 s8, s8, exec_lo
	s_or_b32 s35, s9, s8
	s_and_not1_b32 exec_lo, exec_lo, s31
	s_cbranch_execz .LBB10_137
.LBB10_133:                             ;   Parent Loop BB10_6 Depth=1
                                        ; =>  This Inner Loop Header: Depth=2
	s_mov_b32 s42, exec_lo
	s_delay_alu instid0(VALU_DEP_1)
	v_cmpx_gt_u32_e64 s33, v6
	s_cbranch_execz .LBB10_131
; %bb.134:                              ;   in Loop: Header=BB10_133 Depth=2
	ds_load_u8 v7, v6
	s_wait_dscnt 0x0
	v_bitop3_b32 v8, v7, 0xff, v4 bitop3:0x80
	s_delay_alu instid0(VALU_DEP_1)
	v_cmp_eq_u32_e32 vcc_lo, v8, v3
	s_and_b32 exec_lo, exec_lo, vcc_lo
	s_cbranch_execz .LBB10_131
; %bb.135:                              ;   in Loop: Header=BB10_133 Depth=2
	v_lshlrev_b16 v7, 8, v7
	s_delay_alu instid0(VALU_DEP_1)
	v_or_b32_e32 v7, 1, v7
	ds_store_b16 v25, v7 offset:3072
	s_branch .LBB10_131
.LBB10_136:                             ;   in Loop: Header=BB10_133 Depth=2
	v_add_nc_u32_e32 v6, s47, v6
	s_mov_b32 s8, 0
	s_delay_alu instid0(VALU_DEP_1)
	v_cmp_le_u32_e32 vcc_lo, s41, v6
	s_or_not1_b32 s42, vcc_lo, exec_lo
	s_branch .LBB10_132
.LBB10_137:                             ;   in Loop: Header=BB10_6 Depth=1
	s_or_b32 exec_lo, exec_lo, s31
	v_and_b32_e32 v6, 0xffff, v7
	s_and_b32 s31, s35, exec_lo
	s_delay_alu instid0(VALU_DEP_1)
	v_lshrrev_b32_e32 v6, 8, v6
.LBB10_138:                             ;   in Loop: Header=BB10_6 Depth=1
	s_or_b32 exec_lo, exec_lo, s40
.LBB10_139:                             ;   in Loop: Header=BB10_6 Depth=1
	s_delay_alu instid0(SALU_CYCLE_1)
	s_and_b32 vcc_lo, exec_lo, s34
	s_cbranch_vccz .LBB10_150
; %bb.140:                              ;   in Loop: Header=BB10_6 Depth=1
                                        ; implicit-def: $vgpr6
	s_and_saveexec_b32 s23, s13
	s_cbranch_execz .LBB10_149
; %bb.141:                              ;   in Loop: Header=BB10_6 Depth=1
	v_dual_mov_b32 v6, v22 :: v_dual_mov_b32 v7, v0
	s_mov_b32 s28, 0
                                        ; implicit-def: $sgpr33
	s_branch .LBB10_144
.LBB10_142:                             ;   in Loop: Header=BB10_144 Depth=2
	s_or_b32 exec_lo, exec_lo, s34
	s_wait_dscnt 0x0
	s_barrier_signal -1
	s_barrier_wait -1
	ds_load_u16 v8, v25 offset:3072
	s_mov_b32 s8, -1
	s_mov_b32 s34, -1
	s_wait_dscnt 0x0
	s_barrier_signal -1
	s_barrier_wait -1
	v_and_b32_e32 v9, 0xff, v8
	s_delay_alu instid0(VALU_DEP_1)
	v_cmp_eq_u32_e32 vcc_lo, 0, v9
	s_cbranch_vccnz .LBB10_147
.LBB10_143:                             ;   in Loop: Header=BB10_144 Depth=2
	s_and_b32 s8, exec_lo, s8
	s_delay_alu instid0(SALU_CYCLE_1) | instskip(SKIP_2) | instid1(SALU_CYCLE_1)
	s_or_b32 s28, s8, s28
	s_and_not1_b32 s8, s33, exec_lo
	s_and_b32 s9, s34, exec_lo
	s_or_b32 s33, s8, s9
	s_and_not1_b32 exec_lo, exec_lo, s28
	s_cbranch_execz .LBB10_148
.LBB10_144:                             ;   Parent Loop BB10_6 Depth=1
                                        ; =>  This Inner Loop Header: Depth=2
	s_mov_b32 s34, exec_lo
	s_delay_alu instid0(VALU_DEP_1)
	v_cmpx_gt_u32_e64 s36, v7
	s_cbranch_execz .LBB10_142
; %bb.145:                              ;   in Loop: Header=BB10_144 Depth=2
	global_load_u8 v8, v6, s[38:39]
	s_wait_loadcnt 0x0
	v_bitop3_b32 v9, v8, 0xff, v4 bitop3:0x80
	s_delay_alu instid0(VALU_DEP_1)
	v_cmp_eq_u32_e32 vcc_lo, v9, v3
	s_and_b32 exec_lo, exec_lo, vcc_lo
	s_cbranch_execz .LBB10_142
; %bb.146:                              ;   in Loop: Header=BB10_144 Depth=2
	v_lshlrev_b16 v8, 8, v8
	s_delay_alu instid0(VALU_DEP_1)
	v_or_b32_e32 v8, 1, v8
	ds_store_b16 v25, v8 offset:3072
	s_branch .LBB10_142
.LBB10_147:                             ;   in Loop: Header=BB10_144 Depth=2
	v_dual_add_nc_u32 v7, s47, v7 :: v_dual_add_nc_u32 v6, s51, v6
	s_mov_b32 s34, 0
	s_delay_alu instid0(VALU_DEP_1)
	v_cmp_le_u32_e32 vcc_lo, s93, v7
	s_or_not1_b32 s8, vcc_lo, exec_lo
	s_branch .LBB10_143
.LBB10_148:                             ;   in Loop: Header=BB10_6 Depth=1
	s_or_b32 exec_lo, exec_lo, s28
	v_and_b32_e32 v6, 0xffff, v8
	s_and_not1_b32 s8, s31, exec_lo
	s_and_b32 s9, s33, exec_lo
	s_delay_alu instid0(SALU_CYCLE_1) | instskip(NEXT) | instid1(VALU_DEP_1)
	s_or_b32 s31, s8, s9
	v_lshrrev_b32_e32 v6, 8, v6
.LBB10_149:                             ;   in Loop: Header=BB10_6 Depth=1
	s_or_b32 exec_lo, exec_lo, s23
	s_mov_b32 s23, 0
	s_mov_b32 s28, -1
.LBB10_150:                             ;   in Loop: Header=BB10_6 Depth=1
	s_or_not1_b32 s31, s31, exec_lo
.LBB10_151:                             ;   in Loop: Header=BB10_6 Depth=1
	s_or_b32 exec_lo, exec_lo, s29
	s_mov_b32 s33, 0
	s_and_saveexec_b32 s29, s31
	s_cbranch_execz .LBB10_240
; %bb.152:                              ;   in Loop: Header=BB10_6 Depth=1
	v_dual_mov_b32 v7, 1 :: v_dual_mov_b32 v2, 1
	s_xor_b32 s8, s30, -1
	s_mov_b32 s35, 0
	s_and_saveexec_b32 s30, s8
	s_cbranch_execz .LBB10_161
; %bb.153:                              ;   in Loop: Header=BB10_6 Depth=1
	s_mov_b32 s8, exec_lo
	v_cmpx_ge_u32_e64 s20, v5
	s_xor_b32 s31, exec_lo, s8
	s_cbranch_execz .LBB10_158
; %bb.154:                              ;   in Loop: Header=BB10_6 Depth=1
	ds_load_b32 v2, v25 offset:4096
	s_lshl_b32 s8, 1, s101
	v_or_b32_e32 v4, s18, v4
	v_and_or_b32 v3, v3, s19, s8
	s_wait_dscnt 0x0
	v_cmp_ne_u32_e32 vcc_lo, 0, v2
	s_cbranch_vccnz .LBB10_158
; %bb.155:                              ;   in Loop: Header=BB10_6 Depth=1
	s_and_saveexec_b32 s8, s5
; %bb.156:                              ;   in Loop: Header=BB10_6 Depth=1
	v_mov_b32_e32 v2, s20
	ds_store_b32 v25, v2 offset:4100
; %bb.157:                              ;   in Loop: Header=BB10_6 Depth=1
	s_or_b32 exec_lo, exec_lo, s8
	s_wait_dscnt 0x0
	s_barrier_signal -1
	s_barrier_wait -1
.LBB10_158:                             ;   in Loop: Header=BB10_6 Depth=1
	s_or_saveexec_b32 s31, s31
	v_mov_b32_e32 v2, 8
	s_xor_b32 exec_lo, exec_lo, s31
; %bb.159:                              ;   in Loop: Header=BB10_6 Depth=1
	v_subrev_nc_u32_e32 v5, s20, v5
	v_mov_b32_e32 v2, 0
	s_mov_b32 s33, exec_lo
; %bb.160:                              ;   in Loop: Header=BB10_6 Depth=1
	s_or_b32 exec_lo, exec_lo, s31
	s_delay_alu instid0(VALU_DEP_2)
	v_mov_b32_e32 v7, v5
	s_and_b32 s35, s33, exec_lo
.LBB10_161:                             ;   in Loop: Header=BB10_6 Depth=1
	s_or_b32 exec_lo, exec_lo, s30
	s_mov_b32 s34, -1
                                        ; implicit-def: $sgpr31
                                        ; implicit-def: $sgpr33
	s_and_saveexec_b32 s30, s35
	s_cbranch_execz .LBB10_239
; %bb.162:                              ;   in Loop: Header=BB10_6 Depth=1
	v_cmp_eq_u32_e32 vcc_lo, 1, v7
	s_cmp_eq_u32 s21, 1
	s_mov_b32 s35, -1
	s_cselect_b32 s8, -1, 0
                                        ; implicit-def: $sgpr33
                                        ; implicit-def: $sgpr31
	s_delay_alu instid0(SALU_CYCLE_1) | instskip(NEXT) | instid1(SALU_CYCLE_1)
	s_and_b32 s46, s8, vcc_lo
	s_and_saveexec_b32 s34, s46
	s_cbranch_execz .LBB10_188
; %bb.163:                              ;   in Loop: Header=BB10_6 Depth=1
	ds_load_b32 v5, v25 offset:4096
	s_wait_dscnt 0x0
	s_barrier_signal -1
	s_barrier_wait -1
	v_readfirstlane_b32 s41, v5
	s_and_saveexec_b32 s8, s6
; %bb.164:                              ;   in Loop: Header=BB10_6 Depth=1
	ds_store_b8 v0, v25 offset:3072
; %bb.165:                              ;   in Loop: Header=BB10_6 Depth=1
	s_or_b32 exec_lo, exec_lo, s8
	s_lshl_b32 s8, 2, s101
	v_or_b32_e32 v4, s18, v4
	v_and_or_b32 v3, v3, s19, s8
	s_mov_b32 s31, -1
	s_mov_b32 s33, 0
	s_cmp_eq_u32 s41, 0
	s_mov_b32 s40, 0
	s_mov_b32 s42, -1
	s_wait_dscnt 0x0
	s_barrier_signal -1
	s_barrier_wait -1
                                        ; implicit-def: $vgpr6
	s_cbranch_scc1 .LBB10_176
; %bb.166:                              ;   in Loop: Header=BB10_6 Depth=1
	s_add_co_i32 s64, s41, s76
	s_mov_b32 s42, 0
	s_mul_u64 s[8:9], s[64:65], s[70:71]
	s_mov_b32 s58, exec_lo
	s_mul_i32 s8, s9, s47
                                        ; implicit-def: $vgpr6
	s_delay_alu instid0(SALU_CYCLE_1) | instskip(NEXT) | instid1(SALU_CYCLE_1)
	s_sub_co_i32 s8, s64, s8
	s_sub_co_i32 s9, s8, s47
	s_cmp_ge_u32 s8, s47
	s_cselect_b32 s8, s9, s8
	s_delay_alu instid0(SALU_CYCLE_1) | instskip(SKIP_2) | instid1(SALU_CYCLE_1)
	s_sub_co_i32 s9, s8, s47
	s_cmp_ge_u32 s8, s47
	s_cselect_b32 s8, s9, s8
	s_sub_co_i32 s59, s64, s8
	s_delay_alu instid0(SALU_CYCLE_1)
	v_cmpx_gt_u32_e64 s59, v0
	s_cbranch_execz .LBB10_175
; %bb.167:                              ;   in Loop: Header=BB10_6 Depth=1
	v_mov_b32_e32 v5, v0
	s_mov_b32 s35, 0
                                        ; implicit-def: $sgpr40
	s_branch .LBB10_170
.LBB10_168:                             ;   in Loop: Header=BB10_170 Depth=2
	s_or_b32 exec_lo, exec_lo, s60
	s_wait_dscnt 0x0
	s_barrier_signal -1
	s_barrier_wait -1
	ds_load_u16 v6, v25 offset:3072
	s_mov_b32 s60, -1
	s_mov_b32 s8, -1
	s_wait_dscnt 0x0
	s_barrier_signal -1
	s_barrier_wait -1
	v_and_b32_e32 v8, 0xff, v6
	s_delay_alu instid0(VALU_DEP_1)
	v_cmp_ne_u32_e32 vcc_lo, 0, v8
	s_cbranch_vccz .LBB10_173
.LBB10_169:                             ;   in Loop: Header=BB10_170 Depth=2
	s_and_b32 s9, exec_lo, s60
	s_delay_alu instid0(SALU_CYCLE_1) | instskip(SKIP_2) | instid1(SALU_CYCLE_1)
	s_or_b32 s35, s9, s35
	s_and_not1_b32 s9, s40, exec_lo
	s_and_b32 s8, s8, exec_lo
	s_or_b32 s40, s9, s8
	s_and_not1_b32 exec_lo, exec_lo, s35
	s_cbranch_execz .LBB10_174
.LBB10_170:                             ;   Parent Loop BB10_6 Depth=1
                                        ; =>  This Inner Loop Header: Depth=2
	s_mov_b32 s60, exec_lo
	s_delay_alu instid0(VALU_DEP_1)
	v_cmpx_gt_u32_e64 s41, v5
	s_cbranch_execz .LBB10_168
; %bb.171:                              ;   in Loop: Header=BB10_170 Depth=2
	ds_load_u8 v6, v5
	s_wait_dscnt 0x0
	v_bitop3_b32 v8, v6, 0xff, v4 bitop3:0x80
	s_delay_alu instid0(VALU_DEP_1)
	v_cmp_eq_u32_e32 vcc_lo, v8, v3
	s_and_b32 exec_lo, exec_lo, vcc_lo
	s_cbranch_execz .LBB10_168
; %bb.172:                              ;   in Loop: Header=BB10_170 Depth=2
	v_lshlrev_b16 v6, 8, v6
	s_delay_alu instid0(VALU_DEP_1)
	v_or_b32_e32 v6, 1, v6
	ds_store_b16 v25, v6 offset:3072
	s_branch .LBB10_168
.LBB10_173:                             ;   in Loop: Header=BB10_170 Depth=2
	v_add_nc_u32_e32 v5, s47, v5
	s_mov_b32 s8, 0
	s_delay_alu instid0(VALU_DEP_1)
	v_cmp_le_u32_e32 vcc_lo, s59, v5
	s_or_not1_b32 s60, vcc_lo, exec_lo
	s_branch .LBB10_169
.LBB10_174:                             ;   in Loop: Header=BB10_6 Depth=1
	s_or_b32 exec_lo, exec_lo, s35
	v_and_b32_e32 v5, 0xffff, v6
	s_and_b32 s40, s40, exec_lo
	s_delay_alu instid0(VALU_DEP_1)
	v_lshrrev_b32_e32 v6, 8, v5
.LBB10_175:                             ;   in Loop: Header=BB10_6 Depth=1
	s_or_b32 exec_lo, exec_lo, s58
.LBB10_176:                             ;   in Loop: Header=BB10_6 Depth=1
	s_delay_alu instid0(SALU_CYCLE_1)
	s_and_b32 vcc_lo, exec_lo, s42
	s_cbranch_vccz .LBB10_187
; %bb.177:                              ;   in Loop: Header=BB10_6 Depth=1
                                        ; implicit-def: $vgpr6
	s_and_saveexec_b32 s31, s13
	s_cbranch_execz .LBB10_186
; %bb.178:                              ;   in Loop: Header=BB10_6 Depth=1
	v_dual_mov_b32 v5, v22 :: v_dual_mov_b32 v6, v0
	s_mov_b32 s33, 0
                                        ; implicit-def: $sgpr35
	s_branch .LBB10_181
.LBB10_179:                             ;   in Loop: Header=BB10_181 Depth=2
	s_or_b32 exec_lo, exec_lo, s41
	s_wait_dscnt 0x0
	s_barrier_signal -1
	s_barrier_wait -1
	ds_load_u16 v8, v25 offset:3072
	s_mov_b32 s8, -1
	s_mov_b32 s41, -1
	s_wait_dscnt 0x0
	s_barrier_signal -1
	s_barrier_wait -1
	v_and_b32_e32 v9, 0xff, v8
	s_delay_alu instid0(VALU_DEP_1)
	v_cmp_eq_u32_e32 vcc_lo, 0, v9
	s_cbranch_vccnz .LBB10_184
.LBB10_180:                             ;   in Loop: Header=BB10_181 Depth=2
	s_and_b32 s8, exec_lo, s8
	s_delay_alu instid0(SALU_CYCLE_1) | instskip(SKIP_2) | instid1(SALU_CYCLE_1)
	s_or_b32 s33, s8, s33
	s_and_not1_b32 s8, s35, exec_lo
	s_and_b32 s9, s41, exec_lo
	s_or_b32 s35, s8, s9
	s_and_not1_b32 exec_lo, exec_lo, s33
	s_cbranch_execz .LBB10_185
.LBB10_181:                             ;   Parent Loop BB10_6 Depth=1
                                        ; =>  This Inner Loop Header: Depth=2
	s_mov_b32 s41, exec_lo
	s_delay_alu instid0(VALU_DEP_1)
	v_cmpx_gt_u32_e64 s36, v6
	s_cbranch_execz .LBB10_179
; %bb.182:                              ;   in Loop: Header=BB10_181 Depth=2
	global_load_u8 v8, v5, s[38:39]
	s_wait_loadcnt 0x0
	v_bitop3_b32 v9, v8, 0xff, v4 bitop3:0x80
	s_delay_alu instid0(VALU_DEP_1)
	v_cmp_eq_u32_e32 vcc_lo, v9, v3
	s_and_b32 exec_lo, exec_lo, vcc_lo
	s_cbranch_execz .LBB10_179
; %bb.183:                              ;   in Loop: Header=BB10_181 Depth=2
	v_lshlrev_b16 v8, 8, v8
	s_delay_alu instid0(VALU_DEP_1)
	v_or_b32_e32 v8, 1, v8
	ds_store_b16 v25, v8 offset:3072
	s_branch .LBB10_179
.LBB10_184:                             ;   in Loop: Header=BB10_181 Depth=2
	v_dual_add_nc_u32 v6, s47, v6 :: v_dual_add_nc_u32 v5, s51, v5
	s_mov_b32 s41, 0
	s_delay_alu instid0(VALU_DEP_1)
	v_cmp_le_u32_e32 vcc_lo, s93, v6
	s_or_not1_b32 s8, vcc_lo, exec_lo
	s_branch .LBB10_180
.LBB10_185:                             ;   in Loop: Header=BB10_6 Depth=1
	s_or_b32 exec_lo, exec_lo, s33
	v_and_b32_e32 v5, 0xffff, v8
	s_and_not1_b32 s8, s40, exec_lo
	s_and_b32 s9, s35, exec_lo
	s_delay_alu instid0(SALU_CYCLE_1) | instskip(NEXT) | instid1(VALU_DEP_1)
	s_or_b32 s40, s8, s9
	v_lshrrev_b32_e32 v6, 8, v5
.LBB10_186:                             ;   in Loop: Header=BB10_6 Depth=1
	s_or_b32 exec_lo, exec_lo, s31
	s_mov_b32 s31, 0
	s_mov_b32 s33, -1
.LBB10_187:                             ;   in Loop: Header=BB10_6 Depth=1
	s_or_not1_b32 s35, s40, exec_lo
.LBB10_188:                             ;   in Loop: Header=BB10_6 Depth=1
	s_or_b32 exec_lo, exec_lo, s34
	s_mov_b32 s40, 0
	s_and_saveexec_b32 s34, s35
	s_cbranch_execz .LBB10_238
; %bb.189:                              ;   in Loop: Header=BB10_6 Depth=1
	v_dual_mov_b32 v5, 1 :: v_dual_mov_b32 v2, 1
	s_xor_b32 s8, s46, -1
	s_mov_b32 s41, 0
	s_and_saveexec_b32 s40, s8
	s_cbranch_execz .LBB10_198
; %bb.190:                              ;   in Loop: Header=BB10_6 Depth=1
	s_mov_b32 s8, exec_lo
	v_cmpx_ge_u32_e64 s21, v7
	s_xor_b32 s35, exec_lo, s8
	s_cbranch_execz .LBB10_195
; %bb.191:                              ;   in Loop: Header=BB10_6 Depth=1
	ds_load_b32 v2, v25 offset:4096
	s_lshl_b32 s8, 2, s101
	v_or_b32_e32 v4, s18, v4
	v_and_or_b32 v3, v3, s19, s8
	s_wait_dscnt 0x0
	v_cmp_ne_u32_e32 vcc_lo, 0, v2
	s_cbranch_vccnz .LBB10_195
; %bb.192:                              ;   in Loop: Header=BB10_6 Depth=1
	s_and_saveexec_b32 s8, s5
; %bb.193:                              ;   in Loop: Header=BB10_6 Depth=1
	v_mov_b32_e32 v2, s21
	ds_store_b32 v25, v2 offset:4100
; %bb.194:                              ;   in Loop: Header=BB10_6 Depth=1
	s_or_b32 exec_lo, exec_lo, s8
	s_wait_dscnt 0x0
	s_barrier_signal -1
	s_barrier_wait -1
.LBB10_195:                             ;   in Loop: Header=BB10_6 Depth=1
	s_or_saveexec_b32 s35, s35
	v_mov_b32_e32 v2, 8
	s_xor_b32 exec_lo, exec_lo, s35
; %bb.196:                              ;   in Loop: Header=BB10_6 Depth=1
	v_subrev_nc_u32_e32 v7, s21, v7
	v_mov_b32_e32 v2, 0
	s_mov_b32 s41, exec_lo
; %bb.197:                              ;   in Loop: Header=BB10_6 Depth=1
	s_or_b32 exec_lo, exec_lo, s35
	s_delay_alu instid0(VALU_DEP_2)
	v_mov_b32_e32 v5, v7
	s_and_b32 s41, s41, exec_lo
.LBB10_198:                             ;   in Loop: Header=BB10_6 Depth=1
	s_or_b32 exec_lo, exec_lo, s40
	s_mov_b32 s35, -1
                                        ; implicit-def: $sgpr60
                                        ; implicit-def: $sgpr58
	s_and_saveexec_b32 s46, s41
	s_cbranch_execz .LBB10_237
; %bb.199:                              ;   in Loop: Header=BB10_6 Depth=1
	v_cmp_eq_u32_e32 vcc_lo, 1, v5
	s_cmp_eq_u32 s22, 1
                                        ; implicit-def: $sgpr60
                                        ; implicit-def: $sgpr58
	s_cselect_b32 s8, -1, 0
	s_delay_alu instid0(SALU_CYCLE_1) | instskip(NEXT) | instid1(SALU_CYCLE_1)
	s_and_b32 s59, s8, vcc_lo
	s_and_saveexec_b32 s61, s59
	s_cbranch_execz .LBB10_225
; %bb.200:                              ;   in Loop: Header=BB10_6 Depth=1
	ds_load_b32 v6, v25 offset:4096
	s_wait_dscnt 0x0
	s_barrier_signal -1
	s_barrier_wait -1
	v_readfirstlane_b32 s41, v6
	s_and_saveexec_b32 s8, s6
; %bb.201:                              ;   in Loop: Header=BB10_6 Depth=1
	ds_store_b8 v0, v25 offset:3072
; %bb.202:                              ;   in Loop: Header=BB10_6 Depth=1
	s_or_b32 exec_lo, exec_lo, s8
	v_or_b32_e32 v3, s18, v3
	v_or_b32_e32 v4, s18, v4
	s_mov_b32 s58, -1
	s_mov_b32 s60, 0
	s_cmp_eq_u32 s41, 0
	s_mov_b32 s40, 0
	s_mov_b32 s42, -1
	s_wait_dscnt 0x0
	s_barrier_signal -1
	s_barrier_wait -1
                                        ; implicit-def: $vgpr6
	s_cbranch_scc1 .LBB10_213
; %bb.203:                              ;   in Loop: Header=BB10_6 Depth=1
	s_add_co_i32 s64, s41, s76
	s_mov_b32 s42, 0
	s_mul_u64 s[8:9], s[64:65], s[70:71]
                                        ; implicit-def: $vgpr6
	s_delay_alu instid0(SALU_CYCLE_1) | instskip(NEXT) | instid1(SALU_CYCLE_1)
	s_mul_i32 s8, s9, s47
	s_sub_co_i32 s8, s64, s8
	s_delay_alu instid0(SALU_CYCLE_1) | instskip(SKIP_2) | instid1(SALU_CYCLE_1)
	s_sub_co_i32 s9, s8, s47
	s_cmp_ge_u32 s8, s47
	s_cselect_b32 s8, s9, s8
	s_sub_co_i32 s9, s8, s47
	s_cmp_ge_u32 s8, s47
	s_cselect_b32 s8, s9, s8
	s_delay_alu instid0(SALU_CYCLE_1)
	s_sub_co_i32 s35, s64, s8
	s_mov_b32 s64, exec_lo
	v_cmpx_gt_u32_e64 s35, v0
	s_cbranch_execz .LBB10_212
; %bb.204:                              ;   in Loop: Header=BB10_6 Depth=1
	v_mov_b32_e32 v6, v0
                                        ; implicit-def: $sgpr63
	s_branch .LBB10_207
.LBB10_205:                             ;   in Loop: Header=BB10_207 Depth=2
	s_or_b32 exec_lo, exec_lo, s8
	s_wait_dscnt 0x0
	s_barrier_signal -1
	s_barrier_wait -1
	ds_load_u16 v7, v25 offset:3072
	s_mov_b32 s9, -1
	s_mov_b32 s8, -1
	s_wait_dscnt 0x0
	s_barrier_signal -1
	s_barrier_wait -1
	v_and_b32_e32 v8, 0xff, v7
	s_delay_alu instid0(VALU_DEP_1)
	v_cmp_ne_u32_e32 vcc_lo, 0, v8
	s_cbranch_vccz .LBB10_210
.LBB10_206:                             ;   in Loop: Header=BB10_207 Depth=2
	s_and_b32 s9, exec_lo, s9
	s_delay_alu instid0(SALU_CYCLE_1) | instskip(SKIP_2) | instid1(SALU_CYCLE_1)
	s_or_b32 s40, s9, s40
	s_and_not1_b32 s9, s63, exec_lo
	s_and_b32 s8, s8, exec_lo
	s_or_b32 s63, s9, s8
	s_and_not1_b32 exec_lo, exec_lo, s40
	s_cbranch_execz .LBB10_211
.LBB10_207:                             ;   Parent Loop BB10_6 Depth=1
                                        ; =>  This Inner Loop Header: Depth=2
	s_mov_b32 s8, exec_lo
	s_delay_alu instid0(VALU_DEP_1)
	v_cmpx_gt_u32_e64 s41, v6
	s_cbranch_execz .LBB10_205
; %bb.208:                              ;   in Loop: Header=BB10_207 Depth=2
	ds_load_u8 v7, v6
	s_wait_dscnt 0x0
	v_bitop3_b32 v8, v7, 0xff, v4 bitop3:0x80
	s_delay_alu instid0(VALU_DEP_1)
	v_cmp_eq_u32_e32 vcc_lo, v8, v3
	s_and_b32 exec_lo, exec_lo, vcc_lo
	s_cbranch_execz .LBB10_205
; %bb.209:                              ;   in Loop: Header=BB10_207 Depth=2
	v_lshlrev_b16 v7, 8, v7
	s_delay_alu instid0(VALU_DEP_1)
	v_or_b32_e32 v7, 1, v7
	ds_store_b16 v25, v7 offset:3072
	s_branch .LBB10_205
.LBB10_210:                             ;   in Loop: Header=BB10_207 Depth=2
	v_add_nc_u32_e32 v6, s47, v6
	s_mov_b32 s8, 0
	s_delay_alu instid0(VALU_DEP_1)
	v_cmp_le_u32_e32 vcc_lo, s35, v6
	s_or_not1_b32 s9, vcc_lo, exec_lo
	s_branch .LBB10_206
.LBB10_211:                             ;   in Loop: Header=BB10_6 Depth=1
	s_or_b32 exec_lo, exec_lo, s40
	v_and_b32_e32 v6, 0xffff, v7
	s_and_b32 s40, s63, exec_lo
	s_delay_alu instid0(VALU_DEP_1)
	v_lshrrev_b32_e32 v6, 8, v6
.LBB10_212:                             ;   in Loop: Header=BB10_6 Depth=1
	s_or_b32 exec_lo, exec_lo, s64
.LBB10_213:                             ;   in Loop: Header=BB10_6 Depth=1
	s_delay_alu instid0(SALU_CYCLE_1)
	s_and_b32 vcc_lo, exec_lo, s42
	s_cbranch_vccz .LBB10_224
; %bb.214:                              ;   in Loop: Header=BB10_6 Depth=1
                                        ; implicit-def: $vgpr6
	s_and_saveexec_b32 s41, s13
	s_cbranch_execz .LBB10_223
; %bb.215:                              ;   in Loop: Header=BB10_6 Depth=1
	v_dual_mov_b32 v6, v22 :: v_dual_mov_b32 v7, v0
	s_mov_b32 s35, 0
                                        ; implicit-def: $sgpr42
	s_branch .LBB10_218
.LBB10_216:                             ;   in Loop: Header=BB10_218 Depth=2
	s_or_b32 exec_lo, exec_lo, s8
	s_wait_dscnt 0x0
	s_barrier_signal -1
	s_barrier_wait -1
	ds_load_u16 v8, v25 offset:3072
	s_mov_b32 s8, -1
	s_mov_b32 s58, -1
	s_wait_dscnt 0x0
	s_barrier_signal -1
	s_barrier_wait -1
	v_and_b32_e32 v9, 0xff, v8
	s_delay_alu instid0(VALU_DEP_1)
	v_cmp_eq_u32_e32 vcc_lo, 0, v9
	s_cbranch_vccnz .LBB10_221
.LBB10_217:                             ;   in Loop: Header=BB10_218 Depth=2
	s_and_b32 s8, exec_lo, s8
	s_delay_alu instid0(SALU_CYCLE_1) | instskip(SKIP_2) | instid1(SALU_CYCLE_1)
	s_or_b32 s35, s8, s35
	s_and_not1_b32 s8, s42, exec_lo
	s_and_b32 s9, s58, exec_lo
	s_or_b32 s42, s8, s9
	s_and_not1_b32 exec_lo, exec_lo, s35
	s_cbranch_execz .LBB10_222
.LBB10_218:                             ;   Parent Loop BB10_6 Depth=1
                                        ; =>  This Inner Loop Header: Depth=2
	s_mov_b32 s8, exec_lo
	s_delay_alu instid0(VALU_DEP_1)
	v_cmpx_gt_u32_e64 s36, v7
	s_cbranch_execz .LBB10_216
; %bb.219:                              ;   in Loop: Header=BB10_218 Depth=2
	global_load_u8 v8, v6, s[38:39]
	s_wait_loadcnt 0x0
	v_bitop3_b32 v9, v8, 0xff, v4 bitop3:0x80
	s_delay_alu instid0(VALU_DEP_1)
	v_cmp_eq_u32_e32 vcc_lo, v9, v3
	s_and_b32 exec_lo, exec_lo, vcc_lo
	s_cbranch_execz .LBB10_216
; %bb.220:                              ;   in Loop: Header=BB10_218 Depth=2
	v_lshlrev_b16 v8, 8, v8
	s_delay_alu instid0(VALU_DEP_1)
	v_or_b32_e32 v8, 1, v8
	ds_store_b16 v25, v8 offset:3072
	s_branch .LBB10_216
.LBB10_221:                             ;   in Loop: Header=BB10_218 Depth=2
	v_dual_add_nc_u32 v7, s47, v7 :: v_dual_add_nc_u32 v6, s51, v6
	s_mov_b32 s58, 0
	s_delay_alu instid0(VALU_DEP_1)
	v_cmp_le_u32_e32 vcc_lo, s93, v7
	s_or_not1_b32 s8, vcc_lo, exec_lo
	s_branch .LBB10_217
.LBB10_222:                             ;   in Loop: Header=BB10_6 Depth=1
	s_or_b32 exec_lo, exec_lo, s35
	v_and_b32_e32 v6, 0xffff, v8
	s_and_not1_b32 s8, s40, exec_lo
	s_and_b32 s9, s42, exec_lo
	s_delay_alu instid0(SALU_CYCLE_1) | instskip(NEXT) | instid1(VALU_DEP_1)
	s_or_b32 s40, s8, s9
	v_lshrrev_b32_e32 v6, 8, v6
.LBB10_223:                             ;   in Loop: Header=BB10_6 Depth=1
	s_or_b32 exec_lo, exec_lo, s41
	s_mov_b32 s58, 0
	s_mov_b32 s60, -1
.LBB10_224:                             ;   in Loop: Header=BB10_6 Depth=1
	s_or_not1_b32 s35, s40, exec_lo
.LBB10_225:                             ;   in Loop: Header=BB10_6 Depth=1
	s_or_b32 exec_lo, exec_lo, s61
	s_mov_b32 s41, 0
	s_and_saveexec_b32 s40, s35
	s_cbranch_execz .LBB10_236
; %bb.226:                              ;   in Loop: Header=BB10_6 Depth=1
	v_dual_mov_b32 v2, 1 :: v_dual_mov_b32 v7, 1
	s_xor_b32 s8, s59, -1
	s_delay_alu instid0(SALU_CYCLE_1)
	s_and_saveexec_b32 s35, s8
	s_cbranch_execz .LBB10_235
; %bb.227:                              ;   in Loop: Header=BB10_6 Depth=1
	s_mov_b32 s8, exec_lo
	v_cmpx_ge_u32_e64 s22, v5
	s_xor_b32 s41, exec_lo, s8
	s_cbranch_execz .LBB10_232
; %bb.228:                              ;   in Loop: Header=BB10_6 Depth=1
	ds_load_b32 v2, v25 offset:4096
	v_or_b32_e32 v3, s18, v3
	v_or_b32_e32 v4, s18, v4
	s_wait_dscnt 0x0
	v_cmp_ne_u32_e32 vcc_lo, 0, v2
	s_cbranch_vccnz .LBB10_232
; %bb.229:                              ;   in Loop: Header=BB10_6 Depth=1
	s_and_saveexec_b32 s8, s5
; %bb.230:                              ;   in Loop: Header=BB10_6 Depth=1
	v_mov_b32_e32 v2, s22
	ds_store_b32 v25, v2 offset:4100
; %bb.231:                              ;   in Loop: Header=BB10_6 Depth=1
	s_or_b32 exec_lo, exec_lo, s8
	s_wait_dscnt 0x0
	s_barrier_signal -1
	s_barrier_wait -1
.LBB10_232:                             ;   in Loop: Header=BB10_6 Depth=1
	s_and_not1_saveexec_b32 s8, s41
; %bb.233:                              ;   in Loop: Header=BB10_6 Depth=1
	v_subrev_nc_u32_e32 v5, s22, v5
; %bb.234:                              ;   in Loop: Header=BB10_6 Depth=1
	s_or_b32 exec_lo, exec_lo, s8
	s_delay_alu instid0(VALU_DEP_1)
	v_dual_mov_b32 v2, 8 :: v_dual_mov_b32 v7, v5
.LBB10_235:                             ;   in Loop: Header=BB10_6 Depth=1
	s_or_b32 exec_lo, exec_lo, s35
	s_delay_alu instid0(VALU_DEP_1)
	v_mov_b32_e32 v5, v7
	s_mov_b32 s41, exec_lo
.LBB10_236:                             ;   in Loop: Header=BB10_6 Depth=1
	s_or_b32 exec_lo, exec_lo, s40
	s_delay_alu instid0(SALU_CYCLE_1)
	s_or_not1_b32 s35, s41, exec_lo
.LBB10_237:                             ;   in Loop: Header=BB10_6 Depth=1
	s_or_b32 exec_lo, exec_lo, s46
	v_mov_b32_e32 v7, v5
	s_and_not1_b32 s8, s33, exec_lo
	s_and_b32 s9, s60, exec_lo
	s_and_not1_b32 s31, s31, exec_lo
	s_and_b32 s40, s58, exec_lo
	s_or_b32 s33, s8, s9
	s_or_b32 s31, s31, s40
	s_and_b32 s40, s35, exec_lo
.LBB10_238:                             ;   in Loop: Header=BB10_6 Depth=1
	s_or_b32 exec_lo, exec_lo, s34
	s_delay_alu instid0(SALU_CYCLE_1)
	s_or_not1_b32 s34, s40, exec_lo
.LBB10_239:                             ;   in Loop: Header=BB10_6 Depth=1
	s_or_b32 exec_lo, exec_lo, s30
	v_mov_b32_e32 v5, v7
	s_and_not1_b32 s8, s28, exec_lo
	s_and_b32 s9, s33, exec_lo
	s_and_not1_b32 s23, s23, exec_lo
	s_and_b32 s30, s31, exec_lo
	s_or_b32 s28, s8, s9
	s_or_b32 s23, s23, s30
	s_and_b32 s33, s34, exec_lo
.LBB10_240:                             ;   in Loop: Header=BB10_6 Depth=1
	s_or_b32 exec_lo, exec_lo, s29
	s_delay_alu instid0(SALU_CYCLE_1)
	s_or_not1_b32 s29, s33, exec_lo
.LBB10_241:                             ;   in Loop: Header=BB10_6 Depth=1
	s_or_b32 exec_lo, exec_lo, s15
	s_mov_b32 s30, 0
	s_mov_b32 s31, 0
	s_and_saveexec_b32 s8, s29
	s_delay_alu instid0(SALU_CYCLE_1)
	s_xor_b32 s8, exec_lo, s8
; %bb.242:                              ;   in Loop: Header=BB10_6 Depth=1
	v_cmp_ne_u32_e32 vcc_lo, 8, v2
	v_cmp_eq_u32_e64 s15, 8, v2
	s_and_b32 s31, vcc_lo, exec_lo
	s_and_b32 s30, s15, exec_lo
; %bb.243:                              ;   in Loop: Header=BB10_6 Depth=1
	s_or_b32 exec_lo, exec_lo, s8
	s_delay_alu instid0(SALU_CYCLE_1)
	s_and_not1_b32 s8, s25, exec_lo
	s_and_b32 s9, s28, exec_lo
	s_and_not1_b32 s15, s24, exec_lo
	s_and_b32 s23, s23, exec_lo
	s_or_b32 s25, s8, s9
	s_or_b32 s24, s15, s23
	s_and_b32 s15, s31, exec_lo
	s_and_b32 s23, s30, exec_lo
.LBB10_244:                             ;   in Loop: Header=BB10_6 Depth=1
	s_or_b32 exec_lo, exec_lo, s27
.LBB10_245:                             ;   in Loop: Header=BB10_6 Depth=1
	s_delay_alu instid0(SALU_CYCLE_1)
	s_and_b32 vcc_lo, exec_lo, s26
	s_cbranch_vccz .LBB10_258
; %bb.246:                              ;   in Loop: Header=BB10_6 Depth=1
	s_cmp_eq_u32 s22, 1
	s_mov_b32 s25, -1
	s_cselect_b32 s8, -1, 0
                                        ; implicit-def: $sgpr26
                                        ; implicit-def: $sgpr16
	s_delay_alu instid0(SALU_CYCLE_1) | instskip(NEXT) | instid1(SALU_CYCLE_1)
	s_and_b32 s14, s8, s14
	s_and_saveexec_b32 s24, s14
	s_cbranch_execz .LBB10_273
; %bb.247:                              ;   in Loop: Header=BB10_6 Depth=1
	ds_load_b32 v2, v25 offset:4096
	s_wait_dscnt 0x0
	s_barrier_signal -1
	s_barrier_wait -1
	v_readfirstlane_b32 s27, v2
	s_and_saveexec_b32 s8, s6
; %bb.248:                              ;   in Loop: Header=BB10_6 Depth=1
	ds_store_b8 v0, v25 offset:3072
; %bb.249:                              ;   in Loop: Header=BB10_6 Depth=1
	s_or_b32 exec_lo, exec_lo, s8
	v_or_b32_e32 v32, s18, v32
	v_or_b32_e32 v39, s18, v39
	s_mov_b32 s16, -1
	s_mov_b32 s26, 0
	s_cmp_eq_u32 s27, 0
	s_mov_b32 s25, 0
	s_mov_b32 s28, -1
	s_wait_dscnt 0x0
	s_barrier_signal -1
	s_barrier_wait -1
                                        ; implicit-def: $vgpr40
	s_cbranch_scc1 .LBB10_261
; %bb.250:                              ;   in Loop: Header=BB10_6 Depth=1
	s_add_co_i32 s64, s27, s76
	s_mov_b32 s28, 0
	s_mul_u64 s[8:9], s[64:65], s[70:71]
	s_mov_b32 s29, exec_lo
	s_mul_i32 s8, s9, s47
                                        ; implicit-def: $vgpr40
	s_delay_alu instid0(SALU_CYCLE_1) | instskip(NEXT) | instid1(SALU_CYCLE_1)
	s_sub_co_i32 s8, s64, s8
	s_sub_co_i32 s9, s8, s47
	s_cmp_ge_u32 s8, s47
	s_cselect_b32 s8, s9, s8
	s_delay_alu instid0(SALU_CYCLE_1) | instskip(SKIP_2) | instid1(SALU_CYCLE_1)
	s_sub_co_i32 s9, s8, s47
	s_cmp_ge_u32 s8, s47
	s_cselect_b32 s8, s9, s8
	s_sub_co_i32 s30, s64, s8
	s_delay_alu instid0(SALU_CYCLE_1)
	v_cmpx_gt_u32_e64 s30, v0
	s_cbranch_execz .LBB10_260
; %bb.251:                              ;   in Loop: Header=BB10_6 Depth=1
	v_mov_b32_e32 v2, v0
                                        ; implicit-def: $sgpr31
	s_branch .LBB10_254
.LBB10_252:                             ;   in Loop: Header=BB10_254 Depth=2
	s_or_b32 exec_lo, exec_lo, s33
	s_wait_dscnt 0x0
	s_barrier_signal -1
	s_barrier_wait -1
	ds_load_u16 v3, v25 offset:3072
	s_mov_b32 s9, -1
	s_mov_b32 s8, -1
	s_wait_dscnt 0x0
	s_barrier_signal -1
	s_barrier_wait -1
	v_and_b32_e32 v4, 0xff, v3
	s_delay_alu instid0(VALU_DEP_1)
	v_cmp_ne_u32_e32 vcc_lo, 0, v4
	s_cbranch_vccz .LBB10_257
.LBB10_253:                             ;   in Loop: Header=BB10_254 Depth=2
	s_and_b32 s9, exec_lo, s9
	s_delay_alu instid0(SALU_CYCLE_1) | instskip(SKIP_2) | instid1(SALU_CYCLE_1)
	s_or_b32 s25, s9, s25
	s_and_not1_b32 s9, s31, exec_lo
	s_and_b32 s8, s8, exec_lo
	s_or_b32 s31, s9, s8
	s_and_not1_b32 exec_lo, exec_lo, s25
	s_cbranch_execz .LBB10_259
.LBB10_254:                             ;   Parent Loop BB10_6 Depth=1
                                        ; =>  This Inner Loop Header: Depth=2
	s_mov_b32 s33, exec_lo
	s_delay_alu instid0(VALU_DEP_1)
	v_cmpx_gt_u32_e64 s27, v2
	s_cbranch_execz .LBB10_252
; %bb.255:                              ;   in Loop: Header=BB10_254 Depth=2
	ds_load_u8 v3, v2
	s_wait_dscnt 0x0
	v_bitop3_b32 v4, v3, 0xff, v39 bitop3:0x80
	s_delay_alu instid0(VALU_DEP_1)
	v_cmp_eq_u32_e32 vcc_lo, v4, v32
	s_and_b32 exec_lo, exec_lo, vcc_lo
	s_cbranch_execz .LBB10_252
; %bb.256:                              ;   in Loop: Header=BB10_254 Depth=2
	v_lshlrev_b16 v3, 8, v3
	s_delay_alu instid0(VALU_DEP_1)
	v_or_b32_e32 v3, 1, v3
	ds_store_b16 v25, v3 offset:3072
	s_branch .LBB10_252
.LBB10_257:                             ;   in Loop: Header=BB10_254 Depth=2
	v_add_nc_u32_e32 v2, s47, v2
	s_mov_b32 s8, 0
	s_delay_alu instid0(VALU_DEP_1)
	v_cmp_le_u32_e32 vcc_lo, s30, v2
	s_or_not1_b32 s9, vcc_lo, exec_lo
	s_branch .LBB10_253
.LBB10_258:                             ;   in Loop: Header=BB10_6 Depth=1
	v_dual_mov_b32 v32, v3 :: v_dual_mov_b32 v39, v4
	v_mov_b32_e32 v40, v6
	s_mov_b32 s26, 0
	s_and_saveexec_b32 s8, s23
	s_cbranch_execnz .LBB10_404
	s_branch .LBB10_405
.LBB10_259:                             ;   in Loop: Header=BB10_6 Depth=1
	s_or_b32 exec_lo, exec_lo, s25
	v_and_b32_e32 v2, 0xffff, v3
	s_and_b32 s25, s31, exec_lo
	s_delay_alu instid0(VALU_DEP_1)
	v_lshrrev_b32_e32 v40, 8, v2
.LBB10_260:                             ;   in Loop: Header=BB10_6 Depth=1
	s_or_b32 exec_lo, exec_lo, s29
.LBB10_261:                             ;   in Loop: Header=BB10_6 Depth=1
	s_delay_alu instid0(SALU_CYCLE_1)
	s_and_b32 vcc_lo, exec_lo, s28
	s_cbranch_vccz .LBB10_272
; %bb.262:                              ;   in Loop: Header=BB10_6 Depth=1
                                        ; implicit-def: $vgpr40
	s_and_saveexec_b32 s16, s13
	s_cbranch_execz .LBB10_271
; %bb.263:                              ;   in Loop: Header=BB10_6 Depth=1
	v_dual_mov_b32 v2, v22 :: v_dual_mov_b32 v3, v0
	s_mov_b32 s27, 0
                                        ; implicit-def: $sgpr26
	s_branch .LBB10_266
.LBB10_264:                             ;   in Loop: Header=BB10_266 Depth=2
	s_or_b32 exec_lo, exec_lo, s28
	s_wait_dscnt 0x0
	s_barrier_signal -1
	s_barrier_wait -1
	ds_load_u16 v4, v25 offset:3072
	s_mov_b32 s8, -1
	s_mov_b32 s28, -1
	s_wait_dscnt 0x0
	s_barrier_signal -1
	s_barrier_wait -1
	v_and_b32_e32 v5, 0xff, v4
	s_delay_alu instid0(VALU_DEP_1)
	v_cmp_ne_u32_e32 vcc_lo, 0, v5
	s_cbranch_vccz .LBB10_269
.LBB10_265:                             ;   in Loop: Header=BB10_266 Depth=2
	s_and_b32 s8, exec_lo, s8
	s_delay_alu instid0(SALU_CYCLE_1) | instskip(SKIP_2) | instid1(SALU_CYCLE_1)
	s_or_b32 s27, s8, s27
	s_and_not1_b32 s8, s26, exec_lo
	s_and_b32 s9, s28, exec_lo
	s_or_b32 s26, s8, s9
	s_and_not1_b32 exec_lo, exec_lo, s27
	s_cbranch_execz .LBB10_270
.LBB10_266:                             ;   Parent Loop BB10_6 Depth=1
                                        ; =>  This Inner Loop Header: Depth=2
	s_mov_b32 s28, exec_lo
	s_delay_alu instid0(VALU_DEP_1)
	v_cmpx_gt_u32_e64 s36, v3
	s_cbranch_execz .LBB10_264
; %bb.267:                              ;   in Loop: Header=BB10_266 Depth=2
	global_load_u8 v4, v2, s[38:39]
	s_wait_loadcnt 0x0
	v_bitop3_b32 v5, v4, 0xff, v39 bitop3:0x80
	s_delay_alu instid0(VALU_DEP_1)
	v_cmp_eq_u32_e32 vcc_lo, v5, v32
	s_and_b32 exec_lo, exec_lo, vcc_lo
	s_cbranch_execz .LBB10_264
; %bb.268:                              ;   in Loop: Header=BB10_266 Depth=2
	v_lshlrev_b16 v4, 8, v4
	s_delay_alu instid0(VALU_DEP_1)
	v_or_b32_e32 v4, 1, v4
	ds_store_b16 v25, v4 offset:3072
	s_branch .LBB10_264
.LBB10_269:                             ;   in Loop: Header=BB10_266 Depth=2
	v_dual_add_nc_u32 v3, s47, v3 :: v_dual_add_nc_u32 v2, s51, v2
	s_mov_b32 s28, 0
	s_delay_alu instid0(VALU_DEP_1)
	v_cmp_le_u32_e32 vcc_lo, s93, v3
	s_or_not1_b32 s8, vcc_lo, exec_lo
	s_branch .LBB10_265
.LBB10_270:                             ;   in Loop: Header=BB10_6 Depth=1
	s_or_b32 exec_lo, exec_lo, s27
	v_and_b32_e32 v2, 0xffff, v4
	s_and_not1_b32 s8, s25, exec_lo
	s_and_b32 s9, s26, exec_lo
	s_delay_alu instid0(SALU_CYCLE_1) | instskip(NEXT) | instid1(VALU_DEP_1)
	s_or_b32 s25, s8, s9
	v_lshrrev_b32_e32 v40, 8, v2
.LBB10_271:                             ;   in Loop: Header=BB10_6 Depth=1
	s_or_b32 exec_lo, exec_lo, s16
	s_mov_b32 s16, 0
	s_mov_b32 s26, -1
.LBB10_272:                             ;   in Loop: Header=BB10_6 Depth=1
	s_or_not1_b32 s25, s25, exec_lo
.LBB10_273:                             ;   in Loop: Header=BB10_6 Depth=1
	s_or_b32 exec_lo, exec_lo, s24
                                        ; implicit-def: $vgpr5
                                        ; implicit-def: $vgpr2
	s_and_saveexec_b32 s24, s25
	s_cbranch_execz .LBB10_403
; %bb.274:                              ;   in Loop: Header=BB10_6 Depth=1
	v_dual_mov_b32 v5, 1 :: v_dual_mov_b32 v2, 1
	s_xor_b32 s8, s14, -1
	s_mov_b32 s28, 0
	s_and_saveexec_b32 s14, s8
	s_cbranch_execz .LBB10_283
; %bb.275:                              ;   in Loop: Header=BB10_6 Depth=1
	s_mov_b32 s8, exec_lo
	v_cmpx_ge_u32_e64 s22, v41
	s_xor_b32 s25, exec_lo, s8
	s_cbranch_execz .LBB10_280
; %bb.276:                              ;   in Loop: Header=BB10_6 Depth=1
	ds_load_b32 v2, v25 offset:4096
	v_or_b32_e32 v32, s18, v32
	v_or_b32_e32 v39, s18, v39
	s_wait_dscnt 0x0
	v_cmp_ne_u32_e32 vcc_lo, 0, v2
	s_cbranch_vccnz .LBB10_280
; %bb.277:                              ;   in Loop: Header=BB10_6 Depth=1
	s_and_saveexec_b32 s8, s5
; %bb.278:                              ;   in Loop: Header=BB10_6 Depth=1
	v_mov_b32_e32 v2, s22
	ds_store_b32 v25, v2 offset:4100
; %bb.279:                              ;   in Loop: Header=BB10_6 Depth=1
	s_or_b32 exec_lo, exec_lo, s8
	s_wait_dscnt 0x0
	s_barrier_signal -1
	s_barrier_wait -1
.LBB10_280:                             ;   in Loop: Header=BB10_6 Depth=1
	s_or_saveexec_b32 s25, s25
	v_mov_b32_e32 v2, 5
	s_mov_b32 s27, 0
	s_xor_b32 exec_lo, exec_lo, s25
; %bb.281:                              ;   in Loop: Header=BB10_6 Depth=1
	v_subrev_nc_u32_e32 v41, s22, v41
	v_mov_b32_e32 v2, 0
	s_mov_b32 s27, exec_lo
; %bb.282:                              ;   in Loop: Header=BB10_6 Depth=1
	s_or_b32 exec_lo, exec_lo, s25
	s_delay_alu instid0(VALU_DEP_2)
	v_mov_b32_e32 v5, v41
	s_and_b32 s28, s27, exec_lo
.LBB10_283:                             ;   in Loop: Header=BB10_6 Depth=1
	s_or_b32 exec_lo, exec_lo, s14
	s_mov_b32 s27, -1
                                        ; implicit-def: $sgpr22
                                        ; implicit-def: $sgpr25
	s_and_saveexec_b32 s8, s28
	s_delay_alu instid0(SALU_CYCLE_1)
	s_xor_b32 s14, exec_lo, s8
	s_cbranch_execz .LBB10_400
; %bb.284:                              ;   in Loop: Header=BB10_6 Depth=1
	v_cmp_eq_u32_e32 vcc_lo, 1, v5
	s_cmp_eq_u32 s21, 1
	s_mov_b32 s29, -1
	s_cselect_b32 s8, -1, 0
                                        ; implicit-def: $sgpr25
                                        ; implicit-def: $sgpr22
	s_delay_alu instid0(SALU_CYCLE_1) | instskip(NEXT) | instid1(SALU_CYCLE_1)
	s_and_b32 s28, s8, vcc_lo
	s_and_saveexec_b32 s27, s28
	s_cbranch_execz .LBB10_310
; %bb.285:                              ;   in Loop: Header=BB10_6 Depth=1
	ds_load_b32 v3, v25 offset:4096
	s_wait_dscnt 0x0
	s_barrier_signal -1
	s_barrier_wait -1
	v_readfirstlane_b32 s30, v3
	s_and_saveexec_b32 s8, s6
; %bb.286:                              ;   in Loop: Header=BB10_6 Depth=1
	ds_store_b8 v0, v25 offset:3072
; %bb.287:                              ;   in Loop: Header=BB10_6 Depth=1
	s_or_b32 exec_lo, exec_lo, s8
	s_lshl_b32 s8, 2, s101
	v_or_b32_e32 v39, s18, v39
	v_and_or_b32 v32, v32, s19, s8
	s_mov_b32 s22, -1
	s_mov_b32 s25, 0
	s_cmp_eq_u32 s30, 0
	s_mov_b32 s29, 0
	s_mov_b32 s31, -1
	s_wait_dscnt 0x0
	s_barrier_signal -1
	s_barrier_wait -1
                                        ; implicit-def: $vgpr40
	s_cbranch_scc1 .LBB10_298
; %bb.288:                              ;   in Loop: Header=BB10_6 Depth=1
	s_add_co_i32 s64, s30, s76
	s_mov_b32 s31, 0
	s_mul_u64 s[8:9], s[64:65], s[70:71]
	s_mov_b32 s33, exec_lo
	s_mul_i32 s8, s9, s47
                                        ; implicit-def: $vgpr40
	s_delay_alu instid0(SALU_CYCLE_1) | instskip(NEXT) | instid1(SALU_CYCLE_1)
	s_sub_co_i32 s8, s64, s8
	s_sub_co_i32 s9, s8, s47
	s_cmp_ge_u32 s8, s47
	s_cselect_b32 s8, s9, s8
	s_delay_alu instid0(SALU_CYCLE_1) | instskip(SKIP_2) | instid1(SALU_CYCLE_1)
	s_sub_co_i32 s9, s8, s47
	s_cmp_ge_u32 s8, s47
	s_cselect_b32 s8, s9, s8
	s_sub_co_i32 s34, s64, s8
	s_delay_alu instid0(SALU_CYCLE_1)
	v_cmpx_gt_u32_e64 s34, v0
	s_cbranch_execz .LBB10_297
; %bb.289:                              ;   in Loop: Header=BB10_6 Depth=1
	v_mov_b32_e32 v3, v0
                                        ; implicit-def: $sgpr35
	s_branch .LBB10_292
.LBB10_290:                             ;   in Loop: Header=BB10_292 Depth=2
	s_or_b32 exec_lo, exec_lo, s40
	s_wait_dscnt 0x0
	s_barrier_signal -1
	s_barrier_wait -1
	ds_load_u16 v4, v25 offset:3072
	s_mov_b32 s9, -1
	s_mov_b32 s8, -1
	s_wait_dscnt 0x0
	s_barrier_signal -1
	s_barrier_wait -1
	v_and_b32_e32 v6, 0xff, v4
	s_delay_alu instid0(VALU_DEP_1)
	v_cmp_ne_u32_e32 vcc_lo, 0, v6
	s_cbranch_vccz .LBB10_295
.LBB10_291:                             ;   in Loop: Header=BB10_292 Depth=2
	s_and_b32 s9, exec_lo, s9
	s_delay_alu instid0(SALU_CYCLE_1) | instskip(SKIP_2) | instid1(SALU_CYCLE_1)
	s_or_b32 s29, s9, s29
	s_and_not1_b32 s9, s35, exec_lo
	s_and_b32 s8, s8, exec_lo
	s_or_b32 s35, s9, s8
	s_and_not1_b32 exec_lo, exec_lo, s29
	s_cbranch_execz .LBB10_296
.LBB10_292:                             ;   Parent Loop BB10_6 Depth=1
                                        ; =>  This Inner Loop Header: Depth=2
	s_mov_b32 s40, exec_lo
	s_delay_alu instid0(VALU_DEP_1)
	v_cmpx_gt_u32_e64 s30, v3
	s_cbranch_execz .LBB10_290
; %bb.293:                              ;   in Loop: Header=BB10_292 Depth=2
	ds_load_u8 v4, v3
	s_wait_dscnt 0x0
	v_bitop3_b32 v6, v4, 0xff, v39 bitop3:0x80
	s_delay_alu instid0(VALU_DEP_1)
	v_cmp_eq_u32_e32 vcc_lo, v6, v32
	s_and_b32 exec_lo, exec_lo, vcc_lo
	s_cbranch_execz .LBB10_290
; %bb.294:                              ;   in Loop: Header=BB10_292 Depth=2
	v_lshlrev_b16 v4, 8, v4
	s_delay_alu instid0(VALU_DEP_1)
	v_or_b32_e32 v4, 1, v4
	ds_store_b16 v25, v4 offset:3072
	s_branch .LBB10_290
.LBB10_295:                             ;   in Loop: Header=BB10_292 Depth=2
	v_add_nc_u32_e32 v3, s47, v3
	s_mov_b32 s8, 0
	s_delay_alu instid0(VALU_DEP_1)
	v_cmp_le_u32_e32 vcc_lo, s34, v3
	s_or_not1_b32 s9, vcc_lo, exec_lo
	s_branch .LBB10_291
.LBB10_296:                             ;   in Loop: Header=BB10_6 Depth=1
	s_or_b32 exec_lo, exec_lo, s29
	v_and_b32_e32 v3, 0xffff, v4
	s_and_b32 s29, s35, exec_lo
	s_delay_alu instid0(VALU_DEP_1)
	v_lshrrev_b32_e32 v40, 8, v3
.LBB10_297:                             ;   in Loop: Header=BB10_6 Depth=1
	s_or_b32 exec_lo, exec_lo, s33
.LBB10_298:                             ;   in Loop: Header=BB10_6 Depth=1
	s_delay_alu instid0(SALU_CYCLE_1)
	s_and_b32 vcc_lo, exec_lo, s31
	s_cbranch_vccz .LBB10_309
; %bb.299:                              ;   in Loop: Header=BB10_6 Depth=1
                                        ; implicit-def: $vgpr40
	s_and_saveexec_b32 s22, s13
	s_cbranch_execz .LBB10_308
; %bb.300:                              ;   in Loop: Header=BB10_6 Depth=1
	v_dual_mov_b32 v3, v22 :: v_dual_mov_b32 v4, v0
	s_mov_b32 s25, 0
                                        ; implicit-def: $sgpr30
	s_branch .LBB10_303
.LBB10_301:                             ;   in Loop: Header=BB10_303 Depth=2
	s_or_b32 exec_lo, exec_lo, s31
	s_wait_dscnt 0x0
	s_barrier_signal -1
	s_barrier_wait -1
	ds_load_u16 v6, v25 offset:3072
	s_mov_b32 s8, -1
	s_mov_b32 s31, -1
	s_wait_dscnt 0x0
	s_barrier_signal -1
	s_barrier_wait -1
	v_and_b32_e32 v7, 0xff, v6
	s_delay_alu instid0(VALU_DEP_1)
	v_cmp_eq_u32_e32 vcc_lo, 0, v7
	s_cbranch_vccnz .LBB10_306
.LBB10_302:                             ;   in Loop: Header=BB10_303 Depth=2
	s_and_b32 s8, exec_lo, s8
	s_delay_alu instid0(SALU_CYCLE_1) | instskip(SKIP_2) | instid1(SALU_CYCLE_1)
	s_or_b32 s25, s8, s25
	s_and_not1_b32 s8, s30, exec_lo
	s_and_b32 s9, s31, exec_lo
	s_or_b32 s30, s8, s9
	s_and_not1_b32 exec_lo, exec_lo, s25
	s_cbranch_execz .LBB10_307
.LBB10_303:                             ;   Parent Loop BB10_6 Depth=1
                                        ; =>  This Inner Loop Header: Depth=2
	s_mov_b32 s31, exec_lo
	s_delay_alu instid0(VALU_DEP_1)
	v_cmpx_gt_u32_e64 s36, v4
	s_cbranch_execz .LBB10_301
; %bb.304:                              ;   in Loop: Header=BB10_303 Depth=2
	global_load_u8 v6, v3, s[38:39]
	s_wait_loadcnt 0x0
	v_bitop3_b32 v7, v6, 0xff, v39 bitop3:0x80
	s_delay_alu instid0(VALU_DEP_1)
	v_cmp_eq_u32_e32 vcc_lo, v7, v32
	s_and_b32 exec_lo, exec_lo, vcc_lo
	s_cbranch_execz .LBB10_301
; %bb.305:                              ;   in Loop: Header=BB10_303 Depth=2
	v_lshlrev_b16 v6, 8, v6
	s_delay_alu instid0(VALU_DEP_1)
	v_or_b32_e32 v6, 1, v6
	ds_store_b16 v25, v6 offset:3072
	s_branch .LBB10_301
.LBB10_306:                             ;   in Loop: Header=BB10_303 Depth=2
	v_dual_add_nc_u32 v4, s47, v4 :: v_dual_add_nc_u32 v3, s51, v3
	s_mov_b32 s31, 0
	s_delay_alu instid0(VALU_DEP_1)
	v_cmp_le_u32_e32 vcc_lo, s93, v4
	s_or_not1_b32 s8, vcc_lo, exec_lo
	s_branch .LBB10_302
.LBB10_307:                             ;   in Loop: Header=BB10_6 Depth=1
	s_or_b32 exec_lo, exec_lo, s25
	v_and_b32_e32 v3, 0xffff, v6
	s_and_not1_b32 s8, s29, exec_lo
	s_and_b32 s9, s30, exec_lo
	s_delay_alu instid0(SALU_CYCLE_1) | instskip(NEXT) | instid1(VALU_DEP_1)
	s_or_b32 s29, s8, s9
	v_lshrrev_b32_e32 v40, 8, v3
.LBB10_308:                             ;   in Loop: Header=BB10_6 Depth=1
	s_or_b32 exec_lo, exec_lo, s22
	s_mov_b32 s22, 0
	s_mov_b32 s25, -1
.LBB10_309:                             ;   in Loop: Header=BB10_6 Depth=1
	s_or_not1_b32 s29, s29, exec_lo
.LBB10_310:                             ;   in Loop: Header=BB10_6 Depth=1
	s_or_b32 exec_lo, exec_lo, s27
	s_mov_b32 s30, 0
	s_and_saveexec_b32 s27, s29
	s_cbranch_execz .LBB10_399
; %bb.311:                              ;   in Loop: Header=BB10_6 Depth=1
	v_dual_mov_b32 v3, 1 :: v_dual_mov_b32 v2, 1
	s_xor_b32 s8, s28, -1
	s_mov_b32 s31, 0
	s_and_saveexec_b32 s28, s8
	s_cbranch_execz .LBB10_320
; %bb.312:                              ;   in Loop: Header=BB10_6 Depth=1
	s_mov_b32 s8, exec_lo
	v_cmpx_ge_u32_e64 s21, v5
	s_xor_b32 s29, exec_lo, s8
	s_cbranch_execz .LBB10_317
; %bb.313:                              ;   in Loop: Header=BB10_6 Depth=1
	ds_load_b32 v2, v25 offset:4096
	s_lshl_b32 s8, 2, s101
	v_or_b32_e32 v39, s18, v39
	v_and_or_b32 v32, v32, s19, s8
	s_wait_dscnt 0x0
	v_cmp_ne_u32_e32 vcc_lo, 0, v2
	s_cbranch_vccnz .LBB10_317
; %bb.314:                              ;   in Loop: Header=BB10_6 Depth=1
	s_and_saveexec_b32 s8, s5
; %bb.315:                              ;   in Loop: Header=BB10_6 Depth=1
	v_mov_b32_e32 v2, s21
	ds_store_b32 v25, v2 offset:4100
; %bb.316:                              ;   in Loop: Header=BB10_6 Depth=1
	s_or_b32 exec_lo, exec_lo, s8
	s_wait_dscnt 0x0
	s_barrier_signal -1
	s_barrier_wait -1
.LBB10_317:                             ;   in Loop: Header=BB10_6 Depth=1
	s_or_saveexec_b32 s29, s29
	v_mov_b32_e32 v2, 5
	s_xor_b32 exec_lo, exec_lo, s29
; %bb.318:                              ;   in Loop: Header=BB10_6 Depth=1
	v_subrev_nc_u32_e32 v5, s21, v5
	v_mov_b32_e32 v2, 0
	s_mov_b32 s30, exec_lo
; %bb.319:                              ;   in Loop: Header=BB10_6 Depth=1
	s_or_b32 exec_lo, exec_lo, s29
	s_delay_alu instid0(VALU_DEP_2)
	v_mov_b32_e32 v3, v5
	s_and_b32 s31, s30, exec_lo
.LBB10_320:                             ;   in Loop: Header=BB10_6 Depth=1
	s_or_b32 exec_lo, exec_lo, s28
	s_mov_b32 s30, -1
                                        ; implicit-def: $sgpr28
                                        ; implicit-def: $sgpr29
	s_and_saveexec_b32 s21, s31
	s_cbranch_execz .LBB10_398
; %bb.321:                              ;   in Loop: Header=BB10_6 Depth=1
	v_cmp_eq_u32_e32 vcc_lo, 1, v3
	s_cmp_eq_u32 s20, 1
	s_mov_b32 s33, -1
	s_cselect_b32 s8, -1, 0
                                        ; implicit-def: $sgpr29
                                        ; implicit-def: $sgpr28
	s_delay_alu instid0(SALU_CYCLE_1) | instskip(NEXT) | instid1(SALU_CYCLE_1)
	s_and_b32 s31, s8, vcc_lo
	s_and_saveexec_b32 s30, s31
	s_cbranch_execz .LBB10_347
; %bb.322:                              ;   in Loop: Header=BB10_6 Depth=1
	ds_load_b32 v4, v25 offset:4096
	s_wait_dscnt 0x0
	s_barrier_signal -1
	s_barrier_wait -1
	v_readfirstlane_b32 s34, v4
	s_and_saveexec_b32 s8, s6
; %bb.323:                              ;   in Loop: Header=BB10_6 Depth=1
	ds_store_b8 v0, v25 offset:3072
; %bb.324:                              ;   in Loop: Header=BB10_6 Depth=1
	s_or_b32 exec_lo, exec_lo, s8
	s_lshl_b32 s8, 1, s101
	v_or_b32_e32 v39, s18, v39
	v_and_or_b32 v32, v32, s19, s8
	s_mov_b32 s28, -1
	s_mov_b32 s29, 0
	s_cmp_eq_u32 s34, 0
	s_mov_b32 s33, 0
	s_mov_b32 s40, -1
	s_wait_dscnt 0x0
	s_barrier_signal -1
	s_barrier_wait -1
                                        ; implicit-def: $vgpr40
	s_cbranch_scc1 .LBB10_335
; %bb.325:                              ;   in Loop: Header=BB10_6 Depth=1
	s_add_co_i32 s64, s34, s76
	s_mov_b32 s40, 0
	s_mul_u64 s[8:9], s[64:65], s[70:71]
	s_mov_b32 s41, exec_lo
	s_mul_i32 s8, s9, s47
                                        ; implicit-def: $vgpr40
	s_delay_alu instid0(SALU_CYCLE_1) | instskip(NEXT) | instid1(SALU_CYCLE_1)
	s_sub_co_i32 s8, s64, s8
	s_sub_co_i32 s9, s8, s47
	s_cmp_ge_u32 s8, s47
	s_cselect_b32 s8, s9, s8
	s_delay_alu instid0(SALU_CYCLE_1) | instskip(SKIP_2) | instid1(SALU_CYCLE_1)
	s_sub_co_i32 s9, s8, s47
	s_cmp_ge_u32 s8, s47
	s_cselect_b32 s8, s9, s8
	s_sub_co_i32 s42, s64, s8
	s_delay_alu instid0(SALU_CYCLE_1)
	v_cmpx_gt_u32_e64 s42, v0
	s_cbranch_execz .LBB10_334
; %bb.326:                              ;   in Loop: Header=BB10_6 Depth=1
	v_mov_b32_e32 v4, v0
                                        ; implicit-def: $sgpr35
	s_branch .LBB10_329
.LBB10_327:                             ;   in Loop: Header=BB10_329 Depth=2
	s_or_b32 exec_lo, exec_lo, s46
	s_wait_dscnt 0x0
	s_barrier_signal -1
	s_barrier_wait -1
	ds_load_u16 v5, v25 offset:3072
	s_mov_b32 s9, -1
	s_mov_b32 s8, -1
	s_wait_dscnt 0x0
	s_barrier_signal -1
	s_barrier_wait -1
	v_and_b32_e32 v6, 0xff, v5
	s_delay_alu instid0(VALU_DEP_1)
	v_cmp_ne_u32_e32 vcc_lo, 0, v6
	s_cbranch_vccz .LBB10_332
.LBB10_328:                             ;   in Loop: Header=BB10_329 Depth=2
	s_and_b32 s9, exec_lo, s9
	s_delay_alu instid0(SALU_CYCLE_1) | instskip(SKIP_2) | instid1(SALU_CYCLE_1)
	s_or_b32 s33, s9, s33
	s_and_not1_b32 s9, s35, exec_lo
	s_and_b32 s8, s8, exec_lo
	s_or_b32 s35, s9, s8
	s_and_not1_b32 exec_lo, exec_lo, s33
	s_cbranch_execz .LBB10_333
.LBB10_329:                             ;   Parent Loop BB10_6 Depth=1
                                        ; =>  This Inner Loop Header: Depth=2
	s_mov_b32 s46, exec_lo
	s_delay_alu instid0(VALU_DEP_1)
	v_cmpx_gt_u32_e64 s34, v4
	s_cbranch_execz .LBB10_327
; %bb.330:                              ;   in Loop: Header=BB10_329 Depth=2
	ds_load_u8 v5, v4
	s_wait_dscnt 0x0
	v_bitop3_b32 v6, v5, 0xff, v39 bitop3:0x80
	s_delay_alu instid0(VALU_DEP_1)
	v_cmp_eq_u32_e32 vcc_lo, v6, v32
	s_and_b32 exec_lo, exec_lo, vcc_lo
	s_cbranch_execz .LBB10_327
; %bb.331:                              ;   in Loop: Header=BB10_329 Depth=2
	v_lshlrev_b16 v5, 8, v5
	s_delay_alu instid0(VALU_DEP_1)
	v_or_b32_e32 v5, 1, v5
	ds_store_b16 v25, v5 offset:3072
	s_branch .LBB10_327
.LBB10_332:                             ;   in Loop: Header=BB10_329 Depth=2
	v_add_nc_u32_e32 v4, s47, v4
	s_mov_b32 s8, 0
	s_delay_alu instid0(VALU_DEP_1)
	v_cmp_le_u32_e32 vcc_lo, s42, v4
	s_or_not1_b32 s9, vcc_lo, exec_lo
	s_branch .LBB10_328
.LBB10_333:                             ;   in Loop: Header=BB10_6 Depth=1
	s_or_b32 exec_lo, exec_lo, s33
	v_and_b32_e32 v4, 0xffff, v5
	s_and_b32 s33, s35, exec_lo
	s_delay_alu instid0(VALU_DEP_1)
	v_lshrrev_b32_e32 v40, 8, v4
.LBB10_334:                             ;   in Loop: Header=BB10_6 Depth=1
	s_or_b32 exec_lo, exec_lo, s41
.LBB10_335:                             ;   in Loop: Header=BB10_6 Depth=1
	s_delay_alu instid0(SALU_CYCLE_1)
	s_and_b32 vcc_lo, exec_lo, s40
	s_cbranch_vccz .LBB10_346
; %bb.336:                              ;   in Loop: Header=BB10_6 Depth=1
                                        ; implicit-def: $vgpr40
	s_and_saveexec_b32 s28, s13
	s_cbranch_execz .LBB10_345
; %bb.337:                              ;   in Loop: Header=BB10_6 Depth=1
	v_dual_mov_b32 v4, v22 :: v_dual_mov_b32 v5, v0
	s_mov_b32 s29, 0
                                        ; implicit-def: $sgpr34
	s_branch .LBB10_340
.LBB10_338:                             ;   in Loop: Header=BB10_340 Depth=2
	s_or_b32 exec_lo, exec_lo, s35
	s_wait_dscnt 0x0
	s_barrier_signal -1
	s_barrier_wait -1
	ds_load_u16 v6, v25 offset:3072
	s_mov_b32 s8, -1
	s_mov_b32 s35, -1
	s_wait_dscnt 0x0
	s_barrier_signal -1
	s_barrier_wait -1
	v_and_b32_e32 v7, 0xff, v6
	s_delay_alu instid0(VALU_DEP_1)
	v_cmp_eq_u32_e32 vcc_lo, 0, v7
	s_cbranch_vccnz .LBB10_343
.LBB10_339:                             ;   in Loop: Header=BB10_340 Depth=2
	s_and_b32 s8, exec_lo, s8
	s_delay_alu instid0(SALU_CYCLE_1) | instskip(SKIP_2) | instid1(SALU_CYCLE_1)
	s_or_b32 s29, s8, s29
	s_and_not1_b32 s8, s34, exec_lo
	s_and_b32 s9, s35, exec_lo
	s_or_b32 s34, s8, s9
	s_and_not1_b32 exec_lo, exec_lo, s29
	s_cbranch_execz .LBB10_344
.LBB10_340:                             ;   Parent Loop BB10_6 Depth=1
                                        ; =>  This Inner Loop Header: Depth=2
	s_mov_b32 s35, exec_lo
	s_delay_alu instid0(VALU_DEP_1)
	v_cmpx_gt_u32_e64 s36, v5
	s_cbranch_execz .LBB10_338
; %bb.341:                              ;   in Loop: Header=BB10_340 Depth=2
	global_load_u8 v6, v4, s[38:39]
	s_wait_loadcnt 0x0
	v_bitop3_b32 v7, v6, 0xff, v39 bitop3:0x80
	s_delay_alu instid0(VALU_DEP_1)
	v_cmp_eq_u32_e32 vcc_lo, v7, v32
	s_and_b32 exec_lo, exec_lo, vcc_lo
	s_cbranch_execz .LBB10_338
; %bb.342:                              ;   in Loop: Header=BB10_340 Depth=2
	v_lshlrev_b16 v6, 8, v6
	s_delay_alu instid0(VALU_DEP_1)
	v_or_b32_e32 v6, 1, v6
	ds_store_b16 v25, v6 offset:3072
	s_branch .LBB10_338
.LBB10_343:                             ;   in Loop: Header=BB10_340 Depth=2
	v_dual_add_nc_u32 v5, s47, v5 :: v_dual_add_nc_u32 v4, s51, v4
	s_mov_b32 s35, 0
	s_delay_alu instid0(VALU_DEP_1)
	v_cmp_le_u32_e32 vcc_lo, s93, v5
	s_or_not1_b32 s8, vcc_lo, exec_lo
	s_branch .LBB10_339
.LBB10_344:                             ;   in Loop: Header=BB10_6 Depth=1
	s_or_b32 exec_lo, exec_lo, s29
	v_and_b32_e32 v4, 0xffff, v6
	s_and_not1_b32 s8, s33, exec_lo
	s_and_b32 s9, s34, exec_lo
	s_delay_alu instid0(SALU_CYCLE_1) | instskip(NEXT) | instid1(VALU_DEP_1)
	s_or_b32 s33, s8, s9
	v_lshrrev_b32_e32 v40, 8, v4
.LBB10_345:                             ;   in Loop: Header=BB10_6 Depth=1
	s_or_b32 exec_lo, exec_lo, s28
	s_mov_b32 s28, 0
	s_mov_b32 s29, -1
.LBB10_346:                             ;   in Loop: Header=BB10_6 Depth=1
	s_or_not1_b32 s33, s33, exec_lo
.LBB10_347:                             ;   in Loop: Header=BB10_6 Depth=1
	s_or_b32 exec_lo, exec_lo, s30
	s_mov_b32 s34, 0
	s_and_saveexec_b32 s30, s33
	s_cbranch_execz .LBB10_397
; %bb.348:                              ;   in Loop: Header=BB10_6 Depth=1
	v_dual_mov_b32 v4, 1 :: v_dual_mov_b32 v2, 1
	s_xor_b32 s8, s31, -1
	s_mov_b32 s35, 0
	s_and_saveexec_b32 s31, s8
	s_cbranch_execz .LBB10_357
; %bb.349:                              ;   in Loop: Header=BB10_6 Depth=1
	s_mov_b32 s8, exec_lo
	v_cmpx_ge_u32_e64 s20, v3
	s_xor_b32 s33, exec_lo, s8
	s_cbranch_execz .LBB10_354
; %bb.350:                              ;   in Loop: Header=BB10_6 Depth=1
	ds_load_b32 v2, v25 offset:4096
	s_lshl_b32 s8, 1, s101
	v_or_b32_e32 v39, s18, v39
	v_and_or_b32 v32, v32, s19, s8
	s_wait_dscnt 0x0
	v_cmp_ne_u32_e32 vcc_lo, 0, v2
	s_cbranch_vccnz .LBB10_354
; %bb.351:                              ;   in Loop: Header=BB10_6 Depth=1
	s_and_saveexec_b32 s8, s5
; %bb.352:                              ;   in Loop: Header=BB10_6 Depth=1
	v_mov_b32_e32 v2, s20
	ds_store_b32 v25, v2 offset:4100
; %bb.353:                              ;   in Loop: Header=BB10_6 Depth=1
	s_or_b32 exec_lo, exec_lo, s8
	s_wait_dscnt 0x0
	s_barrier_signal -1
	s_barrier_wait -1
.LBB10_354:                             ;   in Loop: Header=BB10_6 Depth=1
	s_or_saveexec_b32 s33, s33
	v_mov_b32_e32 v2, 5
	s_xor_b32 exec_lo, exec_lo, s33
; %bb.355:                              ;   in Loop: Header=BB10_6 Depth=1
	v_subrev_nc_u32_e32 v3, s20, v3
	v_mov_b32_e32 v2, 0
	s_mov_b32 s34, exec_lo
; %bb.356:                              ;   in Loop: Header=BB10_6 Depth=1
	s_or_b32 exec_lo, exec_lo, s33
	s_delay_alu instid0(VALU_DEP_2)
	v_mov_b32_e32 v4, v3
	s_and_b32 s35, s34, exec_lo
.LBB10_357:                             ;   in Loop: Header=BB10_6 Depth=1
	s_or_b32 exec_lo, exec_lo, s31
	s_mov_b32 s33, -1
                                        ; implicit-def: $sgpr34
                                        ; implicit-def: $sgpr31
	s_and_saveexec_b32 s20, s35
	s_cbranch_execz .LBB10_396
; %bb.358:                              ;   in Loop: Header=BB10_6 Depth=1
	v_cmp_eq_u32_e32 vcc_lo, 1, v4
	s_cmp_eq_u32 s17, 1
	s_mov_b32 s35, -1
	s_cselect_b32 s8, -1, 0
                                        ; implicit-def: $sgpr34
                                        ; implicit-def: $sgpr31
	s_delay_alu instid0(SALU_CYCLE_1) | instskip(NEXT) | instid1(SALU_CYCLE_1)
	s_and_b32 s33, s8, vcc_lo
	s_and_saveexec_b32 s46, s33
	s_cbranch_execz .LBB10_384
; %bb.359:                              ;   in Loop: Header=BB10_6 Depth=1
	ds_load_b32 v3, v25 offset:4096
	s_wait_dscnt 0x0
	s_barrier_signal -1
	s_barrier_wait -1
	v_readfirstlane_b32 s41, v3
	s_and_saveexec_b32 s8, s6
; %bb.360:                              ;   in Loop: Header=BB10_6 Depth=1
	ds_store_b8 v0, v25 offset:3072
; %bb.361:                              ;   in Loop: Header=BB10_6 Depth=1
	s_or_b32 exec_lo, exec_lo, s8
	v_and_b32_e32 v32, s19, v32
	v_or_b32_e32 v39, s18, v39
	s_mov_b32 s31, -1
	s_mov_b32 s34, 0
	s_cmp_eq_u32 s41, 0
	s_mov_b32 s40, 0
	s_mov_b32 s42, -1
	s_wait_dscnt 0x0
	s_barrier_signal -1
	s_barrier_wait -1
                                        ; implicit-def: $vgpr40
	s_cbranch_scc1 .LBB10_372
; %bb.362:                              ;   in Loop: Header=BB10_6 Depth=1
	s_add_co_i32 s64, s41, s76
	s_mov_b32 s42, 0
	s_mul_u64 s[8:9], s[64:65], s[70:71]
	s_mov_b32 s58, exec_lo
	s_mul_i32 s8, s9, s47
                                        ; implicit-def: $vgpr40
	s_delay_alu instid0(SALU_CYCLE_1) | instskip(NEXT) | instid1(SALU_CYCLE_1)
	s_sub_co_i32 s8, s64, s8
	s_sub_co_i32 s9, s8, s47
	s_cmp_ge_u32 s8, s47
	s_cselect_b32 s8, s9, s8
	s_delay_alu instid0(SALU_CYCLE_1) | instskip(SKIP_2) | instid1(SALU_CYCLE_1)
	s_sub_co_i32 s9, s8, s47
	s_cmp_ge_u32 s8, s47
	s_cselect_b32 s8, s9, s8
	s_sub_co_i32 s59, s64, s8
	s_delay_alu instid0(SALU_CYCLE_1)
	v_cmpx_gt_u32_e64 s59, v0
	s_cbranch_execz .LBB10_371
; %bb.363:                              ;   in Loop: Header=BB10_6 Depth=1
	v_mov_b32_e32 v3, v0
	s_mov_b32 s35, 0
                                        ; implicit-def: $sgpr40
	s_branch .LBB10_366
.LBB10_364:                             ;   in Loop: Header=BB10_366 Depth=2
	s_or_b32 exec_lo, exec_lo, s60
	s_wait_dscnt 0x0
	s_barrier_signal -1
	s_barrier_wait -1
	ds_load_u16 v5, v25 offset:3072
	s_mov_b32 s9, -1
	s_mov_b32 s8, -1
	s_wait_dscnt 0x0
	s_barrier_signal -1
	s_barrier_wait -1
	v_and_b32_e32 v6, 0xff, v5
	s_delay_alu instid0(VALU_DEP_1)
	v_cmp_ne_u32_e32 vcc_lo, 0, v6
	s_cbranch_vccz .LBB10_369
.LBB10_365:                             ;   in Loop: Header=BB10_366 Depth=2
	s_and_b32 s9, exec_lo, s9
	s_delay_alu instid0(SALU_CYCLE_1) | instskip(SKIP_2) | instid1(SALU_CYCLE_1)
	s_or_b32 s35, s9, s35
	s_and_not1_b32 s9, s40, exec_lo
	s_and_b32 s8, s8, exec_lo
	s_or_b32 s40, s9, s8
	s_and_not1_b32 exec_lo, exec_lo, s35
	s_cbranch_execz .LBB10_370
.LBB10_366:                             ;   Parent Loop BB10_6 Depth=1
                                        ; =>  This Inner Loop Header: Depth=2
	s_mov_b32 s60, exec_lo
	s_delay_alu instid0(VALU_DEP_1)
	v_cmpx_gt_u32_e64 s41, v3
	s_cbranch_execz .LBB10_364
; %bb.367:                              ;   in Loop: Header=BB10_366 Depth=2
	ds_load_u8 v5, v3
	s_wait_dscnt 0x0
	v_bitop3_b32 v6, v5, 0xff, v39 bitop3:0x80
	s_delay_alu instid0(VALU_DEP_1)
	v_cmp_eq_u32_e32 vcc_lo, v6, v32
	s_and_b32 exec_lo, exec_lo, vcc_lo
	s_cbranch_execz .LBB10_364
; %bb.368:                              ;   in Loop: Header=BB10_366 Depth=2
	v_lshlrev_b16 v5, 8, v5
	s_delay_alu instid0(VALU_DEP_1)
	v_or_b32_e32 v5, 1, v5
	ds_store_b16 v25, v5 offset:3072
	s_branch .LBB10_364
.LBB10_369:                             ;   in Loop: Header=BB10_366 Depth=2
	v_add_nc_u32_e32 v3, s47, v3
	s_mov_b32 s8, 0
	s_delay_alu instid0(VALU_DEP_1)
	v_cmp_le_u32_e32 vcc_lo, s59, v3
	s_or_not1_b32 s9, vcc_lo, exec_lo
	s_branch .LBB10_365
.LBB10_370:                             ;   in Loop: Header=BB10_6 Depth=1
	s_or_b32 exec_lo, exec_lo, s35
	v_and_b32_e32 v3, 0xffff, v5
	s_and_b32 s40, s40, exec_lo
	s_delay_alu instid0(VALU_DEP_1)
	v_lshrrev_b32_e32 v40, 8, v3
.LBB10_371:                             ;   in Loop: Header=BB10_6 Depth=1
	s_or_b32 exec_lo, exec_lo, s58
.LBB10_372:                             ;   in Loop: Header=BB10_6 Depth=1
	s_delay_alu instid0(SALU_CYCLE_1)
	s_and_b32 vcc_lo, exec_lo, s42
	s_cbranch_vccz .LBB10_383
; %bb.373:                              ;   in Loop: Header=BB10_6 Depth=1
                                        ; implicit-def: $vgpr40
	s_and_saveexec_b32 s31, s13
	s_cbranch_execz .LBB10_382
; %bb.374:                              ;   in Loop: Header=BB10_6 Depth=1
	v_dual_mov_b32 v3, v22 :: v_dual_mov_b32 v5, v0
	s_mov_b32 s34, 0
                                        ; implicit-def: $sgpr35
	s_branch .LBB10_377
.LBB10_375:                             ;   in Loop: Header=BB10_377 Depth=2
	s_or_b32 exec_lo, exec_lo, s41
	s_wait_dscnt 0x0
	s_barrier_signal -1
	s_barrier_wait -1
	ds_load_u16 v6, v25 offset:3072
	s_mov_b32 s8, -1
	s_mov_b32 s41, -1
	s_wait_dscnt 0x0
	s_barrier_signal -1
	s_barrier_wait -1
	v_and_b32_e32 v7, 0xff, v6
	s_delay_alu instid0(VALU_DEP_1)
	v_cmp_eq_u32_e32 vcc_lo, 0, v7
	s_cbranch_vccnz .LBB10_380
.LBB10_376:                             ;   in Loop: Header=BB10_377 Depth=2
	s_and_b32 s8, exec_lo, s8
	s_delay_alu instid0(SALU_CYCLE_1) | instskip(SKIP_2) | instid1(SALU_CYCLE_1)
	s_or_b32 s34, s8, s34
	s_and_not1_b32 s8, s35, exec_lo
	s_and_b32 s9, s41, exec_lo
	s_or_b32 s35, s8, s9
	s_and_not1_b32 exec_lo, exec_lo, s34
	s_cbranch_execz .LBB10_381
.LBB10_377:                             ;   Parent Loop BB10_6 Depth=1
                                        ; =>  This Inner Loop Header: Depth=2
	s_mov_b32 s41, exec_lo
	s_delay_alu instid0(VALU_DEP_1)
	v_cmpx_gt_u32_e64 s36, v5
	s_cbranch_execz .LBB10_375
; %bb.378:                              ;   in Loop: Header=BB10_377 Depth=2
	global_load_u8 v6, v3, s[38:39]
	s_wait_loadcnt 0x0
	v_bitop3_b32 v7, v6, 0xff, v39 bitop3:0x80
	s_delay_alu instid0(VALU_DEP_1)
	v_cmp_eq_u32_e32 vcc_lo, v7, v32
	s_and_b32 exec_lo, exec_lo, vcc_lo
	s_cbranch_execz .LBB10_375
; %bb.379:                              ;   in Loop: Header=BB10_377 Depth=2
	v_lshlrev_b16 v6, 8, v6
	s_delay_alu instid0(VALU_DEP_1)
	v_or_b32_e32 v6, 1, v6
	ds_store_b16 v25, v6 offset:3072
	s_branch .LBB10_375
.LBB10_380:                             ;   in Loop: Header=BB10_377 Depth=2
	v_dual_add_nc_u32 v5, s47, v5 :: v_dual_add_nc_u32 v3, s51, v3
	s_mov_b32 s41, 0
	s_delay_alu instid0(VALU_DEP_1)
	v_cmp_le_u32_e32 vcc_lo, s93, v5
	s_or_not1_b32 s8, vcc_lo, exec_lo
	s_branch .LBB10_376
.LBB10_381:                             ;   in Loop: Header=BB10_6 Depth=1
	s_or_b32 exec_lo, exec_lo, s34
	v_and_b32_e32 v3, 0xffff, v6
	s_and_not1_b32 s8, s40, exec_lo
	s_and_b32 s9, s35, exec_lo
	s_delay_alu instid0(SALU_CYCLE_1) | instskip(NEXT) | instid1(VALU_DEP_1)
	s_or_b32 s40, s8, s9
	v_lshrrev_b32_e32 v40, 8, v3
.LBB10_382:                             ;   in Loop: Header=BB10_6 Depth=1
	s_or_b32 exec_lo, exec_lo, s31
	s_mov_b32 s31, 0
	s_mov_b32 s34, -1
.LBB10_383:                             ;   in Loop: Header=BB10_6 Depth=1
	s_or_not1_b32 s35, s40, exec_lo
.LBB10_384:                             ;   in Loop: Header=BB10_6 Depth=1
	s_or_b32 exec_lo, exec_lo, s46
	s_mov_b32 s41, 0
	s_and_saveexec_b32 s40, s35
	s_cbranch_execz .LBB10_395
; %bb.385:                              ;   in Loop: Header=BB10_6 Depth=1
	v_dual_mov_b32 v2, 1 :: v_dual_mov_b32 v3, 1
	s_xor_b32 s8, s33, -1
	s_delay_alu instid0(SALU_CYCLE_1)
	s_and_saveexec_b32 s33, s8
	s_cbranch_execz .LBB10_394
; %bb.386:                              ;   in Loop: Header=BB10_6 Depth=1
	s_mov_b32 s8, exec_lo
	v_cmpx_ge_u32_e64 s17, v4
	s_xor_b32 s35, exec_lo, s8
	s_cbranch_execz .LBB10_391
; %bb.387:                              ;   in Loop: Header=BB10_6 Depth=1
	ds_load_b32 v2, v25 offset:4096
	v_and_b32_e32 v32, s19, v32
	v_or_b32_e32 v39, s18, v39
	s_wait_dscnt 0x0
	v_cmp_ne_u32_e32 vcc_lo, 0, v2
	s_cbranch_vccnz .LBB10_391
; %bb.388:                              ;   in Loop: Header=BB10_6 Depth=1
	s_and_saveexec_b32 s8, s5
; %bb.389:                              ;   in Loop: Header=BB10_6 Depth=1
	v_mov_b32_e32 v2, s17
	ds_store_b32 v25, v2 offset:4100
; %bb.390:                              ;   in Loop: Header=BB10_6 Depth=1
	s_or_b32 exec_lo, exec_lo, s8
	s_wait_dscnt 0x0
	s_barrier_signal -1
	s_barrier_wait -1
.LBB10_391:                             ;   in Loop: Header=BB10_6 Depth=1
	s_and_not1_saveexec_b32 s18, s35
; %bb.392:                              ;   in Loop: Header=BB10_6 Depth=1
	v_subrev_nc_u32_e32 v4, s17, v4
; %bb.393:                              ;   in Loop: Header=BB10_6 Depth=1
	s_or_b32 exec_lo, exec_lo, s18
	s_delay_alu instid0(VALU_DEP_1)
	v_dual_mov_b32 v2, 5 :: v_dual_mov_b32 v3, v4
.LBB10_394:                             ;   in Loop: Header=BB10_6 Depth=1
	s_or_b32 exec_lo, exec_lo, s33
	s_delay_alu instid0(VALU_DEP_1)
	v_mov_b32_e32 v4, v3
	s_mov_b32 s41, exec_lo
.LBB10_395:                             ;   in Loop: Header=BB10_6 Depth=1
	s_or_b32 exec_lo, exec_lo, s40
	s_delay_alu instid0(SALU_CYCLE_1)
	s_or_not1_b32 s33, s41, exec_lo
.LBB10_396:                             ;   in Loop: Header=BB10_6 Depth=1
	s_or_b32 exec_lo, exec_lo, s20
	v_mov_b32_e32 v3, v4
	s_and_not1_b32 s8, s29, exec_lo
	s_and_b32 s9, s34, exec_lo
	s_and_not1_b32 s17, s28, exec_lo
	s_and_b32 s18, s31, exec_lo
	s_or_b32 s29, s8, s9
	s_or_b32 s28, s17, s18
	s_and_b32 s34, s33, exec_lo
.LBB10_397:                             ;   in Loop: Header=BB10_6 Depth=1
	s_or_b32 exec_lo, exec_lo, s30
	s_delay_alu instid0(SALU_CYCLE_1)
	s_or_not1_b32 s30, s34, exec_lo
.LBB10_398:                             ;   in Loop: Header=BB10_6 Depth=1
	s_or_b32 exec_lo, exec_lo, s21
	v_mov_b32_e32 v5, v3
	s_and_not1_b32 s8, s25, exec_lo
	s_and_b32 s9, s29, exec_lo
	s_and_not1_b32 s17, s22, exec_lo
	s_and_b32 s18, s28, exec_lo
	s_or_b32 s25, s8, s9
	s_or_b32 s22, s17, s18
	s_and_b32 s30, s30, exec_lo
.LBB10_399:                             ;   in Loop: Header=BB10_6 Depth=1
	s_or_b32 exec_lo, exec_lo, s27
	s_delay_alu instid0(SALU_CYCLE_1)
	s_or_not1_b32 s27, s30, exec_lo
.LBB10_400:                             ;   in Loop: Header=BB10_6 Depth=1
	s_or_b32 exec_lo, exec_lo, s14
	s_mov_b32 s14, s23
	s_mov_b32 s17, s15
	s_and_saveexec_b32 s18, s27
; %bb.401:                              ;   in Loop: Header=BB10_6 Depth=1
	v_cmp_ne_u32_e32 vcc_lo, 5, v2
	v_cmp_eq_u32_e64 s14, 5, v2
	s_and_not1_b32 s8, s15, exec_lo
	s_and_not1_b32 s9, s23, exec_lo
	s_and_b32 s17, vcc_lo, exec_lo
	s_and_b32 s14, s14, exec_lo
	s_or_b32 s17, s8, s17
	s_or_b32 s14, s9, s14
; %bb.402:                              ;   in Loop: Header=BB10_6 Depth=1
	s_or_b32 exec_lo, exec_lo, s18
	s_delay_alu instid0(SALU_CYCLE_1)
	s_and_not1_b32 s8, s26, exec_lo
	s_and_b32 s9, s25, exec_lo
	s_and_not1_b32 s16, s16, exec_lo
	s_and_b32 s18, s22, exec_lo
	s_or_b32 s26, s8, s9
	s_and_not1_b32 s8, s15, exec_lo
	s_and_b32 s9, s17, exec_lo
	s_and_not1_b32 s17, s23, exec_lo
	s_and_b32 s14, s14, exec_lo
	s_or_b32 s16, s16, s18
	s_or_b32 s15, s8, s9
	s_or_b32 s23, s17, s14
.LBB10_403:                             ;   in Loop: Header=BB10_6 Depth=1
	s_or_b32 exec_lo, exec_lo, s24
	s_mov_b32 s24, 0
	s_mov_b32 s25, 0
	s_and_saveexec_b32 s8, s23
.LBB10_404:                             ;   in Loop: Header=BB10_6 Depth=1
	v_mov_b32_e32 v2, 0
	s_or_b32 s15, s15, exec_lo
.LBB10_405:                             ;   in Loop: Header=BB10_6 Depth=1
	s_or_b32 exec_lo, exec_lo, s8
	s_delay_alu instid0(SALU_CYCLE_1)
	s_and_not1_b32 s8, vcc_hi, exec_lo
	s_and_b32 s9, s26, exec_lo
	s_and_not1_b32 s14, s103, exec_lo
	s_and_b32 s16, s16, exec_lo
	v_mov_b32_e32 v41, v5
	s_or_b32 vcc_hi, s8, s9
	s_or_b32 s103, s14, s16
	s_and_not1_b32 s8, s45, exec_lo
	s_and_b32 s9, s25, exec_lo
	s_and_not1_b32 s14, s44, exec_lo
	s_and_b32 s16, s24, exec_lo
	s_mov_b32 s17, -1
	s_and_not1_b32 s104, s104, exec_lo
	s_or_b32 s45, s8, s9
	s_or_b32 s44, s14, s16
	s_and_saveexec_b32 s8, s15
	s_delay_alu instid0(SALU_CYCLE_1)
	s_xor_b32 s14, exec_lo, s8
	s_cbranch_execz .LBB10_5
; %bb.406:                              ;   in Loop: Header=BB10_6 Depth=1
	s_mov_b32 s15, -1
	s_mov_b32 s16, -1
	s_mov_b32 s8, exec_lo
	v_cmpx_eq_u32_e32 0, v2
	s_cbranch_execz .LBB10_4
; %bb.407:                              ;   in Loop: Header=BB10_6 Depth=1
	s_xor_b32 s97, s97, 1
	s_add_co_i32 s9, s101, -2
	s_cmp_eq_u32 s101, 0
	s_mov_b32 s101, s9
	s_cselect_b32 s15, -1, 0
	s_xor_b32 s16, exec_lo, -1
	s_or_not1_b32 s15, s15, exec_lo
	s_branch .LBB10_4
.LBB10_408:
	s_or_b32 exec_lo, exec_lo, s95
	s_xor_b32 s7, s102, -1
	s_xor_b32 s9, s99, -1
	;; [unrolled: 1-line block ×5, first 2 shown]
	s_mov_b32 s8, 0
	s_and_saveexec_b32 s12, s11
	s_delay_alu instid0(SALU_CYCLE_1)
	s_xor_b32 s12, exec_lo, s12
	s_cbranch_execnz .LBB10_413
; %bb.409:
	s_and_not1_saveexec_b32 s0, s12
	s_cbranch_execnz .LBB10_432
.LBB10_410:
	s_or_b32 exec_lo, exec_lo, s0
	s_and_saveexec_b32 s0, s8
.LBB10_411:
	; divergent unreachable
.LBB10_412:
	s_sendmsg sendmsg(MSG_DEALLOC_VGPRS)
	s_endpgm
.LBB10_413:
	s_and_saveexec_b32 s11, s10
	s_delay_alu instid0(SALU_CYCLE_1)
	s_xor_b32 s13, exec_lo, s11
	s_cbranch_execz .LBB10_430
; %bb.414:
	s_and_saveexec_b32 s10, s9
	s_delay_alu instid0(SALU_CYCLE_1)
	s_xor_b32 s14, exec_lo, s10
	s_cbranch_execz .LBB10_428
; %bb.415:
	;; [unrolled: 5-line block ×3, first 2 shown]
	s_and_saveexec_b32 s7, s6
	s_delay_alu instid0(SALU_CYCLE_1)
	s_xor_b32 s6, exec_lo, s7
; %bb.417:
	v_mov_b32_e32 v40, v32
; %bb.418:
	s_or_b32 exec_lo, exec_lo, s6
	s_and_saveexec_b32 s6, s5
; %bb.419:
	v_mov_b32_e32 v1, 0
	ds_store_b32 v1, v1 offset:4108
; %bb.420:
	s_or_b32 exec_lo, exec_lo, s6
	v_mov_b32_e32 v1, 0
	s_wait_dscnt 0x0
	s_barrier_signal -1
	s_barrier_wait -1
	s_and_saveexec_b32 s5, s4
	s_cbranch_execz .LBB10_422
; %bb.421:
	global_load_u8 v1, v[20:21], off
.LBB10_422:
	s_wait_xcnt 0x0
	s_or_b32 exec_lo, exec_lo, s5
	v_readlane_b32 s8, v68, 7
	v_readlane_b32 s9, v68, 8
	s_load_b96 s[16:18], s[0:1], 0x15c
	s_add_co_i32 s5, s36, 31
	s_mul_i32 s6, s50, s53
	s_and_not1_b32 s5, s5, 31
	s_mul_i32 s7, s9, s52
	s_mov_b32 s11, s9
	s_sub_co_i32 s7, s50, s7
	s_sub_co_i32 s6, s72, s6
	s_add_co_i32 s8, s9, 1
	s_sub_co_i32 s9, s7, s52
	s_cmp_ge_u32 s7, s52
	v_readlane_b32 s20, v68, 0
	s_cselect_b32 s8, s8, s11
	s_cselect_b32 s7, s9, s7
	s_add_co_i32 s9, s8, 1
	s_cmp_ge_u32 s7, s52
	v_readlane_b32 s10, v68, 9
	s_cselect_b32 s7, s9, s8
	v_readlane_b32 s11, v68, 10
	s_mul_i32 s8, s7, s52
	s_wait_kmcnt 0x0
	s_mul_i32 s6, s6, s18
	s_sub_co_i32 s8, s50, s8
	s_mul_i32 s7, s7, s16
	s_mul_i32 s8, s8, s17
	;; [unrolled: 1-line block ×3, first 2 shown]
	s_add_co_i32 s6, s8, s6
	s_mul_i32 s8, s11, s48
	s_add_co_i32 s10, s6, s7
	s_sub_co_i32 s7, s56, s8
	s_sub_co_i32 s6, s72, s9
	s_add_co_i32 s8, s11, 1
	s_sub_co_i32 s9, s7, s48
	s_cmp_ge_u32 s7, s48
	s_clause 0x1
	s_load_b32 s16, s[0:1], 0x1c8
	s_load_b32 s17, s[0:1], 0x2a8
	s_cselect_b32 s8, s8, s11
	s_cselect_b32 s7, s9, s7
	s_add_co_i32 s9, s8, 1
	s_cmp_ge_u32 s7, s48
	v_readlane_b32 s21, v68, 1
	s_cselect_b32 s7, s9, s8
	v_readlane_b32 s22, v68, 2
	s_wait_xcnt 0x0
	s_mul_i32 s0, s7, s48
	s_mul_i32 s7, s7, s20
	s_sub_co_i32 s0, s56, s0
	s_mov_b32 s11, 0
	s_mul_i32 s6, s6, s22
	s_mul_i32 s0, s0, s21
	v_readlane_b32 s8, v68, 3
	s_add_co_i32 s0, s0, s6
	v_readlane_b32 s9, v68, 4
	s_add_co_i32 s0, s0, s7
	v_readlane_b32 s6, v68, 5
	v_readlane_b32 s7, v68, 6
	s_mov_b32 s1, s11
	v_cmp_gt_u32_e32 vcc_lo, s5, v0
	s_lshl_b64 s[0:1], s[0:1], 3
	s_add_nc_u64 s[6:7], s[6:7], s[10:11]
	s_add_nc_u64 s[8:9], s[8:9], s[0:1]
	s_mov_b32 s0, -1
	s_mov_b32 s1, 0
	s_and_saveexec_b32 s10, vcc_lo
	s_cbranch_execnz .LBB10_433
; %bb.423:
	s_or_b32 exec_lo, exec_lo, s10
	s_and_saveexec_b32 s3, s0
	s_cbranch_execnz .LBB10_448
.LBB10_424:
	s_or_b32 exec_lo, exec_lo, s3
	s_and_saveexec_b32 s0, s1
	s_delay_alu instid0(SALU_CYCLE_1)
	s_xor_b32 s0, exec_lo, s0
	s_cbranch_execnz .LBB10_471
.LBB10_425:
	s_or_b32 exec_lo, exec_lo, s0
	s_delay_alu instid0(SALU_CYCLE_1)
	s_and_b32 s8, s11, exec_lo
.LBB10_426:
	s_and_not1_saveexec_b32 s0, s15
	s_cbranch_execnz .LBB10_473
.LBB10_427:
	s_or_b32 exec_lo, exec_lo, s0
	s_delay_alu instid0(SALU_CYCLE_1)
	s_and_b32 s8, s8, exec_lo
.LBB10_428:
	s_and_not1_saveexec_b32 s0, s14
	s_cbranch_execnz .LBB10_472
.LBB10_429:
	s_or_b32 exec_lo, exec_lo, s0
	s_delay_alu instid0(SALU_CYCLE_1)
	s_and_b32 s8, s8, exec_lo
.LBB10_430:
	s_and_not1_saveexec_b32 s0, s13
	s_cbranch_execnz .LBB10_467
.LBB10_431:
	s_or_b32 exec_lo, exec_lo, s0
	s_delay_alu instid0(SALU_CYCLE_1)
	s_and_b32 s8, s8, exec_lo
	s_and_not1_saveexec_b32 s0, s12
	s_cbranch_execz .LBB10_410
.LBB10_432:
	s_or_b32 s8, s8, exec_lo
	s_trap 2
	s_or_b32 exec_lo, exec_lo, s0
	s_and_saveexec_b32 s0, s8
	s_cbranch_execnz .LBB10_411
	s_branch .LBB10_412
.LBB10_433:
	v_dual_mov_b32 v3, 0 :: v_dual_add_nc_u32 v2, s47, v0
	v_and_b32_e32 v5, 0xff, v40
	s_mov_b32 s18, 0
                                        ; implicit-def: $sgpr19
                                        ; implicit-def: $vgpr8
	s_delay_alu instid0(VALU_DEP_2)
	v_mul_lo_u32 v4, s43, v2
	v_mov_b32_e32 v2, v0
	s_branch .LBB10_435
.LBB10_434:                             ;   in Loop: Header=BB10_435 Depth=1
	s_or_b32 exec_lo, exec_lo, s21
	s_xor_b32 s0, s20, -1
	s_and_b32 s1, exec_lo, s1
	v_dual_mov_b32 v1, v7 :: v_dual_mov_b32 v2, v6
	s_or_b32 s18, s1, s18
	s_and_not1_b32 s1, s19, exec_lo
	s_and_b32 s0, s0, exec_lo
	s_delay_alu instid0(SALU_CYCLE_1)
	s_or_b32 s19, s1, s0
	s_and_not1_b32 exec_lo, exec_lo, s18
	s_cbranch_execz .LBB10_447
.LBB10_435:                             ; =>This Inner Loop Header: Depth=1
	s_delay_alu instid0(VALU_DEP_1) | instskip(SKIP_1) | instid1(VALU_DEP_1)
	v_dual_mov_b32 v7, 0 :: v_dual_add_nc_u32 v6, s47, v2
	s_mov_b32 s1, exec_lo
	v_cmpx_gt_u32_e64 s36, v6
	s_cbranch_execz .LBB10_437
; %bb.436:                              ;   in Loop: Header=BB10_435 Depth=1
	global_load_u8 v7, v4, s[38:39]
.LBB10_437:                             ;   in Loop: Header=BB10_435 Depth=1
	s_wait_xcnt 0x0
	s_or_b32 exec_lo, exec_lo, s1
	s_wait_loadcnt 0x0
	v_and_b32_e32 v9, 0xff, v1
	s_delay_alu instid0(VALU_DEP_1) | instskip(NEXT) | instid1(VALU_DEP_1)
	v_cmp_gt_u16_e64 s0, v9, v5
	v_cndmask_b32_e64 v10, 0, 1, s0
	v_cmp_lt_u16_e64 s0, v9, v5
	s_delay_alu instid0(VALU_DEP_1) | instskip(SKIP_1) | instid1(VALU_DEP_2)
	v_cndmask_b32_e64 v9, 0, 1, s0
	v_cmp_gt_u32_e64 s0, s36, v2
	v_cndmask_b32_e64 v9, v9, v10, s3
	s_delay_alu instid0(VALU_DEP_1) | instskip(NEXT) | instid1(VALU_DEP_1)
	v_and_b32_e32 v9, 1, v9
	v_cmp_eq_u32_e64 s1, 1, v9
	s_and_b32 s20, s0, s1
	s_delay_alu instid0(SALU_CYCLE_1) | instskip(NEXT) | instid1(VALU_DEP_1)
	v_cndmask_b32_e64 v9, 0, 1, s20
	v_cmp_ne_u32_e64 s0, 0, v9
	s_cmp_lg_u32 s0, 0
	s_cselect_b32 s1, -1, 0
	s_delay_alu instid0(SALU_CYCLE_1) | instskip(NEXT) | instid1(SALU_CYCLE_1)
	s_and_b32 s1, s2, s1
	s_and_saveexec_b32 s21, s1
	s_cbranch_execz .LBB10_441
; %bb.438:                              ;   in Loop: Header=BB10_435 Depth=1
	s_mov_b32 s24, exec_lo
	s_bcnt1_i32_b32 s22, s0
	s_wait_dscnt 0x0
	v_mbcnt_lo_u32_b32 v8, s24, 0
	s_mov_b32 s23, exec_lo
                                        ; implicit-def: $vgpr9
	s_delay_alu instid0(VALU_DEP_1)
	v_cmpx_eq_u32_e32 0, v8
; %bb.439:                              ;   in Loop: Header=BB10_435 Depth=1
	s_bcnt1_i32_b32 s1, s24
	s_delay_alu instid0(SALU_CYCLE_1) | instskip(NEXT) | instid1(SALU_CYCLE_1)
	s_mul_i32 s1, s22, s1
	v_mov_b32_e32 v9, s1
	ds_add_rtn_u32 v9, v3, v9 offset:4108
; %bb.440:                              ;   in Loop: Header=BB10_435 Depth=1
	s_or_b32 exec_lo, exec_lo, s23
	s_wait_dscnt 0x0
	v_readfirstlane_b32 s1, v9
	s_delay_alu instid0(VALU_DEP_1)
	v_mad_u32_u24 v8, s22, v8, s1
.LBB10_441:                             ;   in Loop: Header=BB10_435 Depth=1
	s_or_b32 exec_lo, exec_lo, s21
	s_wait_dscnt 0x0
	ds_bpermute_b32 v8, v3, v8
	s_mov_b32 s1, -1
	s_mov_b32 s22, -1
	s_and_saveexec_b32 s21, s20
	s_cbranch_execz .LBB10_445
; %bb.442:                              ;   in Loop: Header=BB10_435 Depth=1
	v_and_b32_e32 v9, s0, v18
	s_mov_b32 s20, 0
	s_mov_b32 s22, exec_lo
	s_wait_dscnt 0x0
	s_delay_alu instid0(VALU_DEP_1) | instskip(NEXT) | instid1(VALU_DEP_1)
	v_bcnt_u32_b32 v9, v9, v8
	v_cmpx_gt_u32_e64 s37, v9
	s_cbranch_execz .LBB10_444
; %bb.443:                              ;   in Loop: Header=BB10_435 Depth=1
	s_wait_kmcnt 0x0
	v_mul_lo_u32 v10, v9, s16
	v_mul_lo_u32 v9, v9, s17
	s_mov_b32 s20, exec_lo
	global_store_b8 v10, v1, s[6:7]
	global_store_b64 v9, v[2:3], s[8:9] scale_offset
.LBB10_444:                             ;   in Loop: Header=BB10_435 Depth=1
	s_wait_xcnt 0x0
	s_or_b32 exec_lo, exec_lo, s22
	s_delay_alu instid0(SALU_CYCLE_1)
	s_or_not1_b32 s22, s20, exec_lo
.LBB10_445:                             ;   in Loop: Header=BB10_435 Depth=1
	s_or_b32 exec_lo, exec_lo, s21
	s_mov_b32 s20, -1
	s_and_saveexec_b32 s21, s22
	s_cbranch_execz .LBB10_434
; %bb.446:                              ;   in Loop: Header=BB10_435 Depth=1
	v_cmp_le_u32_e64 s0, s5, v6
	v_add_nc_u32_e32 v4, s51, v4
	s_xor_b32 s20, exec_lo, -1
	s_or_not1_b32 s1, s0, exec_lo
	s_branch .LBB10_434
.LBB10_447:
	s_or_b32 exec_lo, exec_lo, s18
	s_delay_alu instid0(SALU_CYCLE_1)
	s_mov_b32 s1, exec_lo
	s_or_not1_b32 s0, s19, exec_lo
	s_or_b32 exec_lo, exec_lo, s10
	s_and_saveexec_b32 s3, s0
	s_cbranch_execz .LBB10_424
.LBB10_448:
	v_mov_b32_e32 v7, 0
	s_wait_storecnt 0x0
	s_wait_loadcnt_dscnt 0x0
	s_barrier_signal -1
	s_barrier_wait -1
	s_and_saveexec_b32 s0, s4
	s_cbranch_execz .LBB10_450
; %bb.449:
	global_load_u8 v7, v[20:21], off
.LBB10_450:
	s_wait_xcnt 0x0
	s_or_b32 exec_lo, exec_lo, s0
	s_mov_b32 s0, 0
	s_and_saveexec_b32 s4, vcc_lo
	s_cbranch_execz .LBB10_470
; %bb.451:
	v_add_nc_u32_e32 v1, s47, v0
	v_and_b32_e32 v3, 0xff, v40
	s_mov_b32 s10, 0
                                        ; implicit-def: $sgpr11
                                        ; implicit-def: $vgpr6
	s_delay_alu instid0(VALU_DEP_2)
	v_mul_lo_u32 v2, s43, v1
	v_mov_b32_e32 v1, 0
	s_branch .LBB10_454
.LBB10_452:                             ;   in Loop: Header=BB10_454 Depth=1
	s_or_b32 exec_lo, exec_lo, s20
	s_delay_alu instid0(SALU_CYCLE_1)
	s_or_not1_b32 s20, s18, exec_lo
	s_or_not1_b32 s19, s19, exec_lo
.LBB10_453:                             ;   in Loop: Header=BB10_454 Depth=1
	s_or_b32 exec_lo, exec_lo, s0
	s_xor_b32 s0, s20, -1
	s_and_b32 s18, exec_lo, s19
	v_dual_mov_b32 v0, v4 :: v_dual_mov_b32 v7, v5
	s_or_b32 s10, s18, s10
	s_and_not1_b32 s11, s11, exec_lo
	s_and_b32 s0, s0, exec_lo
	s_delay_alu instid0(SALU_CYCLE_1)
	s_or_b32 s11, s11, s0
	s_and_not1_b32 exec_lo, exec_lo, s10
	s_cbranch_execz .LBB10_468
.LBB10_454:                             ; =>This Inner Loop Header: Depth=1
	v_dual_mov_b32 v5, 0 :: v_dual_add_nc_u32 v4, s47, v0
	s_mov_b32 s0, exec_lo
	s_delay_alu instid0(VALU_DEP_1)
	v_cmpx_gt_u32_e64 s36, v4
	s_cbranch_execz .LBB10_456
; %bb.455:                              ;   in Loop: Header=BB10_454 Depth=1
	global_load_u8 v5, v2, s[38:39]
.LBB10_456:                             ;   in Loop: Header=BB10_454 Depth=1
	s_wait_xcnt 0x0
	s_or_b32 exec_lo, exec_lo, s0
	s_wait_loadcnt 0x0
	v_and_b32_e32 v7, 0xff, v7
	v_cmp_gt_u32_e32 vcc_lo, s36, v0
	s_delay_alu instid0(VALU_DEP_2) | instskip(SKIP_1) | instid1(SALU_CYCLE_1)
	v_cmp_eq_u16_e64 s0, v7, v3
	s_and_b32 s18, vcc_lo, s0
	v_cndmask_b32_e64 v7, 0, 1, s18
	s_delay_alu instid0(VALU_DEP_1) | instskip(SKIP_2) | instid1(SALU_CYCLE_1)
	v_cmp_ne_u32_e32 vcc_lo, 0, v7
	s_cmp_lg_u32 vcc_lo, 0
	s_cselect_b32 s0, -1, 0
	s_and_b32 s0, s2, s0
	s_delay_alu instid0(SALU_CYCLE_1)
	s_and_saveexec_b32 s19, s0
	s_cbranch_execz .LBB10_460
; %bb.457:                              ;   in Loop: Header=BB10_454 Depth=1
	s_mov_b32 s22, exec_lo
	s_bcnt1_i32_b32 s20, vcc_lo
	v_mbcnt_lo_u32_b32 v6, s22, 0
	s_mov_b32 s21, exec_lo
                                        ; implicit-def: $vgpr7
	s_delay_alu instid0(VALU_DEP_1)
	v_cmpx_eq_u32_e32 0, v6
; %bb.458:                              ;   in Loop: Header=BB10_454 Depth=1
	s_bcnt1_i32_b32 s0, s22
	s_delay_alu instid0(SALU_CYCLE_1) | instskip(NEXT) | instid1(SALU_CYCLE_1)
	s_mul_i32 s0, s20, s0
	v_mov_b32_e32 v7, s0
	ds_add_rtn_u32 v7, v1, v7 offset:4108
; %bb.459:                              ;   in Loop: Header=BB10_454 Depth=1
	s_or_b32 exec_lo, exec_lo, s21
	s_wait_dscnt 0x0
	v_readfirstlane_b32 s0, v7
	s_delay_alu instid0(VALU_DEP_1)
	v_mad_u32_u24 v6, s20, v6, s0
.LBB10_460:                             ;   in Loop: Header=BB10_454 Depth=1
	s_or_b32 exec_lo, exec_lo, s19
	ds_bpermute_b32 v6, v1, v6
	s_cmp_eq_u32 vcc_lo, 0
	s_mov_b32 s19, -1
	s_cselect_b32 s20, -1, 0
	s_wait_dscnt 0x0
	v_cmp_gt_u32_e64 s0, s37, v6
	s_or_b32 s21, s20, s0
	s_mov_b32 s20, -1
	s_and_saveexec_b32 s0, s21
	s_cbranch_execz .LBB10_453
; %bb.461:                              ;   in Loop: Header=BB10_454 Depth=1
	v_and_b32_e32 v7, vcc_lo, v18
	v_sub_nc_u32_e32 v8, s37, v6
	s_mov_b32 s21, -1
	s_delay_alu instid0(VALU_DEP_2) | instskip(NEXT) | instid1(VALU_DEP_1)
	v_bcnt_u32_b32 v7, v7, 0
	v_bcnt_u32_b32 v7, 0, v7
	s_delay_alu instid0(VALU_DEP_1)
	v_cmp_gt_u32_e32 vcc_lo, v8, v7
	s_and_b32 s22, s18, vcc_lo
	s_mov_b32 s18, -1
	s_and_saveexec_b32 s20, s22
	s_cbranch_execz .LBB10_465
; %bb.462:                              ;   in Loop: Header=BB10_454 Depth=1
	v_add_nc_u32_e32 v7, v6, v7
	s_mov_b32 s21, 0
	s_mov_b32 s18, exec_lo
	s_delay_alu instid0(VALU_DEP_1)
	v_cmpx_gt_u32_e64 s37, v7
	s_cbranch_execz .LBB10_464
; %bb.463:                              ;   in Loop: Header=BB10_454 Depth=1
	s_wait_kmcnt 0x0
	v_mul_lo_u32 v8, v7, s16
	v_mul_lo_u32 v7, v7, s17
	s_mov_b32 s21, exec_lo
	global_store_b8 v8, v40, s[6:7]
	global_store_b64 v7, v[0:1], s[8:9] scale_offset
.LBB10_464:                             ;   in Loop: Header=BB10_454 Depth=1
	s_wait_xcnt 0x0
	s_or_b32 exec_lo, exec_lo, s18
	s_delay_alu instid0(SALU_CYCLE_1)
	s_xor_b32 s18, exec_lo, -1
	s_or_not1_b32 s21, s21, exec_lo
.LBB10_465:                             ;   in Loop: Header=BB10_454 Depth=1
	s_or_b32 exec_lo, exec_lo, s20
	s_and_saveexec_b32 s20, s21
	s_cbranch_execz .LBB10_452
; %bb.466:                              ;   in Loop: Header=BB10_454 Depth=1
	v_cmp_le_u32_e32 vcc_lo, s5, v4
	v_add_nc_u32_e32 v2, s51, v2
	s_or_b32 s18, s18, exec_lo
	s_or_not1_b32 s19, vcc_lo, exec_lo
	s_branch .LBB10_452
.LBB10_467:
	s_or_b32 s8, s8, exec_lo
	s_trap 2
	s_branch .LBB10_431
.LBB10_468:
	s_or_b32 exec_lo, exec_lo, s10
	s_mov_b32 s0, 0
	s_and_saveexec_b32 s2, s11
	s_delay_alu instid0(SALU_CYCLE_1)
	s_xor_b32 s2, exec_lo, s2
	s_cbranch_execnz .LBB10_474
.LBB10_469:
	s_or_b32 exec_lo, exec_lo, s2
	s_delay_alu instid0(SALU_CYCLE_1)
	s_and_b32 s0, s0, exec_lo
.LBB10_470:
	s_or_b32 exec_lo, exec_lo, s4
	s_delay_alu instid0(SALU_CYCLE_1) | instskip(SKIP_3) | instid1(SALU_CYCLE_1)
	s_and_b32 s11, s0, exec_lo
	s_and_not1_b32 s1, s1, exec_lo
	s_or_b32 exec_lo, exec_lo, s3
	s_and_saveexec_b32 s0, s1
	s_xor_b32 s0, exec_lo, s0
	s_cbranch_execz .LBB10_425
.LBB10_471:
	s_or_b32 s11, s11, exec_lo
	s_trap 2
	s_branch .LBB10_425
.LBB10_472:
	s_or_b32 s8, s8, exec_lo
	s_trap 2
	s_branch .LBB10_429
.LBB10_473:
	s_or_b32 s8, s8, exec_lo
	s_trap 2
	s_branch .LBB10_427
.LBB10_474:
	s_mov_b32 s0, exec_lo
	s_trap 2
	s_branch .LBB10_469
	.section	.rodata,"a",@progbits
	.p2align	6, 0x0
	.amdhsa_kernel _ZN2at6native6sbtopk10gatherTopKIhjLi3ELb0EEEvNS_4cuda6detail10TensorInfoIKT_T0_EES8_S8_bS8_S8_NS5_IS6_S8_EES8_NS5_IlS8_EES8_PS6_
		.amdhsa_group_segment_fixed_size 4112
		.amdhsa_private_segment_fixed_size 0
		.amdhsa_kernarg_size 952
		.amdhsa_user_sgpr_count 2
		.amdhsa_user_sgpr_dispatch_ptr 0
		.amdhsa_user_sgpr_queue_ptr 0
		.amdhsa_user_sgpr_kernarg_segment_ptr 1
		.amdhsa_user_sgpr_dispatch_id 0
		.amdhsa_user_sgpr_kernarg_preload_length 0
		.amdhsa_user_sgpr_kernarg_preload_offset 0
		.amdhsa_user_sgpr_private_segment_size 0
		.amdhsa_wavefront_size32 1
		.amdhsa_uses_dynamic_stack 0
		.amdhsa_enable_private_segment 0
		.amdhsa_system_sgpr_workgroup_id_x 1
		.amdhsa_system_sgpr_workgroup_id_y 1
		.amdhsa_system_sgpr_workgroup_id_z 1
		.amdhsa_system_sgpr_workgroup_info 0
		.amdhsa_system_vgpr_workitem_id 0
		.amdhsa_next_free_vgpr 69
		.amdhsa_next_free_sgpr 105
		.amdhsa_named_barrier_count 0
		.amdhsa_reserve_vcc 1
		.amdhsa_float_round_mode_32 0
		.amdhsa_float_round_mode_16_64 0
		.amdhsa_float_denorm_mode_32 3
		.amdhsa_float_denorm_mode_16_64 3
		.amdhsa_fp16_overflow 0
		.amdhsa_memory_ordered 1
		.amdhsa_forward_progress 1
		.amdhsa_inst_pref_size 135
		.amdhsa_round_robin_scheduling 0
		.amdhsa_exception_fp_ieee_invalid_op 0
		.amdhsa_exception_fp_denorm_src 0
		.amdhsa_exception_fp_ieee_div_zero 0
		.amdhsa_exception_fp_ieee_overflow 0
		.amdhsa_exception_fp_ieee_underflow 0
		.amdhsa_exception_fp_ieee_inexact 0
		.amdhsa_exception_int_div_zero 0
	.end_amdhsa_kernel
	.section	.text._ZN2at6native6sbtopk10gatherTopKIhjLi3ELb0EEEvNS_4cuda6detail10TensorInfoIKT_T0_EES8_S8_bS8_S8_NS5_IS6_S8_EES8_NS5_IlS8_EES8_PS6_,"axG",@progbits,_ZN2at6native6sbtopk10gatherTopKIhjLi3ELb0EEEvNS_4cuda6detail10TensorInfoIKT_T0_EES8_S8_bS8_S8_NS5_IS6_S8_EES8_NS5_IlS8_EES8_PS6_,comdat
.Lfunc_end10:
	.size	_ZN2at6native6sbtopk10gatherTopKIhjLi3ELb0EEEvNS_4cuda6detail10TensorInfoIKT_T0_EES8_S8_bS8_S8_NS5_IS6_S8_EES8_NS5_IlS8_EES8_PS6_, .Lfunc_end10-_ZN2at6native6sbtopk10gatherTopKIhjLi3ELb0EEEvNS_4cuda6detail10TensorInfoIKT_T0_EES8_S8_bS8_S8_NS5_IS6_S8_EES8_NS5_IlS8_EES8_PS6_
                                        ; -- End function
	.set _ZN2at6native6sbtopk10gatherTopKIhjLi3ELb0EEEvNS_4cuda6detail10TensorInfoIKT_T0_EES8_S8_bS8_S8_NS5_IS6_S8_EES8_NS5_IlS8_EES8_PS6_.num_vgpr, 69
	.set _ZN2at6native6sbtopk10gatherTopKIhjLi3ELb0EEEvNS_4cuda6detail10TensorInfoIKT_T0_EES8_S8_bS8_S8_NS5_IS6_S8_EES8_NS5_IlS8_EES8_PS6_.num_agpr, 0
	.set _ZN2at6native6sbtopk10gatherTopKIhjLi3ELb0EEEvNS_4cuda6detail10TensorInfoIKT_T0_EES8_S8_bS8_S8_NS5_IS6_S8_EES8_NS5_IlS8_EES8_PS6_.numbered_sgpr, 105
	.set _ZN2at6native6sbtopk10gatherTopKIhjLi3ELb0EEEvNS_4cuda6detail10TensorInfoIKT_T0_EES8_S8_bS8_S8_NS5_IS6_S8_EES8_NS5_IlS8_EES8_PS6_.num_named_barrier, 0
	.set _ZN2at6native6sbtopk10gatherTopKIhjLi3ELb0EEEvNS_4cuda6detail10TensorInfoIKT_T0_EES8_S8_bS8_S8_NS5_IS6_S8_EES8_NS5_IlS8_EES8_PS6_.private_seg_size, 0
	.set _ZN2at6native6sbtopk10gatherTopKIhjLi3ELb0EEEvNS_4cuda6detail10TensorInfoIKT_T0_EES8_S8_bS8_S8_NS5_IS6_S8_EES8_NS5_IlS8_EES8_PS6_.uses_vcc, 1
	.set _ZN2at6native6sbtopk10gatherTopKIhjLi3ELb0EEEvNS_4cuda6detail10TensorInfoIKT_T0_EES8_S8_bS8_S8_NS5_IS6_S8_EES8_NS5_IlS8_EES8_PS6_.uses_flat_scratch, 0
	.set _ZN2at6native6sbtopk10gatherTopKIhjLi3ELb0EEEvNS_4cuda6detail10TensorInfoIKT_T0_EES8_S8_bS8_S8_NS5_IS6_S8_EES8_NS5_IlS8_EES8_PS6_.has_dyn_sized_stack, 0
	.set _ZN2at6native6sbtopk10gatherTopKIhjLi3ELb0EEEvNS_4cuda6detail10TensorInfoIKT_T0_EES8_S8_bS8_S8_NS5_IS6_S8_EES8_NS5_IlS8_EES8_PS6_.has_recursion, 0
	.set _ZN2at6native6sbtopk10gatherTopKIhjLi3ELb0EEEvNS_4cuda6detail10TensorInfoIKT_T0_EES8_S8_bS8_S8_NS5_IS6_S8_EES8_NS5_IlS8_EES8_PS6_.has_indirect_call, 0
	.section	.AMDGPU.csdata,"",@progbits
; Kernel info:
; codeLenInByte = 17256
; TotalNumSgprs: 107
; NumVgprs: 69
; ScratchSize: 0
; MemoryBound: 0
; FloatMode: 240
; IeeeMode: 1
; LDSByteSize: 4112 bytes/workgroup (compile time only)
; SGPRBlocks: 0
; VGPRBlocks: 4
; NumSGPRsForWavesPerEU: 107
; NumVGPRsForWavesPerEU: 69
; NamedBarCnt: 0
; Occupancy: 12
; WaveLimiterHint : 1
; COMPUTE_PGM_RSRC2:SCRATCH_EN: 0
; COMPUTE_PGM_RSRC2:USER_SGPR: 2
; COMPUTE_PGM_RSRC2:TRAP_HANDLER: 0
; COMPUTE_PGM_RSRC2:TGID_X_EN: 1
; COMPUTE_PGM_RSRC2:TGID_Y_EN: 1
; COMPUTE_PGM_RSRC2:TGID_Z_EN: 1
; COMPUTE_PGM_RSRC2:TIDIG_COMP_CNT: 0
	.section	.text._ZN2at6native6mbtopk23computeBlockDigitCountsIhjjLin1EEEvNS_4cuda6detail10TensorInfoIKT_T0_EEjPjjS8_iijT1_PSB_Ps,"axG",@progbits,_ZN2at6native6mbtopk23computeBlockDigitCountsIhjjLin1EEEvNS_4cuda6detail10TensorInfoIKT_T0_EEjPjjS8_iijT1_PSB_Ps,comdat
	.protected	_ZN2at6native6mbtopk23computeBlockDigitCountsIhjjLin1EEEvNS_4cuda6detail10TensorInfoIKT_T0_EEjPjjS8_iijT1_PSB_Ps ; -- Begin function _ZN2at6native6mbtopk23computeBlockDigitCountsIhjjLin1EEEvNS_4cuda6detail10TensorInfoIKT_T0_EEjPjjS8_iijT1_PSB_Ps
	.globl	_ZN2at6native6mbtopk23computeBlockDigitCountsIhjjLin1EEEvNS_4cuda6detail10TensorInfoIKT_T0_EEjPjjS8_iijT1_PSB_Ps
	.p2align	8
	.type	_ZN2at6native6mbtopk23computeBlockDigitCountsIhjjLin1EEEvNS_4cuda6detail10TensorInfoIKT_T0_EEjPjjS8_iijT1_PSB_Ps,@function
_ZN2at6native6mbtopk23computeBlockDigitCountsIhjjLin1EEEvNS_4cuda6detail10TensorInfoIKT_T0_EEjPjjS8_iijT1_PSB_Ps: ; @_ZN2at6native6mbtopk23computeBlockDigitCountsIhjjLin1EEEvNS_4cuda6detail10TensorInfoIKT_T0_EEjPjjS8_iijT1_PSB_Ps
; %bb.0:
	s_load_b64 s[2:3], s[0:1], 0xf8
	s_bfe_u32 s4, ttmp6, 0x40010
	s_and_b32 s6, ttmp7, 0xffff
	s_add_co_i32 s7, s4, 1
	s_bfe_u32 s8, ttmp6, 0x40004
	s_mul_i32 s7, s6, s7
	s_load_b64 s[4:5], s[0:1], 0x110
	s_add_co_i32 s7, s8, s7
	s_bfe_u32 s9, ttmp6, 0x4000c
	s_bfe_u32 s11, ttmp6, 0x40014
	s_add_co_i32 s9, s9, 1
	s_and_b32 s10, ttmp6, 15
	s_mul_i32 s9, ttmp9, s9
	s_add_co_i32 s11, s11, 1
	s_add_co_i32 s12, s10, s9
	s_bfe_u32 s10, ttmp6, 0x40008
	s_mov_b32 s15, 0
	s_wait_kmcnt 0x0
	s_cvt_f32_u32 s8, s2
	s_delay_alu instid0(SALU_CYCLE_3) | instskip(SKIP_1) | instid1(SALU_CYCLE_1)
	v_rcp_iflag_f32_e32 v1, s8
	s_lshr_b32 s8, ttmp7, 16
	s_mul_i32 s9, s8, s11
	s_getreg_b32 s11, hwreg(HW_REG_IB_STS2, 6, 4)
	s_add_co_i32 s10, s10, s9
	s_cmp_eq_u32 s11, 0
	v_nop
	v_readfirstlane_b32 s13, v1
	s_cselect_b32 s14, s8, s10
	s_load_b128 s[8:11], s[0:1], 0xe8
	s_mul_i32 s5, s5, s14
	s_cselect_b32 s12, ttmp9, s12
	s_mul_f32 s13, s13, 0x4f7ffffe
	s_cselect_b32 s6, s6, s7
	s_sub_co_i32 s7, 0, s2
	s_add_co_i32 s5, s5, s6
	s_cvt_u32_f32 s13, s13
	s_mul_i32 s16, s5, s4
	s_delay_alu instid0(SALU_CYCLE_1) | instskip(NEXT) | instid1(SALU_CYCLE_1)
	s_add_co_i32 s16, s16, s12
	s_mul_i32 s7, s7, s13
	s_delay_alu instid0(SALU_CYCLE_1) | instskip(NEXT) | instid1(SALU_CYCLE_1)
	s_mul_hi_u32 s4, s13, s7
	s_add_co_i32 s13, s13, s4
	s_delay_alu instid0(SALU_CYCLE_1) | instskip(NEXT) | instid1(SALU_CYCLE_1)
	s_mul_hi_u32 s4, s16, s13
	s_mul_i32 s5, s4, s2
	s_add_co_i32 s6, s4, 1
	s_sub_co_i32 s5, s16, s5
	s_delay_alu instid0(SALU_CYCLE_1)
	s_sub_co_i32 s7, s5, s2
	s_cmp_ge_u32 s5, s2
	s_cselect_b32 s4, s6, s4
	s_cselect_b32 s5, s7, s5
	s_add_co_i32 s6, s4, 1
	s_cmp_ge_u32 s5, s2
	s_cselect_b32 s17, s6, s4
	s_wait_kmcnt 0x0
	s_cmp_ge_u32 s17, s8
	s_cbranch_scc1 .LBB11_30
; %bb.1:
	s_clause 0x1
	s_load_b32 s8, s[0:1], 0xd0
	s_load_b128 s[4:7], s[0:1], 0x100
	s_mov_b32 s18, s17
	s_wait_kmcnt 0x0
	s_cmp_lt_i32 s8, 2
	s_cbranch_scc1 .LBB11_4
; %bb.2:
	s_add_co_i32 s14, s8, -1
	s_add_co_i32 s8, s8, 1
	s_lshl_b64 s[12:13], s[14:15], 2
	s_mov_b32 s18, s17
	s_add_nc_u64 s[12:13], s[0:1], s[12:13]
	s_delay_alu instid0(SALU_CYCLE_1)
	s_add_nc_u64 s[12:13], s[12:13], 8
.LBB11_3:                               ; =>This Inner Loop Header: Depth=1
	s_clause 0x1
	s_load_b32 s14, s[12:13], 0x0
	s_load_b32 s19, s[12:13], 0x64
	s_mov_b32 s22, s18
	s_wait_xcnt 0x0
	s_add_nc_u64 s[12:13], s[12:13], -4
	s_wait_kmcnt 0x0
	s_cvt_f32_u32 s20, s14
	s_sub_co_i32 s21, 0, s14
	s_delay_alu instid0(SALU_CYCLE_2) | instskip(SKIP_1) | instid1(TRANS32_DEP_1)
	v_rcp_iflag_f32_e32 v1, s20
	v_nop
	v_readfirstlane_b32 s20, v1
	s_mul_f32 s20, s20, 0x4f7ffffe
	s_delay_alu instid0(SALU_CYCLE_3) | instskip(NEXT) | instid1(SALU_CYCLE_3)
	s_cvt_u32_f32 s20, s20
	s_mul_i32 s21, s21, s20
	s_delay_alu instid0(SALU_CYCLE_1) | instskip(NEXT) | instid1(SALU_CYCLE_1)
	s_mul_hi_u32 s21, s20, s21
	s_add_co_i32 s20, s20, s21
	s_delay_alu instid0(SALU_CYCLE_1) | instskip(NEXT) | instid1(SALU_CYCLE_1)
	s_mul_hi_u32 s18, s18, s20
	s_mul_i32 s20, s18, s14
	s_add_co_i32 s21, s18, 1
	s_sub_co_i32 s20, s22, s20
	s_delay_alu instid0(SALU_CYCLE_1)
	s_sub_co_i32 s23, s20, s14
	s_cmp_ge_u32 s20, s14
	s_cselect_b32 s18, s21, s18
	s_cselect_b32 s20, s23, s20
	s_add_co_i32 s21, s18, 1
	s_cmp_ge_u32 s20, s14
	s_cselect_b32 s18, s21, s18
	s_add_co_i32 s8, s8, -1
	s_mul_i32 s14, s18, s14
	s_delay_alu instid0(SALU_CYCLE_1) | instskip(NEXT) | instid1(SALU_CYCLE_1)
	s_sub_co_i32 s14, s22, s14
	s_mul_i32 s14, s19, s14
	s_delay_alu instid0(SALU_CYCLE_1)
	s_add_co_i32 s15, s14, s15
	s_cmp_gt_u32 s8, 2
	s_cbranch_scc1 .LBB11_3
.LBB11_4:
	s_load_b32 s8, s[4:5], s17 offset:0x0 scale_offset
	v_cmp_gt_u32_e32 vcc_lo, 0x100, v0
	v_lshlrev_b32_e32 v1, 2, v0
	s_wait_xcnt 0x0
	s_and_saveexec_b32 s4, vcc_lo
; %bb.5:
	v_mov_b32_e32 v2, 0
	ds_store_b32 v1, v2
; %bb.6:
	s_or_b32 exec_lo, exec_lo, s4
	s_load_b32 s14, s[0:1], 0xd8
	s_mul_i32 s17, s17, s2
	s_mov_b32 s13, 0
	s_sub_co_i32 s19, s16, s17
	s_wait_dscnt 0x0
	s_mul_i32 s4, s11, s19
	s_add_co_i32 s19, s19, 1
	s_lshl_b32 s17, s4, 8
	s_barrier_signal -1
	s_barrier_wait -1
	s_wait_kmcnt 0x0
	s_sub_co_i32 s12, s14, s17
	s_delay_alu instid0(SALU_CYCLE_1) | instskip(NEXT) | instid1(SALU_CYCLE_1)
	s_add_nc_u64 s[4:5], s[12:13], 0xff
	s_lshr_b64 s[4:5], s[4:5], 8
	s_cmp_lt_u32 s19, s2
	s_cselect_b32 s2, s11, s4
	s_delay_alu instid0(SALU_CYCLE_1)
	s_cmp_lt_i32 s2, 1
	s_cbranch_scc1 .LBB11_28
; %bb.7:
	s_clause 0x1
	s_load_b32 s11, s[0:1], 0x6c
	s_load_b64 s[4:5], s[0:1], 0x0
	s_wait_xcnt 0x0
	s_and_b32 s1, s10, 0xff
	s_wait_kmcnt 0x0
	s_mul_i32 s0, s11, s18
	s_delay_alu instid0(SALU_CYCLE_1)
	s_add_co_i32 s12, s0, s15
	s_cmp_lt_u32 s2, 4
	s_add_nc_u64 s[4:5], s[4:5], s[12:13]
	s_cbranch_scc1 .LBB11_22
; %bb.8:
	v_dual_mov_b32 v7, 1 :: v_dual_add_nc_u32 v6, s17, v0
	s_and_b32 s13, s2, 0x7ffffffc
	s_lshl_b32 s10, s9, 10
	s_mov_b32 s11, 0
	s_delay_alu instid0(VALU_DEP_1)
	v_add_nc_u32_e32 v2, 0x300, v6
	v_add_nc_u32_e32 v4, 0x200, v6
	;; [unrolled: 1-line block ×3, first 2 shown]
	v_mul_lo_u32 v6, s9, v6
	s_mov_b32 s12, 0
	v_mul_lo_u32 v3, s9, v2
	v_mul_lo_u32 v4, s9, v4
	;; [unrolled: 1-line block ×3, first 2 shown]
	s_branch .LBB11_10
.LBB11_9:                               ;   in Loop: Header=BB11_10 Depth=1
	s_or_b32 exec_lo, exec_lo, s15
	v_add_nc_u32_e32 v2, 0x400, v2
	s_add_co_i32 s12, s12, 4
	s_add_co_i32 s11, s11, s10
	s_cmp_eq_u32 s13, s12
	s_cbranch_scc1 .LBB11_22
.LBB11_10:                              ; =>This Inner Loop Header: Depth=1
	v_add_nc_u32_e32 v8, 0xfffffd00, v2
	s_mov_b32 s15, exec_lo
	s_delay_alu instid0(VALU_DEP_1)
	v_cmpx_gt_u32_e64 s14, v8
	s_cbranch_execz .LBB11_13
; %bb.11:                               ;   in Loop: Header=BB11_10 Depth=1
	v_add_nc_u32_e32 v8, s11, v6
	global_load_u8 v8, v8, s[4:5]
	s_wait_loadcnt 0x0
	v_bitop3_b32 v9, s8, s3, v8 bitop3:0x48
	s_delay_alu instid0(VALU_DEP_1)
	v_cmp_eq_u32_e64 s0, 0, v9
	s_wait_xcnt 0x0
	s_and_b32 exec_lo, exec_lo, s0
; %bb.12:                               ;   in Loop: Header=BB11_10 Depth=1
	v_lshrrev_b32_e32 v8, s1, v8
	s_delay_alu instid0(VALU_DEP_1)
	v_lshlrev_b32_e32 v8, 2, v8
	ds_add_u32 v8, v7
.LBB11_13:                              ;   in Loop: Header=BB11_10 Depth=1
	s_or_b32 exec_lo, exec_lo, s15
	v_add_nc_u32_e32 v8, 0xfffffe00, v2
	s_mov_b32 s15, exec_lo
	s_delay_alu instid0(VALU_DEP_1)
	v_cmpx_gt_u32_e64 s14, v8
	s_cbranch_execz .LBB11_16
; %bb.14:                               ;   in Loop: Header=BB11_10 Depth=1
	v_add_nc_u32_e32 v8, s11, v5
	global_load_u8 v8, v8, s[4:5]
	s_wait_loadcnt 0x0
	v_bitop3_b32 v9, s8, s3, v8 bitop3:0x48
	s_delay_alu instid0(VALU_DEP_1)
	v_cmp_eq_u32_e64 s0, 0, v9
	s_and_b32 exec_lo, exec_lo, s0
; %bb.15:                               ;   in Loop: Header=BB11_10 Depth=1
	v_lshrrev_b32_e32 v8, s1, v8
	s_delay_alu instid0(VALU_DEP_1)
	v_lshlrev_b32_e32 v8, 2, v8
	ds_add_u32 v8, v7
.LBB11_16:                              ;   in Loop: Header=BB11_10 Depth=1
	s_or_b32 exec_lo, exec_lo, s15
	v_add_nc_u32_e32 v8, 0xffffff00, v2
	s_mov_b32 s15, exec_lo
	s_delay_alu instid0(VALU_DEP_1)
	v_cmpx_gt_u32_e64 s14, v8
	s_cbranch_execz .LBB11_19
; %bb.17:                               ;   in Loop: Header=BB11_10 Depth=1
	v_add_nc_u32_e32 v8, s11, v4
	global_load_u8 v8, v8, s[4:5]
	s_wait_loadcnt 0x0
	v_bitop3_b32 v9, s8, s3, v8 bitop3:0x48
	s_delay_alu instid0(VALU_DEP_1)
	v_cmp_eq_u32_e64 s0, 0, v9
	s_and_b32 exec_lo, exec_lo, s0
; %bb.18:                               ;   in Loop: Header=BB11_10 Depth=1
	v_lshrrev_b32_e32 v8, s1, v8
	s_delay_alu instid0(VALU_DEP_1)
	v_lshlrev_b32_e32 v8, 2, v8
	ds_add_u32 v8, v7
.LBB11_19:                              ;   in Loop: Header=BB11_10 Depth=1
	s_or_b32 exec_lo, exec_lo, s15
	s_delay_alu instid0(SALU_CYCLE_1)
	s_mov_b32 s15, exec_lo
	v_cmpx_gt_u32_e64 s14, v2
	s_cbranch_execz .LBB11_9
; %bb.20:                               ;   in Loop: Header=BB11_10 Depth=1
	v_add_nc_u32_e32 v8, s11, v3
	global_load_u8 v8, v8, s[4:5]
	s_wait_loadcnt 0x0
	v_bitop3_b32 v9, s8, s3, v8 bitop3:0x48
	s_delay_alu instid0(VALU_DEP_1)
	v_cmp_eq_u32_e64 s0, 0, v9
	s_and_b32 exec_lo, exec_lo, s0
	s_cbranch_execz .LBB11_9
; %bb.21:                               ;   in Loop: Header=BB11_10 Depth=1
	v_lshrrev_b32_e32 v8, s1, v8
	s_delay_alu instid0(VALU_DEP_1)
	v_lshlrev_b32_e32 v8, 2, v8
	ds_add_u32 v8, v7
	s_branch .LBB11_9
.LBB11_22:
	s_and_b32 s2, s2, 3
	s_delay_alu instid0(SALU_CYCLE_1)
	s_cmp_eq_u32 s2, 0
	s_cbranch_scc1 .LBB11_28
; %bb.23:
	s_lshl_b32 s0, s13, 8
	v_mov_b32_e32 v4, 1
	v_add3_u32 v2, s0, s17, v0
	s_delay_alu instid0(VALU_DEP_1)
	v_mul_lo_u32 v3, s9, v2
	s_lshl_b32 s9, s9, 8
	s_branch .LBB11_25
.LBB11_24:                              ;   in Loop: Header=BB11_25 Depth=1
	s_or_b32 exec_lo, exec_lo, s10
	s_delay_alu instid0(VALU_DEP_2) | instskip(SKIP_2) | instid1(SALU_CYCLE_1)
	v_add_nc_u32_e32 v3, s9, v3
	v_add_nc_u32_e32 v2, 0x100, v2
	s_add_co_i32 s2, s2, -1
	s_cmp_lg_u32 s2, 0
	s_cbranch_scc0 .LBB11_28
.LBB11_25:                              ; =>This Inner Loop Header: Depth=1
	s_mov_b32 s10, exec_lo
	v_cmpx_gt_u32_e64 s14, v2
	s_cbranch_execz .LBB11_24
; %bb.26:                               ;   in Loop: Header=BB11_25 Depth=1
	global_load_u8 v5, v3, s[4:5]
	s_wait_loadcnt 0x0
	v_bitop3_b32 v6, s8, s3, v5 bitop3:0x48
	s_delay_alu instid0(VALU_DEP_1)
	v_cmp_eq_u32_e64 s0, 0, v6
	s_and_b32 exec_lo, exec_lo, s0
	s_cbranch_execz .LBB11_24
; %bb.27:                               ;   in Loop: Header=BB11_25 Depth=1
	v_lshrrev_b32_e32 v5, s1, v5
	s_delay_alu instid0(VALU_DEP_1)
	v_lshlrev_b32_e32 v5, 2, v5
	ds_add_u32 v5, v4
	s_branch .LBB11_24
.LBB11_28:
	s_wait_dscnt 0x0
	s_barrier_signal -1
	s_barrier_wait -1
	s_and_saveexec_b32 s0, vcc_lo
	s_cbranch_execz .LBB11_30
; %bb.29:
	ds_load_b32 v1, v1
	v_lshl_or_b32 v0, s16, 8, v0
	s_wait_dscnt 0x0
	global_store_b16 v0, v1, s[6:7] scale_offset
.LBB11_30:
	s_endpgm
	.section	.rodata,"a",@progbits
	.p2align	6, 0x0
	.amdhsa_kernel _ZN2at6native6mbtopk23computeBlockDigitCountsIhjjLin1EEEvNS_4cuda6detail10TensorInfoIKT_T0_EEjPjjS8_iijT1_PSB_Ps
		.amdhsa_group_segment_fixed_size 1024
		.amdhsa_private_segment_fixed_size 0
		.amdhsa_kernarg_size 528
		.amdhsa_user_sgpr_count 2
		.amdhsa_user_sgpr_dispatch_ptr 0
		.amdhsa_user_sgpr_queue_ptr 0
		.amdhsa_user_sgpr_kernarg_segment_ptr 1
		.amdhsa_user_sgpr_dispatch_id 0
		.amdhsa_user_sgpr_kernarg_preload_length 0
		.amdhsa_user_sgpr_kernarg_preload_offset 0
		.amdhsa_user_sgpr_private_segment_size 0
		.amdhsa_wavefront_size32 1
		.amdhsa_uses_dynamic_stack 0
		.amdhsa_enable_private_segment 0
		.amdhsa_system_sgpr_workgroup_id_x 1
		.amdhsa_system_sgpr_workgroup_id_y 1
		.amdhsa_system_sgpr_workgroup_id_z 1
		.amdhsa_system_sgpr_workgroup_info 0
		.amdhsa_system_vgpr_workitem_id 0
		.amdhsa_next_free_vgpr 10
		.amdhsa_next_free_sgpr 24
		.amdhsa_named_barrier_count 0
		.amdhsa_reserve_vcc 1
		.amdhsa_float_round_mode_32 0
		.amdhsa_float_round_mode_16_64 0
		.amdhsa_float_denorm_mode_32 3
		.amdhsa_float_denorm_mode_16_64 3
		.amdhsa_fp16_overflow 0
		.amdhsa_memory_ordered 1
		.amdhsa_forward_progress 1
		.amdhsa_inst_pref_size 12
		.amdhsa_round_robin_scheduling 0
		.amdhsa_exception_fp_ieee_invalid_op 0
		.amdhsa_exception_fp_denorm_src 0
		.amdhsa_exception_fp_ieee_div_zero 0
		.amdhsa_exception_fp_ieee_overflow 0
		.amdhsa_exception_fp_ieee_underflow 0
		.amdhsa_exception_fp_ieee_inexact 0
		.amdhsa_exception_int_div_zero 0
	.end_amdhsa_kernel
	.section	.text._ZN2at6native6mbtopk23computeBlockDigitCountsIhjjLin1EEEvNS_4cuda6detail10TensorInfoIKT_T0_EEjPjjS8_iijT1_PSB_Ps,"axG",@progbits,_ZN2at6native6mbtopk23computeBlockDigitCountsIhjjLin1EEEvNS_4cuda6detail10TensorInfoIKT_T0_EEjPjjS8_iijT1_PSB_Ps,comdat
.Lfunc_end11:
	.size	_ZN2at6native6mbtopk23computeBlockDigitCountsIhjjLin1EEEvNS_4cuda6detail10TensorInfoIKT_T0_EEjPjjS8_iijT1_PSB_Ps, .Lfunc_end11-_ZN2at6native6mbtopk23computeBlockDigitCountsIhjjLin1EEEvNS_4cuda6detail10TensorInfoIKT_T0_EEjPjjS8_iijT1_PSB_Ps
                                        ; -- End function
	.set _ZN2at6native6mbtopk23computeBlockDigitCountsIhjjLin1EEEvNS_4cuda6detail10TensorInfoIKT_T0_EEjPjjS8_iijT1_PSB_Ps.num_vgpr, 10
	.set _ZN2at6native6mbtopk23computeBlockDigitCountsIhjjLin1EEEvNS_4cuda6detail10TensorInfoIKT_T0_EEjPjjS8_iijT1_PSB_Ps.num_agpr, 0
	.set _ZN2at6native6mbtopk23computeBlockDigitCountsIhjjLin1EEEvNS_4cuda6detail10TensorInfoIKT_T0_EEjPjjS8_iijT1_PSB_Ps.numbered_sgpr, 24
	.set _ZN2at6native6mbtopk23computeBlockDigitCountsIhjjLin1EEEvNS_4cuda6detail10TensorInfoIKT_T0_EEjPjjS8_iijT1_PSB_Ps.num_named_barrier, 0
	.set _ZN2at6native6mbtopk23computeBlockDigitCountsIhjjLin1EEEvNS_4cuda6detail10TensorInfoIKT_T0_EEjPjjS8_iijT1_PSB_Ps.private_seg_size, 0
	.set _ZN2at6native6mbtopk23computeBlockDigitCountsIhjjLin1EEEvNS_4cuda6detail10TensorInfoIKT_T0_EEjPjjS8_iijT1_PSB_Ps.uses_vcc, 1
	.set _ZN2at6native6mbtopk23computeBlockDigitCountsIhjjLin1EEEvNS_4cuda6detail10TensorInfoIKT_T0_EEjPjjS8_iijT1_PSB_Ps.uses_flat_scratch, 0
	.set _ZN2at6native6mbtopk23computeBlockDigitCountsIhjjLin1EEEvNS_4cuda6detail10TensorInfoIKT_T0_EEjPjjS8_iijT1_PSB_Ps.has_dyn_sized_stack, 0
	.set _ZN2at6native6mbtopk23computeBlockDigitCountsIhjjLin1EEEvNS_4cuda6detail10TensorInfoIKT_T0_EEjPjjS8_iijT1_PSB_Ps.has_recursion, 0
	.set _ZN2at6native6mbtopk23computeBlockDigitCountsIhjjLin1EEEvNS_4cuda6detail10TensorInfoIKT_T0_EEjPjjS8_iijT1_PSB_Ps.has_indirect_call, 0
	.section	.AMDGPU.csdata,"",@progbits
; Kernel info:
; codeLenInByte = 1444
; TotalNumSgprs: 26
; NumVgprs: 10
; ScratchSize: 0
; MemoryBound: 0
; FloatMode: 240
; IeeeMode: 1
; LDSByteSize: 1024 bytes/workgroup (compile time only)
; SGPRBlocks: 0
; VGPRBlocks: 0
; NumSGPRsForWavesPerEU: 26
; NumVGPRsForWavesPerEU: 10
; NamedBarCnt: 0
; Occupancy: 16
; WaveLimiterHint : 1
; COMPUTE_PGM_RSRC2:SCRATCH_EN: 0
; COMPUTE_PGM_RSRC2:USER_SGPR: 2
; COMPUTE_PGM_RSRC2:TRAP_HANDLER: 0
; COMPUTE_PGM_RSRC2:TGID_X_EN: 1
; COMPUTE_PGM_RSRC2:TGID_Y_EN: 1
; COMPUTE_PGM_RSRC2:TGID_Z_EN: 1
; COMPUTE_PGM_RSRC2:TIDIG_COMP_CNT: 0
	.section	.text._ZN2at6native6mbtopk10gatherTopKIhjLin1EEEvNS_4cuda6detail10TensorInfoIKT_T0_EES8_S8_bjS8_NS5_IS6_S8_EES8_NS5_IlS8_EES8_jjPS6_PjSD_j,"axG",@progbits,_ZN2at6native6mbtopk10gatherTopKIhjLin1EEEvNS_4cuda6detail10TensorInfoIKT_T0_EES8_S8_bjS8_NS5_IS6_S8_EES8_NS5_IlS8_EES8_jjPS6_PjSD_j,comdat
	.protected	_ZN2at6native6mbtopk10gatherTopKIhjLin1EEEvNS_4cuda6detail10TensorInfoIKT_T0_EES8_S8_bjS8_NS5_IS6_S8_EES8_NS5_IlS8_EES8_jjPS6_PjSD_j ; -- Begin function _ZN2at6native6mbtopk10gatherTopKIhjLin1EEEvNS_4cuda6detail10TensorInfoIKT_T0_EES8_S8_bjS8_NS5_IS6_S8_EES8_NS5_IlS8_EES8_jjPS6_PjSD_j
	.globl	_ZN2at6native6mbtopk10gatherTopKIhjLin1EEEvNS_4cuda6detail10TensorInfoIKT_T0_EES8_S8_bjS8_NS5_IS6_S8_EES8_NS5_IlS8_EES8_jjPS6_PjSD_j
	.p2align	8
	.type	_ZN2at6native6mbtopk10gatherTopKIhjLin1EEEvNS_4cuda6detail10TensorInfoIKT_T0_EES8_S8_bjS8_NS5_IS6_S8_EES8_NS5_IlS8_EES8_jjPS6_PjSD_j,@function
_ZN2at6native6mbtopk10gatherTopKIhjLin1EEEvNS_4cuda6detail10TensorInfoIKT_T0_EES8_S8_bjS8_NS5_IS6_S8_EES8_NS5_IlS8_EES8_jjPS6_PjSD_j: ; @_ZN2at6native6mbtopk10gatherTopKIhjLin1EEEvNS_4cuda6detail10TensorInfoIKT_T0_EES8_S8_bjS8_NS5_IS6_S8_EES8_NS5_IlS8_EES8_jjPS6_PjSD_j
; %bb.0:
	s_bfe_u32 s2, ttmp6, 0x40010
	s_and_b32 s4, ttmp7, 0xffff
	s_add_co_i32 s5, s2, 1
	s_clause 0x1
	s_load_b32 s6, s[0:1], 0x2d0
	s_load_b64 s[2:3], s[0:1], 0x2d8
	s_bfe_u32 s8, ttmp6, 0x4000c
	s_mul_i32 s5, s4, s5
	s_bfe_u32 s7, ttmp6, 0x40004
	s_add_co_i32 s8, s8, 1
	s_bfe_u32 s9, ttmp6, 0x40014
	s_add_co_i32 s7, s7, s5
	s_and_b32 s5, ttmp6, 15
	s_mul_i32 s8, ttmp9, s8
	s_lshr_b32 s10, ttmp7, 16
	s_add_co_i32 s9, s9, 1
	s_add_co_i32 s5, s5, s8
	s_mul_i32 s8, s10, s9
	s_bfe_u32 s9, ttmp6, 0x40008
	s_getreg_b32 s11, hwreg(HW_REG_IB_STS2, 6, 4)
	s_add_co_i32 s9, s9, s8
	s_cmp_eq_u32 s11, 0
	s_mov_b32 s17, 0
	s_cselect_b32 s8, s10, s9
	s_cselect_b32 s4, s4, s7
	s_wait_kmcnt 0x0
	s_mul_i32 s3, s3, s8
	s_cselect_b32 s5, ttmp9, s5
	s_add_co_i32 s3, s3, s4
	s_delay_alu instid0(SALU_CYCLE_1) | instskip(NEXT) | instid1(SALU_CYCLE_1)
	s_mul_i32 s8, s3, s2
	s_add_co_i32 s8, s8, s5
	s_delay_alu instid0(SALU_CYCLE_1)
	s_cmp_ge_u32 s8, s6
	s_cbranch_scc1 .LBB12_49
; %bb.1:
	s_clause 0x1
	s_load_b96 s[12:14], s[0:1], 0x2a8
	s_load_b32 s2, s[0:1], 0xd0
	s_wait_kmcnt 0x0
	s_cvt_f32_u32 s3, s14
	s_sub_co_i32 s4, 0, s14
	s_delay_alu instid0(SALU_CYCLE_2) | instskip(SKIP_1) | instid1(TRANS32_DEP_1)
	v_rcp_iflag_f32_e32 v1, s3
	v_nop
	v_readfirstlane_b32 s3, v1
	s_mul_f32 s3, s3, 0x4f7ffffe
	s_delay_alu instid0(SALU_CYCLE_3) | instskip(NEXT) | instid1(SALU_CYCLE_3)
	s_cvt_u32_f32 s3, s3
	s_mul_i32 s4, s4, s3
	s_delay_alu instid0(SALU_CYCLE_1) | instskip(NEXT) | instid1(SALU_CYCLE_1)
	s_mul_hi_u32 s4, s3, s4
	s_add_co_i32 s3, s3, s4
	s_delay_alu instid0(SALU_CYCLE_1) | instskip(NEXT) | instid1(SALU_CYCLE_1)
	s_mul_hi_u32 s3, s8, s3
	s_mul_i32 s4, s3, s14
	s_add_co_i32 s5, s3, 1
	s_sub_co_i32 s4, s8, s4
	s_delay_alu instid0(SALU_CYCLE_1)
	s_sub_co_i32 s6, s4, s14
	s_cmp_ge_u32 s4, s14
	s_cselect_b32 s3, s5, s3
	s_cselect_b32 s4, s6, s4
	s_add_co_i32 s5, s3, 1
	s_cmp_ge_u32 s4, s14
	s_cselect_b32 s9, s5, s3
	s_cmp_lt_i32 s2, 2
	s_mov_b32 s15, s9
	s_cbranch_scc1 .LBB12_4
; %bb.2:
	s_add_co_i32 s16, s2, -1
	s_mov_b32 s15, s9
	s_lshl_b64 s[4:5], s[16:17], 2
	s_delay_alu instid0(SALU_CYCLE_1)
	s_add_nc_u64 s[6:7], s[0:1], s[4:5]
	s_add_co_i32 s4, s2, 1
	s_add_nc_u64 s[2:3], s[6:7], 8
.LBB12_3:                               ; =>This Inner Loop Header: Depth=1
	s_clause 0x1
	s_load_b32 s5, s[2:3], 0x0
	s_load_b32 s6, s[2:3], 0x64
	s_mov_b32 s11, s15
	s_wait_xcnt 0x0
	s_add_nc_u64 s[2:3], s[2:3], -4
	s_wait_kmcnt 0x0
	s_cvt_f32_u32 s7, s5
	s_sub_co_i32 s10, 0, s5
	s_delay_alu instid0(SALU_CYCLE_2) | instskip(SKIP_1) | instid1(TRANS32_DEP_1)
	v_rcp_iflag_f32_e32 v1, s7
	v_nop
	v_readfirstlane_b32 s7, v1
	s_mul_f32 s7, s7, 0x4f7ffffe
	s_delay_alu instid0(SALU_CYCLE_3) | instskip(NEXT) | instid1(SALU_CYCLE_3)
	s_cvt_u32_f32 s7, s7
	s_mul_i32 s10, s10, s7
	s_delay_alu instid0(SALU_CYCLE_1) | instskip(NEXT) | instid1(SALU_CYCLE_1)
	s_mul_hi_u32 s10, s7, s10
	s_add_co_i32 s7, s7, s10
	s_delay_alu instid0(SALU_CYCLE_1) | instskip(NEXT) | instid1(SALU_CYCLE_1)
	s_mul_hi_u32 s7, s15, s7
	s_mul_i32 s10, s7, s5
	s_delay_alu instid0(SALU_CYCLE_1)
	s_sub_co_i32 s10, s15, s10
	s_add_co_i32 s15, s7, 1
	s_sub_co_i32 s16, s10, s5
	s_cmp_ge_u32 s10, s5
	s_cselect_b32 s7, s15, s7
	s_cselect_b32 s10, s16, s10
	s_add_co_i32 s15, s7, 1
	s_cmp_ge_u32 s10, s5
	s_cselect_b32 s15, s15, s7
	s_add_co_i32 s4, s4, -1
	s_mul_i32 s5, s15, s5
	s_delay_alu instid0(SALU_CYCLE_1) | instskip(NEXT) | instid1(SALU_CYCLE_1)
	s_sub_co_i32 s5, s11, s5
	s_mul_i32 s5, s6, s5
	s_delay_alu instid0(SALU_CYCLE_1)
	s_add_co_i32 s17, s5, s17
	s_cmp_gt_u32 s4, 2
	s_cbranch_scc1 .LBB12_3
.LBB12_4:
	s_load_b32 s4, s[0:1], 0x1c0
	s_add_nc_u64 s[2:3], s[0:1], 0xf0
	s_mov_b32 s19, 0
	s_mov_b32 s16, s9
	s_wait_kmcnt 0x0
	s_cmp_lt_i32 s4, 2
	s_cbranch_scc1 .LBB12_7
; %bb.5:
	s_add_co_i32 s18, s4, -1
	s_mov_b32 s16, s9
	s_lshl_b64 s[6:7], s[18:19], 2
	s_delay_alu instid0(SALU_CYCLE_1)
	s_add_nc_u64 s[10:11], s[2:3], s[6:7]
	s_add_co_i32 s6, s4, 1
	s_add_nc_u64 s[4:5], s[10:11], 8
.LBB12_6:                               ; =>This Inner Loop Header: Depth=1
	s_clause 0x1
	s_load_b32 s7, s[4:5], 0x0
	s_load_b32 s10, s[4:5], 0x64
	s_mov_b32 s20, s16
	s_wait_xcnt 0x0
	s_add_nc_u64 s[4:5], s[4:5], -4
	s_wait_kmcnt 0x0
	s_cvt_f32_u32 s11, s7
	s_sub_co_i32 s18, 0, s7
	s_delay_alu instid0(SALU_CYCLE_2) | instskip(SKIP_1) | instid1(TRANS32_DEP_1)
	v_rcp_iflag_f32_e32 v1, s11
	v_nop
	v_readfirstlane_b32 s11, v1
	s_mul_f32 s11, s11, 0x4f7ffffe
	s_delay_alu instid0(SALU_CYCLE_3) | instskip(NEXT) | instid1(SALU_CYCLE_3)
	s_cvt_u32_f32 s11, s11
	s_mul_i32 s18, s18, s11
	s_delay_alu instid0(SALU_CYCLE_1) | instskip(NEXT) | instid1(SALU_CYCLE_1)
	s_mul_hi_u32 s18, s11, s18
	s_add_co_i32 s11, s11, s18
	s_delay_alu instid0(SALU_CYCLE_1) | instskip(NEXT) | instid1(SALU_CYCLE_1)
	s_mul_hi_u32 s11, s16, s11
	s_mul_i32 s16, s11, s7
	s_add_co_i32 s18, s11, 1
	s_sub_co_i32 s16, s20, s16
	s_delay_alu instid0(SALU_CYCLE_1)
	s_sub_co_i32 s21, s16, s7
	s_cmp_ge_u32 s16, s7
	s_cselect_b32 s11, s18, s11
	s_cselect_b32 s16, s21, s16
	s_add_co_i32 s18, s11, 1
	s_cmp_ge_u32 s16, s7
	s_cselect_b32 s16, s18, s11
	s_add_co_i32 s6, s6, -1
	s_mul_i32 s7, s16, s7
	s_delay_alu instid0(SALU_CYCLE_1) | instskip(NEXT) | instid1(SALU_CYCLE_1)
	s_sub_co_i32 s7, s20, s7
	s_mul_i32 s7, s10, s7
	s_delay_alu instid0(SALU_CYCLE_1)
	s_add_co_i32 s19, s7, s19
	s_cmp_gt_u32 s6, 2
	s_cbranch_scc1 .LBB12_6
.LBB12_7:
	s_clause 0x1
	s_load_b32 s18, s[0:1], 0x6c
	s_load_b32 s4, s[0:1], 0x2a0
	s_mov_b32 s21, 0
	s_mov_b32 s20, s9
	s_wait_kmcnt 0x0
	s_cmp_lt_i32 s4, 2
	s_cbranch_scc1 .LBB12_10
; %bb.8:
	s_add_co_i32 s20, s4, -1
	s_add_nc_u64 s[6:7], s[0:1], 0x1d0
	s_lshl_b64 s[10:11], s[20:21], 2
	s_mov_b32 s20, s9
	s_add_nc_u64 s[10:11], s[6:7], s[10:11]
	s_add_co_i32 s6, s4, 1
	s_add_nc_u64 s[4:5], s[10:11], 8
.LBB12_9:                               ; =>This Inner Loop Header: Depth=1
	s_clause 0x1
	s_load_b32 s7, s[4:5], 0x0
	s_load_b32 s10, s[4:5], 0x64
	s_mov_b32 s23, s20
	s_wait_xcnt 0x0
	s_add_nc_u64 s[4:5], s[4:5], -4
	s_wait_kmcnt 0x0
	s_cvt_f32_u32 s11, s7
	s_sub_co_i32 s22, 0, s7
	s_delay_alu instid0(SALU_CYCLE_2) | instskip(SKIP_1) | instid1(TRANS32_DEP_1)
	v_rcp_iflag_f32_e32 v1, s11
	v_nop
	v_readfirstlane_b32 s11, v1
	s_mul_f32 s11, s11, 0x4f7ffffe
	s_delay_alu instid0(SALU_CYCLE_3) | instskip(NEXT) | instid1(SALU_CYCLE_3)
	s_cvt_u32_f32 s11, s11
	s_mul_i32 s22, s22, s11
	s_delay_alu instid0(SALU_CYCLE_1) | instskip(NEXT) | instid1(SALU_CYCLE_1)
	s_mul_hi_u32 s22, s11, s22
	s_add_co_i32 s11, s11, s22
	s_delay_alu instid0(SALU_CYCLE_1) | instskip(NEXT) | instid1(SALU_CYCLE_1)
	s_mul_hi_u32 s11, s20, s11
	s_mul_i32 s20, s11, s7
	s_add_co_i32 s22, s11, 1
	s_sub_co_i32 s20, s23, s20
	s_delay_alu instid0(SALU_CYCLE_1)
	s_sub_co_i32 s24, s20, s7
	s_cmp_ge_u32 s20, s7
	s_cselect_b32 s11, s22, s11
	s_cselect_b32 s20, s24, s20
	s_add_co_i32 s22, s11, 1
	s_cmp_ge_u32 s20, s7
	s_cselect_b32 s20, s22, s11
	s_add_co_i32 s6, s6, -1
	s_mul_i32 s7, s20, s7
	s_delay_alu instid0(SALU_CYCLE_1) | instskip(NEXT) | instid1(SALU_CYCLE_1)
	s_sub_co_i32 s7, s23, s7
	s_mul_i32 s7, s10, s7
	s_delay_alu instid0(SALU_CYCLE_1)
	s_add_co_i32 s21, s7, s21
	s_cmp_gt_u32 s6, 2
	s_cbranch_scc1 .LBB12_9
.LBB12_10:
	s_clause 0x1
	s_load_b32 s30, s[2:3], 0x6c
	s_load_b128 s[4:7], s[0:1], 0x2b8
	v_mov_b32_e32 v1, s9
	s_wait_xcnt 0x0
	v_cmp_ne_u32_e64 s2, 0, v0
	v_cmp_eq_u32_e64 s3, 0, v0
	s_wait_kmcnt 0x0
	global_load_u8 v8, v1, s[4:5]
	s_wait_xcnt 0x0
	s_mul_i32 s4, s9, s14
	s_mov_b32 s5, 0
	s_sub_co_i32 s31, s8, s4
	s_and_saveexec_b32 s33, s3
	s_cbranch_execz .LBB12_26
; %bb.11:
	s_load_b64 s[24:25], s[0:1], 0x2c8
	s_lshl_b64 s[26:27], s[4:5], 2
	s_cmp_lt_u32 s14, 4
	s_cbranch_scc1 .LBB12_23
; %bb.12:
	s_mov_b64 s[22:23], 0
	s_mov_b32 s4, 0
.LBB12_13:                              ; =>This Inner Loop Header: Depth=1
	s_add_nc_u64 s[28:29], s[6:7], s[26:27]
	s_cmp_ge_u32 s4, s31
	s_load_b128 s[8:11], s[28:29], 0x0
	s_wait_kmcnt 0x0
	s_add_nc_u64 s[28:29], s[24:25], s[26:27]
	s_cbranch_scc0 .LBB12_20
; %bb.14:                               ;   in Loop: Header=BB12_13 Depth=1
	s_add_co_i32 s34, s4, 1
	s_delay_alu instid0(SALU_CYCLE_1)
	s_cmp_ge_u32 s34, s31
	s_cbranch_scc0 .LBB12_21
.LBB12_15:                              ;   in Loop: Header=BB12_13 Depth=1
	s_add_co_i32 s34, s34, 1
	s_delay_alu instid0(SALU_CYCLE_1)
	s_cmp_ge_u32 s34, s31
	s_cbranch_scc0 .LBB12_22
.LBB12_16:                              ;   in Loop: Header=BB12_13 Depth=1
	s_add_co_i32 s34, s34, 1
	s_delay_alu instid0(SALU_CYCLE_1)
	s_cmp_ge_u32 s34, s31
	s_cbranch_scc1 .LBB12_18
.LBB12_17:                              ;   in Loop: Header=BB12_13 Depth=1
	s_load_b32 s28, s[28:29], 0xc
	s_add_co_i32 s23, s11, s23
	s_wait_kmcnt 0x0
	s_add_co_i32 s22, s28, s22
.LBB12_18:                              ;   in Loop: Header=BB12_13 Depth=1
	s_add_co_i32 s5, s8, s5
	s_add_co_i32 s8, s34, 1
	;; [unrolled: 1-line block ×5, first 2 shown]
	s_add_nc_u64 s[6:7], s[6:7], 16
	s_add_co_i32 s5, s5, s11
	s_cmp_ge_u32 s9, s14
	s_add_nc_u64 s[24:25], s[24:25], 16
	s_cbranch_scc1 .LBB12_24
; %bb.19:                               ;   in Loop: Header=BB12_13 Depth=1
	s_mov_b32 s4, s8
	s_branch .LBB12_13
.LBB12_20:                              ;   in Loop: Header=BB12_13 Depth=1
	s_load_b32 s34, s[28:29], 0x0
	s_add_co_i32 s23, s8, s23
	s_wait_kmcnt 0x0
	s_add_co_i32 s22, s34, s22
	s_add_co_i32 s34, s4, 1
	s_delay_alu instid0(SALU_CYCLE_1)
	s_cmp_ge_u32 s34, s31
	s_cbranch_scc1 .LBB12_15
.LBB12_21:                              ;   in Loop: Header=BB12_13 Depth=1
	s_load_b32 s35, s[28:29], 0x4
	s_add_co_i32 s23, s9, s23
	s_wait_kmcnt 0x0
	s_add_co_i32 s22, s35, s22
	s_add_co_i32 s34, s34, 1
	s_delay_alu instid0(SALU_CYCLE_1)
	s_cmp_ge_u32 s34, s31
	s_cbranch_scc1 .LBB12_16
.LBB12_22:                              ;   in Loop: Header=BB12_13 Depth=1
	s_load_b32 s35, s[28:29], 0x8
	s_add_co_i32 s23, s10, s23
	s_wait_kmcnt 0x0
	s_add_co_i32 s22, s35, s22
	s_add_co_i32 s34, s34, 1
	s_delay_alu instid0(SALU_CYCLE_1)
	s_cmp_ge_u32 s34, s31
	s_cbranch_scc0 .LBB12_17
	s_branch .LBB12_18
.LBB12_23:
	s_mov_b64 s[22:23], 0
	s_add_nc_u64 s[6:7], s[6:7], s[26:27]
	s_wait_kmcnt 0x0
	s_add_nc_u64 s[8:9], s[24:25], s[26:27]
	s_mov_b32 s4, 0
	s_delay_alu instid0(SALU_CYCLE_1)
	s_cmp_ge_u32 s4, s14
	s_cbranch_scc0 .LBB12_47
	s_branch .LBB12_25
.LBB12_24:
	s_add_co_i32 s4, s4, 4
	s_add_nc_u64 s[8:9], s[24:25], s[26:27]
	s_add_nc_u64 s[6:7], s[6:7], s[26:27]
	s_cmp_ge_u32 s4, s14
	s_cbranch_scc0 .LBB12_47
.LBB12_25:
	v_dual_mov_b32 v2, s22 :: v_dual_mov_b32 v3, s5
	v_dual_mov_b32 v4, s23 :: v_dual_mov_b32 v1, 0
	ds_store_b96 v1, v[2:4] offset:1056
.LBB12_26:
	s_or_b32 exec_lo, exec_lo, s33
	s_clause 0x4
	s_load_b32 s26, s[0:1], 0x23c
	s_load_b64 s[8:9], s[0:1], 0x0
	s_load_b64 s[10:11], s[0:1], 0xf0
	;; [unrolled: 1-line block ×3, first 2 shown]
	s_load_b96 s[4:6], s[0:1], 0xd8
	s_mul_i32 s7, s13, s31
	s_mov_b32 s25, 0
	s_lshl_b32 s7, s7, 8
	s_add_co_i32 s31, s31, 1
	s_wait_loadcnt_dscnt 0x0
	s_barrier_signal -1
	s_barrier_wait -1
	s_wait_kmcnt 0x0
	s_sub_co_i32 s24, s4, s7
	s_delay_alu instid0(SALU_CYCLE_1) | instskip(NEXT) | instid1(SALU_CYCLE_1)
	s_add_nc_u64 s[28:29], s[24:25], 0xff
	s_lshr_b64 s[28:29], s[28:29], 8
	s_cmp_lt_u32 s31, s14
	s_cselect_b32 s13, s13, s28
	s_delay_alu instid0(SALU_CYCLE_1)
	s_cmp_eq_u32 s13, 0
	s_cbranch_scc1 .LBB12_49
; %bb.27:
	v_dual_mov_b32 v7, 0 :: v_dual_lshrrev_b32 v1, 3, v0
	s_mul_i32 s15, s18, s15
	s_mul_i32 s18, s26, s20
	v_dual_add_nc_u32 v5, -1, v0 :: v_dual_add_nc_u32 v6, s7, v0
	ds_load_b96 v[2:4], v7 offset:1056
	s_clause 0x1
	s_load_b32 s20, s[0:1], 0xe8
	s_load_b32 s14, s[0:1], 0x1c8
	v_and_b32_e32 v1, 28, v1
	v_dual_lshrrev_b32 v10, 3, v5 :: v_dual_lshlrev_b32 v11, 5, v0
	s_wait_xcnt 0x0
	v_cmp_gt_u32_e64 s0, 32, v0
	v_and_b32_e32 v9, 0xfc, v0
	s_mul_i32 s16, s30, s16
	v_and_b32_e32 v10, 0x1ffffffc, v10
	s_mov_b32 s29, s25
	s_add_co_i32 s28, s18, s21
	s_add_co_i32 s26, s16, s19
	;; [unrolled: 1-line block ×3, first 2 shown]
	s_lshl_b64 s[16:17], s[28:29], 3
	v_lshl_add_u32 v5, v5, 2, v10
	v_and_b32_e32 v8, 0xff, v8
	s_mov_b32 s27, s25
	s_bitcmp1_b32 s6, 0
	s_add_nc_u64 s[8:9], s[8:9], s[24:25]
	s_add_nc_u64 s[10:11], s[10:11], s[26:27]
	s_wait_dscnt 0x0
	v_add_nc_u32_e32 v2, v2, v3
	s_wait_kmcnt 0x0
	v_mul_lo_u32 v3, s20, v6
	v_lshl_add_u32 v1, v0, 2, v1
	v_mbcnt_lo_u32_b32 v0, -1, 0
	v_add_nc_u32_e32 v9, v9, v11
	s_add_nc_u64 s[6:7], s[22:23], s[16:17]
	s_cselect_b32 s1, -1, 0
	s_lshl_b32 s15, s20, 8
	v_and_b32_e32 v10, 15, v0
	v_bfe_i32 v11, v0, 4, 1
	v_add_nc_u32_e32 v12, -1, v0
                                        ; implicit-def: $vgpr13
	s_branch .LBB12_30
.LBB12_28:                              ;   in Loop: Header=BB12_30 Depth=1
	s_wait_xcnt 0x0
	s_or_b32 exec_lo, exec_lo, s16
	v_add_nc_u32_e32 v2, v16, v2
.LBB12_29:                              ;   in Loop: Header=BB12_30 Depth=1
	v_dual_add_nc_u32 v4, v15, v4 :: v_dual_add_nc_u32 v3, s15, v3
	v_add_nc_u32_e32 v6, 0x100, v6
	s_add_co_i32 s13, s13, -1
	s_delay_alu instid0(SALU_CYCLE_1)
	s_cmp_lg_u32 s13, 0
	s_cbranch_scc0 .LBB12_49
.LBB12_30:                              ; =>This Inner Loop Header: Depth=1
	v_dual_mov_b32 v16, 0 :: v_dual_mov_b32 v14, 0
	s_mov_b32 s16, exec_lo
	v_cmpx_gt_u32_e64 s4, v6
	s_cbranch_execz .LBB12_32
; %bb.31:                               ;   in Loop: Header=BB12_30 Depth=1
	global_load_u8 v13, v3, s[8:9]
	s_wait_loadcnt 0x0
	v_cmp_gt_u16_e32 vcc_lo, v13, v8
	v_cndmask_b32_e64 v14, 0, 1, vcc_lo
	v_cmp_lt_u16_e32 vcc_lo, v13, v8
	v_cndmask_b32_e64 v15, 0, 1, vcc_lo
	v_cmp_eq_u16_e32 vcc_lo, v13, v8
	s_delay_alu instid0(VALU_DEP_2) | instskip(NEXT) | instid1(VALU_DEP_1)
	v_cndmask_b32_e64 v14, v15, v14, s1
	v_and_b32_e32 v16, 1, v14
	v_cndmask_b32_e64 v14, 0, 1, vcc_lo
.LBB12_32:                              ;   in Loop: Header=BB12_30 Depth=1
	s_wait_xcnt 0x0
	s_or_b32 exec_lo, exec_lo, s16
	ds_store_b32 v1, v16
	s_wait_dscnt 0x0
	s_barrier_signal -1
	s_barrier_wait -1
	s_and_saveexec_b32 s16, s0
	s_cbranch_execz .LBB12_34
; %bb.33:                               ;   in Loop: Header=BB12_30 Depth=1
	ds_load_2addr_b32 v[18:19], v9 offset1:1
	ds_load_2addr_b32 v[20:21], v9 offset0:2 offset1:3
	ds_load_2addr_b32 v[22:23], v9 offset0:4 offset1:5
	;; [unrolled: 1-line block ×3, first 2 shown]
	v_cmp_ne_u32_e32 vcc_lo, 0, v10
	; wave barrier
	s_wait_dscnt 0x3
	v_add_nc_u32_e32 v15, v19, v18
	s_wait_dscnt 0x2
	s_delay_alu instid0(VALU_DEP_1) | instskip(SKIP_1) | instid1(VALU_DEP_1)
	v_add3_u32 v15, v15, v20, v21
	s_wait_dscnt 0x1
	v_add3_u32 v15, v15, v22, v23
	s_wait_dscnt 0x0
	s_delay_alu instid0(VALU_DEP_1) | instskip(NEXT) | instid1(VALU_DEP_1)
	v_add3_u32 v15, v15, v24, v25
	v_mov_b32_dpp v17, v15 row_shr:1 row_mask:0xf bank_mask:0xf
	s_delay_alu instid0(VALU_DEP_1) | instskip(SKIP_1) | instid1(VALU_DEP_2)
	v_cndmask_b32_e32 v17, 0, v17, vcc_lo
	v_cmp_lt_u32_e32 vcc_lo, 1, v10
	v_add_nc_u32_e32 v15, v17, v15
	s_delay_alu instid0(VALU_DEP_1) | instskip(NEXT) | instid1(VALU_DEP_1)
	v_mov_b32_dpp v17, v15 row_shr:2 row_mask:0xf bank_mask:0xf
	v_cndmask_b32_e32 v17, 0, v17, vcc_lo
	v_cmp_lt_u32_e32 vcc_lo, 3, v10
	s_delay_alu instid0(VALU_DEP_2) | instskip(NEXT) | instid1(VALU_DEP_1)
	v_add_nc_u32_e32 v15, v15, v17
	v_mov_b32_dpp v17, v15 row_shr:4 row_mask:0xf bank_mask:0xf
	s_delay_alu instid0(VALU_DEP_1) | instskip(SKIP_1) | instid1(VALU_DEP_2)
	v_cndmask_b32_e32 v17, 0, v17, vcc_lo
	v_cmp_lt_u32_e32 vcc_lo, 7, v10
	v_add_nc_u32_e32 v15, v15, v17
	s_delay_alu instid0(VALU_DEP_1) | instskip(NEXT) | instid1(VALU_DEP_1)
	v_mov_b32_dpp v17, v15 row_shr:8 row_mask:0xf bank_mask:0xf
	v_cndmask_b32_e32 v17, 0, v17, vcc_lo
	v_cmp_gt_i32_e32 vcc_lo, 0, v12
	s_delay_alu instid0(VALU_DEP_2) | instskip(SKIP_3) | instid1(VALU_DEP_1)
	v_dual_add_nc_u32 v15, v15, v17 :: v_dual_cndmask_b32 v19, v12, v0, vcc_lo
	ds_swizzle_b32 v17, v15 offset:swizzle(BROADCAST,32,15)
	s_wait_dscnt 0x0
	v_dual_lshlrev_b32 v19, 2, v19 :: v_dual_bitop2_b32 v17, v11, v17 bitop3:0x40
	v_add_nc_u32_e32 v15, v15, v17
	ds_bpermute_b32 v15, v19, v15
	s_wait_dscnt 0x0
	v_add_nc_u32_e32 v15, v15, v18
	s_delay_alu instid0(VALU_DEP_1)
	v_cndmask_b32_e64 v15, v15, v16, s3
	ds_store_b32 v9, v15
	; wave barrier
	ds_load_2addr_b32 v[18:19], v9 offset0:1 offset1:2
	ds_load_2addr_b32 v[20:21], v9 offset0:3 offset1:4
	;; [unrolled: 1-line block ×3, first 2 shown]
	ds_load_b32 v17, v9 offset:28
	s_wait_dscnt 0x3
	v_add_nc_u32_e32 v15, v18, v15
	s_delay_alu instid0(VALU_DEP_1) | instskip(SKIP_1) | instid1(VALU_DEP_1)
	v_add_nc_u32_e32 v18, v19, v15
	s_wait_dscnt 0x2
	v_add_nc_u32_e32 v19, v20, v18
	s_delay_alu instid0(VALU_DEP_1) | instskip(SKIP_1) | instid1(VALU_DEP_1)
	v_add_nc_u32_e32 v20, v21, v19
	s_wait_dscnt 0x1
	v_add_nc_u32_e32 v21, v22, v20
	s_delay_alu instid0(VALU_DEP_1) | instskip(SKIP_1) | instid1(VALU_DEP_1)
	v_add_nc_u32_e32 v22, v23, v21
	s_wait_dscnt 0x0
	v_add_nc_u32_e32 v17, v17, v22
	ds_store_2addr_b32 v9, v15, v18 offset0:1 offset1:2
	ds_store_2addr_b32 v9, v19, v20 offset0:3 offset1:4
	;; [unrolled: 1-line block ×3, first 2 shown]
	ds_store_b32 v9, v17 offset:28
.LBB12_34:                              ;   in Loop: Header=BB12_30 Depth=1
	s_or_b32 exec_lo, exec_lo, s16
	v_mov_b32_e32 v17, 0
	s_wait_dscnt 0x0
	s_barrier_signal -1
	s_barrier_wait -1
	s_and_saveexec_b32 s16, s2
; %bb.35:                               ;   in Loop: Header=BB12_30 Depth=1
	ds_load_b32 v17, v5
; %bb.36:                               ;   in Loop: Header=BB12_30 Depth=1
	s_or_b32 exec_lo, exec_lo, s16
	ds_load_b32 v15, v7 offset:1048
	s_mov_b32 s16, exec_lo
	s_wait_dscnt 0x0
	s_barrier_signal -1
	s_barrier_wait -1
	v_cmpx_ne_u32_e32 0, v16
	s_cbranch_execz .LBB12_38
; %bb.37:                               ;   in Loop: Header=BB12_30 Depth=1
	v_add_nc_u32_e32 v16, v17, v4
	s_delay_alu instid0(VALU_DEP_1)
	v_mul_lo_u32 v17, v16, s14
	v_mul_lo_u32 v16, v16, s12
	global_store_b8 v17, v13, s[10:11]
	global_store_b64 v16, v[6:7], s[6:7] scale_offset
.LBB12_38:                              ;   in Loop: Header=BB12_30 Depth=1
	s_wait_xcnt 0x0
	s_or_b32 exec_lo, exec_lo, s16
	v_cmp_le_u32_e32 vcc_lo, s5, v2
	s_cbranch_vccnz .LBB12_29
; %bb.39:                               ;   in Loop: Header=BB12_30 Depth=1
	ds_store_b32 v1, v14
	s_wait_storecnt_dscnt 0x0
	s_barrier_signal -1
	s_barrier_wait -1
	s_and_saveexec_b32 s16, s0
	s_cbranch_execz .LBB12_41
; %bb.40:                               ;   in Loop: Header=BB12_30 Depth=1
	ds_load_2addr_b32 v[16:17], v9 offset1:1
	ds_load_2addr_b32 v[18:19], v9 offset0:2 offset1:3
	ds_load_2addr_b32 v[20:21], v9 offset0:4 offset1:5
	;; [unrolled: 1-line block ×3, first 2 shown]
	v_cmp_ne_u32_e32 vcc_lo, 0, v10
	; wave barrier
	s_wait_dscnt 0x3
	v_add_nc_u32_e32 v17, v17, v16
	s_wait_dscnt 0x2
	s_delay_alu instid0(VALU_DEP_1) | instskip(SKIP_1) | instid1(VALU_DEP_1)
	v_add3_u32 v17, v17, v18, v19
	s_wait_dscnt 0x1
	v_add3_u32 v17, v17, v20, v21
	s_wait_dscnt 0x0
	s_delay_alu instid0(VALU_DEP_1) | instskip(NEXT) | instid1(VALU_DEP_1)
	v_add3_u32 v17, v17, v22, v23
	v_mov_b32_dpp v18, v17 row_shr:1 row_mask:0xf bank_mask:0xf
	s_delay_alu instid0(VALU_DEP_1) | instskip(SKIP_1) | instid1(VALU_DEP_2)
	v_cndmask_b32_e32 v18, 0, v18, vcc_lo
	v_cmp_lt_u32_e32 vcc_lo, 1, v10
	v_add_nc_u32_e32 v17, v18, v17
	s_delay_alu instid0(VALU_DEP_1) | instskip(NEXT) | instid1(VALU_DEP_1)
	v_mov_b32_dpp v18, v17 row_shr:2 row_mask:0xf bank_mask:0xf
	v_cndmask_b32_e32 v18, 0, v18, vcc_lo
	v_cmp_lt_u32_e32 vcc_lo, 3, v10
	s_delay_alu instid0(VALU_DEP_2) | instskip(NEXT) | instid1(VALU_DEP_1)
	v_add_nc_u32_e32 v17, v17, v18
	v_mov_b32_dpp v18, v17 row_shr:4 row_mask:0xf bank_mask:0xf
	s_delay_alu instid0(VALU_DEP_1) | instskip(SKIP_1) | instid1(VALU_DEP_2)
	v_cndmask_b32_e32 v18, 0, v18, vcc_lo
	v_cmp_lt_u32_e32 vcc_lo, 7, v10
	v_add_nc_u32_e32 v17, v17, v18
	s_delay_alu instid0(VALU_DEP_1) | instskip(NEXT) | instid1(VALU_DEP_1)
	v_mov_b32_dpp v18, v17 row_shr:8 row_mask:0xf bank_mask:0xf
	v_cndmask_b32_e32 v18, 0, v18, vcc_lo
	v_cmp_gt_i32_e32 vcc_lo, 0, v12
	s_delay_alu instid0(VALU_DEP_2) | instskip(SKIP_3) | instid1(VALU_DEP_1)
	v_dual_add_nc_u32 v17, v17, v18 :: v_dual_cndmask_b32 v19, v12, v0, vcc_lo
	ds_swizzle_b32 v18, v17 offset:swizzle(BROADCAST,32,15)
	s_wait_dscnt 0x0
	v_dual_lshlrev_b32 v19, 2, v19 :: v_dual_bitop2_b32 v18, v11, v18 bitop3:0x40
	v_add_nc_u32_e32 v17, v17, v18
	ds_bpermute_b32 v17, v19, v17
	s_wait_dscnt 0x0
	v_add_nc_u32_e32 v16, v17, v16
	s_delay_alu instid0(VALU_DEP_1)
	v_cndmask_b32_e64 v22, v16, v14, s3
	ds_store_b32 v9, v22
	; wave barrier
	ds_load_2addr_b32 v[16:17], v9 offset0:1 offset1:2
	ds_load_2addr_b32 v[18:19], v9 offset0:3 offset1:4
	;; [unrolled: 1-line block ×3, first 2 shown]
	ds_load_b32 v23, v9 offset:28
	s_wait_dscnt 0x3
	v_add_nc_u32_e32 v16, v16, v22
	s_delay_alu instid0(VALU_DEP_1) | instskip(SKIP_1) | instid1(VALU_DEP_1)
	v_add_nc_u32_e32 v17, v17, v16
	s_wait_dscnt 0x2
	v_add_nc_u32_e32 v18, v18, v17
	s_delay_alu instid0(VALU_DEP_1) | instskip(SKIP_1) | instid1(VALU_DEP_1)
	v_add_nc_u32_e32 v19, v19, v18
	s_wait_dscnt 0x1
	v_add_nc_u32_e32 v20, v20, v19
	s_delay_alu instid0(VALU_DEP_1) | instskip(SKIP_1) | instid1(VALU_DEP_1)
	v_add_nc_u32_e32 v21, v21, v20
	s_wait_dscnt 0x0
	v_add_nc_u32_e32 v22, v23, v21
	ds_store_2addr_b32 v9, v16, v17 offset0:1 offset1:2
	ds_store_2addr_b32 v9, v18, v19 offset0:3 offset1:4
	;; [unrolled: 1-line block ×3, first 2 shown]
	ds_store_b32 v9, v22 offset:28
.LBB12_41:                              ;   in Loop: Header=BB12_30 Depth=1
	s_or_b32 exec_lo, exec_lo, s16
	v_mov_b32_e32 v17, 0
	s_wait_dscnt 0x0
	s_barrier_signal -1
	s_barrier_wait -1
	s_and_saveexec_b32 s16, s2
; %bb.42:                               ;   in Loop: Header=BB12_30 Depth=1
	ds_load_b32 v17, v5
; %bb.43:                               ;   in Loop: Header=BB12_30 Depth=1
	s_or_b32 exec_lo, exec_lo, s16
	ds_load_b32 v16, v7 offset:1048
	s_mov_b32 s16, exec_lo
	s_wait_dscnt 0x0
	s_barrier_signal -1
	s_barrier_wait -1
	v_cmpx_ne_u32_e32 0, v14
	s_cbranch_execz .LBB12_28
; %bb.44:                               ;   in Loop: Header=BB12_30 Depth=1
	v_add_nc_u32_e32 v14, v17, v2
	s_delay_alu instid0(VALU_DEP_1)
	v_cmp_gt_u32_e32 vcc_lo, s5, v14
	s_and_b32 exec_lo, exec_lo, vcc_lo
	s_cbranch_execz .LBB12_28
; %bb.45:                               ;   in Loop: Header=BB12_30 Depth=1
	v_mul_lo_u32 v17, v14, s14
	v_mul_lo_u32 v14, v14, s12
	global_store_b8 v17, v13, s[10:11]
	global_store_b64 v14, v[6:7], s[6:7] scale_offset
	s_branch .LBB12_28
.LBB12_46:                              ;   in Loop: Header=BB12_47 Depth=1
	s_add_co_i32 s4, s4, 1
	s_wait_kmcnt 0x0
	s_add_co_i32 s5, s10, s5
	s_add_nc_u64 s[6:7], s[6:7], 4
	s_cmp_lt_u32 s4, s14
	s_add_nc_u64 s[8:9], s[8:9], 4
	s_cbranch_scc0 .LBB12_25
.LBB12_47:                              ; =>This Inner Loop Header: Depth=1
	s_load_b32 s10, s[6:7], 0x0
	s_cmp_ge_u32 s4, s31
	s_cbranch_scc1 .LBB12_46
; %bb.48:                               ;   in Loop: Header=BB12_47 Depth=1
	s_load_b32 s11, s[8:9], 0x0
	s_wait_kmcnt 0x0
	s_add_co_i32 s23, s10, s23
	s_add_co_i32 s22, s11, s22
	s_branch .LBB12_46
.LBB12_49:
	s_endpgm
	.section	.rodata,"a",@progbits
	.p2align	6, 0x0
	.amdhsa_kernel _ZN2at6native6mbtopk10gatherTopKIhjLin1EEEvNS_4cuda6detail10TensorInfoIKT_T0_EES8_S8_bjS8_NS5_IS6_S8_EES8_NS5_IlS8_EES8_jjPS6_PjSD_j
		.amdhsa_group_segment_fixed_size 1068
		.amdhsa_private_segment_fixed_size 0
		.amdhsa_kernarg_size 984
		.amdhsa_user_sgpr_count 2
		.amdhsa_user_sgpr_dispatch_ptr 0
		.amdhsa_user_sgpr_queue_ptr 0
		.amdhsa_user_sgpr_kernarg_segment_ptr 1
		.amdhsa_user_sgpr_dispatch_id 0
		.amdhsa_user_sgpr_kernarg_preload_length 0
		.amdhsa_user_sgpr_kernarg_preload_offset 0
		.amdhsa_user_sgpr_private_segment_size 0
		.amdhsa_wavefront_size32 1
		.amdhsa_uses_dynamic_stack 0
		.amdhsa_enable_private_segment 0
		.amdhsa_system_sgpr_workgroup_id_x 1
		.amdhsa_system_sgpr_workgroup_id_y 1
		.amdhsa_system_sgpr_workgroup_id_z 1
		.amdhsa_system_sgpr_workgroup_info 0
		.amdhsa_system_vgpr_workitem_id 0
		.amdhsa_next_free_vgpr 26
		.amdhsa_next_free_sgpr 36
		.amdhsa_named_barrier_count 0
		.amdhsa_reserve_vcc 1
		.amdhsa_float_round_mode_32 0
		.amdhsa_float_round_mode_16_64 0
		.amdhsa_float_denorm_mode_32 3
		.amdhsa_float_denorm_mode_16_64 3
		.amdhsa_fp16_overflow 0
		.amdhsa_memory_ordered 1
		.amdhsa_forward_progress 1
		.amdhsa_inst_pref_size 25
		.amdhsa_round_robin_scheduling 0
		.amdhsa_exception_fp_ieee_invalid_op 0
		.amdhsa_exception_fp_denorm_src 0
		.amdhsa_exception_fp_ieee_div_zero 0
		.amdhsa_exception_fp_ieee_overflow 0
		.amdhsa_exception_fp_ieee_underflow 0
		.amdhsa_exception_fp_ieee_inexact 0
		.amdhsa_exception_int_div_zero 0
	.end_amdhsa_kernel
	.section	.text._ZN2at6native6mbtopk10gatherTopKIhjLin1EEEvNS_4cuda6detail10TensorInfoIKT_T0_EES8_S8_bjS8_NS5_IS6_S8_EES8_NS5_IlS8_EES8_jjPS6_PjSD_j,"axG",@progbits,_ZN2at6native6mbtopk10gatherTopKIhjLin1EEEvNS_4cuda6detail10TensorInfoIKT_T0_EES8_S8_bjS8_NS5_IS6_S8_EES8_NS5_IlS8_EES8_jjPS6_PjSD_j,comdat
.Lfunc_end12:
	.size	_ZN2at6native6mbtopk10gatherTopKIhjLin1EEEvNS_4cuda6detail10TensorInfoIKT_T0_EES8_S8_bjS8_NS5_IS6_S8_EES8_NS5_IlS8_EES8_jjPS6_PjSD_j, .Lfunc_end12-_ZN2at6native6mbtopk10gatherTopKIhjLin1EEEvNS_4cuda6detail10TensorInfoIKT_T0_EES8_S8_bjS8_NS5_IS6_S8_EES8_NS5_IlS8_EES8_jjPS6_PjSD_j
                                        ; -- End function
	.set _ZN2at6native6mbtopk10gatherTopKIhjLin1EEEvNS_4cuda6detail10TensorInfoIKT_T0_EES8_S8_bjS8_NS5_IS6_S8_EES8_NS5_IlS8_EES8_jjPS6_PjSD_j.num_vgpr, 26
	.set _ZN2at6native6mbtopk10gatherTopKIhjLin1EEEvNS_4cuda6detail10TensorInfoIKT_T0_EES8_S8_bjS8_NS5_IS6_S8_EES8_NS5_IlS8_EES8_jjPS6_PjSD_j.num_agpr, 0
	.set _ZN2at6native6mbtopk10gatherTopKIhjLin1EEEvNS_4cuda6detail10TensorInfoIKT_T0_EES8_S8_bjS8_NS5_IS6_S8_EES8_NS5_IlS8_EES8_jjPS6_PjSD_j.numbered_sgpr, 36
	.set _ZN2at6native6mbtopk10gatherTopKIhjLin1EEEvNS_4cuda6detail10TensorInfoIKT_T0_EES8_S8_bjS8_NS5_IS6_S8_EES8_NS5_IlS8_EES8_jjPS6_PjSD_j.num_named_barrier, 0
	.set _ZN2at6native6mbtopk10gatherTopKIhjLin1EEEvNS_4cuda6detail10TensorInfoIKT_T0_EES8_S8_bjS8_NS5_IS6_S8_EES8_NS5_IlS8_EES8_jjPS6_PjSD_j.private_seg_size, 0
	.set _ZN2at6native6mbtopk10gatherTopKIhjLin1EEEvNS_4cuda6detail10TensorInfoIKT_T0_EES8_S8_bjS8_NS5_IS6_S8_EES8_NS5_IlS8_EES8_jjPS6_PjSD_j.uses_vcc, 1
	.set _ZN2at6native6mbtopk10gatherTopKIhjLin1EEEvNS_4cuda6detail10TensorInfoIKT_T0_EES8_S8_bjS8_NS5_IS6_S8_EES8_NS5_IlS8_EES8_jjPS6_PjSD_j.uses_flat_scratch, 0
	.set _ZN2at6native6mbtopk10gatherTopKIhjLin1EEEvNS_4cuda6detail10TensorInfoIKT_T0_EES8_S8_bjS8_NS5_IS6_S8_EES8_NS5_IlS8_EES8_jjPS6_PjSD_j.has_dyn_sized_stack, 0
	.set _ZN2at6native6mbtopk10gatherTopKIhjLin1EEEvNS_4cuda6detail10TensorInfoIKT_T0_EES8_S8_bjS8_NS5_IS6_S8_EES8_NS5_IlS8_EES8_jjPS6_PjSD_j.has_recursion, 0
	.set _ZN2at6native6mbtopk10gatherTopKIhjLin1EEEvNS_4cuda6detail10TensorInfoIKT_T0_EES8_S8_bjS8_NS5_IS6_S8_EES8_NS5_IlS8_EES8_jjPS6_PjSD_j.has_indirect_call, 0
	.section	.AMDGPU.csdata,"",@progbits
; Kernel info:
; codeLenInByte = 3132
; TotalNumSgprs: 38
; NumVgprs: 26
; ScratchSize: 0
; MemoryBound: 0
; FloatMode: 240
; IeeeMode: 1
; LDSByteSize: 1068 bytes/workgroup (compile time only)
; SGPRBlocks: 0
; VGPRBlocks: 1
; NumSGPRsForWavesPerEU: 38
; NumVGPRsForWavesPerEU: 26
; NamedBarCnt: 0
; Occupancy: 16
; WaveLimiterHint : 1
; COMPUTE_PGM_RSRC2:SCRATCH_EN: 0
; COMPUTE_PGM_RSRC2:USER_SGPR: 2
; COMPUTE_PGM_RSRC2:TRAP_HANDLER: 0
; COMPUTE_PGM_RSRC2:TGID_X_EN: 1
; COMPUTE_PGM_RSRC2:TGID_Y_EN: 1
; COMPUTE_PGM_RSRC2:TGID_Z_EN: 1
; COMPUTE_PGM_RSRC2:TIDIG_COMP_CNT: 0
	.section	.text._ZN2at6native6sbtopk10gatherTopKIhjLin1ELb0EEEvNS_4cuda6detail10TensorInfoIKT_T0_EES8_S8_bS8_S8_NS5_IS6_S8_EES8_NS5_IlS8_EES8_PS6_,"axG",@progbits,_ZN2at6native6sbtopk10gatherTopKIhjLin1ELb0EEEvNS_4cuda6detail10TensorInfoIKT_T0_EES8_S8_bS8_S8_NS5_IS6_S8_EES8_NS5_IlS8_EES8_PS6_,comdat
	.protected	_ZN2at6native6sbtopk10gatherTopKIhjLin1ELb0EEEvNS_4cuda6detail10TensorInfoIKT_T0_EES8_S8_bS8_S8_NS5_IS6_S8_EES8_NS5_IlS8_EES8_PS6_ ; -- Begin function _ZN2at6native6sbtopk10gatherTopKIhjLin1ELb0EEEvNS_4cuda6detail10TensorInfoIKT_T0_EES8_S8_bS8_S8_NS5_IS6_S8_EES8_NS5_IlS8_EES8_PS6_
	.globl	_ZN2at6native6sbtopk10gatherTopKIhjLin1ELb0EEEvNS_4cuda6detail10TensorInfoIKT_T0_EES8_S8_bS8_S8_NS5_IS6_S8_EES8_NS5_IlS8_EES8_PS6_
	.p2align	8
	.type	_ZN2at6native6sbtopk10gatherTopKIhjLin1ELb0EEEvNS_4cuda6detail10TensorInfoIKT_T0_EES8_S8_bS8_S8_NS5_IS6_S8_EES8_NS5_IlS8_EES8_PS6_,@function
_ZN2at6native6sbtopk10gatherTopKIhjLin1ELb0EEEvNS_4cuda6detail10TensorInfoIKT_T0_EES8_S8_bS8_S8_NS5_IS6_S8_EES8_NS5_IlS8_EES8_PS6_: ; @_ZN2at6native6sbtopk10gatherTopKIhjLin1ELb0EEEvNS_4cuda6detail10TensorInfoIKT_T0_EES8_S8_bS8_S8_NS5_IS6_S8_EES8_NS5_IlS8_EES8_PS6_
; %bb.0:
	s_clause 0x1
	s_load_b128 s[36:39], s[0:1], 0xd8
	s_load_b64 s[8:9], s[0:1], 0x2b8
	s_bfe_u32 s2, ttmp6, 0x40010
	s_and_b32 s3, ttmp7, 0xffff
	s_add_co_i32 s2, s2, 1
	s_bfe_u32 s5, ttmp6, 0x4000c
	s_mul_i32 s2, s3, s2
	s_bfe_u32 s4, ttmp6, 0x40004
	s_add_co_i32 s5, s5, 1
	s_bfe_u32 s6, ttmp6, 0x40014
	s_add_co_i32 s4, s4, s2
	s_and_b32 s2, ttmp6, 15
	s_mul_i32 s5, ttmp9, s5
	s_lshr_b32 s7, ttmp7, 16
	s_add_co_i32 s6, s6, 1
	s_add_co_i32 s2, s2, s5
	s_mul_i32 s5, s7, s6
	s_bfe_u32 s6, ttmp6, 0x40008
	s_getreg_b32 s10, hwreg(HW_REG_IB_STS2, 6, 4)
	s_add_co_i32 s6, s6, s5
	s_cmp_eq_u32 s10, 0
	s_cselect_b32 s5, s7, s6
	s_cselect_b32 s3, s3, s4
	s_wait_kmcnt 0x0
	s_mul_i32 s5, s9, s5
	s_cselect_b32 s9, ttmp9, s2
	s_add_co_i32 s2, s5, s3
	s_mov_b32 s3, 0
	s_mul_i32 s2, s2, s8
	s_delay_alu instid0(SALU_CYCLE_1) | instskip(NEXT) | instid1(SALU_CYCLE_1)
	s_add_co_i32 s55, s2, s9
	s_cmp_ge_u32 s55, s39
	s_cbranch_scc1 .LBB13_421
; %bb.1:
	s_clause 0x1
	s_load_b32 s4, s[0:1], 0xd0
	s_load_b32 s54, s[0:1], 0xe8
	s_mov_b32 s2, s55
	s_wait_kmcnt 0x0
	s_cmp_lt_i32 s4, 2
	s_cbranch_scc1 .LBB13_4
; %bb.2:
	s_add_co_i32 s2, s4, -1
	s_delay_alu instid0(SALU_CYCLE_1)
	s_lshl_b64 s[6:7], s[2:3], 2
	s_mov_b32 s2, s55
	s_add_nc_u64 s[10:11], s[0:1], s[6:7]
	s_add_co_i32 s6, s4, 1
	s_add_nc_u64 s[4:5], s[10:11], 8
.LBB13_3:                               ; =>This Inner Loop Header: Depth=1
	s_clause 0x1
	s_load_b32 s7, s[4:5], 0x0
	s_load_b32 s10, s[4:5], 0x64
	s_mov_b32 s13, s2
	s_wait_xcnt 0x0
	s_add_nc_u64 s[4:5], s[4:5], -4
	s_wait_kmcnt 0x0
	s_cvt_f32_u32 s11, s7
	s_sub_co_i32 s12, 0, s7
	s_delay_alu instid0(SALU_CYCLE_2) | instskip(SKIP_1) | instid1(TRANS32_DEP_1)
	v_rcp_iflag_f32_e32 v1, s11
	v_nop
	v_readfirstlane_b32 s11, v1
	s_mul_f32 s11, s11, 0x4f7ffffe
	s_delay_alu instid0(SALU_CYCLE_3) | instskip(NEXT) | instid1(SALU_CYCLE_3)
	s_cvt_u32_f32 s11, s11
	s_mul_i32 s12, s12, s11
	s_delay_alu instid0(SALU_CYCLE_1) | instskip(NEXT) | instid1(SALU_CYCLE_1)
	s_mul_hi_u32 s12, s11, s12
	s_add_co_i32 s11, s11, s12
	s_delay_alu instid0(SALU_CYCLE_1) | instskip(NEXT) | instid1(SALU_CYCLE_1)
	s_mul_hi_u32 s2, s2, s11
	s_mul_i32 s11, s2, s7
	s_add_co_i32 s12, s2, 1
	s_sub_co_i32 s11, s13, s11
	s_delay_alu instid0(SALU_CYCLE_1)
	s_sub_co_i32 s14, s11, s7
	s_cmp_ge_u32 s11, s7
	s_cselect_b32 s2, s12, s2
	s_cselect_b32 s11, s14, s11
	s_add_co_i32 s12, s2, 1
	s_cmp_ge_u32 s11, s7
	s_cselect_b32 s2, s12, s2
	s_add_co_i32 s6, s6, -1
	s_mul_i32 s7, s2, s7
	s_delay_alu instid0(SALU_CYCLE_1) | instskip(NEXT) | instid1(SALU_CYCLE_1)
	s_sub_co_i32 s7, s13, s7
	s_mul_i32 s7, s10, s7
	s_delay_alu instid0(SALU_CYCLE_1)
	s_add_co_i32 s3, s7, s3
	s_cmp_gt_u32 s6, 2
	s_cbranch_scc1 .LBB13_3
.LBB13_4:
	s_load_b32 s6, s[0:1], 0x1c0
	s_add_nc_u64 s[14:15], s[0:1], 0x2b8
	s_add_nc_u64 s[4:5], s[0:1], 0xf0
	s_mov_b32 s35, 0
	s_mov_b32 s57, s55
	s_wait_kmcnt 0x0
	s_cmp_lt_i32 s6, 2
	s_cbranch_scc1 .LBB13_7
; %bb.5:
	s_add_co_i32 s34, s6, -1
	s_mov_b32 s57, s55
	s_lshl_b64 s[10:11], s[34:35], 2
	s_delay_alu instid0(SALU_CYCLE_1)
	s_add_nc_u64 s[12:13], s[4:5], s[10:11]
	s_add_co_i32 s10, s6, 1
	s_add_nc_u64 s[6:7], s[12:13], 8
.LBB13_6:                               ; =>This Inner Loop Header: Depth=1
	s_clause 0x1
	s_load_b32 s11, s[6:7], 0x0
	s_load_b32 s12, s[6:7], 0x64
	s_mov_b32 s17, s57
	s_wait_xcnt 0x0
	s_add_nc_u64 s[6:7], s[6:7], -4
	s_wait_kmcnt 0x0
	s_cvt_f32_u32 s13, s11
	s_sub_co_i32 s16, 0, s11
	s_delay_alu instid0(SALU_CYCLE_2) | instskip(SKIP_1) | instid1(TRANS32_DEP_1)
	v_rcp_iflag_f32_e32 v1, s13
	v_nop
	v_readfirstlane_b32 s13, v1
	s_mul_f32 s13, s13, 0x4f7ffffe
	s_delay_alu instid0(SALU_CYCLE_3) | instskip(NEXT) | instid1(SALU_CYCLE_3)
	s_cvt_u32_f32 s13, s13
	s_mul_i32 s16, s16, s13
	s_delay_alu instid0(SALU_CYCLE_1) | instskip(NEXT) | instid1(SALU_CYCLE_1)
	s_mul_hi_u32 s16, s13, s16
	s_add_co_i32 s13, s13, s16
	s_delay_alu instid0(SALU_CYCLE_1) | instskip(NEXT) | instid1(SALU_CYCLE_1)
	s_mul_hi_u32 s13, s57, s13
	s_mul_i32 s16, s13, s11
	s_add_co_i32 s18, s13, 1
	s_sub_co_i32 s16, s57, s16
	s_delay_alu instid0(SALU_CYCLE_1)
	s_sub_co_i32 s19, s16, s11
	s_cmp_ge_u32 s16, s11
	s_cselect_b32 s13, s18, s13
	s_cselect_b32 s16, s19, s16
	s_add_co_i32 s18, s13, 1
	s_cmp_ge_u32 s16, s11
	s_cselect_b32 s57, s18, s13
	s_add_co_i32 s10, s10, -1
	s_mul_i32 s11, s57, s11
	s_delay_alu instid0(SALU_CYCLE_1) | instskip(NEXT) | instid1(SALU_CYCLE_1)
	s_sub_co_i32 s11, s17, s11
	s_mul_i32 s11, s12, s11
	s_delay_alu instid0(SALU_CYCLE_1)
	s_add_co_i32 s35, s11, s35
	s_cmp_gt_u32 s10, 2
	s_cbranch_scc1 .LBB13_6
.LBB13_7:
	s_clause 0x1
	s_load_b32 s10, s[0:1], 0x6c
	s_load_b32 s6, s[0:1], 0x2a0
	s_mov_b32 s41, 0
	s_wait_kmcnt 0x0
	s_cmp_lt_i32 s6, 2
	s_cbranch_scc1 .LBB13_10
; %bb.8:
	s_add_co_i32 s40, s6, -1
	s_add_nc_u64 s[12:13], s[0:1], 0x1d0
	s_lshl_b64 s[16:17], s[40:41], 2
	s_add_co_i32 s11, s6, 1
	s_add_nc_u64 s[12:13], s[12:13], s[16:17]
	s_delay_alu instid0(SALU_CYCLE_1)
	s_add_nc_u64 s[6:7], s[12:13], 8
.LBB13_9:                               ; =>This Inner Loop Header: Depth=1
	s_clause 0x1
	s_load_b32 s12, s[6:7], 0x0
	s_load_b32 s13, s[6:7], 0x64
	s_mov_b32 s18, s55
	s_wait_xcnt 0x0
	s_add_nc_u64 s[6:7], s[6:7], -4
	s_wait_kmcnt 0x0
	s_cvt_f32_u32 s16, s12
	s_sub_co_i32 s17, 0, s12
	s_delay_alu instid0(SALU_CYCLE_2) | instskip(SKIP_1) | instid1(TRANS32_DEP_1)
	v_rcp_iflag_f32_e32 v1, s16
	v_nop
	v_readfirstlane_b32 s16, v1
	s_mul_f32 s16, s16, 0x4f7ffffe
	s_delay_alu instid0(SALU_CYCLE_3) | instskip(NEXT) | instid1(SALU_CYCLE_3)
	s_cvt_u32_f32 s16, s16
	s_mul_i32 s17, s17, s16
	s_delay_alu instid0(SALU_CYCLE_1) | instskip(NEXT) | instid1(SALU_CYCLE_1)
	s_mul_hi_u32 s17, s16, s17
	s_add_co_i32 s16, s16, s17
	s_delay_alu instid0(SALU_CYCLE_1) | instskip(NEXT) | instid1(SALU_CYCLE_1)
	s_mul_hi_u32 s16, s55, s16
	s_mul_i32 s17, s16, s12
	s_add_co_i32 s19, s16, 1
	s_sub_co_i32 s17, s55, s17
	s_delay_alu instid0(SALU_CYCLE_1)
	s_sub_co_i32 s20, s17, s12
	s_cmp_ge_u32 s17, s12
	s_cselect_b32 s16, s19, s16
	s_cselect_b32 s17, s20, s17
	s_add_co_i32 s19, s16, 1
	s_cmp_ge_u32 s17, s12
	s_cselect_b32 s55, s19, s16
	s_add_co_i32 s11, s11, -1
	s_mul_i32 s12, s55, s12
	s_delay_alu instid0(SALU_CYCLE_1) | instskip(NEXT) | instid1(SALU_CYCLE_1)
	s_sub_co_i32 s12, s18, s12
	s_mul_i32 s12, s13, s12
	s_delay_alu instid0(SALU_CYCLE_1)
	s_add_co_i32 s41, s12, s41
	s_cmp_gt_u32 s11, 2
	s_cbranch_scc1 .LBB13_9
.LBB13_10:
	s_clause 0x1
	s_load_b32 s44, s[4:5], 0x6c
	s_load_b64 s[6:7], s[0:1], 0x0
	s_wait_xcnt 0x0
	v_cmp_eq_u32_e64 s5, 0, v0
	s_mov_b32 s47, 0
	s_and_saveexec_b32 s4, s5
; %bb.11:
	v_dual_mov_b32 v2, 0 :: v_dual_mov_b32 v3, s36
	s_delay_alu instid0(VALU_DEP_1)
	v_mov_b32_e32 v4, v2
	ds_store_b96 v2, v[2:4] offset:4096
; %bb.12:
	s_or_b32 exec_lo, exec_lo, s4
	s_wait_dscnt 0x0
	s_barrier_signal -1
	s_barrier_wait -1
	s_load_b32 s11, s[14:15], 0xc
	s_clause 0x1
	s_load_b32 s59, s[0:1], 0x23c
	s_load_b64 s[12:13], s[0:1], 0xf0
                                        ; implicit-def: $vgpr68 : SGPR spill to VGPR lane
	v_mbcnt_lo_u32_b32 v19, -1, 0
	s_mul_i32 s2, s10, s2
	v_add_max_u32_e64 v4, v0, 2, s36
	v_cmp_gt_u32_e32 vcc_lo, 32, v0
	s_add_co_i32 s46, s2, s3
	v_cmp_gt_i32_e64 s2, 4, v19
	s_bitcmp1_b32 s38, 0
	v_lshlrev_b64_e64 v[2:3], v19, -1
	s_cselect_b32 s4, -1, 0
	v_xad_u32 v3, v0, -1, v4
	s_xor_b32 s60, s4, -1
	s_and_b32 s62, vcc_lo, s2
	v_mul_lo_u32 v22, s54, v0
	v_dual_lshlrev_b32 v1, 2, v0 :: v_dual_mov_b32 v25, 0
	v_add_nc_u32_e32 v4, -8, v3
	v_not_b32_e32 v18, v2
	s_wait_kmcnt 0x0
	s_and_b32 s40, s11, 0xffff
	v_dual_mov_b32 v23, v25 :: v_dual_lshrrev_b32 v2, 1, v0
	v_writelane_b32 v68, s12, 0
	s_lshl_b32 s61, s40, 2
	s_cmp_gt_u32 s36, 0xc00
	v_dual_lshrrev_b32 v5, 3, v4 :: v_dual_bitop2_b32 v28, -8, v3 bitop3:0x40
	v_writelane_b32 v68, s13, 1
	s_load_b64 s[12:13], s[0:1], 0x1d0
	s_cselect_b32 s63, -1, 0
	s_cmp_gt_u32 s40, 31
	s_add_nc_u64 s[38:39], s[6:7], s[46:47]
	s_cselect_b32 s64, -1, 0
	s_add_co_i32 s65, s40, -1
	s_movk_i32 s7, 0x1f0
	v_add_nc_u64_e32 v[20:21], s[38:39], v[22:23]
	v_and_or_b32 v23, v2, s7, 0xc00
	v_dual_add_nc_u32 v2, 1, v5 :: v_dual_add_nc_u32 v29, v0, v28
	v_mad_u32 v33, s54, v1, s54
	v_cmp_eq_u32_e64 s2, 0, v19
	v_cmp_gt_u32_e64 s3, s36, v0
	s_delay_alu instid0(VALU_DEP_4)
	v_and_b32_e32 v31, 0x3ffffffe, v2
	v_add3_u32 v2, s40, s36, v0
	v_cmp_gt_u32_e64 s6, 2, v0
	v_lshl_or_b32 v38, v19, 2, 0xc00
	v_dual_mov_b32 v41, s37 :: v_dual_mov_b32 v40, 0
	s_wait_kmcnt 0x0
	v_writelane_b32 v68, s12, 2
	v_dual_mov_b32 v32, 0 :: v_dual_mov_b32 v39, 0
	s_mul_i32 s56, s54, s40
	s_mov_b32 s72, s54
	v_writelane_b32 v68, s13, 3
	s_add_co_i32 s13, s65, s36
	s_cmp_lt_u32 s9, s8
	s_cvt_f32_u32 s9, s61
	s_cselect_b32 s46, 12, 18
	s_bfe_u32 s66, s11, 0xb0005
	s_mov_b32 s75, s54
	s_add_co_i32 s8, s66, -2
	v_rcp_iflag_f32_e32 v5, s9
	s_lshr_b32 s7, s8, 1
	s_mov_b32 s76, s54
	s_add_co_i32 s10, s7, 1
	s_cmp_gt_u32 s40, 63
	v_cmp_lt_u32_e64 s7, 31, v3
	s_cselect_b32 s67, -1, 0
	s_and_b32 s68, s66, 0x7fe
	s_and_b32 s69, s10, 7
	s_cmp_gt_u32 s8, 13
	v_readfirstlane_b32 s8, v5
	s_cselect_b32 s70, -1, 0
	s_and_b32 s71, s10, -8
	s_cmp_lg_u32 s69, 0
	s_cvt_f32_u32 s10, s40
	s_mul_f32 s8, s8, 0x4f7ffffe
	s_cselect_b32 s73, -1, 0
	s_cmp_lg_u32 s68, s66
	v_rcp_iflag_f32_e32 v5, s10
	s_cvt_u32_f32 s8, s8
	s_cselect_b32 s74, -1, 0
	s_sub_co_i32 s9, 0, s61
	s_mov_b32 s77, s54
	s_mul_i32 s9, s9, s8
	s_mov_b32 s78, s54
	s_mul_hi_u32 s9, s8, s9
	s_mov_b32 s79, s54
	s_add_co_i32 s48, s8, s9
	v_nop
	v_readfirstlane_b32 s9, v5
	s_mul_hi_u32 s8, s36, s48
	v_lshlrev_b32_e32 v36, 2, v22
	s_mul_i32 s8, s8, s61
	s_mov_b32 s80, s54
	s_sub_co_i32 s8, s36, s8
	s_mul_f32 s9, s9, 0x4f7ffffe
	s_sub_co_i32 s10, s8, s61
	s_cmp_ge_u32 s8, s61
	s_mov_b32 s49, s47
	s_cselect_b32 s10, s10, s8
	s_cvt_u32_f32 s9, s9
	s_sub_co_i32 s11, s10, s61
	s_cmp_ge_u32 s10, s61
	v_cmp_lt_u32_e64 s8, 7, v4
	s_cselect_b32 s16, s11, s10
	s_sub_co_i32 s10, 0, s40
	s_sub_co_i32 s81, s36, s16
	s_mul_i32 s10, s10, s9
	v_and_b32_e32 v4, 8, v4
	s_mul_hi_u32 s10, s9, s10
	v_add_nc_u32_e32 v30, s81, v0
	s_add_co_i32 s50, s9, s10
	v_subrev_nc_u32_e32 v2, s16, v2
	s_mul_hi_u32 s10, s13, s50
	v_cmp_eq_u32_e64 s9, 0, v4
	s_mul_i32 s10, s10, s40
	v_or_b32_e32 v4, 3, v1
	s_sub_co_i32 s11, s13, s10
	v_mul_lo_u32 v24, v30, s54
	s_sub_co_i32 s12, s11, s40
	v_cmp_ne_u32_e64 s10, v3, v28
	s_cmp_ge_u32 s11, s40
	v_or_b32_e32 v3, 2, v1
	s_cselect_b32 s17, s12, s11
	v_mul_lo_u32 v35, s54, v4
	s_sub_co_i32 s18, s17, s40
	s_cmp_ge_u32 s17, s40
	v_mul_lo_u32 v34, s54, v3
	v_mul_lo_u32 v37, s54, v2
	s_cselect_b32 s17, s18, s17
	v_add_nc_u64_e32 v[26:27], s[38:39], v[24:25]
	s_sub_co_i32 s82, s13, s17
	v_cmp_gt_u32_e64 s11, s81, v1
	v_cmp_gt_u32_e64 s12, s36, v30
	;; [unrolled: 1-line block ×3, first 2 shown]
	s_mov_b32 s51, s47
	s_lshl_b32 s83, s56, 2
	s_mov_b32 s84, 6
	s_add_nc_u64 s[52:53], s[14:15], s[46:47]
	s_mov_b32 s85, 0
	s_mov_b32 s87, 0
                                        ; implicit-def: $sgpr86
                                        ; implicit-def: $sgpr90
                                        ; implicit-def: $sgpr89
                                        ; implicit-def: $sgpr91
                                        ; implicit-def: $sgpr88
                                        ; implicit-def: $sgpr95
                                        ; implicit-def: $sgpr96
                                        ; implicit-def: $sgpr92
                                        ; implicit-def: $sgpr94
                                        ; implicit-def: $sgpr93
	s_branch .LBB13_15
.LBB13_13:                              ;   in Loop: Header=BB13_15 Depth=1
	s_or_b32 exec_lo, exec_lo, s17
	v_mov_b32_e32 v41, v5
	s_and_not1_b32 s17, s93, exec_lo
	s_and_b32 s16, s16, exec_lo
	s_and_not1_b32 s94, s94, exec_lo
	s_or_b32 s93, s17, s16
	s_and_not1_b32 s92, s92, exec_lo
	s_and_not1_b32 s96, s96, exec_lo
	;; [unrolled: 1-line block ×3, first 2 shown]
	s_or_not1_b32 s17, s15, exec_lo
.LBB13_14:                              ;   in Loop: Header=BB13_15 Depth=1
	s_or_b32 exec_lo, exec_lo, s14
	s_delay_alu instid0(SALU_CYCLE_1) | instskip(NEXT) | instid1(SALU_CYCLE_1)
	s_and_b32 s14, exec_lo, s17
	s_or_b32 s85, s14, s85
	s_and_not1_b32 s14, s88, exec_lo
	s_and_b32 s15, s93, exec_lo
	s_and_not1_b32 s16, s91, exec_lo
	s_or_b32 s88, s14, s15
	s_and_b32 s14, s94, exec_lo
	s_and_not1_b32 s15, s89, exec_lo
	s_and_b32 s17, s92, exec_lo
	s_or_b32 s91, s16, s14
	s_or_b32 s89, s15, s17
	s_and_not1_b32 s14, s90, exec_lo
	s_and_b32 s15, s96, exec_lo
	s_and_not1_b32 s16, s86, exec_lo
	s_and_b32 s17, s95, exec_lo
	s_or_b32 s90, s14, s15
	s_or_b32 s86, s16, s17
	s_and_not1_b32 exec_lo, exec_lo, s85
	s_cbranch_execz .LBB13_417
.LBB13_15:                              ; =>This Loop Header: Depth=1
                                        ;     Child Loop BB13_20 Depth 2
                                        ;     Child Loop BB13_41 Depth 2
	;; [unrolled: 1-line block ×26, first 2 shown]
	ds_load_b64 v[2:3], v25 offset:4096
	s_wait_dscnt 0x0
	v_readfirstlane_b32 s46, v2
	s_cmp_lg_u32 s46, 0
	s_cbranch_scc1 .LBB13_58
; %bb.16:                               ;   in Loop: Header=BB13_15 Depth=1
	s_and_b32 vcc_lo, exec_lo, s63
	s_cbranch_vccz .LBB13_28
; %bb.17:                               ;   in Loop: Header=BB13_15 Depth=1
	v_cmp_gt_u32_e32 vcc_lo, 0xc01, v3
	s_mov_b32 s16, 0
	s_mov_b32 s14, 0
	s_cbranch_vccz .LBB13_29
; %bb.18:                               ;   in Loop: Header=BB13_15 Depth=1
	global_load_u8 v3, v[20:21], off
	s_load_u16 s17, s[52:53], 0x0
	s_mov_b32 s18, 0
	s_wait_kmcnt 0x0
	v_dual_mov_b32 v4, v0 :: v_dual_add_nc_u32 v2, s17, v0
	s_mul_i32 s19, s54, s17
	s_delay_alu instid0(VALU_DEP_1)
	v_mul_lo_u32 v2, s54, v2
	s_branch .LBB13_20
.LBB13_19:                              ;   in Loop: Header=BB13_20 Depth=2
	s_or_b32 exec_lo, exec_lo, s15
	v_dual_mov_b32 v3, v5 :: v_dual_add_nc_u32 v2, s19, v2
	s_and_not1_b32 exec_lo, exec_lo, s18
	s_cbranch_execz .LBB13_35
.LBB13_20:                              ;   Parent Loop BB13_15 Depth=1
                                        ; =>  This Inner Loop Header: Depth=2
	s_wait_dscnt 0x0
	v_dual_add_nc_u32 v4, s17, v4 :: v_dual_mov_b32 v6, 0
	v_mov_b32_e32 v5, 0
	s_mov_b32 s15, exec_lo
	s_delay_alu instid0(VALU_DEP_2)
	v_cmp_le_u32_e32 vcc_lo, s36, v4
	v_cmpx_gt_u32_e64 s36, v4
	s_cbranch_execz .LBB13_22
; %bb.21:                               ;   in Loop: Header=BB13_20 Depth=2
	global_load_u8 v5, v2, s[38:39]
.LBB13_22:                              ;   in Loop: Header=BB13_20 Depth=2
	s_wait_xcnt 0x0
	s_or_b32 exec_lo, exec_lo, s15
	s_wait_loadcnt 0x0
	v_bitop3_b32 v7, v3, 0xff, v39 bitop3:0x80
	s_delay_alu instid0(VALU_DEP_1) | instskip(SKIP_2) | instid1(SALU_CYCLE_1)
	v_cmp_eq_u32_e64 s14, v7, v32
	s_cmp_lg_u32 s14, 0
	s_cselect_b32 s15, -1, 0
	s_and_b32 s15, s2, s15
	s_delay_alu instid0(SALU_CYCLE_1)
	s_and_saveexec_b32 s20, s15
	s_cbranch_execz .LBB13_26
; %bb.23:                               ;   in Loop: Header=BB13_20 Depth=2
	s_mov_b32 s23, exec_lo
	s_bcnt1_i32_b32 s21, s14
	v_mbcnt_lo_u32_b32 v6, s23, 0
	s_mov_b32 s22, exec_lo
                                        ; implicit-def: $vgpr7
	s_delay_alu instid0(VALU_DEP_1)
	v_cmpx_eq_u32_e32 0, v6
; %bb.24:                               ;   in Loop: Header=BB13_20 Depth=2
	s_bcnt1_i32_b32 s15, s23
	s_delay_alu instid0(SALU_CYCLE_1) | instskip(NEXT) | instid1(SALU_CYCLE_1)
	s_mul_i32 s15, s21, s15
	v_mov_b32_e32 v7, s15
	ds_add_rtn_u32 v7, v25, v7 offset:4104
; %bb.25:                               ;   in Loop: Header=BB13_20 Depth=2
	s_or_b32 exec_lo, exec_lo, s22
	s_wait_dscnt 0x0
	v_readfirstlane_b32 s15, v7
	s_delay_alu instid0(VALU_DEP_1)
	v_mad_u32_u24 v6, s21, v6, s15
.LBB13_26:                              ;   in Loop: Header=BB13_20 Depth=2
	s_or_b32 exec_lo, exec_lo, s20
	ds_bpermute_b32 v6, v25, v6
	s_and_b32 s15, exec_lo, vcc_lo
	s_delay_alu instid0(SALU_CYCLE_1)
	s_or_b32 s18, s15, s18
	s_and_saveexec_b32 s15, s14
	s_cbranch_execz .LBB13_19
; %bb.27:                               ;   in Loop: Header=BB13_20 Depth=2
	v_and_b32_e32 v7, s14, v18
	s_wait_dscnt 0x0
	s_delay_alu instid0(VALU_DEP_1)
	v_bcnt_u32_b32 v6, v7, v6
	ds_store_b8 v6, v3
	s_branch .LBB13_19
.LBB13_28:                              ;   in Loop: Header=BB13_15 Depth=1
	s_mov_b32 s16, -1
	s_mov_b32 s14, 0
.LBB13_29:                              ;   in Loop: Header=BB13_15 Depth=1
	s_and_b32 vcc_lo, exec_lo, s16
	s_cbranch_vccz .LBB13_56
.LBB13_30:                              ;   in Loop: Header=BB13_15 Depth=1
	s_and_saveexec_b32 s15, s3
	s_cbranch_execz .LBB13_53
; %bb.31:                               ;   in Loop: Header=BB13_15 Depth=1
	global_load_u8 v24, v[20:21], off
	s_load_u16 s17, s[52:53], 0x0
	s_mov_b32 s16, exec_lo
	s_wait_kmcnt 0x0
	v_dual_mov_b32 v3, v0 :: v_dual_add_nc_u32 v2, s17, v0
	s_delay_alu instid0(VALU_DEP_1)
	v_cmpx_gt_u32_e64 s36, v2
	s_cbranch_execz .LBB13_52
; %bb.32:                               ;   in Loop: Header=BB13_15 Depth=1
	s_mov_b32 s14, 0
	s_mul_i32 s18, s54, s17
                                        ; implicit-def: $vgpr3
                                        ; implicit-def: $vgpr4
                                        ; implicit-def: $vgpr5
	s_and_saveexec_b32 s19, s7
	s_delay_alu instid0(SALU_CYCLE_1)
	s_xor_b32 s19, exec_lo, s19
	s_cbranch_execnz .LBB13_38
; %bb.33:                               ;   in Loop: Header=BB13_15 Depth=1
	s_and_not1_saveexec_b32 s19, s19
	s_cbranch_execnz .LBB13_47
.LBB13_34:                              ;   in Loop: Header=BB13_15 Depth=1
	s_or_b32 exec_lo, exec_lo, s19
	s_and_saveexec_b32 s18, s14
	s_cbranch_execnz .LBB13_48
	s_branch .LBB13_51
.LBB13_35:                              ;   in Loop: Header=BB13_15 Depth=1
	s_or_b32 exec_lo, exec_lo, s18
	s_wait_dscnt 0x0
	s_barrier_signal -1
	s_barrier_wait -1
	s_and_saveexec_b32 s14, s5
	s_cbranch_execz .LBB13_37
; %bb.36:                               ;   in Loop: Header=BB13_15 Depth=1
	ds_load_b32 v2, v25 offset:4104
	s_wait_dscnt 0x0
	ds_store_b32 v25, v2 offset:4096
.LBB13_37:                              ;   in Loop: Header=BB13_15 Depth=1
	s_or_b32 exec_lo, exec_lo, s14
	s_wait_dscnt 0x0
	s_barrier_signal -1
	s_mov_b32 s14, -1
	s_barrier_wait -1
	s_and_b32 vcc_lo, exec_lo, s16
	s_cbranch_vccnz .LBB13_30
	s_branch .LBB13_56
.LBB13_38:                              ;   in Loop: Header=BB13_15 Depth=1
	s_cvt_f32_u32 s14, s17
	v_add_max_u32_e64 v3, v2, s17, s36
	s_delay_alu instid0(SALU_CYCLE_2) | instskip(SKIP_1) | instid1(VALU_DEP_1)
	v_rcp_iflag_f32_e32 v4, s14
	s_lshl_b32 s14, s17, 1
	v_sub_nc_u32_e32 v3, v3, v0
	s_delay_alu instid0(VALU_DEP_1) | instskip(NEXT) | instid1(TRANS32_DEP_1)
	v_cmp_ne_u32_e32 vcc_lo, s14, v3
	v_readfirstlane_b32 s20, v4
	v_cndmask_b32_e64 v4, 0, 1, vcc_lo
	s_mul_f32 s20, s20, 0x4f7ffffe
	s_delay_alu instid0(VALU_DEP_1) | instskip(NEXT) | instid1(SALU_CYCLE_2)
	v_or_b32_e32 v4, s14, v4
	s_cvt_u32_f32 s14, s20
	s_sub_co_i32 s20, 0, s17
	s_delay_alu instid0(SALU_CYCLE_2) | instskip(NEXT) | instid1(VALU_DEP_1)
	s_mul_i32 s20, s20, s14
	v_sub_nc_u32_e32 v3, v3, v4
	s_mul_hi_u32 s20, s14, s20
	s_delay_alu instid0(SALU_CYCLE_1)
	s_add_co_i32 s14, s14, s20
	s_delay_alu instid0(VALU_DEP_1) | instid1(SALU_CYCLE_1)
	v_mul_hi_u32 v4, v3, s14
	s_delay_alu instid0(VALU_DEP_1) | instskip(NEXT) | instid1(VALU_DEP_1)
	v_mul_lo_u32 v5, v4, s17
	v_dual_sub_nc_u32 v3, v3, v5 :: v_dual_add_nc_u32 v5, 1, v4
	s_delay_alu instid0(VALU_DEP_1) | instskip(SKIP_1) | instid1(VALU_DEP_1)
	v_subrev_nc_u32_e32 v6, s17, v3
	v_cmp_le_u32_e64 s14, s17, v3
	v_dual_cndmask_b32 v4, v4, v5, s14 :: v_dual_cndmask_b32 v3, v3, v6, s14
	s_delay_alu instid0(VALU_DEP_1) | instskip(NEXT) | instid1(VALU_DEP_2)
	v_add_nc_u32_e32 v5, 1, v4
	v_cmp_le_u32_e64 s14, s17, v3
	s_delay_alu instid0(VALU_DEP_1) | instskip(SKIP_2) | instid1(VALU_DEP_2)
	v_cndmask_b32_e64 v3, v4, v5, s14
	v_mul_lo_u32 v4, s54, v2
	s_abs_i32 s14, s18
	v_add_co_ci_u32_e64 v3, null, 0, v3, vcc_lo
	s_delay_alu instid0(VALU_DEP_1) | instskip(SKIP_2) | instid1(SALU_CYCLE_1)
	v_mul_hi_u32 v5, s14, v3
	v_mul_lo_u32 v3, s14, v3
	s_not_b32 s14, s18
	s_ashr_i32 s14, s14, 31
	s_cmp_eq_u32 s17, 1
	s_delay_alu instid0(VALU_DEP_4) | instskip(SKIP_1) | instid1(VALU_DEP_3)
	v_xor_b32_e32 v4, s14, v4
	s_cselect_b32 s20, -1, 0
	v_cmp_eq_u32_e32 vcc_lo, 0, v5
	s_delay_alu instid0(VALU_DEP_2) | instskip(SKIP_2) | instid1(SALU_CYCLE_1)
	v_cmp_le_u32_e64 s14, v3, v4
	v_mov_b32_e32 v4, v0
                                        ; implicit-def: $vgpr3
	s_and_b32 s20, vcc_lo, s20
	s_and_b32 s21, s20, s14
	s_mov_b32 s20, -1
	s_and_saveexec_b32 s14, s21
	s_cbranch_execz .LBB13_46
; %bb.39:                               ;   in Loop: Header=BB13_15 Depth=1
	v_dual_add_nc_u32 v9, 7, v2 :: v_dual_add_nc_u32 v8, 6, v2
	v_dual_add_nc_u32 v7, 5, v2 :: v_dual_add_nc_u32 v6, 4, v2
	;; [unrolled: 1-line block ×3, first 2 shown]
	s_wait_loadcnt 0x0
	v_dual_add_nc_u32 v3, 1, v2 :: v_dual_lshlrev_b32 v42, 24, v24
	v_mov_b64_e32 v[16:17], v[8:9]
	v_mov_b64_e32 v[14:15], v[6:7]
	;; [unrolled: 1-line block ×3, first 2 shown]
	s_delay_alu instid0(VALU_DEP_4)
	v_mov_b64_e32 v[10:11], v[2:3]
	v_mov_b32_e32 v44, 0
                                        ; implicit-def: $vgpr24
	s_and_saveexec_b32 s20, s8
	s_cbranch_execz .LBB13_43
; %bb.40:                               ;   in Loop: Header=BB13_15 Depth=1
	v_mov_b64_e32 v[16:17], v[8:9]
	v_mov_b64_e32 v[14:15], v[6:7]
	;; [unrolled: 1-line block ×4, first 2 shown]
	v_mov_b32_e32 v43, v31
	s_mov_b32 s21, 0
	s_mov_b32 s22, 0
.LBB13_41:                              ;   Parent Loop BB13_15 Depth=1
                                        ; =>  This Inner Loop Header: Depth=2
	s_delay_alu instid0(VALU_DEP_2) | instskip(NEXT) | instid1(VALU_DEP_4)
	v_mul_lo_u32 v24, v10, s54
	v_dual_add_nc_u32 v56, 8, v13 :: v_dual_add_nc_u32 v58, 8, v14
	v_dual_add_nc_u32 v60, 8, v15 :: v_dual_add_nc_u32 v62, 8, v16
	v_mul_lo_u32 v44, v14, s77
	v_dual_add_nc_u32 v52, 8, v11 :: v_dual_add_nc_u32 v54, 8, v12
	v_mul_lo_u32 v6, v16, s79
	v_mul_lo_u32 v56, v56, s76
	;; [unrolled: 1-line block ×3, first 2 shown]
	v_dual_mov_b32 v5, v25 :: v_dual_add_nc_u32 v3, 8, v10
	v_mul_lo_u32 v58, v58, s77
	v_mul_lo_u32 v8, v15, s78
	v_dual_mov_b32 v53, v25 :: v_dual_add_nc_u32 v64, 8, v17
	v_mul_lo_u32 v62, v62, s79
	v_mul_lo_u32 v46, v13, s76
	;; [unrolled: 1-line block ×6, first 2 shown]
	v_dual_mov_b32 v47, v25 :: v_dual_mov_b32 v45, v25
	v_mul_lo_u32 v52, v52, s72
	v_dual_mov_b32 v9, v25 :: v_dual_mov_b32 v7, v25
	v_dual_mov_b32 v55, v25 :: v_dual_mov_b32 v57, v25
	v_add_nc_u64_e32 v[66:67], s[38:39], v[24:25]
	v_mul_lo_u32 v24, v3, s54
	v_dual_mov_b32 v59, v25 :: v_dual_mov_b32 v61, v25
	v_mul_lo_u32 v64, v64, s80
	v_dual_mov_b32 v63, v25 :: v_dual_mov_b32 v65, v25
	v_dual_mov_b32 v51, v25 :: v_dual_mov_b32 v49, v25
	v_add_nc_u64_e32 v[44:45], s[38:39], v[44:45]
	v_add_nc_u64_e32 v[6:7], s[38:39], v[6:7]
	;; [unrolled: 1-line block ×13, first 2 shown]
	s_clause 0x7
	global_load_u8 v3, v[44:45], off
	global_load_u8 v6, v[6:7], off
	;; [unrolled: 1-line block ×8, first 2 shown]
	v_add_nc_u64_e32 v[4:5], s[38:39], v[24:25]
	v_add_nc_u64_e32 v[64:65], s[38:39], v[64:65]
	s_clause 0x7
	global_load_u8 v48, v[56:57], off
	global_load_u8 v49, v[58:59], off
	global_load_u8 v50, v[62:63], off
	global_load_u8 v51, v[60:61], off
	global_load_u8 v54, v[54:55], off
	global_load_u8 v52, v[52:53], off
	global_load_u8 v4, v[4:5], off
	global_load_u8 v24, v[64:65], off
	v_dual_add_nc_u32 v43, -2, v43 :: v_dual_add_nc_u32 v12, 16, v12
	s_wait_xcnt 0x2
	v_dual_add_nc_u32 v53, s22, v0 :: v_dual_add_nc_u32 v17, 16, v17
	s_add_co_i32 s22, s22, 16
	s_delay_alu instid0(VALU_DEP_2)
	v_cmp_eq_u32_e32 vcc_lo, 0, v43
	v_dual_add_nc_u32 v16, 16, v16 :: v_dual_add_nc_u32 v15, 16, v15
	v_dual_add_nc_u32 v14, 16, v14 :: v_dual_add_nc_u32 v13, 16, v13
	;; [unrolled: 1-line block ×3, first 2 shown]
	v_mov_b32_e32 v44, s22
	s_or_b32 s21, vcc_lo, s21
	s_wait_loadcnt 0xc
	s_wait_xcnt 0x1
	v_perm_b32 v5, v8, v6, 0xc0c0004
	s_wait_loadcnt 0xb
	v_perm_b32 v3, v9, v3, 0xc0c0004
	s_wait_loadcnt 0x6
	v_perm_b32 v9, v48, v49, 0xc0c0004
	v_perm_b32 v6, v46, v45, 0xc0c0004
	;; [unrolled: 1-line block ×3, first 2 shown]
	s_wait_loadcnt 0x4
	v_perm_b32 v42, v51, v50, 0xc0c0004
	v_perm_b32 v45, v49, v51, 0xc0c0004
	s_wait_loadcnt 0x2
	v_perm_b32 v46, v52, v54, 0xc0c0004
	s_wait_loadcnt 0x1
	;; [unrolled: 2-line block ×3, first 2 shown]
	v_perm_b32 v48, v50, v24, 0xc0c0004
	v_lshl_or_b32 v5, v5, 16, v3
	v_lshl_or_b32 v4, v6, 16, v8
	;; [unrolled: 1-line block ×5, first 2 shown]
	ds_store_b128 v53, v[4:7]
	s_wait_xcnt 0x0
	s_and_not1_b32 exec_lo, exec_lo, s21
	s_cbranch_execnz .LBB13_41
; %bb.42:                               ;   in Loop: Header=BB13_15 Depth=1
	s_or_b32 exec_lo, exec_lo, s21
.LBB13_43:                              ;   in Loop: Header=BB13_15 Depth=1
	s_delay_alu instid0(SALU_CYCLE_1)
	s_or_b32 exec_lo, exec_lo, s20
	s_and_saveexec_b32 s20, s9
	s_cbranch_execz .LBB13_45
; %bb.44:                               ;   in Loop: Header=BB13_15 Depth=1
	v_mul_lo_u32 v24, v10, s54
	v_mul_lo_u32 v10, v14, s77
	;; [unrolled: 1-line block ×8, first 2 shown]
	v_dual_mov_b32 v17, v25 :: v_dual_mov_b32 v11, v25
	v_dual_mov_b32 v7, v25 :: v_dual_mov_b32 v9, v25
	;; [unrolled: 1-line block ×3, first 2 shown]
	s_delay_alu instid0(VALU_DEP_3) | instskip(NEXT) | instid1(VALU_DEP_3)
	v_add_nc_u64_e32 v[10:11], s[38:39], v[10:11]
	v_add_nc_u64_e32 v[6:7], s[38:39], v[6:7]
	s_delay_alu instid0(VALU_DEP_4) | instskip(NEXT) | instid1(VALU_DEP_4)
	v_add_nc_u64_e32 v[8:9], s[38:39], v[8:9]
	v_add_nc_u64_e32 v[14:15], s[38:39], v[14:15]
	;; [unrolled: 1-line block ×4, first 2 shown]
	v_mov_b32_e32 v5, v25
	v_add_nc_u64_e32 v[46:47], s[38:39], v[24:25]
	s_clause 0x6
	global_load_u8 v3, v[10:11], off
	global_load_u8 v6, v[6:7], off
	;; [unrolled: 1-line block ×7, first 2 shown]
	v_add_nc_u64_e32 v[4:5], s[38:39], v[4:5]
	global_load_u8 v24, v[4:5], off
	s_wait_loadcnt 0x5
	s_wait_xcnt 0x0
	v_perm_b32 v4, v7, v6, 0xc0c0004
	s_wait_loadcnt 0x4
	v_perm_b32 v3, v8, v3, 0xc0c0004
	s_wait_loadcnt 0x2
	;; [unrolled: 2-line block ×3, first 2 shown]
	v_perm_b32 v7, v42, v11, 0xc0c0007
	v_lshl_or_b32 v5, v4, 16, v3
	v_add_nc_u32_e32 v3, v0, v44
	s_delay_alu instid0(VALU_DEP_3)
	v_lshl_or_b32 v4, v6, 16, v7
	ds_store_b64 v3, v[4:5]
.LBB13_45:                              ;   in Loop: Header=BB13_15 Depth=1
	s_or_b32 exec_lo, exec_lo, s20
	v_dual_add_nc_u32 v2, v2, v28 :: v_dual_mov_b32 v4, v29
	s_or_not1_b32 s20, s10, exec_lo
	s_delay_alu instid0(VALU_DEP_1)
	v_add_nc_u32_e32 v3, -1, v2
.LBB13_46:                              ;   in Loop: Header=BB13_15 Depth=1
	s_or_b32 exec_lo, exec_lo, s14
	v_mov_b32_e32 v5, s18
	s_and_b32 s14, s20, exec_lo
	s_and_not1_saveexec_b32 s19, s19
	s_cbranch_execz .LBB13_34
.LBB13_47:                              ;   in Loop: Header=BB13_15 Depth=1
	v_dual_mov_b32 v5, s18 :: v_dual_mov_b32 v4, v0
	s_or_b32 s14, s14, exec_lo
	s_or_b32 exec_lo, exec_lo, s19
	s_and_saveexec_b32 s18, s14
	s_cbranch_execz .LBB13_51
.LBB13_48:                              ;   in Loop: Header=BB13_15 Depth=1
	v_mul_lo_u32 v3, s54, v2
	s_mov_b32 s19, 0
	s_sub_co_i32 s14, 0, s17
.LBB13_49:                              ;   Parent Loop BB13_15 Depth=1
                                        ; =>  This Inner Loop Header: Depth=2
	global_load_u8 v6, v3, s[38:39]
	s_wait_xcnt 0x0
	v_dual_mov_b32 v7, v2 :: v_dual_add_nc_u32 v3, v3, v5
	s_wait_loadcnt 0x1
	ds_store_b8 v4, v24
	v_dual_add_nc_u32 v2, s17, v7 :: v_dual_mov_b32 v4, v7
	s_delay_alu instid0(VALU_DEP_1)
	v_cmp_le_u32_e32 vcc_lo, s36, v2
	s_or_b32 s19, vcc_lo, s19
	s_wait_loadcnt 0x0
	v_mov_b32_e32 v24, v6
	s_and_not1_b32 exec_lo, exec_lo, s19
	s_cbranch_execnz .LBB13_49
; %bb.50:                               ;   in Loop: Header=BB13_15 Depth=1
	s_or_b32 exec_lo, exec_lo, s19
	v_dual_mov_b32 v24, v6 :: v_dual_add_nc_u32 v3, s14, v2
.LBB13_51:                              ;   in Loop: Header=BB13_15 Depth=1
	s_or_b32 exec_lo, exec_lo, s18
.LBB13_52:                              ;   in Loop: Header=BB13_15 Depth=1
	s_delay_alu instid0(SALU_CYCLE_1)
	s_or_b32 exec_lo, exec_lo, s16
	s_wait_loadcnt 0x0
	ds_store_b8 v3, v24
.LBB13_53:                              ;   in Loop: Header=BB13_15 Depth=1
	s_or_b32 exec_lo, exec_lo, s15
	s_wait_dscnt 0x0
	s_barrier_signal -1
	s_barrier_wait -1
	s_and_saveexec_b32 s14, s5
; %bb.54:                               ;   in Loop: Header=BB13_15 Depth=1
	v_mov_b32_e32 v2, s36
	ds_store_b32 v25, v2 offset:4096
; %bb.55:                               ;   in Loop: Header=BB13_15 Depth=1
	s_or_b32 exec_lo, exec_lo, s14
	s_mov_b32 s14, -1
	s_wait_dscnt 0x0
	s_barrier_signal -1
	s_barrier_wait -1
.LBB13_56:                              ;   in Loop: Header=BB13_15 Depth=1
	s_and_b32 vcc_lo, exec_lo, s14
	s_mov_b32 s46, 0
	s_cbranch_vccz .LBB13_58
; %bb.57:                               ;   in Loop: Header=BB13_15 Depth=1
	ds_load_b32 v2, v25 offset:4096
	s_wait_dscnt 0x0
	v_readfirstlane_b32 s46, v2
.LBB13_58:                              ;   in Loop: Header=BB13_15 Depth=1
	s_delay_alu instid0(VALU_DEP_1)
	s_cmp_lt_i32 s46, 1
	s_mov_b32 s14, -1
                                        ; implicit-def: $vgpr5
	s_cbranch_scc1 .LBB13_71
; %bb.59:                               ;   in Loop: Header=BB13_15 Depth=1
	s_and_b32 vcc_lo, exec_lo, s14
	s_cbranch_vccnz .LBB13_82
.LBB13_60:                              ;   in Loop: Header=BB13_15 Depth=1
	s_lshl_b32 s16, s87, 7
	s_and_saveexec_b32 s14, s2
.LBB13_61:                              ;   in Loop: Header=BB13_15 Depth=1
	v_lshl_add_u32 v6, s16, 2, v23
	ds_store_b128 v6, v[2:5]
.LBB13_62:                              ;   in Loop: Header=BB13_15 Depth=1
	s_or_b32 exec_lo, exec_lo, s14
	s_wait_dscnt 0x0
	s_barrier_signal -1
	s_barrier_wait -1
	s_and_saveexec_b32 s17, s62
	s_cbranch_execz .LBB13_95
; %bb.63:                               ;   in Loop: Header=BB13_15 Depth=1
	v_dual_add_nc_u32 v4, s16, v19 :: v_dual_mov_b32 v2, 0
	s_and_not1_b32 vcc_lo, exec_lo, s64
	s_cbranch_vccnz .LBB13_94
; %bb.64:                               ;   in Loop: Header=BB13_15 Depth=1
	s_and_not1_b32 vcc_lo, exec_lo, s67
	s_cbranch_vccnz .LBB13_91
; %bb.65:                               ;   in Loop: Header=BB13_15 Depth=1
	v_lshl_add_u32 v5, v4, 2, 0xc00
	s_and_not1_b32 vcc_lo, exec_lo, s70
	s_cbranch_vccnz .LBB13_119
; %bb.66:                               ;   in Loop: Header=BB13_15 Depth=1
	v_dual_mov_b32 v2, 0 :: v_dual_mov_b32 v3, 0
	s_mov_b32 s15, 1
	s_mov_b32 s14, 0
	;; [unrolled: 1-line block ×3, first 2 shown]
.LBB13_67:                              ;   Parent Loop BB13_15 Depth=1
                                        ; =>  This Inner Loop Header: Depth=2
	v_lshl_add_u32 v24, s15, 4, v5
	v_lshl_add_u32 v44, s14, 4, v5
	s_add_co_i32 s18, s18, -8
	s_add_co_i32 s15, s15, 16
	s_add_co_i32 s14, s14, 16
	ds_load_2addr_b32 v[6:7], v24 offset1:8
	ds_load_2addr_b32 v[8:9], v44 offset1:8
	ds_load_2addr_b32 v[10:11], v24 offset0:16 offset1:24
	ds_load_2addr_b32 v[12:13], v44 offset0:16 offset1:24
	ds_load_2addr_b32 v[14:15], v24 offset0:32 offset1:40
	ds_load_2addr_b32 v[16:17], v44 offset0:32 offset1:40
	ds_load_2addr_b32 v[42:43], v24 offset0:48 offset1:56
	ds_load_2addr_b32 v[44:45], v44 offset0:48 offset1:56
	s_cmp_lg_u32 s18, 0
	s_wait_dscnt 0x7
	v_add3_u32 v3, v6, v3, v7
	s_wait_dscnt 0x6
	v_add3_u32 v2, v8, v2, v9
	s_wait_dscnt 0x5
	s_delay_alu instid0(VALU_DEP_2) | instskip(SKIP_1) | instid1(VALU_DEP_2)
	v_add3_u32 v3, v10, v3, v11
	s_wait_dscnt 0x4
	v_add3_u32 v2, v12, v2, v13
	s_wait_dscnt 0x3
	s_delay_alu instid0(VALU_DEP_2) | instskip(SKIP_1) | instid1(VALU_DEP_2)
	;; [unrolled: 5-line block ×3, first 2 shown]
	v_add3_u32 v3, v42, v3, v43
	s_wait_dscnt 0x0
	v_add3_u32 v2, v44, v2, v45
	s_cbranch_scc1 .LBB13_67
; %bb.68:                               ;   in Loop: Header=BB13_15 Depth=1
	s_and_not1_b32 vcc_lo, exec_lo, s73
	s_mov_b32 s18, s69
	s_cbranch_vccnz .LBB13_70
.LBB13_69:                              ;   Parent Loop BB13_15 Depth=1
                                        ; =>  This Inner Loop Header: Depth=2
	v_lshl_add_u32 v6, s15, 4, v5
	v_lshl_add_u32 v7, s14, 4, v5
	s_add_co_i32 s18, s18, -1
	s_add_co_i32 s15, s15, 2
	s_add_co_i32 s14, s14, 2
	ds_load_b32 v6, v6
	ds_load_b32 v7, v7
	s_cmp_lg_u32 s18, 0
	s_wait_dscnt 0x0
	v_dual_add_nc_u32 v3, v6, v3 :: v_dual_add_nc_u32 v2, v7, v2
	s_cbranch_scc1 .LBB13_69
.LBB13_70:                              ;   in Loop: Header=BB13_15 Depth=1
	s_delay_alu instid0(VALU_DEP_1) | instskip(SKIP_2) | instid1(SALU_CYCLE_1)
	v_add_nc_u32_e32 v2, v2, v3
	s_mov_b32 s14, s68
	s_mov_b32 s15, s74
	s_and_b32 vcc_lo, exec_lo, s15
	s_cbranch_vccnz .LBB13_92
	s_branch .LBB13_94
.LBB13_71:                              ;   in Loop: Header=BB13_15 Depth=1
	v_dual_mov_b32 v2, 0 :: v_dual_mov_b32 v3, 0
	v_dual_mov_b32 v4, 0 :: v_dual_mov_b32 v5, 0
	s_and_saveexec_b32 s97, s11
	s_cbranch_execz .LBB13_75
; %bb.72:                               ;   in Loop: Header=BB13_15 Depth=1
	v_mov_b32_e32 v6, v1
	s_mov_b32 s98, 0
	s_mov_b32 s99, 0
	;; [unrolled: 1-line block ×6, first 2 shown]
.LBB13_73:                              ;   Parent Loop BB13_15 Depth=1
                                        ; =>  This Inner Loop Header: Depth=2
	v_dual_add_nc_u32 v2, s99, v36 :: v_dual_add_nc_u32 v3, s99, v33
	v_dual_add_nc_u32 v4, s99, v34 :: v_dual_add_nc_u32 v5, s99, v35
	s_add_co_i32 s99, s99, s83
	s_clause 0x3
	global_load_u8 v2, v2, s[38:39]
	global_load_u8 v3, v3, s[38:39]
	;; [unrolled: 1-line block ×4, first 2 shown]
	v_add_nc_u32_e32 v6, s61, v6
	s_wait_loadcnt 0x3
	v_and_b32_e32 v7, v39, v2
	v_bfe_u32 v2, v2, s84, 2
	s_wait_loadcnt 0x2
	v_and_b32_e32 v8, v39, v3
	v_bfe_u32 v3, v3, s84, 2
	;; [unrolled: 3-line block ×3, first 2 shown]
	v_cmp_eq_u32_e64 s14, v7, v32
	v_cmp_eq_u32_e64 s18, 0, v2
	s_wait_loadcnt 0x0
	v_and_b32_e32 v10, v39, v5
	v_bfe_u32 v5, v5, s84, 2
	v_cmp_eq_u32_e64 s15, v8, v32
	v_cmp_eq_u32_e64 s19, 0, v3
	;; [unrolled: 1-line block ×4, first 2 shown]
	s_and_b32 s18, s14, s18
	v_cmp_eq_u32_e64 s17, v10, v32
	v_cmp_eq_u32_e64 s21, 0, v5
	;; [unrolled: 1-line block ×5, first 2 shown]
	v_cndmask_b32_e64 v2, 0, 1, s18
	s_and_b32 s18, s15, s19
	v_cmp_eq_u32_e64 s23, 1, v3
	v_cmp_eq_u32_e64 s27, 2, v3
	v_cmp_eq_u32_e64 s31, 3, v3
	v_cndmask_b32_e64 v3, 0, 1, s18
	s_and_b32 s18, s16, s20
	v_cmp_eq_u32_e64 s24, 1, v4
	v_cmp_eq_u32_e64 s28, 2, v4
	v_cmp_eq_u32_e64 s33, 3, v4
	;; [unrolled: 5-line block ×3, first 2 shown]
	v_cndmask_b32_e64 v5, 0, 1, s18
	s_and_b32 s18, s14, s22
	v_cmp_le_u32_e32 vcc_lo, s81, v6
	v_cndmask_b32_e64 v7, 0, 1, s18
	s_and_b32 s18, s15, s23
	s_delay_alu instid0(SALU_CYCLE_1) | instskip(SKIP_1) | instid1(SALU_CYCLE_1)
	v_cndmask_b32_e64 v8, 0, 1, s18
	s_and_b32 s18, s16, s24
	v_cndmask_b32_e64 v9, 0, 1, s18
	s_and_b32 s18, s17, s25
	s_delay_alu instid0(VALU_DEP_2)
	v_cmp_ne_u32_e64 s19, 0, v8
	v_cndmask_b32_e64 v10, 0, 1, s18
	s_and_b32 s18, s14, s26
	s_and_b32 s14, s14, s30
	v_cndmask_b32_e64 v11, 0, 1, s18
	s_and_b32 s18, s15, s27
	v_cndmask_b32_e64 v15, 0, 1, s14
	;; [unrolled: 2-line block ×7, first 2 shown]
	v_cndmask_b32_e64 v24, 0, 1, s14
	v_cmp_ne_u32_e64 s14, 0, v2
	v_cmp_ne_u32_e64 s18, 0, v7
	;; [unrolled: 1-line block ×11, first 2 shown]
	s_bcnt1_i32_b32 s14, s14
	s_bcnt1_i32_b32 s18, s18
	;; [unrolled: 1-line block ×4, first 2 shown]
	v_cmp_ne_u32_e64 s17, 0, v5
	v_cmp_ne_u32_e64 s21, 0, v10
	;; [unrolled: 1-line block ×4, first 2 shown]
	s_bcnt1_i32_b32 s15, s15
	s_bcnt1_i32_b32 s19, s19
	s_bcnt1_i32_b32 s23, s23
	s_bcnt1_i32_b32 s27, s27
	s_add_co_i32 s14, s14, s103
	s_add_co_i32 s18, s18, s102
	s_add_co_i32 s22, s22, s101
	s_add_co_i32 s26, s26, s100
	s_bcnt1_i32_b32 s16, s16
	s_bcnt1_i32_b32 s20, s20
	s_bcnt1_i32_b32 s24, s24
	s_bcnt1_i32_b32 s28, s28
	s_add_co_i32 s14, s14, s15
	s_add_co_i32 s15, s18, s19
	s_add_co_i32 s18, s22, s23
	s_add_co_i32 s19, s26, s27
	;; [unrolled: 8-line block ×3, first 2 shown]
	s_add_co_i32 s103, s14, s17
	s_add_co_i32 s102, s15, s21
	;; [unrolled: 1-line block ×4, first 2 shown]
	v_dual_mov_b32 v2, s103 :: v_dual_mov_b32 v3, s102
	v_dual_mov_b32 v4, s101 :: v_dual_mov_b32 v5, s100
	s_or_b32 s98, vcc_lo, s98
	s_delay_alu instid0(SALU_CYCLE_1)
	s_and_not1_b32 exec_lo, exec_lo, s98
	s_cbranch_execnz .LBB13_73
; %bb.74:                               ;   in Loop: Header=BB13_15 Depth=1
	s_or_b32 exec_lo, exec_lo, s98
.LBB13_75:                              ;   in Loop: Header=BB13_15 Depth=1
	s_delay_alu instid0(SALU_CYCLE_1)
	s_or_b32 exec_lo, exec_lo, s97
	s_and_saveexec_b32 s18, s12
	s_cbranch_execz .LBB13_81
; %bb.76:                               ;   in Loop: Header=BB13_15 Depth=1
	global_load_u8 v9, v[26:27], off
	v_dual_mov_b32 v6, v37 :: v_dual_mov_b32 v7, v30
	s_mov_b32 s19, 0
	s_branch .LBB13_78
.LBB13_77:                              ;   in Loop: Header=BB13_78 Depth=2
	s_wait_xcnt 0x0
	s_or_b32 exec_lo, exec_lo, s15
	s_wait_loadcnt 0x0
	v_and_b32_e32 v10, 0xff, v9
	v_bitop3_b32 v9, v39, v9, 0xff bitop3:0x80
	s_and_b32 s15, exec_lo, vcc_lo
	v_add_nc_u32_e32 v6, s56, v6
	s_or_b32 s19, s15, s19
	v_bfe_u32 v10, v10, s84, 2
	v_cmp_eq_u32_e32 vcc_lo, v9, v32
	s_delay_alu instid0(VALU_DEP_2) | instskip(SKIP_4) | instid1(SALU_CYCLE_1)
	v_cmp_eq_u32_e64 s14, 0, v10
	v_cmp_eq_u32_e64 s15, 1, v10
	;; [unrolled: 1-line block ×4, first 2 shown]
	s_and_b32 s14, vcc_lo, s14
	v_cndmask_b32_e64 v9, 0, 1, s14
	s_and_b32 s14, vcc_lo, s15
	s_delay_alu instid0(SALU_CYCLE_1) | instskip(SKIP_1) | instid1(SALU_CYCLE_1)
	v_cndmask_b32_e64 v10, 0, 1, s14
	s_and_b32 s14, vcc_lo, s16
	v_cndmask_b32_e64 v11, 0, 1, s14
	s_and_b32 s14, vcc_lo, s17
	v_cmp_ne_u32_e32 vcc_lo, 0, v9
	v_cndmask_b32_e64 v12, 0, 1, s14
	v_cmp_ne_u32_e64 s14, 0, v10
	v_cmp_ne_u32_e64 s15, 0, v11
	v_mov_b32_e32 v9, v8
	s_bcnt1_i32_b32 s17, vcc_lo
	v_cmp_ne_u32_e64 s16, 0, v12
	s_bcnt1_i32_b32 s14, s14
	s_bcnt1_i32_b32 s15, s15
	v_dual_add_nc_u32 v2, s17, v2 :: v_dual_add_nc_u32 v3, s14, v3
	s_bcnt1_i32_b32 s16, s16
	s_delay_alu instid0(SALU_CYCLE_1)
	v_dual_add_nc_u32 v4, s15, v4 :: v_dual_add_nc_u32 v5, s16, v5
	s_and_not1_b32 exec_lo, exec_lo, s19
	s_cbranch_execz .LBB13_80
.LBB13_78:                              ;   Parent Loop BB13_15 Depth=1
                                        ; =>  This Inner Loop Header: Depth=2
	s_delay_alu instid0(VALU_DEP_1) | instskip(SKIP_1) | instid1(VALU_DEP_1)
	v_dual_mov_b32 v8, 0 :: v_dual_add_nc_u32 v7, s40, v7
	s_mov_b32 s15, exec_lo
	v_cmp_le_u32_e32 vcc_lo, s36, v7
	s_wait_xcnt 0x0
	v_cmpx_gt_u32_e64 s36, v7
	s_cbranch_execz .LBB13_77
; %bb.79:                               ;   in Loop: Header=BB13_78 Depth=2
	global_load_u8 v8, v6, s[38:39]
	s_branch .LBB13_77
.LBB13_80:                              ;   in Loop: Header=BB13_15 Depth=1
	s_or_b32 exec_lo, exec_lo, s19
.LBB13_81:                              ;   in Loop: Header=BB13_15 Depth=1
	s_delay_alu instid0(SALU_CYCLE_1)
	s_or_b32 exec_lo, exec_lo, s18
	s_branch .LBB13_60
.LBB13_82:                              ;   in Loop: Header=BB13_15 Depth=1
	s_mul_u64 s[14:15], s[46:47], s[48:49]
	v_dual_mov_b32 v2, 0 :: v_dual_mov_b32 v3, 0
	s_mul_i32 s14, s15, s61
	v_dual_mov_b32 v4, 0 :: v_dual_mov_b32 v5, 0
	s_sub_co_i32 s14, s46, s14
	s_mov_b32 s98, exec_lo
	s_sub_co_i32 s15, s14, s61
	s_cmp_ge_u32 s14, s61
	s_cselect_b32 s14, s15, s14
	s_delay_alu instid0(SALU_CYCLE_1) | instskip(SKIP_2) | instid1(SALU_CYCLE_1)
	s_sub_co_i32 s15, s14, s61
	s_cmp_ge_u32 s14, s61
	s_cselect_b32 s14, s15, s14
	s_sub_co_i32 s97, s46, s14
	s_delay_alu instid0(SALU_CYCLE_1)
	v_cmpx_gt_u32_e64 s97, v1
	s_cbranch_execz .LBB13_86
; %bb.83:                               ;   in Loop: Header=BB13_15 Depth=1
	v_mov_b32_e32 v6, v1
	s_mov_b32 s99, 0
	s_mov_b32 s100, 0
	;; [unrolled: 1-line block ×5, first 2 shown]
.LBB13_84:                              ;   Parent Loop BB13_15 Depth=1
                                        ; =>  This Inner Loop Header: Depth=2
	ds_load_b32 v2, v6
	s_wait_dscnt 0x0
	v_and_b32_e32 v8, 0xff, v2
	v_dual_lshrrev_b32 v3, 16, v2 :: v_dual_lshrrev_b32 v4, 8, v2
	v_bfe_u32 v9, v2, 8, 8
	v_bitop3_b32 v5, v39, v2, 0xff bitop3:0x80
	v_lshrrev_b32_e32 v7, 24, v2
	v_bfe_u32 v2, v2, 16, 8
	v_bfe_u32 v8, v8, s84, 2
	v_bitop3_b32 v4, v39, v4, 0xff bitop3:0x80
	v_bfe_u32 v9, v9, s84, 2
	v_bitop3_b32 v3, v39, v3, 0xff bitop3:0x80
	v_bfe_u32 v2, v2, s84, 2
	v_cmp_eq_u32_e64 s14, v5, v32
	v_cmp_eq_u32_e64 s18, 0, v8
	v_dual_add_nc_u32 v6, s61, v6 :: v_dual_bitop2_b32 v5, v39, v7 bitop3:0x40
	v_bfe_u32 v7, v7, s84, 2
	v_cmp_eq_u32_e64 s15, v4, v32
	v_cmp_eq_u32_e64 s19, 0, v9
	;; [unrolled: 1-line block ×4, first 2 shown]
	s_and_b32 s18, s14, s18
	v_cmp_eq_u32_e64 s17, v5, v32
	v_cmp_eq_u32_e64 s21, 0, v7
	;; [unrolled: 1-line block ×5, first 2 shown]
	v_cndmask_b32_e64 v2, 0, 1, s18
	s_and_b32 s18, s15, s19
	v_cmp_eq_u32_e64 s22, 1, v8
	v_cndmask_b32_e64 v3, 0, 1, s18
	s_and_b32 s18, s16, s20
	v_cmp_eq_u32_e64 s23, 1, v9
	v_cndmask_b32_e64 v4, 0, 1, s18
	s_and_b32 s18, s17, s21
	v_cmp_eq_u32_e64 s25, 1, v7
	v_cndmask_b32_e64 v5, 0, 1, s18
	s_and_b32 s18, s14, s22
	v_cmp_eq_u32_e64 s29, 2, v7
	v_cmp_eq_u32_e64 s34, 3, v7
	v_cndmask_b32_e64 v7, 0, 1, s18
	s_and_b32 s18, s15, s23
	v_cmp_eq_u32_e64 s26, 2, v8
	v_cmp_eq_u32_e64 s30, 3, v8
	v_cndmask_b32_e64 v8, 0, 1, s18
	s_and_b32 s18, s16, s24
	v_cmp_eq_u32_e64 s27, 2, v9
	v_cmp_eq_u32_e64 s31, 3, v9
	v_cndmask_b32_e64 v9, 0, 1, s18
	s_and_b32 s18, s17, s25
	v_cmp_ne_u32_e64 s19, 0, v8
	v_cndmask_b32_e64 v10, 0, 1, s18
	s_and_b32 s18, s14, s26
	s_and_b32 s14, s14, s30
	v_cndmask_b32_e64 v11, 0, 1, s18
	s_and_b32 s18, s15, s27
	v_cndmask_b32_e64 v15, 0, 1, s14
	;; [unrolled: 2-line block ×7, first 2 shown]
	v_cndmask_b32_e64 v24, 0, 1, s14
	v_cmp_ne_u32_e64 s14, 0, v2
	v_cmp_ne_u32_e64 s18, 0, v7
	;; [unrolled: 1-line block ×11, first 2 shown]
	s_bcnt1_i32_b32 s14, s14
	s_bcnt1_i32_b32 s18, s18
	;; [unrolled: 1-line block ×4, first 2 shown]
	v_cmp_ne_u32_e64 s17, 0, v5
	v_cmp_ne_u32_e64 s21, 0, v10
	;; [unrolled: 1-line block ×4, first 2 shown]
	s_bcnt1_i32_b32 s15, s15
	s_bcnt1_i32_b32 s19, s19
	s_bcnt1_i32_b32 s23, s23
	s_bcnt1_i32_b32 s27, s27
	s_add_co_i32 s14, s14, s103
	s_add_co_i32 s18, s18, s102
	s_add_co_i32 s22, s22, s101
	s_add_co_i32 s26, s26, s100
	s_bcnt1_i32_b32 s16, s16
	s_bcnt1_i32_b32 s20, s20
	s_bcnt1_i32_b32 s24, s24
	s_bcnt1_i32_b32 s28, s28
	s_add_co_i32 s14, s14, s15
	s_add_co_i32 s15, s18, s19
	s_add_co_i32 s18, s22, s23
	s_add_co_i32 s19, s26, s27
	;; [unrolled: 8-line block ×3, first 2 shown]
	v_cmp_le_u32_e32 vcc_lo, s97, v6
	s_add_co_i32 s103, s14, s17
	s_add_co_i32 s102, s15, s21
	;; [unrolled: 1-line block ×4, first 2 shown]
	v_dual_mov_b32 v2, s103 :: v_dual_mov_b32 v3, s102
	v_dual_mov_b32 v4, s101 :: v_dual_mov_b32 v5, s100
	s_or_b32 s99, vcc_lo, s99
	s_delay_alu instid0(SALU_CYCLE_1)
	s_and_not1_b32 exec_lo, exec_lo, s99
	s_cbranch_execnz .LBB13_84
; %bb.85:                               ;   in Loop: Header=BB13_15 Depth=1
	s_or_b32 exec_lo, exec_lo, s99
.LBB13_86:                              ;   in Loop: Header=BB13_15 Depth=1
	s_delay_alu instid0(SALU_CYCLE_1) | instskip(SKIP_2) | instid1(VALU_DEP_1)
	s_or_b32 exec_lo, exec_lo, s98
	v_add_nc_u32_e32 v6, s97, v0
	s_mov_b32 s19, exec_lo
	v_cmpx_gt_u32_e64 s46, v6
	s_cbranch_execz .LBB13_90
; %bb.87:                               ;   in Loop: Header=BB13_15 Depth=1
	s_mov_b32 s20, 0
.LBB13_88:                              ;   Parent Loop BB13_15 Depth=1
                                        ; =>  This Inner Loop Header: Depth=2
	ds_load_u8 v7, v6
	s_wait_dscnt 0x0
	v_dual_add_nc_u32 v6, s40, v6 :: v_dual_bitop2_b32 v8, v39, v7 bitop3:0x40
	v_bfe_u32 v7, v7, s84, 2
	s_delay_alu instid0(VALU_DEP_2) | instskip(NEXT) | instid1(VALU_DEP_3)
	v_cmp_le_u32_e32 vcc_lo, s46, v6
	v_cmp_eq_u32_e64 s14, v8, v32
	s_delay_alu instid0(VALU_DEP_3) | instskip(SKIP_4) | instid1(SALU_CYCLE_1)
	v_cmp_eq_u32_e64 s15, 0, v7
	v_cmp_eq_u32_e64 s16, 1, v7
	;; [unrolled: 1-line block ×4, first 2 shown]
	s_and_b32 s15, s14, s15
	v_cndmask_b32_e64 v7, 0, 1, s15
	s_and_b32 s15, s14, s16
	s_delay_alu instid0(SALU_CYCLE_1)
	v_cndmask_b32_e64 v8, 0, 1, s15
	s_and_b32 s15, s14, s17
	s_and_b32 s14, s14, s18
	v_cndmask_b32_e64 v9, 0, 1, s15
	v_cndmask_b32_e64 v10, 0, 1, s14
	v_cmp_ne_u32_e64 s14, 0, v7
	v_cmp_ne_u32_e64 s15, 0, v8
	s_delay_alu instid0(VALU_DEP_4) | instskip(NEXT) | instid1(VALU_DEP_4)
	v_cmp_ne_u32_e64 s16, 0, v9
	v_cmp_ne_u32_e64 s17, 0, v10
	s_bcnt1_i32_b32 s14, s14
	s_bcnt1_i32_b32 s15, s15
	s_delay_alu instid0(SALU_CYCLE_1) | instskip(SKIP_2) | instid1(SALU_CYCLE_1)
	v_dual_add_nc_u32 v2, s14, v2 :: v_dual_add_nc_u32 v3, s15, v3
	s_bcnt1_i32_b32 s16, s16
	s_bcnt1_i32_b32 s17, s17
	v_dual_add_nc_u32 v4, s16, v4 :: v_dual_add_nc_u32 v5, s17, v5
	s_or_b32 s20, vcc_lo, s20
	s_delay_alu instid0(SALU_CYCLE_1)
	s_and_not1_b32 exec_lo, exec_lo, s20
	s_cbranch_execnz .LBB13_88
; %bb.89:                               ;   in Loop: Header=BB13_15 Depth=1
	s_or_b32 exec_lo, exec_lo, s20
.LBB13_90:                              ;   in Loop: Header=BB13_15 Depth=1
	s_delay_alu instid0(SALU_CYCLE_1)
	s_or_b32 exec_lo, exec_lo, s19
	s_lshl_b32 s16, s87, 7
	s_and_saveexec_b32 s14, s2
	s_cbranch_execnz .LBB13_61
	s_branch .LBB13_62
.LBB13_91:                              ;   in Loop: Header=BB13_15 Depth=1
	v_mov_b32_e32 v2, 0
	s_mov_b32 s14, 0
	s_cbranch_execz .LBB13_94
.LBB13_92:                              ;   in Loop: Header=BB13_15 Depth=1
	s_lshl_b32 s15, s87, 9
	s_lshl_b32 s18, s14, 4
	s_sub_co_i32 s14, s66, s14
	v_add3_u32 v3, s15, s18, v38
.LBB13_93:                              ;   Parent Loop BB13_15 Depth=1
                                        ; =>  This Inner Loop Header: Depth=2
	ds_load_b32 v5, v3
	v_add_nc_u32_e32 v3, 16, v3
	s_add_co_i32 s14, s14, -1
	s_delay_alu instid0(SALU_CYCLE_1)
	s_cmp_eq_u32 s14, 0
	s_wait_dscnt 0x0
	v_add_nc_u32_e32 v2, v5, v2
	s_cbranch_scc0 .LBB13_93
.LBB13_94:                              ;   in Loop: Header=BB13_15 Depth=1
	s_delay_alu instid0(VALU_DEP_1)
	v_lshlrev_b32_e32 v3, 2, v4
	ds_store_b32 v3, v2 offset:3072
.LBB13_95:                              ;   in Loop: Header=BB13_15 Depth=1
	s_or_b32 exec_lo, exec_lo, s17
	s_lshl_b32 s14, s16, 2
	s_wait_dscnt 0x0
	v_mov_b32_e32 v2, s14
	s_barrier_signal -1
	s_barrier_wait -1
	v_cmp_eq_u32_e64 s14, 1, v41
	ds_load_b128 v[2:5], v2 offset:3072
	s_lshl_b32 s18, 3, s84
	s_mov_b32 s26, -1
	s_not_b32 s19, s18
	s_mov_b32 s16, 0
	s_and_not1_b32 vcc_lo, exec_lo, s60
	s_mov_b32 s23, 0
	s_mov_b32 s15, 0
                                        ; implicit-def: $sgpr24
                                        ; implicit-def: $sgpr25
                                        ; implicit-def: $vgpr6
	s_wait_dscnt 0x0
	v_readfirstlane_b32 s17, v2
	v_readfirstlane_b32 s20, v3
	;; [unrolled: 1-line block ×4, first 2 shown]
                                        ; implicit-def: $vgpr5
                                        ; implicit-def: $vgpr2
                                        ; implicit-def: $vgpr3
                                        ; implicit-def: $vgpr4
	s_cbranch_vccnz .LBB13_254
; %bb.96:                               ;   in Loop: Header=BB13_15 Depth=1
	s_cmp_eq_u32 s17, 1
	v_dual_mov_b32 v3, v32 :: v_dual_mov_b32 v4, v39
	v_mov_b32_e32 v6, v40
	s_cselect_b32 s15, -1, 0
	s_mov_b32 s29, -1
	s_and_b32 s28, s15, s14
                                        ; implicit-def: $sgpr25
                                        ; implicit-def: $sgpr24
	s_delay_alu instid0(SALU_CYCLE_1)
	s_and_saveexec_b32 s15, s28
	s_cbranch_execz .LBB13_123
; %bb.97:                               ;   in Loop: Header=BB13_15 Depth=1
	ds_load_b32 v2, v25 offset:4096
	s_wait_dscnt 0x0
	s_barrier_signal -1
	s_barrier_wait -1
	v_readfirstlane_b32 s26, v2
	s_and_saveexec_b32 s23, s6
; %bb.98:                               ;   in Loop: Header=BB13_15 Depth=1
	ds_store_b8 v0, v25 offset:3072
; %bb.99:                               ;   in Loop: Header=BB13_15 Depth=1
	s_or_b32 exec_lo, exec_lo, s23
	v_and_b32_e32 v3, s19, v32
	v_or_b32_e32 v4, s18, v39
	s_mov_b32 s24, -1
	s_mov_b32 s25, 0
	s_cmp_eq_u32 s26, 0
	s_mov_b32 s23, 0
	s_mov_b32 s27, -1
	s_wait_dscnt 0x0
	s_barrier_signal -1
	s_barrier_wait -1
                                        ; implicit-def: $vgpr6
	s_cbranch_scc1 .LBB13_110
; %bb.100:                              ;   in Loop: Header=BB13_15 Depth=1
	s_add_co_i32 s46, s26, s65
	s_mov_b32 s29, exec_lo
	s_mul_u64 s[30:31], s[46:47], s[50:51]
                                        ; implicit-def: $vgpr6
	s_delay_alu instid0(SALU_CYCLE_1) | instskip(NEXT) | instid1(SALU_CYCLE_1)
	s_mul_i32 s23, s31, s40
	s_sub_co_i32 s23, s46, s23
	s_delay_alu instid0(SALU_CYCLE_1) | instskip(SKIP_2) | instid1(SALU_CYCLE_1)
	s_sub_co_i32 s27, s23, s40
	s_cmp_ge_u32 s23, s40
	s_cselect_b32 s23, s27, s23
	s_sub_co_i32 s27, s23, s40
	s_cmp_ge_u32 s23, s40
	s_cselect_b32 s23, s27, s23
	s_mov_b32 s27, 0
	s_sub_co_i32 s30, s46, s23
	s_mov_b32 s23, 0
	v_cmpx_gt_u32_e64 s30, v0
	s_cbranch_execz .LBB13_109
; %bb.101:                              ;   in Loop: Header=BB13_15 Depth=1
	v_mov_b32_e32 v2, v0
                                        ; implicit-def: $sgpr31
	s_branch .LBB13_104
.LBB13_102:                             ;   in Loop: Header=BB13_104 Depth=2
	s_or_b32 exec_lo, exec_lo, s33
	s_wait_dscnt 0x0
	s_barrier_signal -1
	s_barrier_wait -1
	ds_load_u16 v5, v25 offset:3072
	s_mov_b32 s34, -1
	s_mov_b32 s33, -1
	s_wait_dscnt 0x0
	s_barrier_signal -1
	s_barrier_wait -1
	v_and_b32_e32 v6, 0xff, v5
	s_delay_alu instid0(VALU_DEP_1)
	v_cmp_ne_u32_e32 vcc_lo, 0, v6
	s_cbranch_vccz .LBB13_107
.LBB13_103:                             ;   in Loop: Header=BB13_104 Depth=2
	s_and_b32 s34, exec_lo, s34
	s_delay_alu instid0(SALU_CYCLE_1) | instskip(SKIP_2) | instid1(SALU_CYCLE_1)
	s_or_b32 s23, s34, s23
	s_and_not1_b32 s31, s31, exec_lo
	s_and_b32 s33, s33, exec_lo
	s_or_b32 s31, s31, s33
	s_and_not1_b32 exec_lo, exec_lo, s23
	s_cbranch_execz .LBB13_108
.LBB13_104:                             ;   Parent Loop BB13_15 Depth=1
                                        ; =>  This Inner Loop Header: Depth=2
	s_mov_b32 s33, exec_lo
	s_delay_alu instid0(VALU_DEP_1)
	v_cmpx_gt_u32_e64 s26, v2
	s_cbranch_execz .LBB13_102
; %bb.105:                              ;   in Loop: Header=BB13_104 Depth=2
	ds_load_u8 v5, v2
	s_wait_dscnt 0x0
	v_bitop3_b32 v6, v5, 0xff, v4 bitop3:0x80
	s_delay_alu instid0(VALU_DEP_1)
	v_cmp_eq_u32_e32 vcc_lo, v6, v3
	s_and_b32 exec_lo, exec_lo, vcc_lo
	s_cbranch_execz .LBB13_102
; %bb.106:                              ;   in Loop: Header=BB13_104 Depth=2
	v_lshlrev_b16 v5, 8, v5
	s_delay_alu instid0(VALU_DEP_1)
	v_or_b32_e32 v5, 1, v5
	ds_store_b16 v25, v5 offset:3072
	s_branch .LBB13_102
.LBB13_107:                             ;   in Loop: Header=BB13_104 Depth=2
	v_add_nc_u32_e32 v2, s40, v2
	s_mov_b32 s33, 0
	s_delay_alu instid0(VALU_DEP_1)
	v_cmp_le_u32_e32 vcc_lo, s30, v2
	s_or_not1_b32 s34, vcc_lo, exec_lo
	s_branch .LBB13_103
.LBB13_108:                             ;   in Loop: Header=BB13_15 Depth=1
	s_or_b32 exec_lo, exec_lo, s23
	v_and_b32_e32 v2, 0xffff, v5
	s_and_b32 s23, s31, exec_lo
	s_delay_alu instid0(VALU_DEP_1)
	v_lshrrev_b32_e32 v6, 8, v2
.LBB13_109:                             ;   in Loop: Header=BB13_15 Depth=1
	s_or_b32 exec_lo, exec_lo, s29
.LBB13_110:                             ;   in Loop: Header=BB13_15 Depth=1
	s_delay_alu instid0(SALU_CYCLE_1)
	s_and_b32 vcc_lo, exec_lo, s27
	s_cbranch_vccz .LBB13_122
; %bb.111:                              ;   in Loop: Header=BB13_15 Depth=1
                                        ; implicit-def: $vgpr6
	s_and_saveexec_b32 s24, s13
	s_cbranch_execz .LBB13_121
; %bb.112:                              ;   in Loop: Header=BB13_15 Depth=1
	v_dual_mov_b32 v2, v22 :: v_dual_mov_b32 v5, v0
	s_mov_b32 s26, 0
                                        ; implicit-def: $sgpr25
	s_branch .LBB13_115
.LBB13_113:                             ;   in Loop: Header=BB13_115 Depth=2
	s_or_b32 exec_lo, exec_lo, s27
	s_wait_dscnt 0x0
	s_barrier_signal -1
	s_barrier_wait -1
	ds_load_u16 v6, v25 offset:3072
	s_mov_b32 s27, -1
	s_mov_b32 s29, -1
	s_wait_dscnt 0x0
	s_barrier_signal -1
	s_barrier_wait -1
	v_and_b32_e32 v7, 0xff, v6
	s_delay_alu instid0(VALU_DEP_1)
	v_cmp_ne_u32_e32 vcc_lo, 0, v7
	s_cbranch_vccz .LBB13_118
.LBB13_114:                             ;   in Loop: Header=BB13_115 Depth=2
	s_and_b32 s27, exec_lo, s27
	s_delay_alu instid0(SALU_CYCLE_1) | instskip(SKIP_2) | instid1(SALU_CYCLE_1)
	s_or_b32 s26, s27, s26
	s_and_not1_b32 s25, s25, exec_lo
	s_and_b32 s27, s29, exec_lo
	s_or_b32 s25, s25, s27
	s_and_not1_b32 exec_lo, exec_lo, s26
	s_cbranch_execz .LBB13_120
.LBB13_115:                             ;   Parent Loop BB13_15 Depth=1
                                        ; =>  This Inner Loop Header: Depth=2
	s_mov_b32 s27, exec_lo
	s_delay_alu instid0(VALU_DEP_1)
	v_cmpx_gt_u32_e64 s36, v5
	s_cbranch_execz .LBB13_113
; %bb.116:                              ;   in Loop: Header=BB13_115 Depth=2
	global_load_u8 v6, v2, s[38:39]
	s_wait_loadcnt 0x0
	v_bitop3_b32 v7, v6, 0xff, v4 bitop3:0x80
	s_delay_alu instid0(VALU_DEP_1)
	v_cmp_eq_u32_e32 vcc_lo, v7, v3
	s_and_b32 exec_lo, exec_lo, vcc_lo
	s_cbranch_execz .LBB13_113
; %bb.117:                              ;   in Loop: Header=BB13_115 Depth=2
	v_lshlrev_b16 v6, 8, v6
	s_delay_alu instid0(VALU_DEP_1)
	v_or_b32_e32 v6, 1, v6
	ds_store_b16 v25, v6 offset:3072
	s_branch .LBB13_113
.LBB13_118:                             ;   in Loop: Header=BB13_115 Depth=2
	v_dual_add_nc_u32 v5, s40, v5 :: v_dual_add_nc_u32 v2, s56, v2
	s_mov_b32 s29, 0
	s_delay_alu instid0(VALU_DEP_1)
	v_cmp_le_u32_e32 vcc_lo, s82, v5
	s_or_not1_b32 s27, vcc_lo, exec_lo
	s_branch .LBB13_114
.LBB13_119:                             ;   in Loop: Header=BB13_15 Depth=1
	s_mov_b64 s[14:15], 0x100000000
	v_mov_b64_e32 v[2:3], 0
	s_and_not1_b32 vcc_lo, exec_lo, s73
	s_mov_b32 s18, s69
	s_cbranch_vccz .LBB13_69
	s_branch .LBB13_70
.LBB13_120:                             ;   in Loop: Header=BB13_15 Depth=1
	s_or_b32 exec_lo, exec_lo, s26
	v_and_b32_e32 v2, 0xffff, v6
	s_and_not1_b32 s23, s23, exec_lo
	s_and_b32 s25, s25, exec_lo
	s_delay_alu instid0(SALU_CYCLE_1) | instskip(NEXT) | instid1(VALU_DEP_1)
	s_or_b32 s23, s23, s25
	v_lshrrev_b32_e32 v6, 8, v2
.LBB13_121:                             ;   in Loop: Header=BB13_15 Depth=1
	s_or_b32 exec_lo, exec_lo, s24
	s_mov_b32 s24, 0
	s_mov_b32 s25, -1
.LBB13_122:                             ;   in Loop: Header=BB13_15 Depth=1
	s_or_not1_b32 s29, s23, exec_lo
.LBB13_123:                             ;   in Loop: Header=BB13_15 Depth=1
	s_or_b32 exec_lo, exec_lo, s15
	s_mov_b32 s26, 0
	s_mov_b32 s23, 0
	;; [unrolled: 1-line block ×3, first 2 shown]
                                        ; implicit-def: $vgpr5
                                        ; implicit-def: $vgpr2
	s_and_saveexec_b32 s27, s29
	s_cbranch_execz .LBB13_253
; %bb.124:                              ;   in Loop: Header=BB13_15 Depth=1
	v_dual_mov_b32 v5, 1 :: v_dual_mov_b32 v2, 1
	s_xor_b32 s23, s28, -1
	s_mov_b32 s30, 0
	s_and_saveexec_b32 s15, s23
	s_cbranch_execz .LBB13_133
; %bb.125:                              ;   in Loop: Header=BB13_15 Depth=1
	s_mov_b32 s23, exec_lo
	v_cmpx_ge_u32_e64 s17, v41
	s_xor_b32 s23, exec_lo, s23
	s_cbranch_execz .LBB13_130
; %bb.126:                              ;   in Loop: Header=BB13_15 Depth=1
	ds_load_b32 v2, v25 offset:4096
	v_and_b32_e32 v3, s19, v3
	v_or_b32_e32 v4, s18, v4
	s_wait_dscnt 0x0
	v_cmp_ne_u32_e32 vcc_lo, 0, v2
	s_cbranch_vccnz .LBB13_130
; %bb.127:                              ;   in Loop: Header=BB13_15 Depth=1
	s_and_saveexec_b32 s28, s5
; %bb.128:                              ;   in Loop: Header=BB13_15 Depth=1
	v_mov_b32_e32 v2, s17
	ds_store_b32 v25, v2 offset:4100
; %bb.129:                              ;   in Loop: Header=BB13_15 Depth=1
	s_or_b32 exec_lo, exec_lo, s28
	s_wait_dscnt 0x0
	s_barrier_signal -1
	s_barrier_wait -1
.LBB13_130:                             ;   in Loop: Header=BB13_15 Depth=1
	s_or_saveexec_b32 s23, s23
	v_dual_mov_b32 v2, 8 :: v_dual_mov_b32 v5, v41
	s_mov_b32 s28, 0
	s_xor_b32 exec_lo, exec_lo, s23
; %bb.131:                              ;   in Loop: Header=BB13_15 Depth=1
	v_subrev_nc_u32_e32 v5, s17, v41
	v_mov_b32_e32 v2, 0
	s_mov_b32 s28, exec_lo
; %bb.132:                              ;   in Loop: Header=BB13_15 Depth=1
	s_or_b32 exec_lo, exec_lo, s23
	s_delay_alu instid0(SALU_CYCLE_1)
	s_and_b32 s30, s28, exec_lo
.LBB13_133:                             ;   in Loop: Header=BB13_15 Depth=1
	s_or_b32 exec_lo, exec_lo, s15
	s_mov_b32 s29, -1
                                        ; implicit-def: $sgpr23
                                        ; implicit-def: $sgpr28
	s_and_saveexec_b32 s15, s30
	s_delay_alu instid0(SALU_CYCLE_1)
	s_xor_b32 s15, exec_lo, s15
	s_cbranch_execz .LBB13_250
; %bb.134:                              ;   in Loop: Header=BB13_15 Depth=1
	v_cmp_eq_u32_e32 vcc_lo, 1, v5
	s_cmp_eq_u32 s20, 1
	s_mov_b32 s31, -1
	s_cselect_b32 s23, -1, 0
                                        ; implicit-def: $sgpr28
	s_delay_alu instid0(SALU_CYCLE_1) | instskip(NEXT) | instid1(SALU_CYCLE_1)
	s_and_b32 s30, s23, vcc_lo
                                        ; implicit-def: $sgpr23
	s_and_saveexec_b32 s29, s30
	s_cbranch_execz .LBB13_160
; %bb.135:                              ;   in Loop: Header=BB13_15 Depth=1
	ds_load_b32 v6, v25 offset:4096
	s_wait_dscnt 0x0
	s_barrier_signal -1
	s_barrier_wait -1
	v_readfirstlane_b32 s33, v6
	s_and_saveexec_b32 s23, s6
; %bb.136:                              ;   in Loop: Header=BB13_15 Depth=1
	ds_store_b8 v0, v25 offset:3072
; %bb.137:                              ;   in Loop: Header=BB13_15 Depth=1
	s_or_b32 exec_lo, exec_lo, s23
	s_lshl_b32 s23, 1, s84
	v_or_b32_e32 v4, s18, v4
	v_and_or_b32 v3, v3, s19, s23
	s_mov_b32 s23, -1
	s_mov_b32 s28, 0
	s_cmp_eq_u32 s33, 0
	s_mov_b32 s31, 0
	s_mov_b32 s34, -1
	s_wait_dscnt 0x0
	s_barrier_signal -1
	s_barrier_wait -1
                                        ; implicit-def: $vgpr6
	s_cbranch_scc1 .LBB13_148
; %bb.138:                              ;   in Loop: Header=BB13_15 Depth=1
	s_add_co_i32 s46, s33, s65
                                        ; implicit-def: $vgpr6
	s_delay_alu instid0(SALU_CYCLE_1) | instskip(NEXT) | instid1(SALU_CYCLE_1)
	s_mul_u64 s[42:43], s[46:47], s[50:51]
	s_mul_i32 s31, s43, s40
	s_delay_alu instid0(SALU_CYCLE_1) | instskip(NEXT) | instid1(SALU_CYCLE_1)
	s_sub_co_i32 s31, s46, s31
	s_sub_co_i32 s34, s31, s40
	s_cmp_ge_u32 s31, s40
	s_cselect_b32 s31, s34, s31
	s_delay_alu instid0(SALU_CYCLE_1)
	s_sub_co_i32 s34, s31, s40
	s_cmp_ge_u32 s31, s40
	s_cselect_b32 s31, s34, s31
	s_mov_b32 s34, 0
	s_sub_co_i32 s97, s46, s31
	s_mov_b32 s31, 0
	s_mov_b32 s46, exec_lo
	v_cmpx_gt_u32_e64 s97, v0
	s_cbranch_execz .LBB13_147
; %bb.139:                              ;   in Loop: Header=BB13_15 Depth=1
	v_mov_b32_e32 v6, v0
                                        ; implicit-def: $sgpr98
	s_branch .LBB13_142
.LBB13_140:                             ;   in Loop: Header=BB13_142 Depth=2
	s_or_b32 exec_lo, exec_lo, s58
	s_wait_dscnt 0x0
	s_barrier_signal -1
	s_barrier_wait -1
	ds_load_u16 v7, v25 offset:3072
	s_mov_b32 s43, -1
	s_mov_b32 s42, -1
	s_wait_dscnt 0x0
	s_barrier_signal -1
	s_barrier_wait -1
	v_and_b32_e32 v8, 0xff, v7
	s_delay_alu instid0(VALU_DEP_1)
	v_cmp_ne_u32_e32 vcc_lo, 0, v8
	s_cbranch_vccz .LBB13_145
.LBB13_141:                             ;   in Loop: Header=BB13_142 Depth=2
	s_and_b32 s43, exec_lo, s43
	s_delay_alu instid0(SALU_CYCLE_1) | instskip(SKIP_2) | instid1(SALU_CYCLE_1)
	s_or_b32 s31, s43, s31
	s_and_not1_b32 s43, s98, exec_lo
	s_and_b32 s42, s42, exec_lo
	s_or_b32 s98, s43, s42
	s_and_not1_b32 exec_lo, exec_lo, s31
	s_cbranch_execz .LBB13_146
.LBB13_142:                             ;   Parent Loop BB13_15 Depth=1
                                        ; =>  This Inner Loop Header: Depth=2
	s_mov_b32 s58, exec_lo
	s_delay_alu instid0(VALU_DEP_1)
	v_cmpx_gt_u32_e64 s33, v6
	s_cbranch_execz .LBB13_140
; %bb.143:                              ;   in Loop: Header=BB13_142 Depth=2
	ds_load_u8 v7, v6
	s_wait_dscnt 0x0
	v_bitop3_b32 v8, v7, 0xff, v4 bitop3:0x80
	s_delay_alu instid0(VALU_DEP_1)
	v_cmp_eq_u32_e32 vcc_lo, v8, v3
	s_and_b32 exec_lo, exec_lo, vcc_lo
	s_cbranch_execz .LBB13_140
; %bb.144:                              ;   in Loop: Header=BB13_142 Depth=2
	v_lshlrev_b16 v7, 8, v7
	s_delay_alu instid0(VALU_DEP_1)
	v_or_b32_e32 v7, 1, v7
	ds_store_b16 v25, v7 offset:3072
	s_branch .LBB13_140
.LBB13_145:                             ;   in Loop: Header=BB13_142 Depth=2
	v_add_nc_u32_e32 v6, s40, v6
	s_mov_b32 s42, 0
	s_delay_alu instid0(VALU_DEP_1)
	v_cmp_le_u32_e32 vcc_lo, s97, v6
	s_or_not1_b32 s43, vcc_lo, exec_lo
	s_branch .LBB13_141
.LBB13_146:                             ;   in Loop: Header=BB13_15 Depth=1
	s_or_b32 exec_lo, exec_lo, s31
	v_and_b32_e32 v6, 0xffff, v7
	s_and_b32 s31, s98, exec_lo
	s_delay_alu instid0(VALU_DEP_1)
	v_lshrrev_b32_e32 v6, 8, v6
.LBB13_147:                             ;   in Loop: Header=BB13_15 Depth=1
	s_or_b32 exec_lo, exec_lo, s46
.LBB13_148:                             ;   in Loop: Header=BB13_15 Depth=1
	s_delay_alu instid0(SALU_CYCLE_1)
	s_and_b32 vcc_lo, exec_lo, s34
	s_cbranch_vccz .LBB13_159
; %bb.149:                              ;   in Loop: Header=BB13_15 Depth=1
                                        ; implicit-def: $vgpr6
	s_and_saveexec_b32 s23, s13
	s_cbranch_execz .LBB13_158
; %bb.150:                              ;   in Loop: Header=BB13_15 Depth=1
	v_dual_mov_b32 v6, v22 :: v_dual_mov_b32 v7, v0
	s_mov_b32 s28, 0
                                        ; implicit-def: $sgpr33
	s_branch .LBB13_153
.LBB13_151:                             ;   in Loop: Header=BB13_153 Depth=2
	s_or_b32 exec_lo, exec_lo, s34
	s_wait_dscnt 0x0
	s_barrier_signal -1
	s_barrier_wait -1
	ds_load_u16 v8, v25 offset:3072
	s_mov_b32 s34, -1
	s_mov_b32 s42, -1
	s_wait_dscnt 0x0
	s_barrier_signal -1
	s_barrier_wait -1
	v_and_b32_e32 v9, 0xff, v8
	s_delay_alu instid0(VALU_DEP_1)
	v_cmp_eq_u32_e32 vcc_lo, 0, v9
	s_cbranch_vccnz .LBB13_156
.LBB13_152:                             ;   in Loop: Header=BB13_153 Depth=2
	s_and_b32 s34, exec_lo, s34
	s_delay_alu instid0(SALU_CYCLE_1) | instskip(SKIP_2) | instid1(SALU_CYCLE_1)
	s_or_b32 s28, s34, s28
	s_and_not1_b32 s33, s33, exec_lo
	s_and_b32 s34, s42, exec_lo
	s_or_b32 s33, s33, s34
	s_and_not1_b32 exec_lo, exec_lo, s28
	s_cbranch_execz .LBB13_157
.LBB13_153:                             ;   Parent Loop BB13_15 Depth=1
                                        ; =>  This Inner Loop Header: Depth=2
	s_mov_b32 s34, exec_lo
	s_delay_alu instid0(VALU_DEP_1)
	v_cmpx_gt_u32_e64 s36, v7
	s_cbranch_execz .LBB13_151
; %bb.154:                              ;   in Loop: Header=BB13_153 Depth=2
	global_load_u8 v8, v6, s[38:39]
	s_wait_loadcnt 0x0
	v_bitop3_b32 v9, v8, 0xff, v4 bitop3:0x80
	s_delay_alu instid0(VALU_DEP_1)
	v_cmp_eq_u32_e32 vcc_lo, v9, v3
	s_and_b32 exec_lo, exec_lo, vcc_lo
	s_cbranch_execz .LBB13_151
; %bb.155:                              ;   in Loop: Header=BB13_153 Depth=2
	v_lshlrev_b16 v8, 8, v8
	s_delay_alu instid0(VALU_DEP_1)
	v_or_b32_e32 v8, 1, v8
	ds_store_b16 v25, v8 offset:3072
	s_branch .LBB13_151
.LBB13_156:                             ;   in Loop: Header=BB13_153 Depth=2
	v_dual_add_nc_u32 v7, s40, v7 :: v_dual_add_nc_u32 v6, s56, v6
	s_mov_b32 s42, 0
	s_delay_alu instid0(VALU_DEP_1)
	v_cmp_le_u32_e32 vcc_lo, s82, v7
	s_or_not1_b32 s34, vcc_lo, exec_lo
	s_branch .LBB13_152
.LBB13_157:                             ;   in Loop: Header=BB13_15 Depth=1
	s_or_b32 exec_lo, exec_lo, s28
	v_and_b32_e32 v6, 0xffff, v8
	s_and_not1_b32 s28, s31, exec_lo
	s_and_b32 s31, s33, exec_lo
	s_delay_alu instid0(SALU_CYCLE_1) | instskip(NEXT) | instid1(VALU_DEP_1)
	s_or_b32 s31, s28, s31
	v_lshrrev_b32_e32 v6, 8, v6
.LBB13_158:                             ;   in Loop: Header=BB13_15 Depth=1
	s_or_b32 exec_lo, exec_lo, s23
	s_mov_b32 s23, 0
	s_mov_b32 s28, -1
.LBB13_159:                             ;   in Loop: Header=BB13_15 Depth=1
	s_or_not1_b32 s31, s31, exec_lo
.LBB13_160:                             ;   in Loop: Header=BB13_15 Depth=1
	s_or_b32 exec_lo, exec_lo, s29
	s_mov_b32 s33, 0
	s_and_saveexec_b32 s29, s31
	s_cbranch_execz .LBB13_249
; %bb.161:                              ;   in Loop: Header=BB13_15 Depth=1
	v_dual_mov_b32 v7, 1 :: v_dual_mov_b32 v2, 1
	s_xor_b32 s31, s30, -1
	s_mov_b32 s46, 0
	s_and_saveexec_b32 s30, s31
	s_cbranch_execz .LBB13_170
; %bb.162:                              ;   in Loop: Header=BB13_15 Depth=1
	s_mov_b32 s31, exec_lo
	v_cmpx_ge_u32_e64 s20, v5
	s_xor_b32 s31, exec_lo, s31
	s_cbranch_execz .LBB13_167
; %bb.163:                              ;   in Loop: Header=BB13_15 Depth=1
	ds_load_b32 v2, v25 offset:4096
	s_lshl_b32 s33, 1, s84
	v_or_b32_e32 v4, s18, v4
	v_and_or_b32 v3, v3, s19, s33
	s_wait_dscnt 0x0
	v_cmp_ne_u32_e32 vcc_lo, 0, v2
	s_cbranch_vccnz .LBB13_167
; %bb.164:                              ;   in Loop: Header=BB13_15 Depth=1
	s_and_saveexec_b32 s33, s5
; %bb.165:                              ;   in Loop: Header=BB13_15 Depth=1
	v_mov_b32_e32 v2, s20
	ds_store_b32 v25, v2 offset:4100
; %bb.166:                              ;   in Loop: Header=BB13_15 Depth=1
	s_or_b32 exec_lo, exec_lo, s33
	s_wait_dscnt 0x0
	s_barrier_signal -1
	s_barrier_wait -1
.LBB13_167:                             ;   in Loop: Header=BB13_15 Depth=1
	s_or_saveexec_b32 s31, s31
	v_mov_b32_e32 v2, 8
	s_mov_b32 s33, 0
	s_xor_b32 exec_lo, exec_lo, s31
; %bb.168:                              ;   in Loop: Header=BB13_15 Depth=1
	v_subrev_nc_u32_e32 v5, s20, v5
	v_mov_b32_e32 v2, 0
	s_mov_b32 s33, exec_lo
; %bb.169:                              ;   in Loop: Header=BB13_15 Depth=1
	s_or_b32 exec_lo, exec_lo, s31
	s_delay_alu instid0(VALU_DEP_2)
	v_mov_b32_e32 v7, v5
	s_and_b32 s46, s33, exec_lo
.LBB13_170:                             ;   in Loop: Header=BB13_15 Depth=1
	s_or_b32 exec_lo, exec_lo, s30
	s_mov_b32 s34, -1
                                        ; implicit-def: $sgpr31
                                        ; implicit-def: $sgpr33
	s_and_saveexec_b32 s30, s46
	s_cbranch_execz .LBB13_248
; %bb.171:                              ;   in Loop: Header=BB13_15 Depth=1
	v_cmp_eq_u32_e32 vcc_lo, 1, v7
	s_cmp_eq_u32 s21, 1
	s_mov_b32 s46, -1
	s_cselect_b32 s31, -1, 0
                                        ; implicit-def: $sgpr33
	s_delay_alu instid0(SALU_CYCLE_1) | instskip(NEXT) | instid1(SALU_CYCLE_1)
	s_and_b32 s97, s31, vcc_lo
                                        ; implicit-def: $sgpr31
	s_and_saveexec_b32 s34, s97
	s_cbranch_execz .LBB13_197
; %bb.172:                              ;   in Loop: Header=BB13_15 Depth=1
	ds_load_b32 v5, v25 offset:4096
	s_wait_dscnt 0x0
	s_barrier_signal -1
	s_barrier_wait -1
	v_readfirstlane_b32 s98, v5
	s_and_saveexec_b32 s31, s6
; %bb.173:                              ;   in Loop: Header=BB13_15 Depth=1
	ds_store_b8 v0, v25 offset:3072
; %bb.174:                              ;   in Loop: Header=BB13_15 Depth=1
	s_or_b32 exec_lo, exec_lo, s31
	s_lshl_b32 s31, 2, s84
	v_or_b32_e32 v4, s18, v4
	v_and_or_b32 v3, v3, s19, s31
	s_mov_b32 s31, -1
	s_mov_b32 s33, 0
	s_cmp_eq_u32 s98, 0
	s_mov_b32 s46, 0
	s_mov_b32 s99, -1
	s_wait_dscnt 0x0
	s_barrier_signal -1
	s_barrier_wait -1
                                        ; implicit-def: $vgpr6
	s_cbranch_scc1 .LBB13_185
; %bb.175:                              ;   in Loop: Header=BB13_15 Depth=1
	s_add_co_i32 s46, s98, s65
	s_mov_b32 s99, 0
	s_mul_u64 s[42:43], s[46:47], s[50:51]
	s_mov_b32 s100, exec_lo
	s_mul_i32 s42, s43, s40
                                        ; implicit-def: $vgpr6
	s_delay_alu instid0(SALU_CYCLE_1) | instskip(NEXT) | instid1(SALU_CYCLE_1)
	s_sub_co_i32 s42, s46, s42
	s_sub_co_i32 s43, s42, s40
	s_cmp_ge_u32 s42, s40
	s_cselect_b32 s42, s43, s42
	s_delay_alu instid0(SALU_CYCLE_1) | instskip(SKIP_2) | instid1(SALU_CYCLE_1)
	s_sub_co_i32 s43, s42, s40
	s_cmp_ge_u32 s42, s40
	s_cselect_b32 s42, s43, s42
	s_sub_co_i32 s101, s46, s42
	s_mov_b32 s46, 0
	v_cmpx_gt_u32_e64 s101, v0
	s_cbranch_execz .LBB13_184
; %bb.176:                              ;   in Loop: Header=BB13_15 Depth=1
	v_mov_b32_e32 v5, v0
                                        ; implicit-def: $sgpr102
	s_branch .LBB13_179
.LBB13_177:                             ;   in Loop: Header=BB13_179 Depth=2
	s_or_b32 exec_lo, exec_lo, s58
	s_wait_dscnt 0x0
	s_barrier_signal -1
	s_barrier_wait -1
	ds_load_u16 v6, v25 offset:3072
	s_mov_b32 s43, -1
	s_mov_b32 s42, -1
	s_wait_dscnt 0x0
	s_barrier_signal -1
	s_barrier_wait -1
	v_and_b32_e32 v8, 0xff, v6
	s_delay_alu instid0(VALU_DEP_1)
	v_cmp_ne_u32_e32 vcc_lo, 0, v8
	s_cbranch_vccz .LBB13_182
.LBB13_178:                             ;   in Loop: Header=BB13_179 Depth=2
	s_and_b32 s43, exec_lo, s43
	s_delay_alu instid0(SALU_CYCLE_1) | instskip(SKIP_2) | instid1(SALU_CYCLE_1)
	s_or_b32 s46, s43, s46
	s_and_not1_b32 s43, s102, exec_lo
	s_and_b32 s42, s42, exec_lo
	s_or_b32 s102, s43, s42
	s_and_not1_b32 exec_lo, exec_lo, s46
	s_cbranch_execz .LBB13_183
.LBB13_179:                             ;   Parent Loop BB13_15 Depth=1
                                        ; =>  This Inner Loop Header: Depth=2
	s_mov_b32 s58, exec_lo
	s_delay_alu instid0(VALU_DEP_1)
	v_cmpx_gt_u32_e64 s98, v5
	s_cbranch_execz .LBB13_177
; %bb.180:                              ;   in Loop: Header=BB13_179 Depth=2
	ds_load_u8 v6, v5
	s_wait_dscnt 0x0
	v_bitop3_b32 v8, v6, 0xff, v4 bitop3:0x80
	s_delay_alu instid0(VALU_DEP_1)
	v_cmp_eq_u32_e32 vcc_lo, v8, v3
	s_and_b32 exec_lo, exec_lo, vcc_lo
	s_cbranch_execz .LBB13_177
; %bb.181:                              ;   in Loop: Header=BB13_179 Depth=2
	v_lshlrev_b16 v6, 8, v6
	s_delay_alu instid0(VALU_DEP_1)
	v_or_b32_e32 v6, 1, v6
	ds_store_b16 v25, v6 offset:3072
	s_branch .LBB13_177
.LBB13_182:                             ;   in Loop: Header=BB13_179 Depth=2
	v_add_nc_u32_e32 v5, s40, v5
	s_mov_b32 s42, 0
	s_delay_alu instid0(VALU_DEP_1)
	v_cmp_le_u32_e32 vcc_lo, s101, v5
	s_or_not1_b32 s43, vcc_lo, exec_lo
	s_branch .LBB13_178
.LBB13_183:                             ;   in Loop: Header=BB13_15 Depth=1
	s_or_b32 exec_lo, exec_lo, s46
	v_and_b32_e32 v5, 0xffff, v6
	s_and_b32 s46, s102, exec_lo
	s_delay_alu instid0(VALU_DEP_1)
	v_lshrrev_b32_e32 v6, 8, v5
.LBB13_184:                             ;   in Loop: Header=BB13_15 Depth=1
	s_or_b32 exec_lo, exec_lo, s100
.LBB13_185:                             ;   in Loop: Header=BB13_15 Depth=1
	s_delay_alu instid0(SALU_CYCLE_1)
	s_and_b32 vcc_lo, exec_lo, s99
	s_cbranch_vccz .LBB13_196
; %bb.186:                              ;   in Loop: Header=BB13_15 Depth=1
                                        ; implicit-def: $vgpr6
	s_and_saveexec_b32 s31, s13
	s_cbranch_execz .LBB13_195
; %bb.187:                              ;   in Loop: Header=BB13_15 Depth=1
	v_dual_mov_b32 v5, v22 :: v_dual_mov_b32 v6, v0
	s_mov_b32 s33, 0
                                        ; implicit-def: $sgpr98
	s_branch .LBB13_190
.LBB13_188:                             ;   in Loop: Header=BB13_190 Depth=2
	s_or_b32 exec_lo, exec_lo, s58
	s_wait_dscnt 0x0
	s_barrier_signal -1
	s_barrier_wait -1
	ds_load_u16 v8, v25 offset:3072
	s_mov_b32 s42, -1
	s_mov_b32 s43, -1
	s_wait_dscnt 0x0
	s_barrier_signal -1
	s_barrier_wait -1
	v_and_b32_e32 v9, 0xff, v8
	s_delay_alu instid0(VALU_DEP_1)
	v_cmp_eq_u32_e32 vcc_lo, 0, v9
	s_cbranch_vccnz .LBB13_193
.LBB13_189:                             ;   in Loop: Header=BB13_190 Depth=2
	s_and_b32 s42, exec_lo, s42
	s_delay_alu instid0(SALU_CYCLE_1) | instskip(SKIP_2) | instid1(SALU_CYCLE_1)
	s_or_b32 s33, s42, s33
	s_and_not1_b32 s42, s98, exec_lo
	s_and_b32 s43, s43, exec_lo
	s_or_b32 s98, s42, s43
	s_and_not1_b32 exec_lo, exec_lo, s33
	s_cbranch_execz .LBB13_194
.LBB13_190:                             ;   Parent Loop BB13_15 Depth=1
                                        ; =>  This Inner Loop Header: Depth=2
	s_mov_b32 s58, exec_lo
	s_delay_alu instid0(VALU_DEP_1)
	v_cmpx_gt_u32_e64 s36, v6
	s_cbranch_execz .LBB13_188
; %bb.191:                              ;   in Loop: Header=BB13_190 Depth=2
	global_load_u8 v8, v5, s[38:39]
	s_wait_loadcnt 0x0
	v_bitop3_b32 v9, v8, 0xff, v4 bitop3:0x80
	s_delay_alu instid0(VALU_DEP_1)
	v_cmp_eq_u32_e32 vcc_lo, v9, v3
	s_and_b32 exec_lo, exec_lo, vcc_lo
	s_cbranch_execz .LBB13_188
; %bb.192:                              ;   in Loop: Header=BB13_190 Depth=2
	v_lshlrev_b16 v8, 8, v8
	s_delay_alu instid0(VALU_DEP_1)
	v_or_b32_e32 v8, 1, v8
	ds_store_b16 v25, v8 offset:3072
	s_branch .LBB13_188
.LBB13_193:                             ;   in Loop: Header=BB13_190 Depth=2
	v_dual_add_nc_u32 v6, s40, v6 :: v_dual_add_nc_u32 v5, s56, v5
	s_mov_b32 s43, 0
	s_delay_alu instid0(VALU_DEP_1)
	v_cmp_le_u32_e32 vcc_lo, s82, v6
	s_or_not1_b32 s42, vcc_lo, exec_lo
	s_branch .LBB13_189
.LBB13_194:                             ;   in Loop: Header=BB13_15 Depth=1
	s_or_b32 exec_lo, exec_lo, s33
	v_and_b32_e32 v5, 0xffff, v8
	s_and_not1_b32 s33, s46, exec_lo
	s_and_b32 s42, s98, exec_lo
	s_delay_alu instid0(SALU_CYCLE_1) | instskip(NEXT) | instid1(VALU_DEP_1)
	s_or_b32 s46, s33, s42
	v_lshrrev_b32_e32 v6, 8, v5
.LBB13_195:                             ;   in Loop: Header=BB13_15 Depth=1
	s_or_b32 exec_lo, exec_lo, s31
	s_mov_b32 s31, 0
	s_mov_b32 s33, -1
.LBB13_196:                             ;   in Loop: Header=BB13_15 Depth=1
	s_or_not1_b32 s46, s46, exec_lo
.LBB13_197:                             ;   in Loop: Header=BB13_15 Depth=1
	s_or_b32 exec_lo, exec_lo, s34
	s_mov_b32 s58, 0
	s_and_saveexec_b32 s34, s46
	s_cbranch_execz .LBB13_247
; %bb.198:                              ;   in Loop: Header=BB13_15 Depth=1
	v_dual_mov_b32 v5, 1 :: v_dual_mov_b32 v2, 1
	s_xor_b32 s42, s97, -1
	s_delay_alu instid0(SALU_CYCLE_1)
	s_and_saveexec_b32 s46, s42
	s_cbranch_execz .LBB13_207
; %bb.199:                              ;   in Loop: Header=BB13_15 Depth=1
	s_mov_b32 s42, exec_lo
	v_cmpx_ge_u32_e64 s21, v7
	s_xor_b32 s58, exec_lo, s42
	s_cbranch_execz .LBB13_204
; %bb.200:                              ;   in Loop: Header=BB13_15 Depth=1
	ds_load_b32 v2, v25 offset:4096
	s_lshl_b32 s42, 2, s84
	v_or_b32_e32 v4, s18, v4
	v_and_or_b32 v3, v3, s19, s42
	s_wait_dscnt 0x0
	v_cmp_ne_u32_e32 vcc_lo, 0, v2
	s_cbranch_vccnz .LBB13_204
; %bb.201:                              ;   in Loop: Header=BB13_15 Depth=1
	s_and_saveexec_b32 s42, s5
; %bb.202:                              ;   in Loop: Header=BB13_15 Depth=1
	v_mov_b32_e32 v2, s21
	ds_store_b32 v25, v2 offset:4100
; %bb.203:                              ;   in Loop: Header=BB13_15 Depth=1
	s_or_b32 exec_lo, exec_lo, s42
	s_wait_dscnt 0x0
	s_barrier_signal -1
	s_barrier_wait -1
.LBB13_204:                             ;   in Loop: Header=BB13_15 Depth=1
	s_or_saveexec_b32 s58, s58
	v_mov_b32_e32 v2, 8
	s_mov_b32 s97, 0
	s_xor_b32 exec_lo, exec_lo, s58
; %bb.205:                              ;   in Loop: Header=BB13_15 Depth=1
	v_subrev_nc_u32_e32 v7, s21, v7
	v_mov_b32_e32 v2, 0
	s_mov_b32 s97, exec_lo
; %bb.206:                              ;   in Loop: Header=BB13_15 Depth=1
	s_or_b32 exec_lo, exec_lo, s58
	s_delay_alu instid0(VALU_DEP_2)
	v_mov_b32_e32 v5, v7
	s_and_b32 s58, s97, exec_lo
.LBB13_207:                             ;   in Loop: Header=BB13_15 Depth=1
	s_or_b32 exec_lo, exec_lo, s46
	s_mov_b32 s46, -1
                                        ; implicit-def: $sgpr100
                                        ; implicit-def: $sgpr98
	s_and_saveexec_b32 s97, s58
	s_cbranch_execz .LBB13_246
; %bb.208:                              ;   in Loop: Header=BB13_15 Depth=1
	v_cmp_eq_u32_e32 vcc_lo, 1, v5
	s_cmp_eq_u32 s22, 1
	s_mov_b32 s58, -1
	s_cselect_b32 s42, -1, 0
                                        ; implicit-def: $sgpr100
                                        ; implicit-def: $sgpr98
	s_delay_alu instid0(SALU_CYCLE_1) | instskip(NEXT) | instid1(SALU_CYCLE_1)
	s_and_b32 s99, s42, vcc_lo
	s_and_saveexec_b32 s101, s99
	s_cbranch_execz .LBB13_234
; %bb.209:                              ;   in Loop: Header=BB13_15 Depth=1
	ds_load_b32 v6, v25 offset:4096
	s_wait_dscnt 0x0
	s_barrier_signal -1
	s_barrier_wait -1
	v_readfirstlane_b32 s102, v6
	s_and_saveexec_b32 s42, s6
; %bb.210:                              ;   in Loop: Header=BB13_15 Depth=1
	ds_store_b8 v0, v25 offset:3072
; %bb.211:                              ;   in Loop: Header=BB13_15 Depth=1
	s_or_b32 exec_lo, exec_lo, s42
	v_or_b32_e32 v3, s18, v3
	v_or_b32_e32 v4, s18, v4
	s_mov_b32 s98, -1
	s_mov_b32 s100, 0
	s_cmp_eq_u32 s102, 0
	s_mov_b32 s46, 0
	s_mov_b32 s103, -1
	s_wait_dscnt 0x0
	s_barrier_signal -1
	s_barrier_wait -1
                                        ; implicit-def: $vgpr6
	s_cbranch_scc1 .LBB13_222
; %bb.212:                              ;   in Loop: Header=BB13_15 Depth=1
	s_add_co_i32 s46, s102, s65
	s_mov_b32 s103, 0
	s_mul_u64 s[42:43], s[46:47], s[50:51]
	s_mov_b32 s104, exec_lo
	s_mul_i32 s42, s43, s40
                                        ; implicit-def: $vgpr6
	s_delay_alu instid0(SALU_CYCLE_1) | instskip(NEXT) | instid1(SALU_CYCLE_1)
	s_sub_co_i32 s42, s46, s42
	s_sub_co_i32 s43, s42, s40
	s_cmp_ge_u32 s42, s40
	s_cselect_b32 s42, s43, s42
	s_delay_alu instid0(SALU_CYCLE_1) | instskip(SKIP_2) | instid1(SALU_CYCLE_1)
	s_sub_co_i32 s43, s42, s40
	s_cmp_ge_u32 s42, s40
	s_cselect_b32 s42, s43, s42
	s_sub_co_i32 vcc_hi, s46, s42
	s_mov_b32 s46, 0
	v_cmpx_gt_u32_e64 vcc_hi, v0
	s_cbranch_execz .LBB13_221
; %bb.213:                              ;   in Loop: Header=BB13_15 Depth=1
	v_mov_b32_e32 v6, v0
                                        ; implicit-def: $sgpr58
	s_branch .LBB13_216
.LBB13_214:                             ;   in Loop: Header=BB13_216 Depth=2
	s_or_b32 exec_lo, exec_lo, s42
	s_wait_dscnt 0x0
	s_barrier_signal -1
	s_barrier_wait -1
	ds_load_u16 v7, v25 offset:3072
	s_mov_b32 s43, -1
	s_mov_b32 s42, -1
	s_wait_dscnt 0x0
	s_barrier_signal -1
	s_barrier_wait -1
	v_and_b32_e32 v8, 0xff, v7
	s_delay_alu instid0(VALU_DEP_1)
	v_cmp_ne_u32_e32 vcc_lo, 0, v8
	s_cbranch_vccz .LBB13_219
.LBB13_215:                             ;   in Loop: Header=BB13_216 Depth=2
	s_and_b32 s43, exec_lo, s43
	s_delay_alu instid0(SALU_CYCLE_1) | instskip(SKIP_2) | instid1(SALU_CYCLE_1)
	s_or_b32 s46, s43, s46
	s_and_not1_b32 s43, s58, exec_lo
	s_and_b32 s42, s42, exec_lo
	s_or_b32 s58, s43, s42
	s_and_not1_b32 exec_lo, exec_lo, s46
	s_cbranch_execz .LBB13_220
.LBB13_216:                             ;   Parent Loop BB13_15 Depth=1
                                        ; =>  This Inner Loop Header: Depth=2
	s_mov_b32 s42, exec_lo
	s_delay_alu instid0(VALU_DEP_1)
	v_cmpx_gt_u32_e64 s102, v6
	s_cbranch_execz .LBB13_214
; %bb.217:                              ;   in Loop: Header=BB13_216 Depth=2
	ds_load_u8 v7, v6
	s_wait_dscnt 0x0
	v_bitop3_b32 v8, v7, 0xff, v4 bitop3:0x80
	s_delay_alu instid0(VALU_DEP_1)
	v_cmp_eq_u32_e32 vcc_lo, v8, v3
	s_and_b32 exec_lo, exec_lo, vcc_lo
	s_cbranch_execz .LBB13_214
; %bb.218:                              ;   in Loop: Header=BB13_216 Depth=2
	v_lshlrev_b16 v7, 8, v7
	s_delay_alu instid0(VALU_DEP_1)
	v_or_b32_e32 v7, 1, v7
	ds_store_b16 v25, v7 offset:3072
	s_branch .LBB13_214
.LBB13_219:                             ;   in Loop: Header=BB13_216 Depth=2
	v_add_nc_u32_e32 v6, s40, v6
	s_mov_b32 s42, 0
	s_delay_alu instid0(VALU_DEP_1)
	v_cmp_le_u32_e32 vcc_lo, vcc_hi, v6
	s_or_not1_b32 s43, vcc_lo, exec_lo
	s_branch .LBB13_215
.LBB13_220:                             ;   in Loop: Header=BB13_15 Depth=1
	s_or_b32 exec_lo, exec_lo, s46
	v_and_b32_e32 v6, 0xffff, v7
	s_and_b32 s46, s58, exec_lo
	s_delay_alu instid0(VALU_DEP_1)
	v_lshrrev_b32_e32 v6, 8, v6
.LBB13_221:                             ;   in Loop: Header=BB13_15 Depth=1
	s_or_b32 exec_lo, exec_lo, s104
.LBB13_222:                             ;   in Loop: Header=BB13_15 Depth=1
	s_delay_alu instid0(SALU_CYCLE_1)
	s_and_b32 vcc_lo, exec_lo, s103
	s_cbranch_vccz .LBB13_233
; %bb.223:                              ;   in Loop: Header=BB13_15 Depth=1
                                        ; implicit-def: $vgpr6
	s_and_saveexec_b32 s98, s13
	s_cbranch_execz .LBB13_232
; %bb.224:                              ;   in Loop: Header=BB13_15 Depth=1
	v_dual_mov_b32 v6, v22 :: v_dual_mov_b32 v7, v0
	s_mov_b32 s100, 0
                                        ; implicit-def: $sgpr102
	s_branch .LBB13_227
.LBB13_225:                             ;   in Loop: Header=BB13_227 Depth=2
	s_or_b32 exec_lo, exec_lo, s42
	s_wait_dscnt 0x0
	s_barrier_signal -1
	s_barrier_wait -1
	ds_load_u16 v8, v25 offset:3072
	s_mov_b32 s42, -1
	s_mov_b32 s43, -1
	s_wait_dscnt 0x0
	s_barrier_signal -1
	s_barrier_wait -1
	v_and_b32_e32 v9, 0xff, v8
	s_delay_alu instid0(VALU_DEP_1)
	v_cmp_eq_u32_e32 vcc_lo, 0, v9
	s_cbranch_vccnz .LBB13_230
.LBB13_226:                             ;   in Loop: Header=BB13_227 Depth=2
	s_and_b32 s42, exec_lo, s42
	s_delay_alu instid0(SALU_CYCLE_1) | instskip(SKIP_2) | instid1(SALU_CYCLE_1)
	s_or_b32 s100, s42, s100
	s_and_not1_b32 s42, s102, exec_lo
	s_and_b32 s43, s43, exec_lo
	s_or_b32 s102, s42, s43
	s_and_not1_b32 exec_lo, exec_lo, s100
	s_cbranch_execz .LBB13_231
.LBB13_227:                             ;   Parent Loop BB13_15 Depth=1
                                        ; =>  This Inner Loop Header: Depth=2
	s_mov_b32 s42, exec_lo
	s_delay_alu instid0(VALU_DEP_1)
	v_cmpx_gt_u32_e64 s36, v7
	s_cbranch_execz .LBB13_225
; %bb.228:                              ;   in Loop: Header=BB13_227 Depth=2
	global_load_u8 v8, v6, s[38:39]
	s_wait_loadcnt 0x0
	v_bitop3_b32 v9, v8, 0xff, v4 bitop3:0x80
	s_delay_alu instid0(VALU_DEP_1)
	v_cmp_eq_u32_e32 vcc_lo, v9, v3
	s_and_b32 exec_lo, exec_lo, vcc_lo
	s_cbranch_execz .LBB13_225
; %bb.229:                              ;   in Loop: Header=BB13_227 Depth=2
	v_lshlrev_b16 v8, 8, v8
	s_delay_alu instid0(VALU_DEP_1)
	v_or_b32_e32 v8, 1, v8
	ds_store_b16 v25, v8 offset:3072
	s_branch .LBB13_225
.LBB13_230:                             ;   in Loop: Header=BB13_227 Depth=2
	v_dual_add_nc_u32 v7, s40, v7 :: v_dual_add_nc_u32 v6, s56, v6
	s_mov_b32 s43, 0
	s_delay_alu instid0(VALU_DEP_1)
	v_cmp_le_u32_e32 vcc_lo, s82, v7
	s_or_not1_b32 s42, vcc_lo, exec_lo
	s_branch .LBB13_226
.LBB13_231:                             ;   in Loop: Header=BB13_15 Depth=1
	s_or_b32 exec_lo, exec_lo, s100
	v_and_b32_e32 v6, 0xffff, v8
	s_and_not1_b32 s42, s46, exec_lo
	s_and_b32 s43, s102, exec_lo
	s_delay_alu instid0(SALU_CYCLE_1) | instskip(NEXT) | instid1(VALU_DEP_1)
	s_or_b32 s46, s42, s43
	v_lshrrev_b32_e32 v6, 8, v6
.LBB13_232:                             ;   in Loop: Header=BB13_15 Depth=1
	s_or_b32 exec_lo, exec_lo, s98
	s_mov_b32 s98, 0
	s_mov_b32 s100, -1
.LBB13_233:                             ;   in Loop: Header=BB13_15 Depth=1
	s_or_not1_b32 s58, s46, exec_lo
.LBB13_234:                             ;   in Loop: Header=BB13_15 Depth=1
	s_or_b32 exec_lo, exec_lo, s101
	s_mov_b32 s101, 0
	s_and_saveexec_b32 s46, s58
	s_cbranch_execz .LBB13_245
; %bb.235:                              ;   in Loop: Header=BB13_15 Depth=1
	v_dual_mov_b32 v2, 1 :: v_dual_mov_b32 v7, 1
	s_xor_b32 s42, s99, -1
	s_delay_alu instid0(SALU_CYCLE_1)
	s_and_saveexec_b32 s99, s42
	s_cbranch_execz .LBB13_244
; %bb.236:                              ;   in Loop: Header=BB13_15 Depth=1
	s_mov_b32 s42, exec_lo
	v_cmpx_ge_u32_e64 s22, v5
	s_xor_b32 s58, exec_lo, s42
	s_cbranch_execz .LBB13_241
; %bb.237:                              ;   in Loop: Header=BB13_15 Depth=1
	ds_load_b32 v2, v25 offset:4096
	v_or_b32_e32 v3, s18, v3
	v_or_b32_e32 v4, s18, v4
	s_wait_dscnt 0x0
	v_cmp_ne_u32_e32 vcc_lo, 0, v2
	s_cbranch_vccnz .LBB13_241
; %bb.238:                              ;   in Loop: Header=BB13_15 Depth=1
	s_and_saveexec_b32 s42, s5
; %bb.239:                              ;   in Loop: Header=BB13_15 Depth=1
	v_mov_b32_e32 v2, s22
	ds_store_b32 v25, v2 offset:4100
; %bb.240:                              ;   in Loop: Header=BB13_15 Depth=1
	s_or_b32 exec_lo, exec_lo, s42
	s_wait_dscnt 0x0
	s_barrier_signal -1
	s_barrier_wait -1
.LBB13_241:                             ;   in Loop: Header=BB13_15 Depth=1
	s_and_not1_saveexec_b32 s42, s58
; %bb.242:                              ;   in Loop: Header=BB13_15 Depth=1
	v_subrev_nc_u32_e32 v5, s22, v5
; %bb.243:                              ;   in Loop: Header=BB13_15 Depth=1
	s_or_b32 exec_lo, exec_lo, s42
	s_delay_alu instid0(VALU_DEP_1)
	v_dual_mov_b32 v2, 8 :: v_dual_mov_b32 v7, v5
.LBB13_244:                             ;   in Loop: Header=BB13_15 Depth=1
	s_or_b32 exec_lo, exec_lo, s99
	s_delay_alu instid0(VALU_DEP_1)
	v_mov_b32_e32 v5, v7
	s_mov_b32 s101, exec_lo
.LBB13_245:                             ;   in Loop: Header=BB13_15 Depth=1
	s_or_b32 exec_lo, exec_lo, s46
	s_delay_alu instid0(SALU_CYCLE_1)
	s_or_not1_b32 s46, s101, exec_lo
.LBB13_246:                             ;   in Loop: Header=BB13_15 Depth=1
	s_or_b32 exec_lo, exec_lo, s97
	v_mov_b32_e32 v7, v5
	s_and_not1_b32 s33, s33, exec_lo
	s_and_b32 s42, s100, exec_lo
	s_and_not1_b32 s31, s31, exec_lo
	s_and_b32 s43, s98, exec_lo
	s_or_b32 s33, s33, s42
	s_or_b32 s31, s31, s43
	s_and_b32 s58, s46, exec_lo
.LBB13_247:                             ;   in Loop: Header=BB13_15 Depth=1
	s_or_b32 exec_lo, exec_lo, s34
	s_delay_alu instid0(SALU_CYCLE_1)
	s_or_not1_b32 s34, s58, exec_lo
.LBB13_248:                             ;   in Loop: Header=BB13_15 Depth=1
	s_or_b32 exec_lo, exec_lo, s30
	v_mov_b32_e32 v5, v7
	s_and_not1_b32 s28, s28, exec_lo
	s_and_b32 s30, s33, exec_lo
	s_and_not1_b32 s23, s23, exec_lo
	s_and_b32 s31, s31, exec_lo
	s_or_b32 s28, s28, s30
	s_or_b32 s23, s23, s31
	s_and_b32 s33, s34, exec_lo
.LBB13_249:                             ;   in Loop: Header=BB13_15 Depth=1
	s_or_b32 exec_lo, exec_lo, s29
	s_delay_alu instid0(SALU_CYCLE_1)
	s_or_not1_b32 s29, s33, exec_lo
.LBB13_250:                             ;   in Loop: Header=BB13_15 Depth=1
	s_or_b32 exec_lo, exec_lo, s15
	s_mov_b32 s30, 0
	s_mov_b32 s31, 0
	s_and_saveexec_b32 s15, s29
	s_delay_alu instid0(SALU_CYCLE_1)
	s_xor_b32 s29, exec_lo, s15
; %bb.251:                              ;   in Loop: Header=BB13_15 Depth=1
	v_cmp_ne_u32_e32 vcc_lo, 8, v2
	v_cmp_eq_u32_e64 s15, 8, v2
	s_and_b32 s31, vcc_lo, exec_lo
	s_and_b32 s30, s15, exec_lo
; %bb.252:                              ;   in Loop: Header=BB13_15 Depth=1
	s_or_b32 exec_lo, exec_lo, s29
	s_delay_alu instid0(SALU_CYCLE_1)
	s_and_not1_b32 s15, s25, exec_lo
	s_and_b32 s25, s28, exec_lo
	s_and_not1_b32 s24, s24, exec_lo
	s_and_b32 s23, s23, exec_lo
	s_or_b32 s25, s15, s25
	s_or_b32 s24, s24, s23
	s_and_b32 s15, s31, exec_lo
	s_and_b32 s23, s30, exec_lo
.LBB13_253:                             ;   in Loop: Header=BB13_15 Depth=1
	s_or_b32 exec_lo, exec_lo, s27
.LBB13_254:                             ;   in Loop: Header=BB13_15 Depth=1
	s_delay_alu instid0(SALU_CYCLE_1)
	s_and_b32 vcc_lo, exec_lo, s26
	s_cbranch_vccz .LBB13_267
; %bb.255:                              ;   in Loop: Header=BB13_15 Depth=1
	s_cmp_eq_u32 s22, 1
	s_mov_b32 s25, -1
	s_cselect_b32 s16, -1, 0
                                        ; implicit-def: $sgpr26
	s_delay_alu instid0(SALU_CYCLE_1) | instskip(NEXT) | instid1(SALU_CYCLE_1)
	s_and_b32 s14, s16, s14
                                        ; implicit-def: $sgpr16
	s_and_saveexec_b32 s24, s14
	s_cbranch_execz .LBB13_282
; %bb.256:                              ;   in Loop: Header=BB13_15 Depth=1
	ds_load_b32 v2, v25 offset:4096
	s_wait_dscnt 0x0
	s_barrier_signal -1
	s_barrier_wait -1
	v_readfirstlane_b32 s27, v2
	s_and_saveexec_b32 s16, s6
; %bb.257:                              ;   in Loop: Header=BB13_15 Depth=1
	ds_store_b8 v0, v25 offset:3072
; %bb.258:                              ;   in Loop: Header=BB13_15 Depth=1
	s_or_b32 exec_lo, exec_lo, s16
	v_or_b32_e32 v32, s18, v32
	v_or_b32_e32 v39, s18, v39
	s_mov_b32 s16, -1
	s_mov_b32 s26, 0
	s_cmp_eq_u32 s27, 0
	s_mov_b32 s25, 0
	s_mov_b32 s28, -1
	s_wait_dscnt 0x0
	s_barrier_signal -1
	s_barrier_wait -1
                                        ; implicit-def: $vgpr40
	s_cbranch_scc1 .LBB13_270
; %bb.259:                              ;   in Loop: Header=BB13_15 Depth=1
	s_add_co_i32 s46, s27, s65
                                        ; implicit-def: $vgpr40
	s_delay_alu instid0(SALU_CYCLE_1) | instskip(NEXT) | instid1(SALU_CYCLE_1)
	s_mul_u64 s[28:29], s[46:47], s[50:51]
	s_mul_i32 s25, s29, s40
	s_mov_b32 s29, exec_lo
	s_sub_co_i32 s25, s46, s25
	s_delay_alu instid0(SALU_CYCLE_1) | instskip(SKIP_2) | instid1(SALU_CYCLE_1)
	s_sub_co_i32 s28, s25, s40
	s_cmp_ge_u32 s25, s40
	s_cselect_b32 s25, s28, s25
	s_sub_co_i32 s28, s25, s40
	s_cmp_ge_u32 s25, s40
	s_cselect_b32 s25, s28, s25
	s_mov_b32 s28, 0
	s_sub_co_i32 s30, s46, s25
	s_mov_b32 s25, 0
	v_cmpx_gt_u32_e64 s30, v0
	s_cbranch_execz .LBB13_269
; %bb.260:                              ;   in Loop: Header=BB13_15 Depth=1
	v_mov_b32_e32 v2, v0
                                        ; implicit-def: $sgpr31
	s_branch .LBB13_263
.LBB13_261:                             ;   in Loop: Header=BB13_263 Depth=2
	s_or_b32 exec_lo, exec_lo, s33
	s_wait_dscnt 0x0
	s_barrier_signal -1
	s_barrier_wait -1
	ds_load_u16 v3, v25 offset:3072
	s_mov_b32 s34, -1
	s_mov_b32 s33, -1
	s_wait_dscnt 0x0
	s_barrier_signal -1
	s_barrier_wait -1
	v_and_b32_e32 v4, 0xff, v3
	s_delay_alu instid0(VALU_DEP_1)
	v_cmp_ne_u32_e32 vcc_lo, 0, v4
	s_cbranch_vccz .LBB13_266
.LBB13_262:                             ;   in Loop: Header=BB13_263 Depth=2
	s_and_b32 s34, exec_lo, s34
	s_delay_alu instid0(SALU_CYCLE_1) | instskip(SKIP_2) | instid1(SALU_CYCLE_1)
	s_or_b32 s25, s34, s25
	s_and_not1_b32 s31, s31, exec_lo
	s_and_b32 s33, s33, exec_lo
	s_or_b32 s31, s31, s33
	s_and_not1_b32 exec_lo, exec_lo, s25
	s_cbranch_execz .LBB13_268
.LBB13_263:                             ;   Parent Loop BB13_15 Depth=1
                                        ; =>  This Inner Loop Header: Depth=2
	s_mov_b32 s33, exec_lo
	s_delay_alu instid0(VALU_DEP_1)
	v_cmpx_gt_u32_e64 s27, v2
	s_cbranch_execz .LBB13_261
; %bb.264:                              ;   in Loop: Header=BB13_263 Depth=2
	ds_load_u8 v3, v2
	s_wait_dscnt 0x0
	v_bitop3_b32 v4, v3, 0xff, v39 bitop3:0x80
	s_delay_alu instid0(VALU_DEP_1)
	v_cmp_eq_u32_e32 vcc_lo, v4, v32
	s_and_b32 exec_lo, exec_lo, vcc_lo
	s_cbranch_execz .LBB13_261
; %bb.265:                              ;   in Loop: Header=BB13_263 Depth=2
	v_lshlrev_b16 v3, 8, v3
	s_delay_alu instid0(VALU_DEP_1)
	v_or_b32_e32 v3, 1, v3
	ds_store_b16 v25, v3 offset:3072
	s_branch .LBB13_261
.LBB13_266:                             ;   in Loop: Header=BB13_263 Depth=2
	v_add_nc_u32_e32 v2, s40, v2
	s_mov_b32 s33, 0
	s_delay_alu instid0(VALU_DEP_1)
	v_cmp_le_u32_e32 vcc_lo, s30, v2
	s_or_not1_b32 s34, vcc_lo, exec_lo
	s_branch .LBB13_262
.LBB13_267:                             ;   in Loop: Header=BB13_15 Depth=1
	v_dual_mov_b32 v32, v3 :: v_dual_mov_b32 v39, v4
	v_mov_b32_e32 v40, v6
	s_mov_b32 s26, 0
	s_and_saveexec_b32 s14, s23
	s_cbranch_execnz .LBB13_413
	s_branch .LBB13_414
.LBB13_268:                             ;   in Loop: Header=BB13_15 Depth=1
	s_or_b32 exec_lo, exec_lo, s25
	v_and_b32_e32 v2, 0xffff, v3
	s_and_b32 s25, s31, exec_lo
	s_delay_alu instid0(VALU_DEP_1)
	v_lshrrev_b32_e32 v40, 8, v2
.LBB13_269:                             ;   in Loop: Header=BB13_15 Depth=1
	s_or_b32 exec_lo, exec_lo, s29
.LBB13_270:                             ;   in Loop: Header=BB13_15 Depth=1
	s_delay_alu instid0(SALU_CYCLE_1)
	s_and_b32 vcc_lo, exec_lo, s28
	s_cbranch_vccz .LBB13_281
; %bb.271:                              ;   in Loop: Header=BB13_15 Depth=1
                                        ; implicit-def: $vgpr40
	s_and_saveexec_b32 s16, s13
	s_cbranch_execz .LBB13_280
; %bb.272:                              ;   in Loop: Header=BB13_15 Depth=1
	v_dual_mov_b32 v2, v22 :: v_dual_mov_b32 v3, v0
	s_mov_b32 s27, 0
                                        ; implicit-def: $sgpr26
	s_branch .LBB13_275
.LBB13_273:                             ;   in Loop: Header=BB13_275 Depth=2
	s_or_b32 exec_lo, exec_lo, s28
	s_wait_dscnt 0x0
	s_barrier_signal -1
	s_barrier_wait -1
	ds_load_u16 v4, v25 offset:3072
	s_mov_b32 s28, -1
	s_mov_b32 s29, -1
	s_wait_dscnt 0x0
	s_barrier_signal -1
	s_barrier_wait -1
	v_and_b32_e32 v5, 0xff, v4
	s_delay_alu instid0(VALU_DEP_1)
	v_cmp_ne_u32_e32 vcc_lo, 0, v5
	s_cbranch_vccz .LBB13_278
.LBB13_274:                             ;   in Loop: Header=BB13_275 Depth=2
	s_and_b32 s28, exec_lo, s28
	s_delay_alu instid0(SALU_CYCLE_1) | instskip(SKIP_2) | instid1(SALU_CYCLE_1)
	s_or_b32 s27, s28, s27
	s_and_not1_b32 s26, s26, exec_lo
	s_and_b32 s28, s29, exec_lo
	s_or_b32 s26, s26, s28
	s_and_not1_b32 exec_lo, exec_lo, s27
	s_cbranch_execz .LBB13_279
.LBB13_275:                             ;   Parent Loop BB13_15 Depth=1
                                        ; =>  This Inner Loop Header: Depth=2
	s_mov_b32 s28, exec_lo
	s_delay_alu instid0(VALU_DEP_1)
	v_cmpx_gt_u32_e64 s36, v3
	s_cbranch_execz .LBB13_273
; %bb.276:                              ;   in Loop: Header=BB13_275 Depth=2
	global_load_u8 v4, v2, s[38:39]
	s_wait_loadcnt 0x0
	v_bitop3_b32 v5, v4, 0xff, v39 bitop3:0x80
	s_delay_alu instid0(VALU_DEP_1)
	v_cmp_eq_u32_e32 vcc_lo, v5, v32
	s_and_b32 exec_lo, exec_lo, vcc_lo
	s_cbranch_execz .LBB13_273
; %bb.277:                              ;   in Loop: Header=BB13_275 Depth=2
	v_lshlrev_b16 v4, 8, v4
	s_delay_alu instid0(VALU_DEP_1)
	v_or_b32_e32 v4, 1, v4
	ds_store_b16 v25, v4 offset:3072
	s_branch .LBB13_273
.LBB13_278:                             ;   in Loop: Header=BB13_275 Depth=2
	v_dual_add_nc_u32 v3, s40, v3 :: v_dual_add_nc_u32 v2, s56, v2
	s_mov_b32 s29, 0
	s_delay_alu instid0(VALU_DEP_1)
	v_cmp_le_u32_e32 vcc_lo, s82, v3
	s_or_not1_b32 s28, vcc_lo, exec_lo
	s_branch .LBB13_274
.LBB13_279:                             ;   in Loop: Header=BB13_15 Depth=1
	s_or_b32 exec_lo, exec_lo, s27
	v_and_b32_e32 v2, 0xffff, v4
	s_and_not1_b32 s25, s25, exec_lo
	s_and_b32 s26, s26, exec_lo
	s_delay_alu instid0(SALU_CYCLE_1) | instskip(NEXT) | instid1(VALU_DEP_1)
	s_or_b32 s25, s25, s26
	v_lshrrev_b32_e32 v40, 8, v2
.LBB13_280:                             ;   in Loop: Header=BB13_15 Depth=1
	s_or_b32 exec_lo, exec_lo, s16
	s_mov_b32 s16, 0
	s_mov_b32 s26, -1
.LBB13_281:                             ;   in Loop: Header=BB13_15 Depth=1
	s_or_not1_b32 s25, s25, exec_lo
.LBB13_282:                             ;   in Loop: Header=BB13_15 Depth=1
	s_or_b32 exec_lo, exec_lo, s24
                                        ; implicit-def: $vgpr5
                                        ; implicit-def: $vgpr2
	s_and_saveexec_b32 s24, s25
	s_cbranch_execz .LBB13_412
; %bb.283:                              ;   in Loop: Header=BB13_15 Depth=1
	v_dual_mov_b32 v5, 1 :: v_dual_mov_b32 v2, 1
	s_xor_b32 s25, s14, -1
	s_mov_b32 s28, 0
	s_and_saveexec_b32 s14, s25
	s_cbranch_execz .LBB13_292
; %bb.284:                              ;   in Loop: Header=BB13_15 Depth=1
	s_mov_b32 s25, exec_lo
	v_cmpx_ge_u32_e64 s22, v41
	s_xor_b32 s25, exec_lo, s25
	s_cbranch_execz .LBB13_289
; %bb.285:                              ;   in Loop: Header=BB13_15 Depth=1
	ds_load_b32 v2, v25 offset:4096
	v_or_b32_e32 v32, s18, v32
	v_or_b32_e32 v39, s18, v39
	s_wait_dscnt 0x0
	v_cmp_ne_u32_e32 vcc_lo, 0, v2
	s_cbranch_vccnz .LBB13_289
; %bb.286:                              ;   in Loop: Header=BB13_15 Depth=1
	s_and_saveexec_b32 s27, s5
; %bb.287:                              ;   in Loop: Header=BB13_15 Depth=1
	v_mov_b32_e32 v2, s22
	ds_store_b32 v25, v2 offset:4100
; %bb.288:                              ;   in Loop: Header=BB13_15 Depth=1
	s_or_b32 exec_lo, exec_lo, s27
	s_wait_dscnt 0x0
	s_barrier_signal -1
	s_barrier_wait -1
.LBB13_289:                             ;   in Loop: Header=BB13_15 Depth=1
	s_or_saveexec_b32 s25, s25
	v_mov_b32_e32 v2, 5
	s_mov_b32 s27, 0
	s_xor_b32 exec_lo, exec_lo, s25
; %bb.290:                              ;   in Loop: Header=BB13_15 Depth=1
	v_subrev_nc_u32_e32 v41, s22, v41
	v_mov_b32_e32 v2, 0
	s_mov_b32 s27, exec_lo
; %bb.291:                              ;   in Loop: Header=BB13_15 Depth=1
	s_or_b32 exec_lo, exec_lo, s25
	s_delay_alu instid0(VALU_DEP_2)
	v_mov_b32_e32 v5, v41
	s_and_b32 s28, s27, exec_lo
.LBB13_292:                             ;   in Loop: Header=BB13_15 Depth=1
	s_or_b32 exec_lo, exec_lo, s14
	s_mov_b32 s27, -1
                                        ; implicit-def: $sgpr22
                                        ; implicit-def: $sgpr25
	s_and_saveexec_b32 s14, s28
	s_delay_alu instid0(SALU_CYCLE_1)
	s_xor_b32 s14, exec_lo, s14
	s_cbranch_execz .LBB13_409
; %bb.293:                              ;   in Loop: Header=BB13_15 Depth=1
	v_cmp_eq_u32_e32 vcc_lo, 1, v5
	s_cmp_eq_u32 s21, 1
	s_mov_b32 s29, -1
	s_cselect_b32 s22, -1, 0
                                        ; implicit-def: $sgpr25
	s_delay_alu instid0(SALU_CYCLE_1) | instskip(NEXT) | instid1(SALU_CYCLE_1)
	s_and_b32 s28, s22, vcc_lo
                                        ; implicit-def: $sgpr22
	s_and_saveexec_b32 s27, s28
	s_cbranch_execz .LBB13_319
; %bb.294:                              ;   in Loop: Header=BB13_15 Depth=1
	ds_load_b32 v3, v25 offset:4096
	s_wait_dscnt 0x0
	s_barrier_signal -1
	s_barrier_wait -1
	v_readfirstlane_b32 s30, v3
	s_and_saveexec_b32 s22, s6
; %bb.295:                              ;   in Loop: Header=BB13_15 Depth=1
	ds_store_b8 v0, v25 offset:3072
; %bb.296:                              ;   in Loop: Header=BB13_15 Depth=1
	s_or_b32 exec_lo, exec_lo, s22
	s_lshl_b32 s22, 2, s84
	v_or_b32_e32 v39, s18, v39
	v_and_or_b32 v32, v32, s19, s22
	s_mov_b32 s22, -1
	s_mov_b32 s25, 0
	s_cmp_eq_u32 s30, 0
	s_mov_b32 s29, 0
	s_mov_b32 s31, -1
	s_wait_dscnt 0x0
	s_barrier_signal -1
	s_barrier_wait -1
                                        ; implicit-def: $vgpr40
	s_cbranch_scc1 .LBB13_307
; %bb.297:                              ;   in Loop: Header=BB13_15 Depth=1
	s_add_co_i32 s46, s30, s65
	s_mov_b32 s33, exec_lo
	s_mul_u64 s[42:43], s[46:47], s[50:51]
                                        ; implicit-def: $vgpr40
	s_delay_alu instid0(SALU_CYCLE_1) | instskip(NEXT) | instid1(SALU_CYCLE_1)
	s_mul_i32 s29, s43, s40
	s_sub_co_i32 s29, s46, s29
	s_delay_alu instid0(SALU_CYCLE_1) | instskip(SKIP_2) | instid1(SALU_CYCLE_1)
	s_sub_co_i32 s31, s29, s40
	s_cmp_ge_u32 s29, s40
	s_cselect_b32 s29, s31, s29
	s_sub_co_i32 s31, s29, s40
	s_cmp_ge_u32 s29, s40
	s_cselect_b32 s29, s31, s29
	s_mov_b32 s31, 0
	s_sub_co_i32 s34, s46, s29
	s_mov_b32 s29, 0
	v_cmpx_gt_u32_e64 s34, v0
	s_cbranch_execz .LBB13_306
; %bb.298:                              ;   in Loop: Header=BB13_15 Depth=1
	v_mov_b32_e32 v3, v0
                                        ; implicit-def: $sgpr46
	s_branch .LBB13_301
.LBB13_299:                             ;   in Loop: Header=BB13_301 Depth=2
	s_or_b32 exec_lo, exec_lo, s58
	s_wait_dscnt 0x0
	s_barrier_signal -1
	s_barrier_wait -1
	ds_load_u16 v4, v25 offset:3072
	s_mov_b32 s43, -1
	s_mov_b32 s42, -1
	s_wait_dscnt 0x0
	s_barrier_signal -1
	s_barrier_wait -1
	v_and_b32_e32 v6, 0xff, v4
	s_delay_alu instid0(VALU_DEP_1)
	v_cmp_ne_u32_e32 vcc_lo, 0, v6
	s_cbranch_vccz .LBB13_304
.LBB13_300:                             ;   in Loop: Header=BB13_301 Depth=2
	s_and_b32 s43, exec_lo, s43
	s_delay_alu instid0(SALU_CYCLE_1) | instskip(SKIP_2) | instid1(SALU_CYCLE_1)
	s_or_b32 s29, s43, s29
	s_and_not1_b32 s43, s46, exec_lo
	s_and_b32 s42, s42, exec_lo
	s_or_b32 s46, s43, s42
	s_and_not1_b32 exec_lo, exec_lo, s29
	s_cbranch_execz .LBB13_305
.LBB13_301:                             ;   Parent Loop BB13_15 Depth=1
                                        ; =>  This Inner Loop Header: Depth=2
	s_mov_b32 s58, exec_lo
	s_delay_alu instid0(VALU_DEP_1)
	v_cmpx_gt_u32_e64 s30, v3
	s_cbranch_execz .LBB13_299
; %bb.302:                              ;   in Loop: Header=BB13_301 Depth=2
	ds_load_u8 v4, v3
	s_wait_dscnt 0x0
	v_bitop3_b32 v6, v4, 0xff, v39 bitop3:0x80
	s_delay_alu instid0(VALU_DEP_1)
	v_cmp_eq_u32_e32 vcc_lo, v6, v32
	s_and_b32 exec_lo, exec_lo, vcc_lo
	s_cbranch_execz .LBB13_299
; %bb.303:                              ;   in Loop: Header=BB13_301 Depth=2
	v_lshlrev_b16 v4, 8, v4
	s_delay_alu instid0(VALU_DEP_1)
	v_or_b32_e32 v4, 1, v4
	ds_store_b16 v25, v4 offset:3072
	s_branch .LBB13_299
.LBB13_304:                             ;   in Loop: Header=BB13_301 Depth=2
	v_add_nc_u32_e32 v3, s40, v3
	s_mov_b32 s42, 0
	s_delay_alu instid0(VALU_DEP_1)
	v_cmp_le_u32_e32 vcc_lo, s34, v3
	s_or_not1_b32 s43, vcc_lo, exec_lo
	s_branch .LBB13_300
.LBB13_305:                             ;   in Loop: Header=BB13_15 Depth=1
	s_or_b32 exec_lo, exec_lo, s29
	v_and_b32_e32 v3, 0xffff, v4
	s_and_b32 s29, s46, exec_lo
	s_delay_alu instid0(VALU_DEP_1)
	v_lshrrev_b32_e32 v40, 8, v3
.LBB13_306:                             ;   in Loop: Header=BB13_15 Depth=1
	s_or_b32 exec_lo, exec_lo, s33
.LBB13_307:                             ;   in Loop: Header=BB13_15 Depth=1
	s_delay_alu instid0(SALU_CYCLE_1)
	s_and_b32 vcc_lo, exec_lo, s31
	s_cbranch_vccz .LBB13_318
; %bb.308:                              ;   in Loop: Header=BB13_15 Depth=1
                                        ; implicit-def: $vgpr40
	s_and_saveexec_b32 s22, s13
	s_cbranch_execz .LBB13_317
; %bb.309:                              ;   in Loop: Header=BB13_15 Depth=1
	v_dual_mov_b32 v3, v22 :: v_dual_mov_b32 v4, v0
	s_mov_b32 s25, 0
                                        ; implicit-def: $sgpr30
	s_branch .LBB13_312
.LBB13_310:                             ;   in Loop: Header=BB13_312 Depth=2
	s_or_b32 exec_lo, exec_lo, s31
	s_wait_dscnt 0x0
	s_barrier_signal -1
	s_barrier_wait -1
	ds_load_u16 v6, v25 offset:3072
	s_mov_b32 s31, -1
	s_mov_b32 s33, -1
	s_wait_dscnt 0x0
	s_barrier_signal -1
	s_barrier_wait -1
	v_and_b32_e32 v7, 0xff, v6
	s_delay_alu instid0(VALU_DEP_1)
	v_cmp_eq_u32_e32 vcc_lo, 0, v7
	s_cbranch_vccnz .LBB13_315
.LBB13_311:                             ;   in Loop: Header=BB13_312 Depth=2
	s_and_b32 s31, exec_lo, s31
	s_delay_alu instid0(SALU_CYCLE_1) | instskip(SKIP_2) | instid1(SALU_CYCLE_1)
	s_or_b32 s25, s31, s25
	s_and_not1_b32 s30, s30, exec_lo
	s_and_b32 s31, s33, exec_lo
	s_or_b32 s30, s30, s31
	s_and_not1_b32 exec_lo, exec_lo, s25
	s_cbranch_execz .LBB13_316
.LBB13_312:                             ;   Parent Loop BB13_15 Depth=1
                                        ; =>  This Inner Loop Header: Depth=2
	s_mov_b32 s31, exec_lo
	s_delay_alu instid0(VALU_DEP_1)
	v_cmpx_gt_u32_e64 s36, v4
	s_cbranch_execz .LBB13_310
; %bb.313:                              ;   in Loop: Header=BB13_312 Depth=2
	global_load_u8 v6, v3, s[38:39]
	s_wait_loadcnt 0x0
	v_bitop3_b32 v7, v6, 0xff, v39 bitop3:0x80
	s_delay_alu instid0(VALU_DEP_1)
	v_cmp_eq_u32_e32 vcc_lo, v7, v32
	s_and_b32 exec_lo, exec_lo, vcc_lo
	s_cbranch_execz .LBB13_310
; %bb.314:                              ;   in Loop: Header=BB13_312 Depth=2
	v_lshlrev_b16 v6, 8, v6
	s_delay_alu instid0(VALU_DEP_1)
	v_or_b32_e32 v6, 1, v6
	ds_store_b16 v25, v6 offset:3072
	s_branch .LBB13_310
.LBB13_315:                             ;   in Loop: Header=BB13_312 Depth=2
	v_dual_add_nc_u32 v4, s40, v4 :: v_dual_add_nc_u32 v3, s56, v3
	s_mov_b32 s33, 0
	s_delay_alu instid0(VALU_DEP_1)
	v_cmp_le_u32_e32 vcc_lo, s82, v4
	s_or_not1_b32 s31, vcc_lo, exec_lo
	s_branch .LBB13_311
.LBB13_316:                             ;   in Loop: Header=BB13_15 Depth=1
	s_or_b32 exec_lo, exec_lo, s25
	v_and_b32_e32 v3, 0xffff, v6
	s_and_not1_b32 s25, s29, exec_lo
	s_and_b32 s29, s30, exec_lo
	s_delay_alu instid0(SALU_CYCLE_1) | instskip(NEXT) | instid1(VALU_DEP_1)
	s_or_b32 s29, s25, s29
	v_lshrrev_b32_e32 v40, 8, v3
.LBB13_317:                             ;   in Loop: Header=BB13_15 Depth=1
	s_or_b32 exec_lo, exec_lo, s22
	s_mov_b32 s22, 0
	s_mov_b32 s25, -1
.LBB13_318:                             ;   in Loop: Header=BB13_15 Depth=1
	s_or_not1_b32 s29, s29, exec_lo
.LBB13_319:                             ;   in Loop: Header=BB13_15 Depth=1
	s_or_b32 exec_lo, exec_lo, s27
	s_mov_b32 s30, 0
	s_and_saveexec_b32 s27, s29
	s_cbranch_execz .LBB13_408
; %bb.320:                              ;   in Loop: Header=BB13_15 Depth=1
	v_dual_mov_b32 v3, 1 :: v_dual_mov_b32 v2, 1
	s_xor_b32 s29, s28, -1
	s_mov_b32 s31, 0
	s_and_saveexec_b32 s28, s29
	s_cbranch_execz .LBB13_329
; %bb.321:                              ;   in Loop: Header=BB13_15 Depth=1
	s_mov_b32 s29, exec_lo
	v_cmpx_ge_u32_e64 s21, v5
	s_xor_b32 s29, exec_lo, s29
	s_cbranch_execz .LBB13_326
; %bb.322:                              ;   in Loop: Header=BB13_15 Depth=1
	ds_load_b32 v2, v25 offset:4096
	s_lshl_b32 s30, 2, s84
	v_or_b32_e32 v39, s18, v39
	v_and_or_b32 v32, v32, s19, s30
	s_wait_dscnt 0x0
	v_cmp_ne_u32_e32 vcc_lo, 0, v2
	s_cbranch_vccnz .LBB13_326
; %bb.323:                              ;   in Loop: Header=BB13_15 Depth=1
	s_and_saveexec_b32 s30, s5
; %bb.324:                              ;   in Loop: Header=BB13_15 Depth=1
	v_mov_b32_e32 v2, s21
	ds_store_b32 v25, v2 offset:4100
; %bb.325:                              ;   in Loop: Header=BB13_15 Depth=1
	s_or_b32 exec_lo, exec_lo, s30
	s_wait_dscnt 0x0
	s_barrier_signal -1
	s_barrier_wait -1
.LBB13_326:                             ;   in Loop: Header=BB13_15 Depth=1
	s_or_saveexec_b32 s29, s29
	v_mov_b32_e32 v2, 5
	s_mov_b32 s30, 0
	s_xor_b32 exec_lo, exec_lo, s29
; %bb.327:                              ;   in Loop: Header=BB13_15 Depth=1
	v_subrev_nc_u32_e32 v5, s21, v5
	v_mov_b32_e32 v2, 0
	s_mov_b32 s30, exec_lo
; %bb.328:                              ;   in Loop: Header=BB13_15 Depth=1
	s_or_b32 exec_lo, exec_lo, s29
	s_delay_alu instid0(VALU_DEP_2)
	v_mov_b32_e32 v3, v5
	s_and_b32 s31, s30, exec_lo
.LBB13_329:                             ;   in Loop: Header=BB13_15 Depth=1
	s_or_b32 exec_lo, exec_lo, s28
	s_mov_b32 s30, -1
                                        ; implicit-def: $sgpr28
                                        ; implicit-def: $sgpr29
	s_and_saveexec_b32 s21, s31
	s_cbranch_execz .LBB13_407
; %bb.330:                              ;   in Loop: Header=BB13_15 Depth=1
	v_cmp_eq_u32_e32 vcc_lo, 1, v3
	s_cmp_eq_u32 s20, 1
	s_mov_b32 s33, -1
	s_cselect_b32 s28, -1, 0
                                        ; implicit-def: $sgpr29
	s_delay_alu instid0(SALU_CYCLE_1) | instskip(NEXT) | instid1(SALU_CYCLE_1)
	s_and_b32 s31, s28, vcc_lo
                                        ; implicit-def: $sgpr28
	s_and_saveexec_b32 s30, s31
	s_cbranch_execz .LBB13_356
; %bb.331:                              ;   in Loop: Header=BB13_15 Depth=1
	ds_load_b32 v4, v25 offset:4096
	s_wait_dscnt 0x0
	s_barrier_signal -1
	s_barrier_wait -1
	v_readfirstlane_b32 s34, v4
	s_and_saveexec_b32 s28, s6
; %bb.332:                              ;   in Loop: Header=BB13_15 Depth=1
	ds_store_b8 v0, v25 offset:3072
; %bb.333:                              ;   in Loop: Header=BB13_15 Depth=1
	s_or_b32 exec_lo, exec_lo, s28
	s_lshl_b32 s28, 1, s84
	v_or_b32_e32 v39, s18, v39
	v_and_or_b32 v32, v32, s19, s28
	s_mov_b32 s28, -1
	s_mov_b32 s29, 0
	s_cmp_eq_u32 s34, 0
	s_mov_b32 s33, 0
	s_mov_b32 s46, -1
	s_wait_dscnt 0x0
	s_barrier_signal -1
	s_barrier_wait -1
                                        ; implicit-def: $vgpr40
	s_cbranch_scc1 .LBB13_344
; %bb.334:                              ;   in Loop: Header=BB13_15 Depth=1
	s_add_co_i32 s46, s34, s65
	s_mov_b32 s97, exec_lo
	s_mul_u64 s[42:43], s[46:47], s[50:51]
                                        ; implicit-def: $vgpr40
	s_delay_alu instid0(SALU_CYCLE_1) | instskip(NEXT) | instid1(SALU_CYCLE_1)
	s_mul_i32 s33, s43, s40
	s_sub_co_i32 s33, s46, s33
	s_delay_alu instid0(SALU_CYCLE_1) | instskip(SKIP_2) | instid1(SALU_CYCLE_1)
	s_sub_co_i32 s42, s33, s40
	s_cmp_ge_u32 s33, s40
	s_cselect_b32 s33, s42, s33
	s_sub_co_i32 s42, s33, s40
	s_cmp_ge_u32 s33, s40
	s_cselect_b32 s33, s42, s33
	s_delay_alu instid0(SALU_CYCLE_1)
	s_sub_co_i32 s98, s46, s33
	s_mov_b32 s46, 0
	s_mov_b32 s33, 0
	v_cmpx_gt_u32_e64 s98, v0
	s_cbranch_execz .LBB13_343
; %bb.335:                              ;   in Loop: Header=BB13_15 Depth=1
	v_mov_b32_e32 v4, v0
                                        ; implicit-def: $sgpr99
	s_branch .LBB13_338
.LBB13_336:                             ;   in Loop: Header=BB13_338 Depth=2
	s_or_b32 exec_lo, exec_lo, s58
	s_wait_dscnt 0x0
	s_barrier_signal -1
	s_barrier_wait -1
	ds_load_u16 v5, v25 offset:3072
	s_mov_b32 s43, -1
	s_mov_b32 s42, -1
	s_wait_dscnt 0x0
	s_barrier_signal -1
	s_barrier_wait -1
	v_and_b32_e32 v6, 0xff, v5
	s_delay_alu instid0(VALU_DEP_1)
	v_cmp_ne_u32_e32 vcc_lo, 0, v6
	s_cbranch_vccz .LBB13_341
.LBB13_337:                             ;   in Loop: Header=BB13_338 Depth=2
	s_and_b32 s43, exec_lo, s43
	s_delay_alu instid0(SALU_CYCLE_1) | instskip(SKIP_2) | instid1(SALU_CYCLE_1)
	s_or_b32 s33, s43, s33
	s_and_not1_b32 s43, s99, exec_lo
	s_and_b32 s42, s42, exec_lo
	s_or_b32 s99, s43, s42
	s_and_not1_b32 exec_lo, exec_lo, s33
	s_cbranch_execz .LBB13_342
.LBB13_338:                             ;   Parent Loop BB13_15 Depth=1
                                        ; =>  This Inner Loop Header: Depth=2
	s_mov_b32 s58, exec_lo
	s_delay_alu instid0(VALU_DEP_1)
	v_cmpx_gt_u32_e64 s34, v4
	s_cbranch_execz .LBB13_336
; %bb.339:                              ;   in Loop: Header=BB13_338 Depth=2
	ds_load_u8 v5, v4
	s_wait_dscnt 0x0
	v_bitop3_b32 v6, v5, 0xff, v39 bitop3:0x80
	s_delay_alu instid0(VALU_DEP_1)
	v_cmp_eq_u32_e32 vcc_lo, v6, v32
	s_and_b32 exec_lo, exec_lo, vcc_lo
	s_cbranch_execz .LBB13_336
; %bb.340:                              ;   in Loop: Header=BB13_338 Depth=2
	v_lshlrev_b16 v5, 8, v5
	s_delay_alu instid0(VALU_DEP_1)
	v_or_b32_e32 v5, 1, v5
	ds_store_b16 v25, v5 offset:3072
	s_branch .LBB13_336
.LBB13_341:                             ;   in Loop: Header=BB13_338 Depth=2
	v_add_nc_u32_e32 v4, s40, v4
	s_mov_b32 s42, 0
	s_delay_alu instid0(VALU_DEP_1)
	v_cmp_le_u32_e32 vcc_lo, s98, v4
	s_or_not1_b32 s43, vcc_lo, exec_lo
	s_branch .LBB13_337
.LBB13_342:                             ;   in Loop: Header=BB13_15 Depth=1
	s_or_b32 exec_lo, exec_lo, s33
	v_and_b32_e32 v4, 0xffff, v5
	s_and_b32 s33, s99, exec_lo
	s_delay_alu instid0(VALU_DEP_1)
	v_lshrrev_b32_e32 v40, 8, v4
.LBB13_343:                             ;   in Loop: Header=BB13_15 Depth=1
	s_or_b32 exec_lo, exec_lo, s97
.LBB13_344:                             ;   in Loop: Header=BB13_15 Depth=1
	s_delay_alu instid0(SALU_CYCLE_1)
	s_and_b32 vcc_lo, exec_lo, s46
	s_cbranch_vccz .LBB13_355
; %bb.345:                              ;   in Loop: Header=BB13_15 Depth=1
                                        ; implicit-def: $vgpr40
	s_and_saveexec_b32 s28, s13
	s_cbranch_execz .LBB13_354
; %bb.346:                              ;   in Loop: Header=BB13_15 Depth=1
	v_dual_mov_b32 v4, v22 :: v_dual_mov_b32 v5, v0
	s_mov_b32 s29, 0
                                        ; implicit-def: $sgpr34
	s_branch .LBB13_349
.LBB13_347:                             ;   in Loop: Header=BB13_349 Depth=2
	s_or_b32 exec_lo, exec_lo, s46
	s_wait_dscnt 0x0
	s_barrier_signal -1
	s_barrier_wait -1
	ds_load_u16 v6, v25 offset:3072
	s_mov_b32 s42, -1
	s_mov_b32 s43, -1
	s_wait_dscnt 0x0
	s_barrier_signal -1
	s_barrier_wait -1
	v_and_b32_e32 v7, 0xff, v6
	s_delay_alu instid0(VALU_DEP_1)
	v_cmp_eq_u32_e32 vcc_lo, 0, v7
	s_cbranch_vccnz .LBB13_352
.LBB13_348:                             ;   in Loop: Header=BB13_349 Depth=2
	s_and_b32 s42, exec_lo, s42
	s_delay_alu instid0(SALU_CYCLE_1) | instskip(SKIP_2) | instid1(SALU_CYCLE_1)
	s_or_b32 s29, s42, s29
	s_and_not1_b32 s34, s34, exec_lo
	s_and_b32 s42, s43, exec_lo
	s_or_b32 s34, s34, s42
	s_and_not1_b32 exec_lo, exec_lo, s29
	s_cbranch_execz .LBB13_353
.LBB13_349:                             ;   Parent Loop BB13_15 Depth=1
                                        ; =>  This Inner Loop Header: Depth=2
	s_mov_b32 s46, exec_lo
	s_delay_alu instid0(VALU_DEP_1)
	v_cmpx_gt_u32_e64 s36, v5
	s_cbranch_execz .LBB13_347
; %bb.350:                              ;   in Loop: Header=BB13_349 Depth=2
	global_load_u8 v6, v4, s[38:39]
	s_wait_loadcnt 0x0
	v_bitop3_b32 v7, v6, 0xff, v39 bitop3:0x80
	s_delay_alu instid0(VALU_DEP_1)
	v_cmp_eq_u32_e32 vcc_lo, v7, v32
	s_and_b32 exec_lo, exec_lo, vcc_lo
	s_cbranch_execz .LBB13_347
; %bb.351:                              ;   in Loop: Header=BB13_349 Depth=2
	v_lshlrev_b16 v6, 8, v6
	s_delay_alu instid0(VALU_DEP_1)
	v_or_b32_e32 v6, 1, v6
	ds_store_b16 v25, v6 offset:3072
	s_branch .LBB13_347
.LBB13_352:                             ;   in Loop: Header=BB13_349 Depth=2
	v_dual_add_nc_u32 v5, s40, v5 :: v_dual_add_nc_u32 v4, s56, v4
	s_mov_b32 s43, 0
	s_delay_alu instid0(VALU_DEP_1)
	v_cmp_le_u32_e32 vcc_lo, s82, v5
	s_or_not1_b32 s42, vcc_lo, exec_lo
	s_branch .LBB13_348
.LBB13_353:                             ;   in Loop: Header=BB13_15 Depth=1
	s_or_b32 exec_lo, exec_lo, s29
	v_and_b32_e32 v4, 0xffff, v6
	s_and_not1_b32 s29, s33, exec_lo
	s_and_b32 s33, s34, exec_lo
	s_delay_alu instid0(SALU_CYCLE_1) | instskip(NEXT) | instid1(VALU_DEP_1)
	s_or_b32 s33, s29, s33
	v_lshrrev_b32_e32 v40, 8, v4
.LBB13_354:                             ;   in Loop: Header=BB13_15 Depth=1
	s_or_b32 exec_lo, exec_lo, s28
	s_mov_b32 s28, 0
	s_mov_b32 s29, -1
.LBB13_355:                             ;   in Loop: Header=BB13_15 Depth=1
	s_or_not1_b32 s33, s33, exec_lo
.LBB13_356:                             ;   in Loop: Header=BB13_15 Depth=1
	s_or_b32 exec_lo, exec_lo, s30
	s_mov_b32 s34, 0
	s_and_saveexec_b32 s30, s33
	s_cbranch_execz .LBB13_406
; %bb.357:                              ;   in Loop: Header=BB13_15 Depth=1
	v_dual_mov_b32 v4, 1 :: v_dual_mov_b32 v2, 1
	s_xor_b32 s33, s31, -1
	s_mov_b32 s46, 0
	s_and_saveexec_b32 s31, s33
	s_cbranch_execz .LBB13_366
; %bb.358:                              ;   in Loop: Header=BB13_15 Depth=1
	s_mov_b32 s33, exec_lo
	v_cmpx_ge_u32_e64 s20, v3
	s_xor_b32 s33, exec_lo, s33
	s_cbranch_execz .LBB13_363
; %bb.359:                              ;   in Loop: Header=BB13_15 Depth=1
	ds_load_b32 v2, v25 offset:4096
	s_lshl_b32 s34, 1, s84
	v_or_b32_e32 v39, s18, v39
	v_and_or_b32 v32, v32, s19, s34
	s_wait_dscnt 0x0
	v_cmp_ne_u32_e32 vcc_lo, 0, v2
	s_cbranch_vccnz .LBB13_363
; %bb.360:                              ;   in Loop: Header=BB13_15 Depth=1
	s_and_saveexec_b32 s34, s5
; %bb.361:                              ;   in Loop: Header=BB13_15 Depth=1
	v_mov_b32_e32 v2, s20
	ds_store_b32 v25, v2 offset:4100
; %bb.362:                              ;   in Loop: Header=BB13_15 Depth=1
	s_or_b32 exec_lo, exec_lo, s34
	s_wait_dscnt 0x0
	s_barrier_signal -1
	s_barrier_wait -1
.LBB13_363:                             ;   in Loop: Header=BB13_15 Depth=1
	s_or_saveexec_b32 s33, s33
	v_mov_b32_e32 v2, 5
	s_mov_b32 s34, 0
	s_xor_b32 exec_lo, exec_lo, s33
; %bb.364:                              ;   in Loop: Header=BB13_15 Depth=1
	v_subrev_nc_u32_e32 v3, s20, v3
	v_mov_b32_e32 v2, 0
	s_mov_b32 s34, exec_lo
; %bb.365:                              ;   in Loop: Header=BB13_15 Depth=1
	s_or_b32 exec_lo, exec_lo, s33
	s_delay_alu instid0(VALU_DEP_2)
	v_mov_b32_e32 v4, v3
	s_and_b32 s46, s34, exec_lo
.LBB13_366:                             ;   in Loop: Header=BB13_15 Depth=1
	s_or_b32 exec_lo, exec_lo, s31
	s_mov_b32 s33, -1
                                        ; implicit-def: $sgpr34
                                        ; implicit-def: $sgpr31
	s_and_saveexec_b32 s20, s46
	s_cbranch_execz .LBB13_405
; %bb.367:                              ;   in Loop: Header=BB13_15 Depth=1
	v_cmp_eq_u32_e32 vcc_lo, 1, v4
	s_cmp_eq_u32 s17, 1
	s_mov_b32 s58, -1
	s_cselect_b32 s31, -1, 0
                                        ; implicit-def: $sgpr34
	s_delay_alu instid0(SALU_CYCLE_1) | instskip(NEXT) | instid1(SALU_CYCLE_1)
	s_and_b32 s33, s31, vcc_lo
                                        ; implicit-def: $sgpr31
	s_and_saveexec_b32 s97, s33
	s_cbranch_execz .LBB13_393
; %bb.368:                              ;   in Loop: Header=BB13_15 Depth=1
	ds_load_b32 v3, v25 offset:4096
	s_wait_dscnt 0x0
	s_barrier_signal -1
	s_barrier_wait -1
	v_readfirstlane_b32 s98, v3
	s_and_saveexec_b32 s31, s6
; %bb.369:                              ;   in Loop: Header=BB13_15 Depth=1
	ds_store_b8 v0, v25 offset:3072
; %bb.370:                              ;   in Loop: Header=BB13_15 Depth=1
	s_or_b32 exec_lo, exec_lo, s31
	v_and_b32_e32 v32, s19, v32
	v_or_b32_e32 v39, s18, v39
	s_mov_b32 s31, -1
	s_mov_b32 s34, 0
	s_cmp_eq_u32 s98, 0
	s_mov_b32 s46, 0
	s_mov_b32 s99, -1
	s_wait_dscnt 0x0
	s_barrier_signal -1
	s_barrier_wait -1
                                        ; implicit-def: $vgpr40
	s_cbranch_scc1 .LBB13_381
; %bb.371:                              ;   in Loop: Header=BB13_15 Depth=1
	s_add_co_i32 s46, s98, s65
	s_mov_b32 s99, 0
	s_mul_u64 s[42:43], s[46:47], s[50:51]
	s_mov_b32 s100, exec_lo
	s_mul_i32 s42, s43, s40
                                        ; implicit-def: $vgpr40
	s_delay_alu instid0(SALU_CYCLE_1) | instskip(NEXT) | instid1(SALU_CYCLE_1)
	s_sub_co_i32 s42, s46, s42
	s_sub_co_i32 s43, s42, s40
	s_cmp_ge_u32 s42, s40
	s_cselect_b32 s42, s43, s42
	s_delay_alu instid0(SALU_CYCLE_1) | instskip(SKIP_2) | instid1(SALU_CYCLE_1)
	s_sub_co_i32 s43, s42, s40
	s_cmp_ge_u32 s42, s40
	s_cselect_b32 s42, s43, s42
	s_sub_co_i32 s101, s46, s42
	s_mov_b32 s46, 0
	v_cmpx_gt_u32_e64 s101, v0
	s_cbranch_execz .LBB13_380
; %bb.372:                              ;   in Loop: Header=BB13_15 Depth=1
	v_mov_b32_e32 v3, v0
                                        ; implicit-def: $sgpr102
	s_branch .LBB13_375
.LBB13_373:                             ;   in Loop: Header=BB13_375 Depth=2
	s_or_b32 exec_lo, exec_lo, s58
	s_wait_dscnt 0x0
	s_barrier_signal -1
	s_barrier_wait -1
	ds_load_u16 v5, v25 offset:3072
	s_mov_b32 s43, -1
	s_mov_b32 s42, -1
	s_wait_dscnt 0x0
	s_barrier_signal -1
	s_barrier_wait -1
	v_and_b32_e32 v6, 0xff, v5
	s_delay_alu instid0(VALU_DEP_1)
	v_cmp_ne_u32_e32 vcc_lo, 0, v6
	s_cbranch_vccz .LBB13_378
.LBB13_374:                             ;   in Loop: Header=BB13_375 Depth=2
	s_and_b32 s43, exec_lo, s43
	s_delay_alu instid0(SALU_CYCLE_1) | instskip(SKIP_2) | instid1(SALU_CYCLE_1)
	s_or_b32 s46, s43, s46
	s_and_not1_b32 s43, s102, exec_lo
	s_and_b32 s42, s42, exec_lo
	s_or_b32 s102, s43, s42
	s_and_not1_b32 exec_lo, exec_lo, s46
	s_cbranch_execz .LBB13_379
.LBB13_375:                             ;   Parent Loop BB13_15 Depth=1
                                        ; =>  This Inner Loop Header: Depth=2
	s_mov_b32 s58, exec_lo
	s_delay_alu instid0(VALU_DEP_1)
	v_cmpx_gt_u32_e64 s98, v3
	s_cbranch_execz .LBB13_373
; %bb.376:                              ;   in Loop: Header=BB13_375 Depth=2
	ds_load_u8 v5, v3
	s_wait_dscnt 0x0
	v_bitop3_b32 v6, v5, 0xff, v39 bitop3:0x80
	s_delay_alu instid0(VALU_DEP_1)
	v_cmp_eq_u32_e32 vcc_lo, v6, v32
	s_and_b32 exec_lo, exec_lo, vcc_lo
	s_cbranch_execz .LBB13_373
; %bb.377:                              ;   in Loop: Header=BB13_375 Depth=2
	v_lshlrev_b16 v5, 8, v5
	s_delay_alu instid0(VALU_DEP_1)
	v_or_b32_e32 v5, 1, v5
	ds_store_b16 v25, v5 offset:3072
	s_branch .LBB13_373
.LBB13_378:                             ;   in Loop: Header=BB13_375 Depth=2
	v_add_nc_u32_e32 v3, s40, v3
	s_mov_b32 s42, 0
	s_delay_alu instid0(VALU_DEP_1)
	v_cmp_le_u32_e32 vcc_lo, s101, v3
	s_or_not1_b32 s43, vcc_lo, exec_lo
	s_branch .LBB13_374
.LBB13_379:                             ;   in Loop: Header=BB13_15 Depth=1
	s_or_b32 exec_lo, exec_lo, s46
	v_and_b32_e32 v3, 0xffff, v5
	s_and_b32 s46, s102, exec_lo
	s_delay_alu instid0(VALU_DEP_1)
	v_lshrrev_b32_e32 v40, 8, v3
.LBB13_380:                             ;   in Loop: Header=BB13_15 Depth=1
	s_or_b32 exec_lo, exec_lo, s100
.LBB13_381:                             ;   in Loop: Header=BB13_15 Depth=1
	s_delay_alu instid0(SALU_CYCLE_1)
	s_and_b32 vcc_lo, exec_lo, s99
	s_cbranch_vccz .LBB13_392
; %bb.382:                              ;   in Loop: Header=BB13_15 Depth=1
                                        ; implicit-def: $vgpr40
	s_and_saveexec_b32 s31, s13
	s_cbranch_execz .LBB13_391
; %bb.383:                              ;   in Loop: Header=BB13_15 Depth=1
	v_dual_mov_b32 v3, v22 :: v_dual_mov_b32 v5, v0
	s_mov_b32 s34, 0
                                        ; implicit-def: $sgpr98
	s_branch .LBB13_386
.LBB13_384:                             ;   in Loop: Header=BB13_386 Depth=2
	s_or_b32 exec_lo, exec_lo, s58
	s_wait_dscnt 0x0
	s_barrier_signal -1
	s_barrier_wait -1
	ds_load_u16 v6, v25 offset:3072
	s_mov_b32 s42, -1
	s_mov_b32 s43, -1
	s_wait_dscnt 0x0
	s_barrier_signal -1
	s_barrier_wait -1
	v_and_b32_e32 v7, 0xff, v6
	s_delay_alu instid0(VALU_DEP_1)
	v_cmp_eq_u32_e32 vcc_lo, 0, v7
	s_cbranch_vccnz .LBB13_389
.LBB13_385:                             ;   in Loop: Header=BB13_386 Depth=2
	s_and_b32 s42, exec_lo, s42
	s_delay_alu instid0(SALU_CYCLE_1) | instskip(SKIP_2) | instid1(SALU_CYCLE_1)
	s_or_b32 s34, s42, s34
	s_and_not1_b32 s42, s98, exec_lo
	s_and_b32 s43, s43, exec_lo
	s_or_b32 s98, s42, s43
	s_and_not1_b32 exec_lo, exec_lo, s34
	s_cbranch_execz .LBB13_390
.LBB13_386:                             ;   Parent Loop BB13_15 Depth=1
                                        ; =>  This Inner Loop Header: Depth=2
	s_mov_b32 s58, exec_lo
	s_delay_alu instid0(VALU_DEP_1)
	v_cmpx_gt_u32_e64 s36, v5
	s_cbranch_execz .LBB13_384
; %bb.387:                              ;   in Loop: Header=BB13_386 Depth=2
	global_load_u8 v6, v3, s[38:39]
	s_wait_loadcnt 0x0
	v_bitop3_b32 v7, v6, 0xff, v39 bitop3:0x80
	s_delay_alu instid0(VALU_DEP_1)
	v_cmp_eq_u32_e32 vcc_lo, v7, v32
	s_and_b32 exec_lo, exec_lo, vcc_lo
	s_cbranch_execz .LBB13_384
; %bb.388:                              ;   in Loop: Header=BB13_386 Depth=2
	v_lshlrev_b16 v6, 8, v6
	s_delay_alu instid0(VALU_DEP_1)
	v_or_b32_e32 v6, 1, v6
	ds_store_b16 v25, v6 offset:3072
	s_branch .LBB13_384
.LBB13_389:                             ;   in Loop: Header=BB13_386 Depth=2
	v_dual_add_nc_u32 v5, s40, v5 :: v_dual_add_nc_u32 v3, s56, v3
	s_mov_b32 s43, 0
	s_delay_alu instid0(VALU_DEP_1)
	v_cmp_le_u32_e32 vcc_lo, s82, v5
	s_or_not1_b32 s42, vcc_lo, exec_lo
	s_branch .LBB13_385
.LBB13_390:                             ;   in Loop: Header=BB13_15 Depth=1
	s_or_b32 exec_lo, exec_lo, s34
	v_and_b32_e32 v3, 0xffff, v6
	s_and_not1_b32 s34, s46, exec_lo
	s_and_b32 s42, s98, exec_lo
	s_delay_alu instid0(SALU_CYCLE_1) | instskip(NEXT) | instid1(VALU_DEP_1)
	s_or_b32 s46, s34, s42
	v_lshrrev_b32_e32 v40, 8, v3
.LBB13_391:                             ;   in Loop: Header=BB13_15 Depth=1
	s_or_b32 exec_lo, exec_lo, s31
	s_mov_b32 s31, 0
	s_mov_b32 s34, -1
.LBB13_392:                             ;   in Loop: Header=BB13_15 Depth=1
	s_or_not1_b32 s58, s46, exec_lo
.LBB13_393:                             ;   in Loop: Header=BB13_15 Depth=1
	s_or_b32 exec_lo, exec_lo, s97
	s_mov_b32 s97, 0
	s_and_saveexec_b32 s46, s58
	s_cbranch_execz .LBB13_404
; %bb.394:                              ;   in Loop: Header=BB13_15 Depth=1
	v_dual_mov_b32 v2, 1 :: v_dual_mov_b32 v3, 1
	s_xor_b32 s42, s33, -1
	s_delay_alu instid0(SALU_CYCLE_1)
	s_and_saveexec_b32 s33, s42
	s_cbranch_execz .LBB13_403
; %bb.395:                              ;   in Loop: Header=BB13_15 Depth=1
	s_mov_b32 s42, exec_lo
	v_cmpx_ge_u32_e64 s17, v4
	s_xor_b32 s58, exec_lo, s42
	s_cbranch_execz .LBB13_400
; %bb.396:                              ;   in Loop: Header=BB13_15 Depth=1
	ds_load_b32 v2, v25 offset:4096
	v_and_b32_e32 v32, s19, v32
	v_or_b32_e32 v39, s18, v39
	s_wait_dscnt 0x0
	v_cmp_ne_u32_e32 vcc_lo, 0, v2
	s_cbranch_vccnz .LBB13_400
; %bb.397:                              ;   in Loop: Header=BB13_15 Depth=1
	s_and_saveexec_b32 s18, s5
; %bb.398:                              ;   in Loop: Header=BB13_15 Depth=1
	v_mov_b32_e32 v2, s17
	ds_store_b32 v25, v2 offset:4100
; %bb.399:                              ;   in Loop: Header=BB13_15 Depth=1
	s_or_b32 exec_lo, exec_lo, s18
	s_wait_dscnt 0x0
	s_barrier_signal -1
	s_barrier_wait -1
.LBB13_400:                             ;   in Loop: Header=BB13_15 Depth=1
	s_and_not1_saveexec_b32 s18, s58
; %bb.401:                              ;   in Loop: Header=BB13_15 Depth=1
	v_subrev_nc_u32_e32 v4, s17, v4
; %bb.402:                              ;   in Loop: Header=BB13_15 Depth=1
	s_or_b32 exec_lo, exec_lo, s18
	s_delay_alu instid0(VALU_DEP_1)
	v_dual_mov_b32 v2, 5 :: v_dual_mov_b32 v3, v4
.LBB13_403:                             ;   in Loop: Header=BB13_15 Depth=1
	s_or_b32 exec_lo, exec_lo, s33
	s_delay_alu instid0(VALU_DEP_1)
	v_mov_b32_e32 v4, v3
	s_mov_b32 s97, exec_lo
.LBB13_404:                             ;   in Loop: Header=BB13_15 Depth=1
	s_or_b32 exec_lo, exec_lo, s46
	s_delay_alu instid0(SALU_CYCLE_1)
	s_or_not1_b32 s33, s97, exec_lo
.LBB13_405:                             ;   in Loop: Header=BB13_15 Depth=1
	s_or_b32 exec_lo, exec_lo, s20
	v_mov_b32_e32 v3, v4
	s_and_not1_b32 s17, s29, exec_lo
	s_and_b32 s18, s34, exec_lo
	s_and_not1_b32 s19, s28, exec_lo
	s_and_b32 s20, s31, exec_lo
	s_or_b32 s29, s17, s18
	s_or_b32 s28, s19, s20
	s_and_b32 s34, s33, exec_lo
.LBB13_406:                             ;   in Loop: Header=BB13_15 Depth=1
	s_or_b32 exec_lo, exec_lo, s30
	s_delay_alu instid0(SALU_CYCLE_1)
	s_or_not1_b32 s30, s34, exec_lo
.LBB13_407:                             ;   in Loop: Header=BB13_15 Depth=1
	s_or_b32 exec_lo, exec_lo, s21
	v_mov_b32_e32 v5, v3
	s_and_not1_b32 s17, s25, exec_lo
	s_and_b32 s18, s29, exec_lo
	s_and_not1_b32 s19, s22, exec_lo
	s_and_b32 s20, s28, exec_lo
	s_or_b32 s25, s17, s18
	s_or_b32 s22, s19, s20
	s_and_b32 s30, s30, exec_lo
.LBB13_408:                             ;   in Loop: Header=BB13_15 Depth=1
	s_or_b32 exec_lo, exec_lo, s27
	s_delay_alu instid0(SALU_CYCLE_1)
	s_or_not1_b32 s27, s30, exec_lo
.LBB13_409:                             ;   in Loop: Header=BB13_15 Depth=1
	s_or_b32 exec_lo, exec_lo, s14
	s_mov_b32 s14, s23
	s_mov_b32 s17, s15
	s_and_saveexec_b32 s18, s27
; %bb.410:                              ;   in Loop: Header=BB13_15 Depth=1
	v_cmp_ne_u32_e32 vcc_lo, 5, v2
	v_cmp_eq_u32_e64 s14, 5, v2
	s_and_not1_b32 s17, s15, exec_lo
	s_and_not1_b32 s19, s23, exec_lo
	s_and_b32 s20, vcc_lo, exec_lo
	s_and_b32 s14, s14, exec_lo
	s_or_b32 s17, s17, s20
	s_or_b32 s14, s19, s14
; %bb.411:                              ;   in Loop: Header=BB13_15 Depth=1
	s_or_b32 exec_lo, exec_lo, s18
	s_delay_alu instid0(SALU_CYCLE_1)
	s_and_not1_b32 s18, s26, exec_lo
	s_and_b32 s19, s25, exec_lo
	s_and_not1_b32 s16, s16, exec_lo
	s_and_b32 s20, s22, exec_lo
	s_or_b32 s26, s18, s19
	s_and_not1_b32 s15, s15, exec_lo
	s_and_b32 s17, s17, exec_lo
	s_and_not1_b32 s18, s23, exec_lo
	s_and_b32 s14, s14, exec_lo
	s_or_b32 s16, s16, s20
	s_or_b32 s15, s15, s17
	;; [unrolled: 1-line block ×3, first 2 shown]
.LBB13_412:                             ;   in Loop: Header=BB13_15 Depth=1
	s_or_b32 exec_lo, exec_lo, s24
	s_mov_b32 s24, 0
	s_mov_b32 s25, 0
	s_and_saveexec_b32 s14, s23
.LBB13_413:                             ;   in Loop: Header=BB13_15 Depth=1
	v_mov_b32_e32 v2, 0
	s_or_b32 s15, s15, exec_lo
.LBB13_414:                             ;   in Loop: Header=BB13_15 Depth=1
	s_or_b32 exec_lo, exec_lo, s14
	s_delay_alu instid0(SALU_CYCLE_1)
	s_and_not1_b32 s14, s94, exec_lo
	s_and_b32 s18, s26, exec_lo
	s_and_not1_b32 s19, s92, exec_lo
	s_and_b32 s16, s16, exec_lo
	v_mov_b32_e32 v41, v5
	s_or_b32 s94, s14, s18
	s_or_b32 s92, s19, s16
	s_and_not1_b32 s14, s96, exec_lo
	s_and_b32 s16, s25, exec_lo
	s_and_not1_b32 s18, s95, exec_lo
	s_and_b32 s19, s24, exec_lo
	s_mov_b32 s17, -1
	s_and_not1_b32 s93, s93, exec_lo
	s_or_b32 s96, s14, s16
	s_or_b32 s95, s18, s19
	s_and_saveexec_b32 s14, s15
	s_delay_alu instid0(SALU_CYCLE_1)
	s_xor_b32 s14, exec_lo, s14
	s_cbranch_execz .LBB13_14
; %bb.415:                              ;   in Loop: Header=BB13_15 Depth=1
	s_mov_b32 s15, -1
	s_mov_b32 s16, -1
	s_mov_b32 s17, exec_lo
	v_cmpx_eq_u32_e32 0, v2
	s_cbranch_execz .LBB13_13
; %bb.416:                              ;   in Loop: Header=BB13_15 Depth=1
	s_xor_b32 s87, s87, 1
	s_add_co_i32 s18, s84, -2
	s_cmp_eq_u32 s84, 0
	s_mov_b32 s84, s18
	s_cselect_b32 s15, -1, 0
	s_xor_b32 s16, exec_lo, -1
	s_or_not1_b32 s15, s15, exec_lo
	s_branch .LBB13_13
.LBB13_417:
	s_or_b32 exec_lo, exec_lo, s85
	s_xor_b32 s7, s91, -1
	s_xor_b32 s9, s89, -1
	;; [unrolled: 1-line block ×5, first 2 shown]
	s_mov_b32 s8, 0
	s_and_saveexec_b32 s12, s11
	s_delay_alu instid0(SALU_CYCLE_1)
	s_xor_b32 s12, exec_lo, s12
	s_cbranch_execnz .LBB13_422
; %bb.418:
	s_and_not1_saveexec_b32 s0, s12
	s_cbranch_execnz .LBB13_441
.LBB13_419:
	s_or_b32 exec_lo, exec_lo, s0
	s_and_saveexec_b32 s0, s8
.LBB13_420:
	; divergent unreachable
.LBB13_421:
	s_sendmsg sendmsg(MSG_DEALLOC_VGPRS)
	s_endpgm
.LBB13_422:
	s_and_saveexec_b32 s11, s10
	s_delay_alu instid0(SALU_CYCLE_1)
	s_xor_b32 s13, exec_lo, s11
	s_cbranch_execz .LBB13_439
; %bb.423:
	s_and_saveexec_b32 s10, s9
	s_delay_alu instid0(SALU_CYCLE_1)
	s_xor_b32 s14, exec_lo, s10
	s_cbranch_execz .LBB13_437
; %bb.424:
	;; [unrolled: 5-line block ×3, first 2 shown]
	s_and_saveexec_b32 s7, s6
	s_delay_alu instid0(SALU_CYCLE_1)
	s_xor_b32 s6, exec_lo, s7
; %bb.426:
	v_mov_b32_e32 v40, v32
; %bb.427:
	s_or_b32 exec_lo, exec_lo, s6
	s_and_saveexec_b32 s6, s5
; %bb.428:
	v_mov_b32_e32 v1, 0
	ds_store_b32 v1, v1 offset:4108
; %bb.429:
	s_or_b32 exec_lo, exec_lo, s6
	v_mov_b32_e32 v1, 0
	s_wait_dscnt 0x0
	s_barrier_signal -1
	s_barrier_wait -1
	s_and_saveexec_b32 s5, s3
	s_cbranch_execz .LBB13_431
; %bb.430:
	global_load_u8 v1, v[20:21], off
.LBB13_431:
	s_wait_xcnt 0x0
	s_or_b32 exec_lo, exec_lo, s5
	s_clause 0x1
	s_load_b32 s5, s[0:1], 0x1c8
	s_load_b32 s16, s[0:1], 0x2a8
	s_wait_xcnt 0x0
	s_mul_i32 s0, s44, s57
	s_add_co_i32 s17, s36, 31
	s_add_co_i32 s10, s0, s35
	s_mul_i32 s0, s59, s55
	s_mov_b32 s11, 0
	v_readlane_b32 s6, v68, 0
	v_readlane_b32 s8, v68, 2
	s_and_not1_b32 s17, s17, 31
	v_readlane_b32 s7, v68, 1
	v_readlane_b32 s9, v68, 3
	s_add_co_i32 s0, s0, s41
	s_mov_b32 s1, s11
	v_cmp_gt_u32_e32 vcc_lo, s17, v0
	s_lshl_b64 s[0:1], s[0:1], 3
	s_add_nc_u64 s[6:7], s[6:7], s[10:11]
	s_add_nc_u64 s[8:9], s[8:9], s[0:1]
	s_mov_b32 s0, -1
	s_mov_b32 s1, 0
	s_and_saveexec_b32 s10, vcc_lo
	s_cbranch_execnz .LBB13_442
; %bb.432:
	s_or_b32 exec_lo, exec_lo, s10
	s_and_saveexec_b32 s4, s0
	s_cbranch_execnz .LBB13_457
.LBB13_433:
	s_or_b32 exec_lo, exec_lo, s4
	s_and_saveexec_b32 s0, s1
	s_delay_alu instid0(SALU_CYCLE_1)
	s_xor_b32 s0, exec_lo, s0
	s_cbranch_execnz .LBB13_480
.LBB13_434:
	s_or_b32 exec_lo, exec_lo, s0
	s_delay_alu instid0(SALU_CYCLE_1)
	s_and_b32 s8, s11, exec_lo
.LBB13_435:
	s_and_not1_saveexec_b32 s0, s15
	s_cbranch_execnz .LBB13_482
.LBB13_436:
	s_or_b32 exec_lo, exec_lo, s0
	s_delay_alu instid0(SALU_CYCLE_1)
	s_and_b32 s8, s8, exec_lo
.LBB13_437:
	s_and_not1_saveexec_b32 s0, s14
	s_cbranch_execnz .LBB13_481
.LBB13_438:
	s_or_b32 exec_lo, exec_lo, s0
	s_delay_alu instid0(SALU_CYCLE_1)
	s_and_b32 s8, s8, exec_lo
.LBB13_439:
	s_and_not1_saveexec_b32 s0, s13
	s_cbranch_execnz .LBB13_476
.LBB13_440:
	s_or_b32 exec_lo, exec_lo, s0
	s_delay_alu instid0(SALU_CYCLE_1)
	s_and_b32 s8, s8, exec_lo
	s_and_not1_saveexec_b32 s0, s12
	s_cbranch_execz .LBB13_419
.LBB13_441:
	s_or_b32 s8, s8, exec_lo
	s_trap 2
	s_or_b32 exec_lo, exec_lo, s0
	s_and_saveexec_b32 s0, s8
	s_cbranch_execnz .LBB13_420
	s_branch .LBB13_421
.LBB13_442:
	v_dual_mov_b32 v3, 0 :: v_dual_add_nc_u32 v2, s40, v0
	v_and_b32_e32 v5, 0xff, v40
	s_mov_b32 s18, 0
                                        ; implicit-def: $sgpr19
                                        ; implicit-def: $vgpr8
	s_delay_alu instid0(VALU_DEP_2)
	v_mul_lo_u32 v4, s54, v2
	v_mov_b32_e32 v2, v0
	s_branch .LBB13_444
.LBB13_443:                             ;   in Loop: Header=BB13_444 Depth=1
	s_or_b32 exec_lo, exec_lo, s21
	s_xor_b32 s0, s20, -1
	s_and_b32 s1, exec_lo, s1
	v_dual_mov_b32 v1, v7 :: v_dual_mov_b32 v2, v6
	s_or_b32 s18, s1, s18
	s_and_not1_b32 s1, s19, exec_lo
	s_and_b32 s0, s0, exec_lo
	s_delay_alu instid0(SALU_CYCLE_1)
	s_or_b32 s19, s1, s0
	s_and_not1_b32 exec_lo, exec_lo, s18
	s_cbranch_execz .LBB13_456
.LBB13_444:                             ; =>This Inner Loop Header: Depth=1
	s_delay_alu instid0(VALU_DEP_1) | instskip(SKIP_1) | instid1(VALU_DEP_1)
	v_dual_mov_b32 v7, 0 :: v_dual_add_nc_u32 v6, s40, v2
	s_mov_b32 s1, exec_lo
	v_cmpx_gt_u32_e64 s36, v6
	s_cbranch_execz .LBB13_446
; %bb.445:                              ;   in Loop: Header=BB13_444 Depth=1
	global_load_u8 v7, v4, s[38:39]
.LBB13_446:                             ;   in Loop: Header=BB13_444 Depth=1
	s_wait_xcnt 0x0
	s_or_b32 exec_lo, exec_lo, s1
	s_wait_loadcnt 0x0
	v_and_b32_e32 v9, 0xff, v1
	s_delay_alu instid0(VALU_DEP_1) | instskip(NEXT) | instid1(VALU_DEP_1)
	v_cmp_gt_u16_e64 s0, v9, v5
	v_cndmask_b32_e64 v10, 0, 1, s0
	v_cmp_lt_u16_e64 s0, v9, v5
	s_delay_alu instid0(VALU_DEP_1) | instskip(SKIP_1) | instid1(VALU_DEP_2)
	v_cndmask_b32_e64 v9, 0, 1, s0
	v_cmp_gt_u32_e64 s0, s36, v2
	v_cndmask_b32_e64 v9, v9, v10, s4
	s_delay_alu instid0(VALU_DEP_1) | instskip(NEXT) | instid1(VALU_DEP_1)
	v_and_b32_e32 v9, 1, v9
	v_cmp_eq_u32_e64 s1, 1, v9
	s_and_b32 s20, s0, s1
	s_delay_alu instid0(SALU_CYCLE_1) | instskip(NEXT) | instid1(VALU_DEP_1)
	v_cndmask_b32_e64 v9, 0, 1, s20
	v_cmp_ne_u32_e64 s0, 0, v9
	s_cmp_lg_u32 s0, 0
	s_cselect_b32 s1, -1, 0
	s_delay_alu instid0(SALU_CYCLE_1) | instskip(NEXT) | instid1(SALU_CYCLE_1)
	s_and_b32 s1, s2, s1
	s_and_saveexec_b32 s21, s1
	s_cbranch_execz .LBB13_450
; %bb.447:                              ;   in Loop: Header=BB13_444 Depth=1
	s_mov_b32 s24, exec_lo
	s_bcnt1_i32_b32 s22, s0
	s_wait_dscnt 0x0
	v_mbcnt_lo_u32_b32 v8, s24, 0
	s_mov_b32 s23, exec_lo
                                        ; implicit-def: $vgpr9
	s_delay_alu instid0(VALU_DEP_1)
	v_cmpx_eq_u32_e32 0, v8
; %bb.448:                              ;   in Loop: Header=BB13_444 Depth=1
	s_bcnt1_i32_b32 s1, s24
	s_delay_alu instid0(SALU_CYCLE_1) | instskip(NEXT) | instid1(SALU_CYCLE_1)
	s_mul_i32 s1, s22, s1
	v_mov_b32_e32 v9, s1
	ds_add_rtn_u32 v9, v3, v9 offset:4108
; %bb.449:                              ;   in Loop: Header=BB13_444 Depth=1
	s_or_b32 exec_lo, exec_lo, s23
	s_wait_dscnt 0x0
	v_readfirstlane_b32 s1, v9
	s_delay_alu instid0(VALU_DEP_1)
	v_mad_u32_u24 v8, s22, v8, s1
.LBB13_450:                             ;   in Loop: Header=BB13_444 Depth=1
	s_or_b32 exec_lo, exec_lo, s21
	s_wait_dscnt 0x0
	ds_bpermute_b32 v8, v3, v8
	s_mov_b32 s1, -1
	s_mov_b32 s22, -1
	s_and_saveexec_b32 s21, s20
	s_cbranch_execz .LBB13_454
; %bb.451:                              ;   in Loop: Header=BB13_444 Depth=1
	v_and_b32_e32 v9, s0, v18
	s_mov_b32 s20, 0
	s_mov_b32 s22, exec_lo
	s_wait_dscnt 0x0
	s_delay_alu instid0(VALU_DEP_1) | instskip(NEXT) | instid1(VALU_DEP_1)
	v_bcnt_u32_b32 v9, v9, v8
	v_cmpx_gt_u32_e64 s37, v9
	s_cbranch_execz .LBB13_453
; %bb.452:                              ;   in Loop: Header=BB13_444 Depth=1
	s_wait_kmcnt 0x0
	v_mul_lo_u32 v10, v9, s5
	v_mul_lo_u32 v9, v9, s16
	s_mov_b32 s20, exec_lo
	global_store_b8 v10, v1, s[6:7]
	global_store_b64 v9, v[2:3], s[8:9] scale_offset
.LBB13_453:                             ;   in Loop: Header=BB13_444 Depth=1
	s_wait_xcnt 0x0
	s_or_b32 exec_lo, exec_lo, s22
	s_delay_alu instid0(SALU_CYCLE_1)
	s_or_not1_b32 s22, s20, exec_lo
.LBB13_454:                             ;   in Loop: Header=BB13_444 Depth=1
	s_or_b32 exec_lo, exec_lo, s21
	s_mov_b32 s20, -1
	s_and_saveexec_b32 s21, s22
	s_cbranch_execz .LBB13_443
; %bb.455:                              ;   in Loop: Header=BB13_444 Depth=1
	v_cmp_le_u32_e64 s0, s17, v6
	v_add_nc_u32_e32 v4, s56, v4
	s_xor_b32 s20, exec_lo, -1
	s_or_not1_b32 s1, s0, exec_lo
	s_branch .LBB13_443
.LBB13_456:
	s_or_b32 exec_lo, exec_lo, s18
	s_delay_alu instid0(SALU_CYCLE_1)
	s_mov_b32 s1, exec_lo
	s_or_not1_b32 s0, s19, exec_lo
	s_or_b32 exec_lo, exec_lo, s10
	s_and_saveexec_b32 s4, s0
	s_cbranch_execz .LBB13_433
.LBB13_457:
	v_mov_b32_e32 v7, 0
	s_wait_storecnt 0x0
	s_wait_loadcnt_dscnt 0x0
	s_barrier_signal -1
	s_barrier_wait -1
	s_and_saveexec_b32 s0, s3
	s_cbranch_execz .LBB13_459
; %bb.458:
	global_load_u8 v7, v[20:21], off
.LBB13_459:
	s_wait_xcnt 0x0
	s_or_b32 exec_lo, exec_lo, s0
	s_mov_b32 s0, 0
	s_and_saveexec_b32 s3, vcc_lo
	s_cbranch_execz .LBB13_479
; %bb.460:
	v_add_nc_u32_e32 v1, s40, v0
	v_and_b32_e32 v3, 0xff, v40
	s_mov_b32 s10, 0
                                        ; implicit-def: $sgpr11
                                        ; implicit-def: $vgpr6
	s_delay_alu instid0(VALU_DEP_2)
	v_mul_lo_u32 v2, s54, v1
	v_mov_b32_e32 v1, 0
	s_branch .LBB13_463
.LBB13_461:                             ;   in Loop: Header=BB13_463 Depth=1
	s_or_b32 exec_lo, exec_lo, s20
	s_delay_alu instid0(SALU_CYCLE_1)
	s_or_not1_b32 s20, s18, exec_lo
	s_or_not1_b32 s19, s19, exec_lo
.LBB13_462:                             ;   in Loop: Header=BB13_463 Depth=1
	s_or_b32 exec_lo, exec_lo, s0
	s_xor_b32 s0, s20, -1
	s_and_b32 s18, exec_lo, s19
	v_dual_mov_b32 v0, v4 :: v_dual_mov_b32 v7, v5
	s_or_b32 s10, s18, s10
	s_and_not1_b32 s11, s11, exec_lo
	s_and_b32 s0, s0, exec_lo
	s_delay_alu instid0(SALU_CYCLE_1)
	s_or_b32 s11, s11, s0
	s_and_not1_b32 exec_lo, exec_lo, s10
	s_cbranch_execz .LBB13_477
.LBB13_463:                             ; =>This Inner Loop Header: Depth=1
	v_dual_mov_b32 v5, 0 :: v_dual_add_nc_u32 v4, s40, v0
	s_mov_b32 s0, exec_lo
	s_delay_alu instid0(VALU_DEP_1)
	v_cmpx_gt_u32_e64 s36, v4
	s_cbranch_execz .LBB13_465
; %bb.464:                              ;   in Loop: Header=BB13_463 Depth=1
	global_load_u8 v5, v2, s[38:39]
.LBB13_465:                             ;   in Loop: Header=BB13_463 Depth=1
	s_wait_xcnt 0x0
	s_or_b32 exec_lo, exec_lo, s0
	s_wait_loadcnt 0x0
	v_and_b32_e32 v7, 0xff, v7
	v_cmp_gt_u32_e32 vcc_lo, s36, v0
	s_delay_alu instid0(VALU_DEP_2) | instskip(SKIP_1) | instid1(SALU_CYCLE_1)
	v_cmp_eq_u16_e64 s0, v7, v3
	s_and_b32 s18, vcc_lo, s0
	v_cndmask_b32_e64 v7, 0, 1, s18
	s_delay_alu instid0(VALU_DEP_1) | instskip(SKIP_2) | instid1(SALU_CYCLE_1)
	v_cmp_ne_u32_e32 vcc_lo, 0, v7
	s_cmp_lg_u32 vcc_lo, 0
	s_cselect_b32 s0, -1, 0
	s_and_b32 s0, s2, s0
	s_delay_alu instid0(SALU_CYCLE_1)
	s_and_saveexec_b32 s19, s0
	s_cbranch_execz .LBB13_469
; %bb.466:                              ;   in Loop: Header=BB13_463 Depth=1
	s_mov_b32 s22, exec_lo
	s_bcnt1_i32_b32 s20, vcc_lo
	v_mbcnt_lo_u32_b32 v6, s22, 0
	s_mov_b32 s21, exec_lo
                                        ; implicit-def: $vgpr7
	s_delay_alu instid0(VALU_DEP_1)
	v_cmpx_eq_u32_e32 0, v6
; %bb.467:                              ;   in Loop: Header=BB13_463 Depth=1
	s_bcnt1_i32_b32 s0, s22
	s_delay_alu instid0(SALU_CYCLE_1) | instskip(NEXT) | instid1(SALU_CYCLE_1)
	s_mul_i32 s0, s20, s0
	v_mov_b32_e32 v7, s0
	ds_add_rtn_u32 v7, v1, v7 offset:4108
; %bb.468:                              ;   in Loop: Header=BB13_463 Depth=1
	s_or_b32 exec_lo, exec_lo, s21
	s_wait_dscnt 0x0
	v_readfirstlane_b32 s0, v7
	s_delay_alu instid0(VALU_DEP_1)
	v_mad_u32_u24 v6, s20, v6, s0
.LBB13_469:                             ;   in Loop: Header=BB13_463 Depth=1
	s_or_b32 exec_lo, exec_lo, s19
	ds_bpermute_b32 v6, v1, v6
	s_cmp_eq_u32 vcc_lo, 0
	s_mov_b32 s19, -1
	s_cselect_b32 s20, -1, 0
	s_wait_dscnt 0x0
	v_cmp_gt_u32_e64 s0, s37, v6
	s_or_b32 s21, s20, s0
	s_mov_b32 s20, -1
	s_and_saveexec_b32 s0, s21
	s_cbranch_execz .LBB13_462
; %bb.470:                              ;   in Loop: Header=BB13_463 Depth=1
	v_and_b32_e32 v7, vcc_lo, v18
	v_sub_nc_u32_e32 v8, s37, v6
	s_mov_b32 s21, -1
	s_delay_alu instid0(VALU_DEP_2) | instskip(NEXT) | instid1(VALU_DEP_1)
	v_bcnt_u32_b32 v7, v7, 0
	v_bcnt_u32_b32 v7, 0, v7
	s_delay_alu instid0(VALU_DEP_1)
	v_cmp_gt_u32_e32 vcc_lo, v8, v7
	s_and_b32 s22, s18, vcc_lo
	s_mov_b32 s18, -1
	s_and_saveexec_b32 s20, s22
	s_cbranch_execz .LBB13_474
; %bb.471:                              ;   in Loop: Header=BB13_463 Depth=1
	v_add_nc_u32_e32 v7, v6, v7
	s_mov_b32 s21, 0
	s_mov_b32 s18, exec_lo
	s_delay_alu instid0(VALU_DEP_1)
	v_cmpx_gt_u32_e64 s37, v7
	s_cbranch_execz .LBB13_473
; %bb.472:                              ;   in Loop: Header=BB13_463 Depth=1
	s_wait_kmcnt 0x0
	v_mul_lo_u32 v8, v7, s5
	v_mul_lo_u32 v7, v7, s16
	s_mov_b32 s21, exec_lo
	global_store_b8 v8, v40, s[6:7]
	global_store_b64 v7, v[0:1], s[8:9] scale_offset
.LBB13_473:                             ;   in Loop: Header=BB13_463 Depth=1
	s_wait_xcnt 0x0
	s_or_b32 exec_lo, exec_lo, s18
	s_delay_alu instid0(SALU_CYCLE_1)
	s_xor_b32 s18, exec_lo, -1
	s_or_not1_b32 s21, s21, exec_lo
.LBB13_474:                             ;   in Loop: Header=BB13_463 Depth=1
	s_or_b32 exec_lo, exec_lo, s20
	s_and_saveexec_b32 s20, s21
	s_cbranch_execz .LBB13_461
; %bb.475:                              ;   in Loop: Header=BB13_463 Depth=1
	v_cmp_le_u32_e32 vcc_lo, s17, v4
	v_add_nc_u32_e32 v2, s56, v2
	s_or_b32 s18, s18, exec_lo
	s_or_not1_b32 s19, vcc_lo, exec_lo
	s_branch .LBB13_461
.LBB13_476:
	s_or_b32 s8, s8, exec_lo
	s_trap 2
	s_branch .LBB13_440
.LBB13_477:
	s_or_b32 exec_lo, exec_lo, s10
	s_mov_b32 s0, 0
	s_and_saveexec_b32 s2, s11
	s_delay_alu instid0(SALU_CYCLE_1)
	s_xor_b32 s2, exec_lo, s2
	s_cbranch_execnz .LBB13_483
.LBB13_478:
	s_or_b32 exec_lo, exec_lo, s2
	s_delay_alu instid0(SALU_CYCLE_1)
	s_and_b32 s0, s0, exec_lo
.LBB13_479:
	s_or_b32 exec_lo, exec_lo, s3
	s_delay_alu instid0(SALU_CYCLE_1) | instskip(SKIP_3) | instid1(SALU_CYCLE_1)
	s_and_b32 s11, s0, exec_lo
	s_and_not1_b32 s1, s1, exec_lo
	s_or_b32 exec_lo, exec_lo, s4
	s_and_saveexec_b32 s0, s1
	s_xor_b32 s0, exec_lo, s0
	s_cbranch_execz .LBB13_434
.LBB13_480:
	s_or_b32 s11, s11, exec_lo
	s_trap 2
	s_branch .LBB13_434
.LBB13_481:
	s_or_b32 s8, s8, exec_lo
	s_trap 2
	s_branch .LBB13_438
.LBB13_482:
	s_or_b32 s8, s8, exec_lo
	s_trap 2
	s_branch .LBB13_436
.LBB13_483:
	s_mov_b32 s0, exec_lo
	s_trap 2
	s_branch .LBB13_478
	.section	.rodata,"a",@progbits
	.p2align	6, 0x0
	.amdhsa_kernel _ZN2at6native6sbtopk10gatherTopKIhjLin1ELb0EEEvNS_4cuda6detail10TensorInfoIKT_T0_EES8_S8_bS8_S8_NS5_IS6_S8_EES8_NS5_IlS8_EES8_PS6_
		.amdhsa_group_segment_fixed_size 4112
		.amdhsa_private_segment_fixed_size 0
		.amdhsa_kernarg_size 952
		.amdhsa_user_sgpr_count 2
		.amdhsa_user_sgpr_dispatch_ptr 0
		.amdhsa_user_sgpr_queue_ptr 0
		.amdhsa_user_sgpr_kernarg_segment_ptr 1
		.amdhsa_user_sgpr_dispatch_id 0
		.amdhsa_user_sgpr_kernarg_preload_length 0
		.amdhsa_user_sgpr_kernarg_preload_offset 0
		.amdhsa_user_sgpr_private_segment_size 0
		.amdhsa_wavefront_size32 1
		.amdhsa_uses_dynamic_stack 0
		.amdhsa_enable_private_segment 0
		.amdhsa_system_sgpr_workgroup_id_x 1
		.amdhsa_system_sgpr_workgroup_id_y 1
		.amdhsa_system_sgpr_workgroup_id_z 1
		.amdhsa_system_sgpr_workgroup_info 0
		.amdhsa_system_vgpr_workitem_id 0
		.amdhsa_next_free_vgpr 69
		.amdhsa_next_free_sgpr 105
		.amdhsa_named_barrier_count 0
		.amdhsa_reserve_vcc 1
		.amdhsa_float_round_mode_32 0
		.amdhsa_float_round_mode_16_64 0
		.amdhsa_float_denorm_mode_32 3
		.amdhsa_float_denorm_mode_16_64 3
		.amdhsa_fp16_overflow 0
		.amdhsa_memory_ordered 1
		.amdhsa_forward_progress 1
		.amdhsa_inst_pref_size 134
		.amdhsa_round_robin_scheduling 0
		.amdhsa_exception_fp_ieee_invalid_op 0
		.amdhsa_exception_fp_denorm_src 0
		.amdhsa_exception_fp_ieee_div_zero 0
		.amdhsa_exception_fp_ieee_overflow 0
		.amdhsa_exception_fp_ieee_underflow 0
		.amdhsa_exception_fp_ieee_inexact 0
		.amdhsa_exception_int_div_zero 0
	.end_amdhsa_kernel
	.section	.text._ZN2at6native6sbtopk10gatherTopKIhjLin1ELb0EEEvNS_4cuda6detail10TensorInfoIKT_T0_EES8_S8_bS8_S8_NS5_IS6_S8_EES8_NS5_IlS8_EES8_PS6_,"axG",@progbits,_ZN2at6native6sbtopk10gatherTopKIhjLin1ELb0EEEvNS_4cuda6detail10TensorInfoIKT_T0_EES8_S8_bS8_S8_NS5_IS6_S8_EES8_NS5_IlS8_EES8_PS6_,comdat
.Lfunc_end13:
	.size	_ZN2at6native6sbtopk10gatherTopKIhjLin1ELb0EEEvNS_4cuda6detail10TensorInfoIKT_T0_EES8_S8_bS8_S8_NS5_IS6_S8_EES8_NS5_IlS8_EES8_PS6_, .Lfunc_end13-_ZN2at6native6sbtopk10gatherTopKIhjLin1ELb0EEEvNS_4cuda6detail10TensorInfoIKT_T0_EES8_S8_bS8_S8_NS5_IS6_S8_EES8_NS5_IlS8_EES8_PS6_
                                        ; -- End function
	.set _ZN2at6native6sbtopk10gatherTopKIhjLin1ELb0EEEvNS_4cuda6detail10TensorInfoIKT_T0_EES8_S8_bS8_S8_NS5_IS6_S8_EES8_NS5_IlS8_EES8_PS6_.num_vgpr, 69
	.set _ZN2at6native6sbtopk10gatherTopKIhjLin1ELb0EEEvNS_4cuda6detail10TensorInfoIKT_T0_EES8_S8_bS8_S8_NS5_IS6_S8_EES8_NS5_IlS8_EES8_PS6_.num_agpr, 0
	.set _ZN2at6native6sbtopk10gatherTopKIhjLin1ELb0EEEvNS_4cuda6detail10TensorInfoIKT_T0_EES8_S8_bS8_S8_NS5_IS6_S8_EES8_NS5_IlS8_EES8_PS6_.numbered_sgpr, 105
	.set _ZN2at6native6sbtopk10gatherTopKIhjLin1ELb0EEEvNS_4cuda6detail10TensorInfoIKT_T0_EES8_S8_bS8_S8_NS5_IS6_S8_EES8_NS5_IlS8_EES8_PS6_.num_named_barrier, 0
	.set _ZN2at6native6sbtopk10gatherTopKIhjLin1ELb0EEEvNS_4cuda6detail10TensorInfoIKT_T0_EES8_S8_bS8_S8_NS5_IS6_S8_EES8_NS5_IlS8_EES8_PS6_.private_seg_size, 0
	.set _ZN2at6native6sbtopk10gatherTopKIhjLin1ELb0EEEvNS_4cuda6detail10TensorInfoIKT_T0_EES8_S8_bS8_S8_NS5_IS6_S8_EES8_NS5_IlS8_EES8_PS6_.uses_vcc, 1
	.set _ZN2at6native6sbtopk10gatherTopKIhjLin1ELb0EEEvNS_4cuda6detail10TensorInfoIKT_T0_EES8_S8_bS8_S8_NS5_IS6_S8_EES8_NS5_IlS8_EES8_PS6_.uses_flat_scratch, 0
	.set _ZN2at6native6sbtopk10gatherTopKIhjLin1ELb0EEEvNS_4cuda6detail10TensorInfoIKT_T0_EES8_S8_bS8_S8_NS5_IS6_S8_EES8_NS5_IlS8_EES8_PS6_.has_dyn_sized_stack, 0
	.set _ZN2at6native6sbtopk10gatherTopKIhjLin1ELb0EEEvNS_4cuda6detail10TensorInfoIKT_T0_EES8_S8_bS8_S8_NS5_IS6_S8_EES8_NS5_IlS8_EES8_PS6_.has_recursion, 0
	.set _ZN2at6native6sbtopk10gatherTopKIhjLin1ELb0EEEvNS_4cuda6detail10TensorInfoIKT_T0_EES8_S8_bS8_S8_NS5_IS6_S8_EES8_NS5_IlS8_EES8_PS6_.has_indirect_call, 0
	.section	.AMDGPU.csdata,"",@progbits
; Kernel info:
; codeLenInByte = 17144
; TotalNumSgprs: 107
; NumVgprs: 69
; ScratchSize: 0
; MemoryBound: 0
; FloatMode: 240
; IeeeMode: 1
; LDSByteSize: 4112 bytes/workgroup (compile time only)
; SGPRBlocks: 0
; VGPRBlocks: 4
; NumSGPRsForWavesPerEU: 107
; NumVGPRsForWavesPerEU: 69
; NamedBarCnt: 0
; Occupancy: 12
; WaveLimiterHint : 1
; COMPUTE_PGM_RSRC2:SCRATCH_EN: 0
; COMPUTE_PGM_RSRC2:USER_SGPR: 2
; COMPUTE_PGM_RSRC2:TRAP_HANDLER: 0
; COMPUTE_PGM_RSRC2:TGID_X_EN: 1
; COMPUTE_PGM_RSRC2:TGID_Y_EN: 1
; COMPUTE_PGM_RSRC2:TGID_Z_EN: 1
; COMPUTE_PGM_RSRC2:TIDIG_COMP_CNT: 0
	.section	.text._ZN2at6native6mbtopk23computeBlockDigitCountsIajjLi1EEEvNS_4cuda6detail10TensorInfoIKT_T0_EEjPjjS8_iijT1_PSB_Ps,"axG",@progbits,_ZN2at6native6mbtopk23computeBlockDigitCountsIajjLi1EEEvNS_4cuda6detail10TensorInfoIKT_T0_EEjPjjS8_iijT1_PSB_Ps,comdat
	.protected	_ZN2at6native6mbtopk23computeBlockDigitCountsIajjLi1EEEvNS_4cuda6detail10TensorInfoIKT_T0_EEjPjjS8_iijT1_PSB_Ps ; -- Begin function _ZN2at6native6mbtopk23computeBlockDigitCountsIajjLi1EEEvNS_4cuda6detail10TensorInfoIKT_T0_EEjPjjS8_iijT1_PSB_Ps
	.globl	_ZN2at6native6mbtopk23computeBlockDigitCountsIajjLi1EEEvNS_4cuda6detail10TensorInfoIKT_T0_EEjPjjS8_iijT1_PSB_Ps
	.p2align	8
	.type	_ZN2at6native6mbtopk23computeBlockDigitCountsIajjLi1EEEvNS_4cuda6detail10TensorInfoIKT_T0_EEjPjjS8_iijT1_PSB_Ps,@function
_ZN2at6native6mbtopk23computeBlockDigitCountsIajjLi1EEEvNS_4cuda6detail10TensorInfoIKT_T0_EEjPjjS8_iijT1_PSB_Ps: ; @_ZN2at6native6mbtopk23computeBlockDigitCountsIajjLi1EEEvNS_4cuda6detail10TensorInfoIKT_T0_EEjPjjS8_iijT1_PSB_Ps
; %bb.0:
	s_load_b64 s[2:3], s[0:1], 0xf8
	s_bfe_u32 s4, ttmp6, 0x40010
	s_and_b32 s6, ttmp7, 0xffff
	s_add_co_i32 s7, s4, 1
	s_bfe_u32 s8, ttmp6, 0x40004
	s_mul_i32 s7, s6, s7
	s_load_b64 s[4:5], s[0:1], 0x110
	s_add_co_i32 s7, s8, s7
	s_bfe_u32 s9, ttmp6, 0x4000c
	s_bfe_u32 s11, ttmp6, 0x40014
	s_add_co_i32 s9, s9, 1
	s_and_b32 s10, ttmp6, 15
	s_mul_i32 s9, ttmp9, s9
	s_add_co_i32 s11, s11, 1
	s_add_co_i32 s12, s10, s9
	s_bfe_u32 s10, ttmp6, 0x40008
	s_wait_kmcnt 0x0
	s_cvt_f32_u32 s8, s2
	s_delay_alu instid0(SALU_CYCLE_3) | instskip(SKIP_1) | instid1(SALU_CYCLE_1)
	v_rcp_iflag_f32_e32 v1, s8
	s_lshr_b32 s8, ttmp7, 16
	s_mul_i32 s9, s8, s11
	s_getreg_b32 s11, hwreg(HW_REG_IB_STS2, 6, 4)
	s_add_co_i32 s10, s10, s9
	s_cmp_eq_u32 s11, 0
	v_nop
	v_readfirstlane_b32 s13, v1
	s_cselect_b32 s14, s8, s10
	s_load_b128 s[8:11], s[0:1], 0xe8
	s_mul_i32 s5, s5, s14
	s_cselect_b32 s12, ttmp9, s12
	s_mul_f32 s13, s13, 0x4f7ffffe
	s_cselect_b32 s6, s6, s7
	s_sub_co_i32 s7, 0, s2
	s_add_co_i32 s5, s5, s6
	s_cvt_u32_f32 s13, s13
	s_mul_i32 s14, s5, s4
	s_delay_alu instid0(SALU_CYCLE_1) | instskip(NEXT) | instid1(SALU_CYCLE_1)
	s_add_co_i32 s14, s14, s12
	s_mul_i32 s7, s7, s13
	s_delay_alu instid0(SALU_CYCLE_1) | instskip(NEXT) | instid1(SALU_CYCLE_1)
	s_mul_hi_u32 s4, s13, s7
	s_add_co_i32 s13, s13, s4
	s_delay_alu instid0(SALU_CYCLE_1) | instskip(NEXT) | instid1(SALU_CYCLE_1)
	s_mul_hi_u32 s4, s14, s13
	s_mul_i32 s5, s4, s2
	s_add_co_i32 s6, s4, 1
	s_sub_co_i32 s5, s14, s5
	s_delay_alu instid0(SALU_CYCLE_1)
	s_sub_co_i32 s7, s5, s2
	s_cmp_ge_u32 s5, s2
	s_cselect_b32 s4, s6, s4
	s_cselect_b32 s5, s7, s5
	s_add_co_i32 s6, s4, 1
	s_cmp_ge_u32 s5, s2
	s_cselect_b32 s16, s6, s4
	s_wait_kmcnt 0x0
	s_cmp_ge_u32 s16, s8
	s_cbranch_scc1 .LBB14_27
; %bb.1:
	v_cmp_gt_u32_e32 vcc_lo, 0x100, v0
	v_lshlrev_b32_e32 v1, 2, v0
	s_and_saveexec_b32 s4, vcc_lo
; %bb.2:
	v_mov_b32_e32 v2, 0
	ds_store_b32 v1, v2
; %bb.3:
	s_or_b32 exec_lo, exec_lo, s4
	s_clause 0x1
	s_load_b32 s8, s[0:1], 0xd8
	s_load_b128 s[4:7], s[0:1], 0x100
	s_mul_i32 s12, s16, s2
	s_mov_b32 s13, 0
	s_sub_co_i32 s17, s14, s12
	s_wait_dscnt 0x0
	s_mul_i32 s12, s11, s17
	s_add_co_i32 s17, s17, 1
	s_lshl_b32 s15, s12, 8
	s_barrier_signal -1
	s_barrier_wait -1
	s_wait_kmcnt 0x0
	s_sub_co_i32 s12, s8, s15
	s_delay_alu instid0(SALU_CYCLE_1) | instskip(NEXT) | instid1(SALU_CYCLE_1)
	s_add_nc_u64 s[18:19], s[12:13], 0xff
	s_lshr_b64 s[18:19], s[18:19], 8
	s_cmp_lt_u32 s17, s2
	s_cselect_b32 s11, s11, s18
	s_delay_alu instid0(SALU_CYCLE_1)
	s_cmp_lt_i32 s11, 1
	s_cbranch_scc1 .LBB14_25
; %bb.4:
	s_clause 0x1
	s_load_b32 s12, s[0:1], 0x6c
	s_load_b64 s[18:19], s[0:1], 0x0
	s_load_b32 s2, s[4:5], s16 offset:0x0 scale_offset
	s_wait_xcnt 0x0
	s_and_b32 s1, s10, 0xff
	s_cmp_lt_u32 s11, 4
	s_wait_kmcnt 0x0
	s_mul_i32 s12, s12, s16
	s_delay_alu instid0(SALU_CYCLE_1)
	s_add_nc_u64 s[4:5], s[18:19], s[12:13]
	s_cbranch_scc1 .LBB14_19
; %bb.5:
	v_dual_mov_b32 v7, 1 :: v_dual_add_nc_u32 v6, s15, v0
	s_and_b32 s13, s11, 0x7ffffffc
	s_lshl_b32 s10, s9, 10
	s_mov_b32 s12, 0
	s_delay_alu instid0(VALU_DEP_1)
	v_add_nc_u32_e32 v2, 0x300, v6
	v_add_nc_u32_e32 v4, 0x200, v6
	;; [unrolled: 1-line block ×3, first 2 shown]
	v_mul_lo_u32 v6, s9, v6
	s_mov_b32 s16, 0
	v_mul_lo_u32 v3, s9, v2
	v_mul_lo_u32 v4, s9, v4
	;; [unrolled: 1-line block ×3, first 2 shown]
	s_branch .LBB14_7
.LBB14_6:                               ;   in Loop: Header=BB14_7 Depth=1
	s_or_b32 exec_lo, exec_lo, s17
	v_add_nc_u32_e32 v2, 0x400, v2
	s_add_co_i32 s16, s16, 4
	s_add_co_i32 s12, s12, s10
	s_cmp_eq_u32 s13, s16
	s_cbranch_scc1 .LBB14_19
.LBB14_7:                               ; =>This Inner Loop Header: Depth=1
	v_add_nc_u32_e32 v8, 0xfffffd00, v2
	s_mov_b32 s17, exec_lo
	s_delay_alu instid0(VALU_DEP_1)
	v_cmpx_gt_u32_e64 s8, v8
	s_cbranch_execz .LBB14_10
; %bb.8:                                ;   in Loop: Header=BB14_7 Depth=1
	v_add_nc_u32_e32 v8, s12, v6
	global_load_i8 v8, v8, s[4:5]
	s_wait_loadcnt 0x0
	s_wait_xcnt 0x0
	v_add_nc_u32_e32 v8, 0x80, v8
	s_delay_alu instid0(VALU_DEP_1) | instskip(NEXT) | instid1(VALU_DEP_1)
	v_bitop3_b32 v9, v8, s3, s2 bitop3:0x48
	v_cmp_eq_u32_e64 s0, 0, v9
	s_and_b32 exec_lo, exec_lo, s0
; %bb.9:                                ;   in Loop: Header=BB14_7 Depth=1
	v_lshrrev_b32_e32 v8, s1, v8
	s_delay_alu instid0(VALU_DEP_1)
	v_lshlrev_b32_e32 v8, 2, v8
	ds_add_u32 v8, v7
.LBB14_10:                              ;   in Loop: Header=BB14_7 Depth=1
	s_or_b32 exec_lo, exec_lo, s17
	v_add_nc_u32_e32 v8, 0xfffffe00, v2
	s_mov_b32 s17, exec_lo
	s_delay_alu instid0(VALU_DEP_1)
	v_cmpx_gt_u32_e64 s8, v8
	s_cbranch_execz .LBB14_13
; %bb.11:                               ;   in Loop: Header=BB14_7 Depth=1
	v_add_nc_u32_e32 v8, s12, v5
	global_load_i8 v8, v8, s[4:5]
	s_wait_loadcnt 0x0
	v_add_nc_u32_e32 v8, 0x80, v8
	s_delay_alu instid0(VALU_DEP_1) | instskip(NEXT) | instid1(VALU_DEP_1)
	v_bitop3_b32 v9, v8, s3, s2 bitop3:0x48
	v_cmp_eq_u32_e64 s0, 0, v9
	s_and_b32 exec_lo, exec_lo, s0
; %bb.12:                               ;   in Loop: Header=BB14_7 Depth=1
	v_lshrrev_b32_e32 v8, s1, v8
	s_delay_alu instid0(VALU_DEP_1)
	v_lshlrev_b32_e32 v8, 2, v8
	ds_add_u32 v8, v7
.LBB14_13:                              ;   in Loop: Header=BB14_7 Depth=1
	s_or_b32 exec_lo, exec_lo, s17
	v_add_nc_u32_e32 v8, 0xffffff00, v2
	s_mov_b32 s17, exec_lo
	s_delay_alu instid0(VALU_DEP_1)
	v_cmpx_gt_u32_e64 s8, v8
	s_cbranch_execz .LBB14_16
; %bb.14:                               ;   in Loop: Header=BB14_7 Depth=1
	v_add_nc_u32_e32 v8, s12, v4
	global_load_i8 v8, v8, s[4:5]
	s_wait_loadcnt 0x0
	v_add_nc_u32_e32 v8, 0x80, v8
	s_delay_alu instid0(VALU_DEP_1) | instskip(NEXT) | instid1(VALU_DEP_1)
	v_bitop3_b32 v9, v8, s3, s2 bitop3:0x48
	v_cmp_eq_u32_e64 s0, 0, v9
	s_and_b32 exec_lo, exec_lo, s0
; %bb.15:                               ;   in Loop: Header=BB14_7 Depth=1
	v_lshrrev_b32_e32 v8, s1, v8
	s_delay_alu instid0(VALU_DEP_1)
	v_lshlrev_b32_e32 v8, 2, v8
	ds_add_u32 v8, v7
.LBB14_16:                              ;   in Loop: Header=BB14_7 Depth=1
	s_or_b32 exec_lo, exec_lo, s17
	s_delay_alu instid0(SALU_CYCLE_1)
	s_mov_b32 s17, exec_lo
	v_cmpx_gt_u32_e64 s8, v2
	s_cbranch_execz .LBB14_6
; %bb.17:                               ;   in Loop: Header=BB14_7 Depth=1
	v_add_nc_u32_e32 v8, s12, v3
	global_load_i8 v8, v8, s[4:5]
	s_wait_loadcnt 0x0
	v_add_nc_u32_e32 v8, 0x80, v8
	s_delay_alu instid0(VALU_DEP_1) | instskip(NEXT) | instid1(VALU_DEP_1)
	v_bitop3_b32 v9, v8, s3, s2 bitop3:0x48
	v_cmp_eq_u32_e64 s0, 0, v9
	s_and_b32 exec_lo, exec_lo, s0
	s_cbranch_execz .LBB14_6
; %bb.18:                               ;   in Loop: Header=BB14_7 Depth=1
	v_lshrrev_b32_e32 v8, s1, v8
	s_delay_alu instid0(VALU_DEP_1)
	v_lshlrev_b32_e32 v8, 2, v8
	ds_add_u32 v8, v7
	s_branch .LBB14_6
.LBB14_19:
	s_and_b32 s10, s11, 3
	s_delay_alu instid0(SALU_CYCLE_1)
	s_cmp_eq_u32 s10, 0
	s_cbranch_scc1 .LBB14_25
; %bb.20:
	s_lshl_b32 s0, s13, 8
	v_mov_b32_e32 v4, 1
	v_add3_u32 v2, s0, s15, v0
	s_delay_alu instid0(VALU_DEP_1)
	v_mul_lo_u32 v3, s9, v2
	s_lshl_b32 s9, s9, 8
	s_branch .LBB14_22
.LBB14_21:                              ;   in Loop: Header=BB14_22 Depth=1
	s_or_b32 exec_lo, exec_lo, s11
	s_delay_alu instid0(VALU_DEP_2) | instskip(SKIP_2) | instid1(SALU_CYCLE_1)
	v_add_nc_u32_e32 v3, s9, v3
	v_add_nc_u32_e32 v2, 0x100, v2
	s_add_co_i32 s10, s10, -1
	s_cmp_lg_u32 s10, 0
	s_cbranch_scc0 .LBB14_25
.LBB14_22:                              ; =>This Inner Loop Header: Depth=1
	s_mov_b32 s11, exec_lo
	v_cmpx_gt_u32_e64 s8, v2
	s_cbranch_execz .LBB14_21
; %bb.23:                               ;   in Loop: Header=BB14_22 Depth=1
	global_load_i8 v5, v3, s[4:5]
	s_wait_loadcnt 0x0
	v_add_nc_u32_e32 v5, 0x80, v5
	s_delay_alu instid0(VALU_DEP_1) | instskip(NEXT) | instid1(VALU_DEP_1)
	v_bitop3_b32 v6, v5, s3, s2 bitop3:0x48
	v_cmp_eq_u32_e64 s0, 0, v6
	s_and_b32 exec_lo, exec_lo, s0
	s_cbranch_execz .LBB14_21
; %bb.24:                               ;   in Loop: Header=BB14_22 Depth=1
	v_lshrrev_b32_e32 v5, s1, v5
	s_delay_alu instid0(VALU_DEP_1)
	v_lshlrev_b32_e32 v5, 2, v5
	ds_add_u32 v5, v4
	s_branch .LBB14_21
.LBB14_25:
	s_wait_dscnt 0x0
	s_barrier_signal -1
	s_barrier_wait -1
	s_and_saveexec_b32 s0, vcc_lo
	s_cbranch_execz .LBB14_27
; %bb.26:
	ds_load_b32 v1, v1
	v_lshl_or_b32 v0, s14, 8, v0
	s_wait_dscnt 0x0
	global_store_b16 v0, v1, s[6:7] scale_offset
.LBB14_27:
	s_endpgm
	.section	.rodata,"a",@progbits
	.p2align	6, 0x0
	.amdhsa_kernel _ZN2at6native6mbtopk23computeBlockDigitCountsIajjLi1EEEvNS_4cuda6detail10TensorInfoIKT_T0_EEjPjjS8_iijT1_PSB_Ps
		.amdhsa_group_segment_fixed_size 1024
		.amdhsa_private_segment_fixed_size 0
		.amdhsa_kernarg_size 528
		.amdhsa_user_sgpr_count 2
		.amdhsa_user_sgpr_dispatch_ptr 0
		.amdhsa_user_sgpr_queue_ptr 0
		.amdhsa_user_sgpr_kernarg_segment_ptr 1
		.amdhsa_user_sgpr_dispatch_id 0
		.amdhsa_user_sgpr_kernarg_preload_length 0
		.amdhsa_user_sgpr_kernarg_preload_offset 0
		.amdhsa_user_sgpr_private_segment_size 0
		.amdhsa_wavefront_size32 1
		.amdhsa_uses_dynamic_stack 0
		.amdhsa_enable_private_segment 0
		.amdhsa_system_sgpr_workgroup_id_x 1
		.amdhsa_system_sgpr_workgroup_id_y 1
		.amdhsa_system_sgpr_workgroup_id_z 1
		.amdhsa_system_sgpr_workgroup_info 0
		.amdhsa_system_vgpr_workitem_id 0
		.amdhsa_next_free_vgpr 10
		.amdhsa_next_free_sgpr 20
		.amdhsa_named_barrier_count 0
		.amdhsa_reserve_vcc 1
		.amdhsa_float_round_mode_32 0
		.amdhsa_float_round_mode_16_64 0
		.amdhsa_float_denorm_mode_32 3
		.amdhsa_float_denorm_mode_16_64 3
		.amdhsa_fp16_overflow 0
		.amdhsa_memory_ordered 1
		.amdhsa_forward_progress 1
		.amdhsa_inst_pref_size 10
		.amdhsa_round_robin_scheduling 0
		.amdhsa_exception_fp_ieee_invalid_op 0
		.amdhsa_exception_fp_denorm_src 0
		.amdhsa_exception_fp_ieee_div_zero 0
		.amdhsa_exception_fp_ieee_overflow 0
		.amdhsa_exception_fp_ieee_underflow 0
		.amdhsa_exception_fp_ieee_inexact 0
		.amdhsa_exception_int_div_zero 0
	.end_amdhsa_kernel
	.section	.text._ZN2at6native6mbtopk23computeBlockDigitCountsIajjLi1EEEvNS_4cuda6detail10TensorInfoIKT_T0_EEjPjjS8_iijT1_PSB_Ps,"axG",@progbits,_ZN2at6native6mbtopk23computeBlockDigitCountsIajjLi1EEEvNS_4cuda6detail10TensorInfoIKT_T0_EEjPjjS8_iijT1_PSB_Ps,comdat
.Lfunc_end14:
	.size	_ZN2at6native6mbtopk23computeBlockDigitCountsIajjLi1EEEvNS_4cuda6detail10TensorInfoIKT_T0_EEjPjjS8_iijT1_PSB_Ps, .Lfunc_end14-_ZN2at6native6mbtopk23computeBlockDigitCountsIajjLi1EEEvNS_4cuda6detail10TensorInfoIKT_T0_EEjPjjS8_iijT1_PSB_Ps
                                        ; -- End function
	.set _ZN2at6native6mbtopk23computeBlockDigitCountsIajjLi1EEEvNS_4cuda6detail10TensorInfoIKT_T0_EEjPjjS8_iijT1_PSB_Ps.num_vgpr, 10
	.set _ZN2at6native6mbtopk23computeBlockDigitCountsIajjLi1EEEvNS_4cuda6detail10TensorInfoIKT_T0_EEjPjjS8_iijT1_PSB_Ps.num_agpr, 0
	.set _ZN2at6native6mbtopk23computeBlockDigitCountsIajjLi1EEEvNS_4cuda6detail10TensorInfoIKT_T0_EEjPjjS8_iijT1_PSB_Ps.numbered_sgpr, 20
	.set _ZN2at6native6mbtopk23computeBlockDigitCountsIajjLi1EEEvNS_4cuda6detail10TensorInfoIKT_T0_EEjPjjS8_iijT1_PSB_Ps.num_named_barrier, 0
	.set _ZN2at6native6mbtopk23computeBlockDigitCountsIajjLi1EEEvNS_4cuda6detail10TensorInfoIKT_T0_EEjPjjS8_iijT1_PSB_Ps.private_seg_size, 0
	.set _ZN2at6native6mbtopk23computeBlockDigitCountsIajjLi1EEEvNS_4cuda6detail10TensorInfoIKT_T0_EEjPjjS8_iijT1_PSB_Ps.uses_vcc, 1
	.set _ZN2at6native6mbtopk23computeBlockDigitCountsIajjLi1EEEvNS_4cuda6detail10TensorInfoIKT_T0_EEjPjjS8_iijT1_PSB_Ps.uses_flat_scratch, 0
	.set _ZN2at6native6mbtopk23computeBlockDigitCountsIajjLi1EEEvNS_4cuda6detail10TensorInfoIKT_T0_EEjPjjS8_iijT1_PSB_Ps.has_dyn_sized_stack, 0
	.set _ZN2at6native6mbtopk23computeBlockDigitCountsIajjLi1EEEvNS_4cuda6detail10TensorInfoIKT_T0_EEjPjjS8_iijT1_PSB_Ps.has_recursion, 0
	.set _ZN2at6native6mbtopk23computeBlockDigitCountsIajjLi1EEEvNS_4cuda6detail10TensorInfoIKT_T0_EEjPjjS8_iijT1_PSB_Ps.has_indirect_call, 0
	.section	.AMDGPU.csdata,"",@progbits
; Kernel info:
; codeLenInByte = 1240
; TotalNumSgprs: 22
; NumVgprs: 10
; ScratchSize: 0
; MemoryBound: 0
; FloatMode: 240
; IeeeMode: 1
; LDSByteSize: 1024 bytes/workgroup (compile time only)
; SGPRBlocks: 0
; VGPRBlocks: 0
; NumSGPRsForWavesPerEU: 22
; NumVGPRsForWavesPerEU: 10
; NamedBarCnt: 0
; Occupancy: 16
; WaveLimiterHint : 1
; COMPUTE_PGM_RSRC2:SCRATCH_EN: 0
; COMPUTE_PGM_RSRC2:USER_SGPR: 2
; COMPUTE_PGM_RSRC2:TRAP_HANDLER: 0
; COMPUTE_PGM_RSRC2:TGID_X_EN: 1
; COMPUTE_PGM_RSRC2:TGID_Y_EN: 1
; COMPUTE_PGM_RSRC2:TGID_Z_EN: 1
; COMPUTE_PGM_RSRC2:TIDIG_COMP_CNT: 0
	.section	.text._ZN2at6native6mbtopk29computeBlockwiseWithinKCountsIjaEEvPT_PsPjjibS6_PT0_S6_S4_S6_j,"axG",@progbits,_ZN2at6native6mbtopk29computeBlockwiseWithinKCountsIjaEEvPT_PsPjjibS6_PT0_S6_S4_S6_j,comdat
	.protected	_ZN2at6native6mbtopk29computeBlockwiseWithinKCountsIjaEEvPT_PsPjjibS6_PT0_S6_S4_S6_j ; -- Begin function _ZN2at6native6mbtopk29computeBlockwiseWithinKCountsIjaEEvPT_PsPjjibS6_PT0_S6_S4_S6_j
	.globl	_ZN2at6native6mbtopk29computeBlockwiseWithinKCountsIjaEEvPT_PsPjjibS6_PT0_S6_S4_S6_j
	.p2align	8
	.type	_ZN2at6native6mbtopk29computeBlockwiseWithinKCountsIjaEEvPT_PsPjjibS6_PT0_S6_S4_S6_j,@function
_ZN2at6native6mbtopk29computeBlockwiseWithinKCountsIjaEEvPT_PsPjjibS6_PT0_S6_S4_S6_j: ; @_ZN2at6native6mbtopk29computeBlockwiseWithinKCountsIjaEEvPT_PsPjjibS6_PT0_S6_S4_S6_j
; %bb.0:
	s_bfe_u32 s2, ttmp6, 0x40010
	s_and_b32 s4, ttmp7, 0xffff
	s_add_co_i32 s5, s2, 1
	s_clause 0x2
	s_load_b96 s[16:18], s[0:1], 0x18
	s_load_b32 s6, s[0:1], 0x50
	s_load_b64 s[2:3], s[0:1], 0x58
	s_bfe_u32 s8, ttmp6, 0x4000c
	s_mul_i32 s5, s4, s5
	s_bfe_u32 s7, ttmp6, 0x40004
	s_add_co_i32 s8, s8, 1
	s_bfe_u32 s9, ttmp6, 0x40014
	s_add_co_i32 s7, s7, s5
	s_and_b32 s5, ttmp6, 15
	s_mul_i32 s8, ttmp9, s8
	s_lshr_b32 s10, ttmp7, 16
	s_add_co_i32 s9, s9, 1
	s_add_co_i32 s5, s5, s8
	s_mul_i32 s8, s10, s9
	s_bfe_u32 s9, ttmp6, 0x40008
	s_getreg_b32 s11, hwreg(HW_REG_IB_STS2, 6, 4)
	s_add_co_i32 s9, s9, s8
	s_cmp_eq_u32 s11, 0
	s_mov_b32 s21, 0
	s_cselect_b32 s8, s10, s9
	s_wait_kmcnt 0x0
	s_cvt_f32_u32 s9, s16
	s_mul_i32 s3, s3, s8
	s_cselect_b32 s4, s4, s7
	s_cselect_b32 s5, ttmp9, s5
	v_rcp_iflag_f32_e32 v1, s9
	s_add_co_i32 s3, s3, s4
	s_delay_alu instid0(SALU_CYCLE_1) | instskip(NEXT) | instid1(SALU_CYCLE_1)
	s_mul_i32 s2, s3, s2
	s_add_co_i32 s20, s2, s5
	v_nop
	s_delay_alu instid0(TRANS32_DEP_1)
	v_readfirstlane_b32 s2, v1
	s_cmp_ge_u32 s20, s6
	s_cbranch_scc1 .LBB15_49
; %bb.1:
	s_mul_f32 s2, s2, 0x4f7ffffe
	s_delay_alu instid0(SALU_CYCLE_3) | instskip(SKIP_1) | instid1(SALU_CYCLE_2)
	s_cvt_u32_f32 s4, s2
	s_sub_co_i32 s2, 0, s16
	s_mul_i32 s2, s2, s4
	s_delay_alu instid0(SALU_CYCLE_1) | instskip(SKIP_3) | instid1(SALU_CYCLE_1)
	s_mul_hi_u32 s5, s4, s2
	s_load_b64 s[2:3], s[0:1], 0x10
	s_add_co_i32 s4, s4, s5
	s_mov_b32 s5, s21
	s_mul_u64 s[4:5], s[20:21], s[4:5]
	s_delay_alu instid0(SALU_CYCLE_1) | instskip(SKIP_2) | instid1(SALU_CYCLE_1)
	s_mul_i32 s4, s5, s16
	s_add_co_i32 s6, s5, 1
	s_sub_co_i32 s4, s20, s4
	s_sub_co_i32 s7, s4, s16
	s_cmp_ge_u32 s4, s16
	s_cselect_b32 s5, s6, s5
	s_cselect_b32 s4, s7, s4
	s_add_co_i32 s6, s5, 1
	s_cmp_ge_u32 s4, s16
	s_cselect_b32 s22, s6, s5
	s_load_b128 s[12:15], s[0:1], 0x0
	s_wait_kmcnt 0x0
	s_load_b32 s19, s[2:3], s22 offset:0x0 scale_offset
	s_wait_xcnt 0x0
	v_cmp_gt_u32_e64 s2, 0x100, v0
	s_and_saveexec_b32 s3, s2
	s_cbranch_execz .LBB15_17
; %bb.2:
	s_mul_i32 s4, s22, s16
	s_mov_b32 s5, 0
	s_lshl_b32 s4, s4, 8
	v_dual_mov_b32 v3, 0 :: v_dual_lshlrev_b32 v2, 1, v0
	s_lshl_b64 s[6:7], s[4:5], 1
	s_cmp_lt_u32 s16, 4
	s_add_nc_u64 s[6:7], s[14:15], s[6:7]
	s_delay_alu instid0(VALU_DEP_1) | instid1(SALU_CYCLE_1)
	v_add_nc_u64_e32 v[4:5], s[6:7], v[2:3]
	s_cbranch_scc1 .LBB15_10
; %bb.3:
	v_readfirstlane_b32 s5, v0
	v_mov_b32_e32 v3, 0
	s_add_co_i32 s4, s16, -4
	s_delay_alu instid0(SALU_CYCLE_1)
	s_cmp_lt_u32 s4, 4
	s_cbranch_scc1 .LBB15_7
; %bb.4:
	s_delay_alu instid0(VALU_DEP_1)
	v_add_nc_u64_e32 v[6:7], s[6:7], v[2:3]
	s_lshr_b32 s4, s4, 2
	s_mov_b32 s7, 0
	s_add_co_i32 s6, s4, 1
	v_mov_b32_e32 v1, v3
	s_and_b64 s[8:9], s[6:7], 0x7ffffffe
	s_delay_alu instid0(SALU_CYCLE_1)
	s_mov_b64 s[4:5], s[8:9]
	v_add_nc_u64_e32 v[6:7], 0x800, v[6:7]
.LBB15_5:                               ; =>This Inner Loop Header: Depth=1
	s_clause 0x7
	global_load_i16 v2, v[6:7], off offset:-2048
	global_load_i16 v8, v[6:7], off
	global_load_i16 v9, v[6:7], off offset:512
	global_load_i16 v10, v[6:7], off offset:-1536
	global_load_i16 v11, v[6:7], off offset:-1024
	global_load_i16 v12, v[6:7], off offset:1024
	global_load_i16 v13, v[6:7], off offset:1536
	global_load_i16 v14, v[6:7], off offset:-512
	s_wait_xcnt 0x0
	v_add_nc_u64_e32 v[6:7], 0x1000, v[6:7]
	s_add_nc_u64 s[4:5], s[4:5], -2
	s_delay_alu instid0(SALU_CYCLE_1)
	s_cmp_lg_u64 s[4:5], 0
	s_wait_loadcnt 0x5
	v_add3_u32 v1, v1, v8, v9
	s_wait_loadcnt 0x4
	v_add3_u32 v2, v3, v2, v10
	s_wait_loadcnt 0x1
	s_delay_alu instid0(VALU_DEP_2) | instskip(SKIP_1) | instid1(VALU_DEP_2)
	v_add3_u32 v1, v1, v12, v13
	s_wait_loadcnt 0x0
	v_add3_u32 v3, v2, v11, v14
	s_cbranch_scc1 .LBB15_5
; %bb.6:
	s_lshl_b64 s[4:5], s[8:9], 11
	s_delay_alu instid0(VALU_DEP_1)
	v_add_nc_u32_e32 v3, v3, v1
	v_add_nc_u64_e32 v[4:5], s[4:5], v[4:5]
	s_lshl_b32 s5, s8, 2
	s_cmp_lg_u64 s[8:9], s[6:7]
	s_mov_b32 s4, s5
	s_cselect_b32 s6, -1, 0
	s_delay_alu instid0(SALU_CYCLE_1)
	s_and_b32 vcc_lo, exec_lo, s6
	s_cbranch_vccnz .LBB15_8
	s_branch .LBB15_10
.LBB15_7:
	s_mov_b32 s4, 0
	s_cbranch_execz .LBB15_10
.LBB15_8:                               ; =>This Inner Loop Header: Depth=1
	s_clause 0x3
	global_load_i16 v1, v[4:5], off
	global_load_i16 v2, v[4:5], off offset:512
	global_load_i16 v6, v[4:5], off offset:1024
	;; [unrolled: 1-line block ×3, first 2 shown]
	s_wait_xcnt 0x0
	v_add_nc_u64_e32 v[4:5], 0x800, v[4:5]
	s_add_co_i32 s5, s4, 7
	s_add_co_i32 s4, s4, 4
	s_cmp_ge_u32 s5, s16
	s_wait_loadcnt 0x2
	v_add3_u32 v1, v3, v1, v2
	s_wait_loadcnt 0x0
	s_delay_alu instid0(VALU_DEP_1)
	v_add3_u32 v3, v1, v6, v7
	s_cbranch_scc0 .LBB15_8
; %bb.9:
	s_mov_b32 s5, s4
.LBB15_10:
	s_delay_alu instid0(SALU_CYCLE_1)
	s_cmp_ge_u32 s5, s16
	s_cbranch_scc1 .LBB15_16
; %bb.11:
	s_not_b32 s4, s5
	s_mov_b32 s7, 0
	s_add_co_i32 s6, s16, s4
	s_delay_alu instid0(SALU_CYCLE_1)
	s_cmp_eq_u32 s6, 0
	s_cbranch_scc1 .LBB15_50
; %bb.12:
	v_add_nc_u64_e32 v[6:7], 0x200, v[4:5]
	s_add_nc_u64 s[6:7], s[6:7], 1
	v_mov_b32_e32 v1, 0
	s_and_b64 s[8:9], s[6:7], 0x1fffffffe
	s_delay_alu instid0(SALU_CYCLE_1)
	s_mov_b64 s[10:11], s[8:9]
.LBB15_13:                              ; =>This Inner Loop Header: Depth=1
	s_clause 0x1
	global_load_i16 v2, v[6:7], off
	global_load_i16 v8, v[6:7], off offset:-512
	s_wait_xcnt 0x0
	v_add_nc_u64_e32 v[6:7], 0x400, v[6:7]
	s_add_nc_u64 s[10:11], s[10:11], -2
	s_delay_alu instid0(SALU_CYCLE_1)
	s_cmp_lg_u64 s[10:11], 0
	s_wait_loadcnt 0x0
	v_dual_add_nc_u32 v1, v1, v2 :: v_dual_add_nc_u32 v3, v3, v8
	s_cbranch_scc1 .LBB15_13
; %bb.14:
	s_lshl_b64 s[10:11], s[8:9], 9
	s_add_co_i32 s5, s5, s8
	v_add_nc_u64_e32 v[4:5], s[10:11], v[4:5]
	v_add_nc_u32_e32 v3, v3, v1
	s_cmp_lg_u64 s[6:7], s[8:9]
	s_cselect_b32 s4, -1, 0
	s_delay_alu instid0(SALU_CYCLE_1)
	s_and_b32 vcc_lo, exec_lo, s4
	s_cbranch_vccz .LBB15_16
.LBB15_15:                              ; =>This Inner Loop Header: Depth=1
	global_load_i16 v1, v[4:5], off
	s_wait_xcnt 0x0
	v_add_nc_u64_e32 v[4:5], 0x200, v[4:5]
	s_add_co_i32 s5, s5, 1
	s_delay_alu instid0(SALU_CYCLE_1)
	s_cmp_lt_u32 s5, s16
	s_wait_loadcnt 0x0
	v_add_nc_u32_e32 v3, v3, v1
	s_cbranch_scc1 .LBB15_15
.LBB15_16:
	v_lshlrev_b32_e32 v1, 2, v0
	ds_store_b32 v1, v3 offset:1056
.LBB15_17:
	s_or_b32 exec_lo, exec_lo, s3
	v_dual_mov_b32 v5, 0 :: v_dual_lshlrev_b32 v1, 2, v0
	s_mov_b32 s23, s21
	s_wait_dscnt 0x0
	s_barrier_signal -1
	s_barrier_wait -1
	s_and_saveexec_b32 s3, s2
; %bb.18:
	ds_load_b32 v5, v1 offset:1056
; %bb.19:
	s_or_b32 exec_lo, exec_lo, s3
	v_lshrrev_b32_e32 v3, 5, v0
	v_cmp_gt_u32_e64 s3, 32, v0
	v_mbcnt_lo_u32_b32 v2, -1, 0
	s_delay_alu instid0(VALU_DEP_3)
	v_lshl_add_u32 v4, v3, 2, v1
	s_wait_dscnt 0x0
	ds_store_b32 v4, v5
	s_wait_dscnt 0x0
	s_barrier_signal -1
	s_barrier_wait -1
	s_and_saveexec_b32 s4, s3
	s_cbranch_execz .LBB15_21
; %bb.20:
	v_and_b32_e32 v6, 0xfc, v0
	s_delay_alu instid0(VALU_DEP_1)
	v_lshl_add_u32 v14, v0, 5, v6
	ds_load_2addr_b32 v[6:7], v14 offset1:1
	ds_load_2addr_b32 v[8:9], v14 offset0:2 offset1:3
	ds_load_2addr_b32 v[10:11], v14 offset0:4 offset1:5
	;; [unrolled: 1-line block ×3, first 2 shown]
	; wave barrier
	s_wait_dscnt 0x3
	v_add_nc_u32_e32 v7, v7, v6
	s_wait_dscnt 0x2
	s_delay_alu instid0(VALU_DEP_1) | instskip(SKIP_1) | instid1(VALU_DEP_1)
	v_add3_u32 v7, v7, v8, v9
	s_wait_dscnt 0x1
	v_add3_u32 v7, v7, v10, v11
	v_bfe_i32 v10, v2, 4, 1
	s_wait_dscnt 0x0
	s_delay_alu instid0(VALU_DEP_2) | instskip(SKIP_1) | instid1(VALU_DEP_2)
	v_add3_u32 v7, v7, v12, v13
	v_and_b32_e32 v8, 15, v2
	v_mov_b32_dpp v9, v7 row_shr:1 row_mask:0xf bank_mask:0xf
	s_delay_alu instid0(VALU_DEP_2) | instskip(NEXT) | instid1(VALU_DEP_2)
	v_cmp_ne_u32_e32 vcc_lo, 0, v8
	v_cndmask_b32_e32 v9, 0, v9, vcc_lo
	s_delay_alu instid0(VALU_DEP_1) | instskip(SKIP_1) | instid1(VALU_DEP_2)
	v_add_nc_u32_e32 v7, v9, v7
	v_cmp_lt_u32_e32 vcc_lo, 1, v8
	v_mov_b32_dpp v9, v7 row_shr:2 row_mask:0xf bank_mask:0xf
	s_delay_alu instid0(VALU_DEP_1) | instskip(SKIP_1) | instid1(VALU_DEP_2)
	v_cndmask_b32_e32 v9, 0, v9, vcc_lo
	v_cmp_lt_u32_e32 vcc_lo, 3, v8
	v_add_nc_u32_e32 v7, v7, v9
	s_delay_alu instid0(VALU_DEP_1) | instskip(NEXT) | instid1(VALU_DEP_1)
	v_mov_b32_dpp v9, v7 row_shr:4 row_mask:0xf bank_mask:0xf
	v_cndmask_b32_e32 v9, 0, v9, vcc_lo
	v_cmp_lt_u32_e32 vcc_lo, 7, v8
	s_delay_alu instid0(VALU_DEP_2) | instskip(NEXT) | instid1(VALU_DEP_1)
	v_add_nc_u32_e32 v7, v7, v9
	v_mov_b32_dpp v9, v7 row_shr:8 row_mask:0xf bank_mask:0xf
	s_delay_alu instid0(VALU_DEP_1) | instskip(NEXT) | instid1(VALU_DEP_1)
	v_cndmask_b32_e32 v8, 0, v9, vcc_lo
	v_add_nc_u32_e32 v7, v7, v8
	ds_swizzle_b32 v8, v7 offset:swizzle(BROADCAST,32,15)
	s_wait_dscnt 0x0
	v_dual_add_nc_u32 v9, -1, v2 :: v_dual_bitop2_b32 v8, v10, v8 bitop3:0x40
	s_delay_alu instid0(VALU_DEP_1) | instskip(NEXT) | instid1(VALU_DEP_2)
	v_cmp_gt_i32_e32 vcc_lo, 0, v9
	v_dual_add_nc_u32 v7, v7, v8 :: v_dual_cndmask_b32 v9, v9, v2, vcc_lo
	v_cmp_eq_u32_e32 vcc_lo, 0, v0
	s_delay_alu instid0(VALU_DEP_2) | instskip(SKIP_3) | instid1(VALU_DEP_1)
	v_lshlrev_b32_e32 v9, 2, v9
	ds_bpermute_b32 v7, v9, v7
	s_wait_dscnt 0x0
	v_add_nc_u32_e32 v6, v7, v6
	v_cndmask_b32_e32 v5, v6, v5, vcc_lo
	ds_store_b32 v14, v5
	; wave barrier
	ds_load_2addr_b32 v[6:7], v14 offset0:1 offset1:2
	ds_load_2addr_b32 v[8:9], v14 offset0:3 offset1:4
	;; [unrolled: 1-line block ×3, first 2 shown]
	ds_load_b32 v12, v14 offset:28
	s_wait_dscnt 0x3
	v_add_nc_u32_e32 v5, v6, v5
	s_delay_alu instid0(VALU_DEP_1) | instskip(SKIP_1) | instid1(VALU_DEP_1)
	v_add_nc_u32_e32 v6, v7, v5
	s_wait_dscnt 0x2
	v_add_nc_u32_e32 v7, v8, v6
	s_delay_alu instid0(VALU_DEP_1) | instskip(SKIP_1) | instid1(VALU_DEP_1)
	v_add_nc_u32_e32 v8, v9, v7
	;; [unrolled: 4-line block ×3, first 2 shown]
	s_wait_dscnt 0x0
	v_add_nc_u32_e32 v11, v12, v10
	ds_store_2addr_b32 v14, v5, v6 offset0:1 offset1:2
	ds_store_2addr_b32 v14, v7, v8 offset0:3 offset1:4
	;; [unrolled: 1-line block ×3, first 2 shown]
	ds_store_b32 v14, v11 offset:28
.LBB15_21:
	s_or_b32 exec_lo, exec_lo, s4
	s_wait_dscnt 0x0
	s_barrier_signal -1
	s_barrier_wait -1
	ds_load_b32 v5, v4
	s_wait_dscnt 0x0
	s_barrier_signal -1
	s_barrier_wait -1
	s_and_saveexec_b32 s4, s2
; %bb.22:
	ds_store_b32 v1, v5 offset:1056
; %bb.23:
	s_or_b32 exec_lo, exec_lo, s4
	s_clause 0x1
	s_load_b256 s[4:11], s[0:1], 0x28
	s_load_b64 s[24:25], s[0:1], 0x48
	s_wait_dscnt 0x0
	s_barrier_signal -1
	s_barrier_wait -1
	s_and_saveexec_b32 s26, s2
	s_cbranch_execz .LBB15_32
; %bb.24:
	v_mov_b32_e32 v4, 0
	s_wait_xcnt 0x0
	s_mov_b32 s0, exec_lo
	v_cmpx_ne_u32_e32 0, v0
; %bb.25:
	ds_load_b32 v4, v1 offset:1052
; %bb.26:
	s_or_b32 exec_lo, exec_lo, s0
	s_wait_dscnt 0x0
	s_wait_kmcnt 0x0
	v_cmp_gt_u32_e32 vcc_lo, s19, v4
	v_cmp_le_u32_e64 s0, s19, v5
	s_and_b32 s0, vcc_lo, s0
	s_delay_alu instid0(SALU_CYCLE_1)
	s_and_b32 exec_lo, exec_lo, s0
	s_cbranch_execz .LBB15_32
; %bb.27:
	v_dual_mov_b32 v6, 0 :: v_dual_lshlrev_b32 v7, s17, v0
	s_lshl_b64 s[0:1], s[22:23], 2
	s_lshl_b32 s2, 0xff, s17
	s_add_nc_u64 s[12:13], s[12:13], s[0:1]
	global_load_b32 v5, v6, s[12:13]
	s_wait_loadcnt 0x0
	v_bitop3_b32 v5, v5, v7, s2 bitop3:0xdc
	s_mul_i32 s2, s22, s16
	s_delay_alu instid0(SALU_CYCLE_1)
	s_cmp_lg_u32 s20, s2
	ds_store_b32 v6, v5 offset:2112
	s_cbranch_scc1 .LBB15_32
; %bb.28:
	s_add_nc_u64 s[10:11], s[10:11], s[0:1]
	s_cmp_lt_i32 s17, 1
	s_mov_b32 s2, -1
	global_store_b32 v6, v5, s[10:11]
	s_cbranch_scc0 .LBB15_30
; %bb.29:
	s_wait_xcnt 0x0
	v_xor_b32_e32 v5, 0x80, v5
	v_mov_b32_e32 v6, 0
	s_add_nc_u64 s[6:7], s[6:7], s[22:23]
	s_mov_b32 s2, 0
	global_store_b8 v6, v5, s[6:7]
.LBB15_30:
	s_and_not1_b32 vcc_lo, exec_lo, s2
	s_cbranch_vccnz .LBB15_32
; %bb.31:
	s_wait_xcnt 0x0
	v_dual_mov_b32 v5, 0 :: v_dual_sub_nc_u32 v4, s19, v4
	s_add_nc_u64 s[0:1], s[8:9], s[0:1]
	global_store_b32 v5, v4, s[0:1]
.LBB15_32:
	s_wait_xcnt 0x0
	s_or_b32 exec_lo, exec_lo, s26
	v_mov_b32_e32 v4, 0
	s_wait_storecnt_dscnt 0x0
	s_barrier_signal -1
	s_barrier_wait -1
	ds_load_b32 v4, v4 offset:2112
	s_bitcmp0_b32 s18, 0
	s_mov_b32 s0, 0
	s_wait_dscnt 0x0
	v_lshrrev_b32_e32 v4, s17, v4
	s_delay_alu instid0(VALU_DEP_1)
	v_and_b32_e32 v4, 0xff, v4
	s_cbranch_scc0 .LBB15_34
; %bb.33:
	v_and_b32_e32 v5, 0xe0, v0
	s_delay_alu instid0(VALU_DEP_2) | instskip(NEXT) | instid1(VALU_DEP_2)
	v_cmp_lt_u32_e64 s1, v0, v4
	v_cmp_lt_u32_e64 s2, v5, v4
	s_and_not1_b32 vcc_lo, exec_lo, s0
	s_cbranch_vccz .LBB15_35
	s_branch .LBB15_36
.LBB15_34:
                                        ; implicit-def: $sgpr1
                                        ; implicit-def: $sgpr2
.LBB15_35:
	v_or_b32_e32 v5, 31, v0
	s_delay_alu instid0(VALU_DEP_2) | instskip(SKIP_2) | instid1(VALU_DEP_2)
	v_cmp_gt_u32_e32 vcc_lo, v0, v4
	s_and_not1_b32 s1, s1, exec_lo
	s_and_not1_b32 s2, s2, exec_lo
	v_cmp_gt_u32_e64 s0, v5, v4
	s_wait_kmcnt 0x0
	s_and_b32 s6, vcc_lo, exec_lo
	s_delay_alu instid0(SALU_CYCLE_1) | instskip(SKIP_1) | instid1(SALU_CYCLE_1)
	s_or_b32 s1, s1, s6
	s_and_b32 s0, s0, exec_lo
	s_or_b32 s2, s2, s0
.LBB15_36:
	v_mov_b32_e32 v4, 0
	s_and_saveexec_b32 s0, s2
	s_cbranch_execz .LBB15_40
; %bb.37:
	v_mov_b32_e32 v4, 0
	s_and_saveexec_b32 s2, s1
	s_cbranch_execz .LBB15_39
; %bb.38:
	s_wait_kmcnt 0x0
	s_lshl_b32 s6, s20, 8
	s_mov_b32 s7, 0
	s_delay_alu instid0(SALU_CYCLE_1) | instskip(NEXT) | instid1(SALU_CYCLE_1)
	s_lshl_b64 s[6:7], s[6:7], 1
	s_add_nc_u64 s[6:7], s[14:15], s[6:7]
	global_load_i16 v4, v0, s[6:7] scale_offset
.LBB15_39:
	s_wait_xcnt 0x0
	s_or_b32 exec_lo, exec_lo, s2
	v_lshl_or_b32 v5, v2, 2, 64
	v_cmp_gt_u32_e32 vcc_lo, 24, v2
	s_wait_loadcnt 0x0
	ds_bpermute_b32 v5, v5, v4
	v_cndmask_b32_e64 v6, 0, 8, vcc_lo
	v_cmp_gt_u32_e32 vcc_lo, 28, v2
	s_delay_alu instid0(VALU_DEP_2)
	v_add_lshl_u32 v6, v6, v2, 2
	s_wait_dscnt 0x0
	v_add_nc_u32_e32 v4, v5, v4
	ds_bpermute_b32 v5, v6, v4
	v_cndmask_b32_e64 v6, 0, 4, vcc_lo
	v_cmp_gt_u32_e32 vcc_lo, 30, v2
	s_delay_alu instid0(VALU_DEP_2)
	v_add_lshl_u32 v6, v6, v2, 2
	s_wait_dscnt 0x0
	v_add_nc_u32_e32 v4, v5, v4
	ds_bpermute_b32 v5, v6, v4
	v_cndmask_b32_e64 v6, 0, 2, vcc_lo
	v_cmp_ne_u32_e32 vcc_lo, 31, v2
	s_delay_alu instid0(VALU_DEP_2)
	v_add_lshl_u32 v6, v6, v2, 2
	s_wait_dscnt 0x0
	v_add_nc_u32_e32 v4, v5, v4
	ds_bpermute_b32 v5, v6, v4
	v_add_co_ci_u32_e64 v6, null, 0, v2, vcc_lo
	s_wait_dscnt 0x0
	s_delay_alu instid0(VALU_DEP_1)
	v_dual_add_nc_u32 v4, v5, v4 :: v_dual_lshlrev_b32 v5, 2, v6
	ds_bpermute_b32 v5, v5, v4
	s_wait_dscnt 0x0
	v_add_nc_u32_e32 v4, v5, v4
.LBB15_40:
	s_or_b32 exec_lo, exec_lo, s0
	v_and_b32_e32 v5, 31, v0
	s_mov_b32 s0, exec_lo
	s_delay_alu instid0(VALU_DEP_1)
	v_cmpx_eq_u32_e32 0, v5
; %bb.41:
	v_lshlrev_b32_e32 v3, 2, v3
	ds_store_b32 v3, v4 offset:2080
; %bb.42:
	s_or_b32 exec_lo, exec_lo, s0
	s_wait_dscnt 0x0
	s_barrier_signal -1
	s_barrier_wait -1
	s_and_saveexec_b32 s0, s3
	s_cbranch_execz .LBB15_49
; %bb.43:
	v_mov_b32_e32 v3, 0
	s_mov_b32 s0, exec_lo
	v_cmpx_gt_u32_e32 8, v0
; %bb.44:
	ds_load_b32 v3, v1 offset:2080
; %bb.45:
	s_or_b32 exec_lo, exec_lo, s0
	v_cmp_gt_u32_e32 vcc_lo, 28, v2
	s_mov_b32 s0, exec_lo
	v_cndmask_b32_e64 v1, 0, 4, vcc_lo
	v_cmp_gt_u32_e32 vcc_lo, 30, v2
	s_delay_alu instid0(VALU_DEP_2)
	v_add_lshl_u32 v1, v1, v2, 2
	v_cndmask_b32_e64 v4, 0, 2, vcc_lo
	v_cmp_ne_u32_e32 vcc_lo, 31, v2
	s_wait_dscnt 0x0
	ds_bpermute_b32 v1, v1, v3
	v_add_lshl_u32 v4, v4, v2, 2
	v_add_co_ci_u32_e64 v2, null, 0, v2, vcc_lo
	s_wait_dscnt 0x0
	s_delay_alu instid0(VALU_DEP_1)
	v_dual_lshlrev_b32 v2, 2, v2 :: v_dual_add_nc_u32 v1, v1, v3
	ds_bpermute_b32 v3, v4, v1
	s_wait_dscnt 0x0
	v_add_nc_u32_e32 v1, v3, v1
	ds_bpermute_b32 v2, v2, v1
	v_cmpx_eq_u32_e32 0, v0
	s_cbranch_execz .LBB15_47
; %bb.46:
	v_mov_b32_e32 v3, 0
	s_lshl_b64 s[2:3], s[20:21], 2
	s_wait_kmcnt 0x0
	s_add_nc_u64 s[2:3], s[4:5], s[2:3]
	global_load_b32 v4, v3, s[2:3]
	s_wait_loadcnt_dscnt 0x0
	v_add3_u32 v1, v2, v1, v4
	global_store_b32 v3, v1, s[2:3]
.LBB15_47:
	s_wait_xcnt 0x0
	s_or_b32 exec_lo, exec_lo, s0
	v_or_b32_e32 v0, s17, v0
	s_delay_alu instid0(VALU_DEP_1)
	v_cmp_eq_u32_e32 vcc_lo, 0, v0
	s_and_b32 exec_lo, exec_lo, vcc_lo
	s_cbranch_execz .LBB15_49
; %bb.48:
	v_mov_b32_e32 v0, 0
	s_lshl_b32 s0, s20, 8
	s_mov_b32 s1, 0
	s_delay_alu instid0(SALU_CYCLE_1)
	s_lshl_b64 s[0:1], s[0:1], 1
	ds_load_b32 v1, v0 offset:2112
	s_add_nc_u64 s[0:1], s[14:15], s[0:1]
	s_wait_dscnt 0x0
	v_and_b32_e32 v1, 0xff, v1
	global_load_i16 v1, v1, s[0:1] scale_offset
	s_wait_xcnt 0x0
	s_lshl_b64 s[0:1], s[20:21], 2
	s_wait_kmcnt 0x0
	s_add_nc_u64 s[0:1], s[24:25], s[0:1]
	s_wait_loadcnt 0x0
	global_store_b32 v0, v1, s[0:1]
.LBB15_49:
	s_endpgm
.LBB15_50:
	s_cbranch_execnz .LBB15_15
	s_branch .LBB15_16
	.section	.rodata,"a",@progbits
	.p2align	6, 0x0
	.amdhsa_kernel _ZN2at6native6mbtopk29computeBlockwiseWithinKCountsIjaEEvPT_PsPjjibS6_PT0_S6_S4_S6_j
		.amdhsa_group_segment_fixed_size 2116
		.amdhsa_private_segment_fixed_size 0
		.amdhsa_kernarg_size 344
		.amdhsa_user_sgpr_count 2
		.amdhsa_user_sgpr_dispatch_ptr 0
		.amdhsa_user_sgpr_queue_ptr 0
		.amdhsa_user_sgpr_kernarg_segment_ptr 1
		.amdhsa_user_sgpr_dispatch_id 0
		.amdhsa_user_sgpr_kernarg_preload_length 0
		.amdhsa_user_sgpr_kernarg_preload_offset 0
		.amdhsa_user_sgpr_private_segment_size 0
		.amdhsa_wavefront_size32 1
		.amdhsa_uses_dynamic_stack 0
		.amdhsa_enable_private_segment 0
		.amdhsa_system_sgpr_workgroup_id_x 1
		.amdhsa_system_sgpr_workgroup_id_y 1
		.amdhsa_system_sgpr_workgroup_id_z 1
		.amdhsa_system_sgpr_workgroup_info 0
		.amdhsa_system_vgpr_workitem_id 0
		.amdhsa_next_free_vgpr 15
		.amdhsa_next_free_sgpr 27
		.amdhsa_named_barrier_count 0
		.amdhsa_reserve_vcc 1
		.amdhsa_float_round_mode_32 0
		.amdhsa_float_round_mode_16_64 0
		.amdhsa_float_denorm_mode_32 3
		.amdhsa_float_denorm_mode_16_64 3
		.amdhsa_fp16_overflow 0
		.amdhsa_memory_ordered 1
		.amdhsa_forward_progress 1
		.amdhsa_inst_pref_size 22
		.amdhsa_round_robin_scheduling 0
		.amdhsa_exception_fp_ieee_invalid_op 0
		.amdhsa_exception_fp_denorm_src 0
		.amdhsa_exception_fp_ieee_div_zero 0
		.amdhsa_exception_fp_ieee_overflow 0
		.amdhsa_exception_fp_ieee_underflow 0
		.amdhsa_exception_fp_ieee_inexact 0
		.amdhsa_exception_int_div_zero 0
	.end_amdhsa_kernel
	.section	.text._ZN2at6native6mbtopk29computeBlockwiseWithinKCountsIjaEEvPT_PsPjjibS6_PT0_S6_S4_S6_j,"axG",@progbits,_ZN2at6native6mbtopk29computeBlockwiseWithinKCountsIjaEEvPT_PsPjjibS6_PT0_S6_S4_S6_j,comdat
.Lfunc_end15:
	.size	_ZN2at6native6mbtopk29computeBlockwiseWithinKCountsIjaEEvPT_PsPjjibS6_PT0_S6_S4_S6_j, .Lfunc_end15-_ZN2at6native6mbtopk29computeBlockwiseWithinKCountsIjaEEvPT_PsPjjibS6_PT0_S6_S4_S6_j
                                        ; -- End function
	.set _ZN2at6native6mbtopk29computeBlockwiseWithinKCountsIjaEEvPT_PsPjjibS6_PT0_S6_S4_S6_j.num_vgpr, 15
	.set _ZN2at6native6mbtopk29computeBlockwiseWithinKCountsIjaEEvPT_PsPjjibS6_PT0_S6_S4_S6_j.num_agpr, 0
	.set _ZN2at6native6mbtopk29computeBlockwiseWithinKCountsIjaEEvPT_PsPjjibS6_PT0_S6_S4_S6_j.numbered_sgpr, 27
	.set _ZN2at6native6mbtopk29computeBlockwiseWithinKCountsIjaEEvPT_PsPjjibS6_PT0_S6_S4_S6_j.num_named_barrier, 0
	.set _ZN2at6native6mbtopk29computeBlockwiseWithinKCountsIjaEEvPT_PsPjjibS6_PT0_S6_S4_S6_j.private_seg_size, 0
	.set _ZN2at6native6mbtopk29computeBlockwiseWithinKCountsIjaEEvPT_PsPjjibS6_PT0_S6_S4_S6_j.uses_vcc, 1
	.set _ZN2at6native6mbtopk29computeBlockwiseWithinKCountsIjaEEvPT_PsPjjibS6_PT0_S6_S4_S6_j.uses_flat_scratch, 0
	.set _ZN2at6native6mbtopk29computeBlockwiseWithinKCountsIjaEEvPT_PsPjjibS6_PT0_S6_S4_S6_j.has_dyn_sized_stack, 0
	.set _ZN2at6native6mbtopk29computeBlockwiseWithinKCountsIjaEEvPT_PsPjjibS6_PT0_S6_S4_S6_j.has_recursion, 0
	.set _ZN2at6native6mbtopk29computeBlockwiseWithinKCountsIjaEEvPT_PsPjjibS6_PT0_S6_S4_S6_j.has_indirect_call, 0
	.section	.AMDGPU.csdata,"",@progbits
; Kernel info:
; codeLenInByte = 2700
; TotalNumSgprs: 29
; NumVgprs: 15
; ScratchSize: 0
; MemoryBound: 0
; FloatMode: 240
; IeeeMode: 1
; LDSByteSize: 2116 bytes/workgroup (compile time only)
; SGPRBlocks: 0
; VGPRBlocks: 0
; NumSGPRsForWavesPerEU: 29
; NumVGPRsForWavesPerEU: 15
; NamedBarCnt: 0
; Occupancy: 16
; WaveLimiterHint : 1
; COMPUTE_PGM_RSRC2:SCRATCH_EN: 0
; COMPUTE_PGM_RSRC2:USER_SGPR: 2
; COMPUTE_PGM_RSRC2:TRAP_HANDLER: 0
; COMPUTE_PGM_RSRC2:TGID_X_EN: 1
; COMPUTE_PGM_RSRC2:TGID_Y_EN: 1
; COMPUTE_PGM_RSRC2:TGID_Z_EN: 1
; COMPUTE_PGM_RSRC2:TIDIG_COMP_CNT: 0
	.section	.text._ZN2at6native6mbtopk10gatherTopKIajLi1EEEvNS_4cuda6detail10TensorInfoIKT_T0_EES8_S8_bjS8_NS5_IS6_S8_EES8_NS5_IlS8_EES8_jjPS6_PjSD_j,"axG",@progbits,_ZN2at6native6mbtopk10gatherTopKIajLi1EEEvNS_4cuda6detail10TensorInfoIKT_T0_EES8_S8_bjS8_NS5_IS6_S8_EES8_NS5_IlS8_EES8_jjPS6_PjSD_j,comdat
	.protected	_ZN2at6native6mbtopk10gatherTopKIajLi1EEEvNS_4cuda6detail10TensorInfoIKT_T0_EES8_S8_bjS8_NS5_IS6_S8_EES8_NS5_IlS8_EES8_jjPS6_PjSD_j ; -- Begin function _ZN2at6native6mbtopk10gatherTopKIajLi1EEEvNS_4cuda6detail10TensorInfoIKT_T0_EES8_S8_bjS8_NS5_IS6_S8_EES8_NS5_IlS8_EES8_jjPS6_PjSD_j
	.globl	_ZN2at6native6mbtopk10gatherTopKIajLi1EEEvNS_4cuda6detail10TensorInfoIKT_T0_EES8_S8_bjS8_NS5_IS6_S8_EES8_NS5_IlS8_EES8_jjPS6_PjSD_j
	.p2align	8
	.type	_ZN2at6native6mbtopk10gatherTopKIajLi1EEEvNS_4cuda6detail10TensorInfoIKT_T0_EES8_S8_bjS8_NS5_IS6_S8_EES8_NS5_IlS8_EES8_jjPS6_PjSD_j,@function
_ZN2at6native6mbtopk10gatherTopKIajLi1EEEvNS_4cuda6detail10TensorInfoIKT_T0_EES8_S8_bjS8_NS5_IS6_S8_EES8_NS5_IlS8_EES8_jjPS6_PjSD_j: ; @_ZN2at6native6mbtopk10gatherTopKIajLi1EEEvNS_4cuda6detail10TensorInfoIKT_T0_EES8_S8_bjS8_NS5_IS6_S8_EES8_NS5_IlS8_EES8_jjPS6_PjSD_j
; %bb.0:
	s_bfe_u32 s2, ttmp6, 0x40010
	s_and_b32 s4, ttmp7, 0xffff
	s_add_co_i32 s5, s2, 1
	s_clause 0x1
	s_load_b32 s6, s[0:1], 0x2d0
	s_load_b64 s[2:3], s[0:1], 0x2d8
	s_bfe_u32 s8, ttmp6, 0x4000c
	s_mul_i32 s5, s4, s5
	s_bfe_u32 s7, ttmp6, 0x40004
	s_add_co_i32 s8, s8, 1
	s_bfe_u32 s9, ttmp6, 0x40014
	s_add_co_i32 s7, s7, s5
	s_and_b32 s5, ttmp6, 15
	s_mul_i32 s8, ttmp9, s8
	s_lshr_b32 s10, ttmp7, 16
	s_add_co_i32 s9, s9, 1
	s_add_co_i32 s5, s5, s8
	s_mul_i32 s8, s10, s9
	s_bfe_u32 s9, ttmp6, 0x40008
	s_getreg_b32 s11, hwreg(HW_REG_IB_STS2, 6, 4)
	s_add_co_i32 s9, s9, s8
	s_cmp_eq_u32 s11, 0
	s_cselect_b32 s8, s10, s9
	s_cselect_b32 s4, s4, s7
	s_wait_kmcnt 0x0
	s_mul_i32 s3, s3, s8
	s_cselect_b32 s5, ttmp9, s5
	s_add_co_i32 s3, s3, s4
	s_delay_alu instid0(SALU_CYCLE_1) | instskip(NEXT) | instid1(SALU_CYCLE_1)
	s_mul_i32 s8, s3, s2
	s_add_co_i32 s8, s8, s5
	s_delay_alu instid0(SALU_CYCLE_1)
	s_cmp_ge_u32 s8, s6
	s_cbranch_scc1 .LBB16_40
; %bb.1:
	s_clause 0x1
	s_load_b96 s[12:14], s[0:1], 0x2a8
	s_load_b128 s[4:7], s[0:1], 0x2b8
	s_wait_kmcnt 0x0
	s_cvt_f32_u32 s2, s14
	s_sub_co_i32 s3, 0, s14
	s_delay_alu instid0(SALU_CYCLE_2) | instskip(SKIP_1) | instid1(TRANS32_DEP_1)
	v_rcp_iflag_f32_e32 v1, s2
	v_nop
	v_readfirstlane_b32 s2, v1
	s_mul_f32 s2, s2, 0x4f7ffffe
	s_delay_alu instid0(SALU_CYCLE_3) | instskip(NEXT) | instid1(SALU_CYCLE_3)
	s_cvt_u32_f32 s2, s2
	s_mul_i32 s3, s3, s2
	s_delay_alu instid0(SALU_CYCLE_1) | instskip(NEXT) | instid1(SALU_CYCLE_1)
	s_mul_hi_u32 s3, s2, s3
	s_add_co_i32 s2, s2, s3
	s_delay_alu instid0(SALU_CYCLE_1) | instskip(NEXT) | instid1(SALU_CYCLE_1)
	s_mul_hi_u32 s2, s8, s2
	s_mul_i32 s3, s2, s14
	s_add_co_i32 s9, s2, 1
	s_sub_co_i32 s3, s8, s3
	s_delay_alu instid0(SALU_CYCLE_1)
	s_sub_co_i32 s10, s3, s14
	s_cmp_ge_u32 s3, s14
	s_cselect_b32 s2, s9, s2
	s_cselect_b32 s3, s10, s3
	s_add_co_i32 s9, s2, 1
	s_cmp_ge_u32 s3, s14
	v_cmp_eq_u32_e64 s3, 0, v0
	s_cselect_b32 s15, s9, s2
	v_cmp_ne_u32_e64 s2, 0, v0
	v_mov_b32_e32 v1, s15
	global_load_u8 v9, v1, s[4:5]
	s_wait_xcnt 0x0
	s_mul_i32 s4, s15, s14
	s_delay_alu instid0(SALU_CYCLE_1)
	s_sub_co_i32 s24, s8, s4
	s_and_saveexec_b32 s25, s3
	s_cbranch_execz .LBB16_17
; %bb.2:
	s_load_b64 s[18:19], s[0:1], 0x2c8
	s_mov_b32 s5, 0
	s_delay_alu instid0(SALU_CYCLE_1)
	s_lshl_b64 s[20:21], s[4:5], 2
	s_cmp_lt_u32 s14, 4
	s_cbranch_scc1 .LBB16_14
; %bb.3:
	s_mov_b64 s[16:17], 0
	s_mov_b32 s4, 0
.LBB16_4:                               ; =>This Inner Loop Header: Depth=1
	s_add_nc_u64 s[22:23], s[6:7], s[20:21]
	s_cmp_ge_u32 s4, s24
	s_load_b128 s[8:11], s[22:23], 0x0
	s_wait_kmcnt 0x0
	s_add_nc_u64 s[22:23], s[18:19], s[20:21]
	s_cbranch_scc0 .LBB16_11
; %bb.5:                                ;   in Loop: Header=BB16_4 Depth=1
	s_add_co_i32 s26, s4, 1
	s_delay_alu instid0(SALU_CYCLE_1)
	s_cmp_ge_u32 s26, s24
	s_cbranch_scc0 .LBB16_12
.LBB16_6:                               ;   in Loop: Header=BB16_4 Depth=1
	s_add_co_i32 s26, s26, 1
	s_delay_alu instid0(SALU_CYCLE_1)
	s_cmp_ge_u32 s26, s24
	s_cbranch_scc0 .LBB16_13
.LBB16_7:                               ;   in Loop: Header=BB16_4 Depth=1
	s_add_co_i32 s26, s26, 1
	s_delay_alu instid0(SALU_CYCLE_1)
	s_cmp_ge_u32 s26, s24
	s_cbranch_scc1 .LBB16_9
.LBB16_8:                               ;   in Loop: Header=BB16_4 Depth=1
	s_load_b32 s22, s[22:23], 0xc
	s_add_co_i32 s17, s11, s17
	s_wait_kmcnt 0x0
	s_add_co_i32 s16, s22, s16
.LBB16_9:                               ;   in Loop: Header=BB16_4 Depth=1
	s_add_co_i32 s5, s8, s5
	s_add_co_i32 s8, s26, 1
	;; [unrolled: 1-line block ×5, first 2 shown]
	s_add_nc_u64 s[6:7], s[6:7], 16
	s_add_co_i32 s5, s5, s11
	s_cmp_ge_u32 s9, s14
	s_add_nc_u64 s[18:19], s[18:19], 16
	s_cbranch_scc1 .LBB16_15
; %bb.10:                               ;   in Loop: Header=BB16_4 Depth=1
	s_mov_b32 s4, s8
	s_branch .LBB16_4
.LBB16_11:                              ;   in Loop: Header=BB16_4 Depth=1
	s_load_b32 s26, s[22:23], 0x0
	s_add_co_i32 s17, s8, s17
	s_wait_kmcnt 0x0
	s_add_co_i32 s16, s26, s16
	s_add_co_i32 s26, s4, 1
	s_delay_alu instid0(SALU_CYCLE_1)
	s_cmp_ge_u32 s26, s24
	s_cbranch_scc1 .LBB16_6
.LBB16_12:                              ;   in Loop: Header=BB16_4 Depth=1
	s_load_b32 s27, s[22:23], 0x4
	s_add_co_i32 s17, s9, s17
	s_wait_kmcnt 0x0
	s_add_co_i32 s16, s27, s16
	s_add_co_i32 s26, s26, 1
	s_delay_alu instid0(SALU_CYCLE_1)
	s_cmp_ge_u32 s26, s24
	s_cbranch_scc1 .LBB16_7
.LBB16_13:                              ;   in Loop: Header=BB16_4 Depth=1
	s_load_b32 s27, s[22:23], 0x8
	s_add_co_i32 s17, s10, s17
	s_wait_kmcnt 0x0
	s_add_co_i32 s16, s27, s16
	s_add_co_i32 s26, s26, 1
	s_delay_alu instid0(SALU_CYCLE_1)
	s_cmp_ge_u32 s26, s24
	s_cbranch_scc0 .LBB16_8
	s_branch .LBB16_9
.LBB16_14:
	s_mov_b64 s[16:17], 0
	s_add_nc_u64 s[6:7], s[6:7], s[20:21]
	s_wait_kmcnt 0x0
	s_add_nc_u64 s[8:9], s[18:19], s[20:21]
	s_mov_b32 s4, 0
	s_delay_alu instid0(SALU_CYCLE_1)
	s_cmp_ge_u32 s4, s14
	s_cbranch_scc0 .LBB16_38
	s_branch .LBB16_16
.LBB16_15:
	s_add_co_i32 s4, s4, 4
	s_add_nc_u64 s[8:9], s[18:19], s[20:21]
	s_add_nc_u64 s[6:7], s[6:7], s[20:21]
	s_cmp_ge_u32 s4, s14
	s_cbranch_scc0 .LBB16_38
.LBB16_16:
	v_dual_mov_b32 v2, s16 :: v_dual_mov_b32 v3, s5
	v_dual_mov_b32 v4, s17 :: v_dual_mov_b32 v1, 0
	ds_store_b96 v1, v[2:4] offset:1056
.LBB16_17:
	s_or_b32 exec_lo, exec_lo, s25
	s_clause 0x6
	s_load_b32 s20, s[0:1], 0x23c
	s_load_b64 s[16:17], s[0:1], 0x1d0
	s_load_b32 s21, s[0:1], 0x15c
	s_load_b64 s[10:11], s[0:1], 0xf0
	;; [unrolled: 2-line block ×3, first 2 shown]
	s_load_b96 s[4:6], s[0:1], 0xd8
	s_mul_i32 s7, s13, s24
	s_mov_b32 s19, 0
	s_lshl_b32 s7, s7, 8
	s_wait_loadcnt_dscnt 0x0
	s_barrier_signal -1
	s_barrier_wait -1
	s_wait_kmcnt 0x0
	s_sub_co_i32 s18, s4, s7
	s_delay_alu instid0(SALU_CYCLE_1) | instskip(SKIP_4) | instid1(SALU_CYCLE_1)
	s_add_nc_u64 s[26:27], s[18:19], 0xff
	s_add_co_i32 s18, s24, 1
	s_lshr_b64 s[24:25], s[26:27], 8
	s_cmp_lt_u32 s18, s14
	s_cselect_b32 s13, s13, s24
	s_cmp_eq_u32 s13, 0
	s_cbranch_scc1 .LBB16_40
; %bb.18:
	v_dual_mov_b32 v7, 0 :: v_dual_lshrrev_b32 v5, 3, v0
	s_mul_i32 s18, s15, s22
	s_mul_i32 s22, s15, s21
	;; [unrolled: 1-line block ×3, first 2 shown]
	s_clause 0x1
	s_load_b32 s15, s[0:1], 0xe8
	s_load_b32 s14, s[0:1], 0x1c8
	ds_load_b96 v[2:4], v7 offset:1056
	v_dual_add_nc_u32 v8, -1, v0 :: v_dual_lshlrev_b32 v11, 5, v0
	v_dual_add_nc_u32 v6, s7, v0 :: v_dual_bitop2_b32 v5, 28, v5 bitop3:0x40
	s_wait_xcnt 0x0
	v_cmp_gt_u32_e64 s0, 32, v0
	s_delay_alu instid0(VALU_DEP_3)
	v_lshrrev_b32_e32 v12, 3, v8
	v_and_b32_e32 v10, 0xfc, v0
	v_bfe_i32 v1, v9, 0, 8
	v_lshl_add_u32 v0, v0, 2, v5
	s_mov_b32 s21, s19
	s_mov_b32 s23, s19
	s_add_nc_u64 s[8:9], s[8:9], s[18:19]
	s_lshl_b64 s[18:19], s[20:21], 3
	v_add_nc_u32_e32 v1, 0x80, v1
	v_and_b32_e32 v9, 0xff, v9
	v_add_nc_u32_e32 v10, v10, v11
	s_bitcmp1_b32 s6, 0
	s_wait_kmcnt 0x0
	v_mul_lo_u32 v5, s15, v6
	s_add_nc_u64 s[10:11], s[10:11], s[22:23]
	s_wait_dscnt 0x0
	v_add_nc_u32_e32 v2, v2, v3
	v_and_b32_e32 v12, 0x1ffffffc, v12
	v_mbcnt_lo_u32_b32 v3, -1, 0
	s_add_nc_u64 s[6:7], s[16:17], s[18:19]
	s_cselect_b32 s1, -1, 0
	s_lshl_b32 s15, s15, 8
	v_lshl_add_u32 v8, v8, 2, v12
	v_dual_add_nc_u32 v13, -1, v3 :: v_dual_bitop2_b32 v11, 15, v3 bitop3:0x40
	v_bfe_i32 v12, v3, 4, 1
                                        ; implicit-def: $vgpr14
	s_branch .LBB16_21
.LBB16_19:                              ;   in Loop: Header=BB16_21 Depth=1
	s_wait_xcnt 0x0
	s_or_b32 exec_lo, exec_lo, s16
	v_add_nc_u32_e32 v2, v17, v2
.LBB16_20:                              ;   in Loop: Header=BB16_21 Depth=1
	v_dual_add_nc_u32 v4, v16, v4 :: v_dual_add_nc_u32 v5, s15, v5
	v_add_nc_u32_e32 v6, 0x100, v6
	s_add_co_i32 s13, s13, -1
	s_delay_alu instid0(SALU_CYCLE_1)
	s_cmp_lg_u32 s13, 0
	s_cbranch_scc0 .LBB16_40
.LBB16_21:                              ; =>This Inner Loop Header: Depth=1
	v_dual_mov_b32 v17, 0 :: v_dual_mov_b32 v15, 0
	s_mov_b32 s16, exec_lo
	v_cmpx_gt_u32_e64 s4, v6
	s_cbranch_execz .LBB16_23
; %bb.22:                               ;   in Loop: Header=BB16_21 Depth=1
	global_load_u8 v14, v5, s[8:9]
	s_wait_loadcnt 0x0
	v_bfe_i32 v15, v14, 0, 8
	s_delay_alu instid0(VALU_DEP_1) | instskip(NEXT) | instid1(VALU_DEP_1)
	v_add_nc_u32_e32 v15, 0x80, v15
	v_cmp_gt_u32_e32 vcc_lo, v15, v1
	v_cndmask_b32_e64 v16, 0, 1, vcc_lo
	v_cmp_lt_u32_e32 vcc_lo, v15, v1
	v_cndmask_b32_e64 v15, 0, 1, vcc_lo
	v_cmp_eq_u16_e32 vcc_lo, v14, v9
	s_delay_alu instid0(VALU_DEP_2) | instskip(NEXT) | instid1(VALU_DEP_1)
	v_cndmask_b32_e64 v15, v15, v16, s1
	v_and_b32_e32 v17, 1, v15
	v_cndmask_b32_e64 v15, 0, 1, vcc_lo
.LBB16_23:                              ;   in Loop: Header=BB16_21 Depth=1
	s_wait_xcnt 0x0
	s_or_b32 exec_lo, exec_lo, s16
	ds_store_b32 v0, v17
	s_wait_dscnt 0x0
	s_barrier_signal -1
	s_barrier_wait -1
	s_and_saveexec_b32 s16, s0
	s_cbranch_execz .LBB16_25
; %bb.24:                               ;   in Loop: Header=BB16_21 Depth=1
	ds_load_2addr_b32 v[18:19], v10 offset1:1
	ds_load_2addr_b32 v[20:21], v10 offset0:2 offset1:3
	ds_load_2addr_b32 v[22:23], v10 offset0:4 offset1:5
	;; [unrolled: 1-line block ×3, first 2 shown]
	v_cmp_ne_u32_e32 vcc_lo, 0, v11
	; wave barrier
	s_wait_dscnt 0x3
	v_add_nc_u32_e32 v16, v19, v18
	s_wait_dscnt 0x2
	s_delay_alu instid0(VALU_DEP_1) | instskip(SKIP_1) | instid1(VALU_DEP_1)
	v_add3_u32 v16, v16, v20, v21
	s_wait_dscnt 0x1
	v_add3_u32 v16, v16, v22, v23
	s_wait_dscnt 0x0
	s_delay_alu instid0(VALU_DEP_1) | instskip(NEXT) | instid1(VALU_DEP_1)
	v_add3_u32 v16, v16, v24, v25
	v_mov_b32_dpp v19, v16 row_shr:1 row_mask:0xf bank_mask:0xf
	s_delay_alu instid0(VALU_DEP_1) | instskip(SKIP_1) | instid1(VALU_DEP_2)
	v_cndmask_b32_e32 v19, 0, v19, vcc_lo
	v_cmp_lt_u32_e32 vcc_lo, 1, v11
	v_add_nc_u32_e32 v16, v19, v16
	s_delay_alu instid0(VALU_DEP_1) | instskip(NEXT) | instid1(VALU_DEP_1)
	v_mov_b32_dpp v19, v16 row_shr:2 row_mask:0xf bank_mask:0xf
	v_cndmask_b32_e32 v19, 0, v19, vcc_lo
	v_cmp_lt_u32_e32 vcc_lo, 3, v11
	s_delay_alu instid0(VALU_DEP_2) | instskip(NEXT) | instid1(VALU_DEP_1)
	v_add_nc_u32_e32 v16, v16, v19
	v_mov_b32_dpp v19, v16 row_shr:4 row_mask:0xf bank_mask:0xf
	s_delay_alu instid0(VALU_DEP_1) | instskip(SKIP_1) | instid1(VALU_DEP_2)
	v_cndmask_b32_e32 v19, 0, v19, vcc_lo
	v_cmp_lt_u32_e32 vcc_lo, 7, v11
	v_add_nc_u32_e32 v16, v16, v19
	s_delay_alu instid0(VALU_DEP_1) | instskip(NEXT) | instid1(VALU_DEP_1)
	v_mov_b32_dpp v19, v16 row_shr:8 row_mask:0xf bank_mask:0xf
	v_cndmask_b32_e32 v19, 0, v19, vcc_lo
	v_cmp_gt_i32_e32 vcc_lo, 0, v13
	v_cndmask_b32_e32 v20, v13, v3, vcc_lo
	s_delay_alu instid0(VALU_DEP_1) | instskip(SKIP_3) | instid1(VALU_DEP_1)
	v_dual_add_nc_u32 v16, v16, v19 :: v_dual_lshlrev_b32 v20, 2, v20
	ds_swizzle_b32 v19, v16 offset:swizzle(BROADCAST,32,15)
	s_wait_dscnt 0x0
	v_and_b32_e32 v19, v12, v19
	v_add_nc_u32_e32 v16, v16, v19
	ds_bpermute_b32 v16, v20, v16
	s_wait_dscnt 0x0
	v_add_nc_u32_e32 v16, v16, v18
	s_delay_alu instid0(VALU_DEP_1)
	v_cndmask_b32_e64 v16, v16, v17, s3
	ds_store_b32 v10, v16
	; wave barrier
	ds_load_2addr_b32 v[18:19], v10 offset0:1 offset1:2
	ds_load_2addr_b32 v[20:21], v10 offset0:3 offset1:4
	ds_load_2addr_b32 v[22:23], v10 offset0:5 offset1:6
	ds_load_b32 v24, v10 offset:28
	s_wait_dscnt 0x3
	v_add_nc_u32_e32 v16, v18, v16
	s_delay_alu instid0(VALU_DEP_1) | instskip(SKIP_1) | instid1(VALU_DEP_1)
	v_add_nc_u32_e32 v18, v19, v16
	s_wait_dscnt 0x2
	v_add_nc_u32_e32 v19, v20, v18
	s_delay_alu instid0(VALU_DEP_1) | instskip(SKIP_1) | instid1(VALU_DEP_1)
	v_add_nc_u32_e32 v20, v21, v19
	;; [unrolled: 4-line block ×3, first 2 shown]
	s_wait_dscnt 0x0
	v_add_nc_u32_e32 v23, v24, v22
	ds_store_2addr_b32 v10, v16, v18 offset0:1 offset1:2
	ds_store_2addr_b32 v10, v19, v20 offset0:3 offset1:4
	;; [unrolled: 1-line block ×3, first 2 shown]
	ds_store_b32 v10, v23 offset:28
.LBB16_25:                              ;   in Loop: Header=BB16_21 Depth=1
	s_or_b32 exec_lo, exec_lo, s16
	v_mov_b32_e32 v18, 0
	s_wait_dscnt 0x0
	s_barrier_signal -1
	s_barrier_wait -1
	s_and_saveexec_b32 s16, s2
; %bb.26:                               ;   in Loop: Header=BB16_21 Depth=1
	ds_load_b32 v18, v8
; %bb.27:                               ;   in Loop: Header=BB16_21 Depth=1
	s_or_b32 exec_lo, exec_lo, s16
	ds_load_b32 v16, v7 offset:1048
	s_mov_b32 s16, exec_lo
	s_wait_dscnt 0x0
	s_barrier_signal -1
	s_barrier_wait -1
	v_cmpx_ne_u32_e32 0, v17
	s_cbranch_execz .LBB16_29
; %bb.28:                               ;   in Loop: Header=BB16_21 Depth=1
	v_add_nc_u32_e32 v17, v18, v4
	s_delay_alu instid0(VALU_DEP_1)
	v_mul_lo_u32 v18, v17, s14
	v_mul_lo_u32 v17, v17, s12
	global_store_b8 v18, v14, s[10:11]
	global_store_b64 v17, v[6:7], s[6:7] scale_offset
.LBB16_29:                              ;   in Loop: Header=BB16_21 Depth=1
	s_wait_xcnt 0x0
	s_or_b32 exec_lo, exec_lo, s16
	v_cmp_le_u32_e32 vcc_lo, s5, v2
	s_cbranch_vccnz .LBB16_20
; %bb.30:                               ;   in Loop: Header=BB16_21 Depth=1
	ds_store_b32 v0, v15
	s_wait_storecnt_dscnt 0x0
	s_barrier_signal -1
	s_barrier_wait -1
	s_and_saveexec_b32 s16, s0
	s_cbranch_execz .LBB16_32
; %bb.31:                               ;   in Loop: Header=BB16_21 Depth=1
	ds_load_2addr_b32 v[18:19], v10 offset1:1
	ds_load_2addr_b32 v[20:21], v10 offset0:2 offset1:3
	ds_load_2addr_b32 v[22:23], v10 offset0:4 offset1:5
	;; [unrolled: 1-line block ×3, first 2 shown]
	v_cmp_ne_u32_e32 vcc_lo, 0, v11
	; wave barrier
	s_wait_dscnt 0x3
	v_add_nc_u32_e32 v17, v19, v18
	s_wait_dscnt 0x2
	s_delay_alu instid0(VALU_DEP_1) | instskip(SKIP_1) | instid1(VALU_DEP_1)
	v_add3_u32 v17, v17, v20, v21
	s_wait_dscnt 0x1
	v_add3_u32 v17, v17, v22, v23
	s_wait_dscnt 0x0
	s_delay_alu instid0(VALU_DEP_1) | instskip(NEXT) | instid1(VALU_DEP_1)
	v_add3_u32 v17, v17, v24, v25
	v_mov_b32_dpp v19, v17 row_shr:1 row_mask:0xf bank_mask:0xf
	s_delay_alu instid0(VALU_DEP_1) | instskip(SKIP_1) | instid1(VALU_DEP_2)
	v_cndmask_b32_e32 v19, 0, v19, vcc_lo
	v_cmp_lt_u32_e32 vcc_lo, 1, v11
	v_add_nc_u32_e32 v17, v19, v17
	s_delay_alu instid0(VALU_DEP_1) | instskip(NEXT) | instid1(VALU_DEP_1)
	v_mov_b32_dpp v19, v17 row_shr:2 row_mask:0xf bank_mask:0xf
	v_cndmask_b32_e32 v19, 0, v19, vcc_lo
	v_cmp_lt_u32_e32 vcc_lo, 3, v11
	s_delay_alu instid0(VALU_DEP_2) | instskip(NEXT) | instid1(VALU_DEP_1)
	v_add_nc_u32_e32 v17, v17, v19
	v_mov_b32_dpp v19, v17 row_shr:4 row_mask:0xf bank_mask:0xf
	s_delay_alu instid0(VALU_DEP_1) | instskip(SKIP_1) | instid1(VALU_DEP_2)
	v_cndmask_b32_e32 v19, 0, v19, vcc_lo
	v_cmp_lt_u32_e32 vcc_lo, 7, v11
	v_add_nc_u32_e32 v17, v17, v19
	s_delay_alu instid0(VALU_DEP_1) | instskip(NEXT) | instid1(VALU_DEP_1)
	v_mov_b32_dpp v19, v17 row_shr:8 row_mask:0xf bank_mask:0xf
	v_cndmask_b32_e32 v19, 0, v19, vcc_lo
	v_cmp_gt_i32_e32 vcc_lo, 0, v13
	s_delay_alu instid0(VALU_DEP_2) | instskip(SKIP_4) | instid1(VALU_DEP_1)
	v_add_nc_u32_e32 v17, v17, v19
	v_cndmask_b32_e32 v20, v13, v3, vcc_lo
	ds_swizzle_b32 v19, v17 offset:swizzle(BROADCAST,32,15)
	s_wait_dscnt 0x0
	v_dual_lshlrev_b32 v20, 2, v20 :: v_dual_bitop2_b32 v19, v12, v19 bitop3:0x40
	v_add_nc_u32_e32 v17, v17, v19
	ds_bpermute_b32 v17, v20, v17
	s_wait_dscnt 0x0
	v_add_nc_u32_e32 v17, v17, v18
	s_delay_alu instid0(VALU_DEP_1)
	v_cndmask_b32_e64 v17, v17, v15, s3
	ds_store_b32 v10, v17
	; wave barrier
	ds_load_2addr_b32 v[18:19], v10 offset0:1 offset1:2
	ds_load_2addr_b32 v[20:21], v10 offset0:3 offset1:4
	ds_load_2addr_b32 v[22:23], v10 offset0:5 offset1:6
	ds_load_b32 v24, v10 offset:28
	s_wait_dscnt 0x3
	v_add_nc_u32_e32 v17, v18, v17
	s_delay_alu instid0(VALU_DEP_1) | instskip(SKIP_1) | instid1(VALU_DEP_1)
	v_add_nc_u32_e32 v18, v19, v17
	s_wait_dscnt 0x2
	v_add_nc_u32_e32 v19, v20, v18
	s_delay_alu instid0(VALU_DEP_1) | instskip(SKIP_1) | instid1(VALU_DEP_1)
	v_add_nc_u32_e32 v20, v21, v19
	;; [unrolled: 4-line block ×3, first 2 shown]
	s_wait_dscnt 0x0
	v_add_nc_u32_e32 v23, v24, v22
	ds_store_2addr_b32 v10, v17, v18 offset0:1 offset1:2
	ds_store_2addr_b32 v10, v19, v20 offset0:3 offset1:4
	;; [unrolled: 1-line block ×3, first 2 shown]
	ds_store_b32 v10, v23 offset:28
.LBB16_32:                              ;   in Loop: Header=BB16_21 Depth=1
	s_or_b32 exec_lo, exec_lo, s16
	v_mov_b32_e32 v18, 0
	s_wait_dscnt 0x0
	s_barrier_signal -1
	s_barrier_wait -1
	s_and_saveexec_b32 s16, s2
; %bb.33:                               ;   in Loop: Header=BB16_21 Depth=1
	ds_load_b32 v18, v8
; %bb.34:                               ;   in Loop: Header=BB16_21 Depth=1
	s_or_b32 exec_lo, exec_lo, s16
	ds_load_b32 v17, v7 offset:1048
	s_mov_b32 s16, exec_lo
	s_wait_dscnt 0x0
	s_barrier_signal -1
	s_barrier_wait -1
	v_cmpx_ne_u32_e32 0, v15
	s_cbranch_execz .LBB16_19
; %bb.35:                               ;   in Loop: Header=BB16_21 Depth=1
	v_add_nc_u32_e32 v15, v18, v2
	s_delay_alu instid0(VALU_DEP_1)
	v_cmp_gt_u32_e32 vcc_lo, s5, v15
	s_and_b32 exec_lo, exec_lo, vcc_lo
	s_cbranch_execz .LBB16_19
; %bb.36:                               ;   in Loop: Header=BB16_21 Depth=1
	v_mul_lo_u32 v18, v15, s14
	v_mul_lo_u32 v15, v15, s12
	global_store_b8 v18, v14, s[10:11]
	global_store_b64 v15, v[6:7], s[6:7] scale_offset
	s_branch .LBB16_19
.LBB16_37:                              ;   in Loop: Header=BB16_38 Depth=1
	s_add_co_i32 s4, s4, 1
	s_wait_kmcnt 0x0
	s_add_co_i32 s5, s10, s5
	s_add_nc_u64 s[6:7], s[6:7], 4
	s_cmp_lt_u32 s4, s14
	s_add_nc_u64 s[8:9], s[8:9], 4
	s_cbranch_scc0 .LBB16_16
.LBB16_38:                              ; =>This Inner Loop Header: Depth=1
	s_load_b32 s10, s[6:7], 0x0
	s_cmp_ge_u32 s4, s24
	s_cbranch_scc1 .LBB16_37
; %bb.39:                               ;   in Loop: Header=BB16_38 Depth=1
	s_load_b32 s11, s[8:9], 0x0
	s_wait_kmcnt 0x0
	s_add_co_i32 s17, s10, s17
	s_add_co_i32 s16, s11, s16
	s_branch .LBB16_37
.LBB16_40:
	s_endpgm
	.section	.rodata,"a",@progbits
	.p2align	6, 0x0
	.amdhsa_kernel _ZN2at6native6mbtopk10gatherTopKIajLi1EEEvNS_4cuda6detail10TensorInfoIKT_T0_EES8_S8_bjS8_NS5_IS6_S8_EES8_NS5_IlS8_EES8_jjPS6_PjSD_j
		.amdhsa_group_segment_fixed_size 1068
		.amdhsa_private_segment_fixed_size 0
		.amdhsa_kernarg_size 984
		.amdhsa_user_sgpr_count 2
		.amdhsa_user_sgpr_dispatch_ptr 0
		.amdhsa_user_sgpr_queue_ptr 0
		.amdhsa_user_sgpr_kernarg_segment_ptr 1
		.amdhsa_user_sgpr_dispatch_id 0
		.amdhsa_user_sgpr_kernarg_preload_length 0
		.amdhsa_user_sgpr_kernarg_preload_offset 0
		.amdhsa_user_sgpr_private_segment_size 0
		.amdhsa_wavefront_size32 1
		.amdhsa_uses_dynamic_stack 0
		.amdhsa_enable_private_segment 0
		.amdhsa_system_sgpr_workgroup_id_x 1
		.amdhsa_system_sgpr_workgroup_id_y 1
		.amdhsa_system_sgpr_workgroup_id_z 1
		.amdhsa_system_sgpr_workgroup_info 0
		.amdhsa_system_vgpr_workitem_id 0
		.amdhsa_next_free_vgpr 26
		.amdhsa_next_free_sgpr 28
		.amdhsa_named_barrier_count 0
		.amdhsa_reserve_vcc 1
		.amdhsa_float_round_mode_32 0
		.amdhsa_float_round_mode_16_64 0
		.amdhsa_float_denorm_mode_32 3
		.amdhsa_float_denorm_mode_16_64 3
		.amdhsa_fp16_overflow 0
		.amdhsa_memory_ordered 1
		.amdhsa_forward_progress 1
		.amdhsa_inst_pref_size 19
		.amdhsa_round_robin_scheduling 0
		.amdhsa_exception_fp_ieee_invalid_op 0
		.amdhsa_exception_fp_denorm_src 0
		.amdhsa_exception_fp_ieee_div_zero 0
		.amdhsa_exception_fp_ieee_overflow 0
		.amdhsa_exception_fp_ieee_underflow 0
		.amdhsa_exception_fp_ieee_inexact 0
		.amdhsa_exception_int_div_zero 0
	.end_amdhsa_kernel
	.section	.text._ZN2at6native6mbtopk10gatherTopKIajLi1EEEvNS_4cuda6detail10TensorInfoIKT_T0_EES8_S8_bjS8_NS5_IS6_S8_EES8_NS5_IlS8_EES8_jjPS6_PjSD_j,"axG",@progbits,_ZN2at6native6mbtopk10gatherTopKIajLi1EEEvNS_4cuda6detail10TensorInfoIKT_T0_EES8_S8_bjS8_NS5_IS6_S8_EES8_NS5_IlS8_EES8_jjPS6_PjSD_j,comdat
.Lfunc_end16:
	.size	_ZN2at6native6mbtopk10gatherTopKIajLi1EEEvNS_4cuda6detail10TensorInfoIKT_T0_EES8_S8_bjS8_NS5_IS6_S8_EES8_NS5_IlS8_EES8_jjPS6_PjSD_j, .Lfunc_end16-_ZN2at6native6mbtopk10gatherTopKIajLi1EEEvNS_4cuda6detail10TensorInfoIKT_T0_EES8_S8_bjS8_NS5_IS6_S8_EES8_NS5_IlS8_EES8_jjPS6_PjSD_j
                                        ; -- End function
	.set _ZN2at6native6mbtopk10gatherTopKIajLi1EEEvNS_4cuda6detail10TensorInfoIKT_T0_EES8_S8_bjS8_NS5_IS6_S8_EES8_NS5_IlS8_EES8_jjPS6_PjSD_j.num_vgpr, 26
	.set _ZN2at6native6mbtopk10gatherTopKIajLi1EEEvNS_4cuda6detail10TensorInfoIKT_T0_EES8_S8_bjS8_NS5_IS6_S8_EES8_NS5_IlS8_EES8_jjPS6_PjSD_j.num_agpr, 0
	.set _ZN2at6native6mbtopk10gatherTopKIajLi1EEEvNS_4cuda6detail10TensorInfoIKT_T0_EES8_S8_bjS8_NS5_IS6_S8_EES8_NS5_IlS8_EES8_jjPS6_PjSD_j.numbered_sgpr, 28
	.set _ZN2at6native6mbtopk10gatherTopKIajLi1EEEvNS_4cuda6detail10TensorInfoIKT_T0_EES8_S8_bjS8_NS5_IS6_S8_EES8_NS5_IlS8_EES8_jjPS6_PjSD_j.num_named_barrier, 0
	.set _ZN2at6native6mbtopk10gatherTopKIajLi1EEEvNS_4cuda6detail10TensorInfoIKT_T0_EES8_S8_bjS8_NS5_IS6_S8_EES8_NS5_IlS8_EES8_jjPS6_PjSD_j.private_seg_size, 0
	.set _ZN2at6native6mbtopk10gatherTopKIajLi1EEEvNS_4cuda6detail10TensorInfoIKT_T0_EES8_S8_bjS8_NS5_IS6_S8_EES8_NS5_IlS8_EES8_jjPS6_PjSD_j.uses_vcc, 1
	.set _ZN2at6native6mbtopk10gatherTopKIajLi1EEEvNS_4cuda6detail10TensorInfoIKT_T0_EES8_S8_bjS8_NS5_IS6_S8_EES8_NS5_IlS8_EES8_jjPS6_PjSD_j.uses_flat_scratch, 0
	.set _ZN2at6native6mbtopk10gatherTopKIajLi1EEEvNS_4cuda6detail10TensorInfoIKT_T0_EES8_S8_bjS8_NS5_IS6_S8_EES8_NS5_IlS8_EES8_jjPS6_PjSD_j.has_dyn_sized_stack, 0
	.set _ZN2at6native6mbtopk10gatherTopKIajLi1EEEvNS_4cuda6detail10TensorInfoIKT_T0_EES8_S8_bjS8_NS5_IS6_S8_EES8_NS5_IlS8_EES8_jjPS6_PjSD_j.has_recursion, 0
	.set _ZN2at6native6mbtopk10gatherTopKIajLi1EEEvNS_4cuda6detail10TensorInfoIKT_T0_EES8_S8_bjS8_NS5_IS6_S8_EES8_NS5_IlS8_EES8_jjPS6_PjSD_j.has_indirect_call, 0
	.section	.AMDGPU.csdata,"",@progbits
; Kernel info:
; codeLenInByte = 2428
; TotalNumSgprs: 30
; NumVgprs: 26
; ScratchSize: 0
; MemoryBound: 0
; FloatMode: 240
; IeeeMode: 1
; LDSByteSize: 1068 bytes/workgroup (compile time only)
; SGPRBlocks: 0
; VGPRBlocks: 1
; NumSGPRsForWavesPerEU: 30
; NumVGPRsForWavesPerEU: 26
; NamedBarCnt: 0
; Occupancy: 16
; WaveLimiterHint : 1
; COMPUTE_PGM_RSRC2:SCRATCH_EN: 0
; COMPUTE_PGM_RSRC2:USER_SGPR: 2
; COMPUTE_PGM_RSRC2:TRAP_HANDLER: 0
; COMPUTE_PGM_RSRC2:TGID_X_EN: 1
; COMPUTE_PGM_RSRC2:TGID_Y_EN: 1
; COMPUTE_PGM_RSRC2:TGID_Z_EN: 1
; COMPUTE_PGM_RSRC2:TIDIG_COMP_CNT: 0
	.section	.text._ZN2at6native6sbtopk10gatherTopKIajLi1ELb0EEEvNS_4cuda6detail10TensorInfoIKT_T0_EES8_S8_bS8_S8_NS5_IS6_S8_EES8_NS5_IlS8_EES8_PS6_,"axG",@progbits,_ZN2at6native6sbtopk10gatherTopKIajLi1ELb0EEEvNS_4cuda6detail10TensorInfoIKT_T0_EES8_S8_bS8_S8_NS5_IS6_S8_EES8_NS5_IlS8_EES8_PS6_,comdat
	.protected	_ZN2at6native6sbtopk10gatherTopKIajLi1ELb0EEEvNS_4cuda6detail10TensorInfoIKT_T0_EES8_S8_bS8_S8_NS5_IS6_S8_EES8_NS5_IlS8_EES8_PS6_ ; -- Begin function _ZN2at6native6sbtopk10gatherTopKIajLi1ELb0EEEvNS_4cuda6detail10TensorInfoIKT_T0_EES8_S8_bS8_S8_NS5_IS6_S8_EES8_NS5_IlS8_EES8_PS6_
	.globl	_ZN2at6native6sbtopk10gatherTopKIajLi1ELb0EEEvNS_4cuda6detail10TensorInfoIKT_T0_EES8_S8_bS8_S8_NS5_IS6_S8_EES8_NS5_IlS8_EES8_PS6_
	.p2align	8
	.type	_ZN2at6native6sbtopk10gatherTopKIajLi1ELb0EEEvNS_4cuda6detail10TensorInfoIKT_T0_EES8_S8_bS8_S8_NS5_IS6_S8_EES8_NS5_IlS8_EES8_PS6_,@function
_ZN2at6native6sbtopk10gatherTopKIajLi1ELb0EEEvNS_4cuda6detail10TensorInfoIKT_T0_EES8_S8_bS8_S8_NS5_IS6_S8_EES8_NS5_IlS8_EES8_PS6_: ; @_ZN2at6native6sbtopk10gatherTopKIajLi1ELb0EEEvNS_4cuda6detail10TensorInfoIKT_T0_EES8_S8_bS8_S8_NS5_IS6_S8_EES8_NS5_IlS8_EES8_PS6_
; %bb.0:
	s_clause 0x1
	s_load_b128 s[36:39], s[0:1], 0xd8
	s_load_b64 s[8:9], s[0:1], 0x2b8
	s_bfe_u32 s2, ttmp6, 0x40010
	s_and_b32 s3, ttmp7, 0xffff
	s_add_co_i32 s2, s2, 1
	s_bfe_u32 s5, ttmp6, 0x4000c
	s_mul_i32 s2, s3, s2
	s_bfe_u32 s4, ttmp6, 0x40004
	s_add_co_i32 s5, s5, 1
	s_bfe_u32 s6, ttmp6, 0x40014
	s_add_co_i32 s4, s4, s2
	s_and_b32 s2, ttmp6, 15
	s_mul_i32 s5, ttmp9, s5
	s_lshr_b32 s7, ttmp7, 16
	s_add_co_i32 s6, s6, 1
	s_add_co_i32 s2, s2, s5
	s_mul_i32 s5, s7, s6
	s_bfe_u32 s6, ttmp6, 0x40008
	s_getreg_b32 s10, hwreg(HW_REG_IB_STS2, 6, 4)
	s_add_co_i32 s6, s6, s5
	s_cmp_eq_u32 s10, 0
	s_cselect_b32 s5, s7, s6
	s_cselect_b32 s3, s3, s4
	s_wait_kmcnt 0x0
	s_mul_i32 s5, s9, s5
	s_cselect_b32 s7, ttmp9, s2
	s_add_co_i32 s2, s5, s3
	s_delay_alu instid0(SALU_CYCLE_1) | instskip(NEXT) | instid1(SALU_CYCLE_1)
	s_mul_i32 s54, s2, s8
	s_add_co_i32 s54, s54, s7
	s_delay_alu instid0(SALU_CYCLE_1)
	s_cmp_ge_u32 s54, s39
	s_cbranch_scc1 .LBB17_412
; %bb.1:
	s_clause 0x2
	s_load_b32 s52, s[0:1], 0xe8
	s_load_b32 s4, s[0:1], 0x6c
	s_load_b64 s[2:3], s[0:1], 0x0
	v_cmp_eq_u32_e64 s5, 0, v0
	s_add_nc_u64 s[14:15], s[0:1], 0x2b8
	s_and_saveexec_b32 s6, s5
; %bb.2:
	v_dual_mov_b32 v2, 0 :: v_dual_mov_b32 v3, s36
	s_delay_alu instid0(VALU_DEP_1)
	v_mov_b32_e32 v4, v2
	ds_store_b96 v2, v[2:4] offset:4096
; %bb.3:
	s_or_b32 exec_lo, exec_lo, s6
	s_wait_dscnt 0x0
	s_barrier_signal -1
	s_barrier_wait -1
	s_load_b32 s9, s[14:15], 0xc
	s_clause 0x3
	s_load_b32 s55, s[0:1], 0x23c
	s_load_b64 s[40:41], s[0:1], 0x1d0
	s_load_b32 s56, s[0:1], 0x15c
	s_load_b64 s[42:43], s[0:1], 0xf0
	v_mbcnt_lo_u32_b32 v19, -1, 0
	s_wait_kmcnt 0x0
	s_mul_i32 s44, s4, s54
	s_mov_b32 s45, 0
	v_add_max_u32_e64 v4, v0, 2, s36
	s_bitcmp1_b32 s38, 0
	v_cmp_gt_u32_e32 vcc_lo, 32, v0
	s_add_nc_u64 s[38:39], s[2:3], s[44:45]
	v_cmp_gt_i32_e64 s2, 4, v19
	s_cselect_b32 s4, -1, 0
	v_lshlrev_b64_e64 v[2:3], v19, -1
	v_xad_u32 v3, v0, -1, v4
	s_xor_b32 s57, s4, -1
	s_and_b32 s59, vcc_lo, s2
	v_mul_lo_u32 v22, s52, v0
	v_dual_lshlrev_b32 v1, 2, v0 :: v_dual_mov_b32 v25, 0
	s_and_b32 s35, s9, 0xffff
	v_add_nc_u32_e32 v4, -8, v3
	s_lshl_b32 s58, s35, 2
	s_cmp_gt_u32 s36, 0xc00
	v_mov_b32_e32 v23, v25
	s_cselect_b32 s60, -1, 0
	s_cmp_gt_u32 s35, 31
	v_not_b32_e32 v18, v2
	s_cselect_b32 s61, -1, 0
	s_add_co_i32 s62, s35, -1
	v_lshrrev_b32_e32 v2, 1, v0
	s_add_co_i32 s13, s62, s36
	s_cmp_lt_u32 s7, s8
	v_dual_lshrrev_b32 v5, 3, v4 :: v_dual_bitop2_b32 v28, -8, v3 bitop3:0x40
	s_cselect_b32 s44, 12, 18
	s_bfe_u32 s63, s9, 0xb0005
	s_cvt_f32_u32 s9, s58
	s_movk_i32 s7, 0x1f0
	s_add_co_i32 s8, s63, -2
	v_add_nc_u64_e32 v[20:21], s[38:39], v[22:23]
	v_and_or_b32 v23, v2, s7, 0xc00
	v_add_nc_u32_e32 v2, 1, v5
	v_rcp_iflag_f32_e32 v5, s9
	s_lshr_b32 s7, s8, 1
	v_add_nc_u32_e32 v29, v0, v28
	s_add_co_i32 s10, s7, 1
	s_cmp_gt_u32 s35, 63
	v_and_b32_e32 v31, 0x3ffffffe, v2
	s_cselect_b32 s64, -1, 0
	s_and_b32 s65, s63, 0x7fe
	s_and_b32 s66, s10, 7
	s_cmp_gt_u32 s8, 13
	v_readfirstlane_b32 s8, v5
	s_cselect_b32 s67, -1, 0
	s_and_b32 s68, s10, -8
	s_cmp_lg_u32 s66, 0
	s_cvt_f32_u32 s10, s35
	s_mul_f32 s8, s8, 0x4f7ffffe
	s_cselect_b32 s70, -1, 0
	s_cmp_lg_u32 s65, s63
	v_rcp_iflag_f32_e32 v5, s10
	s_cvt_u32_f32 s8, s8
	s_cselect_b32 s71, -1, 0
	s_sub_co_i32 s9, 0, s58
	v_add3_u32 v2, s35, s36, v0
	s_mul_i32 s9, s9, s8
	v_lshlrev_b32_e32 v36, 2, v22
	s_mul_hi_u32 s9, s8, s9
	v_cmp_lt_u32_e64 s7, 31, v3
	s_add_co_i32 s46, s8, s9
	v_readfirstlane_b32 s9, v5
	s_mul_hi_u32 s8, s36, s46
	v_mad_u32 v33, s52, v1, s52
	s_mul_i32 s8, s8, s58
	v_cmp_eq_u32_e64 s2, 0, v19
	s_sub_co_i32 s8, s36, s8
	s_mul_f32 s9, s9, 0x4f7ffffe
	s_sub_co_i32 s10, s8, s58
	s_cmp_ge_u32 s8, s58
	v_cmp_gt_u32_e64 s3, s36, v0
	s_cselect_b32 s10, s10, s8
	s_cvt_u32_f32 s9, s9
	s_sub_co_i32 s11, s10, s58
	s_cmp_ge_u32 s10, s58
	v_cmp_lt_u32_e64 s8, 7, v4
	s_cselect_b32 s16, s11, s10
	s_sub_co_i32 s10, 0, s35
	s_sub_co_i32 s78, s36, s16
	s_mul_i32 s10, s10, s9
	v_and_b32_e32 v4, 8, v4
	s_mul_hi_u32 s10, s9, s10
	v_add_nc_u32_e32 v30, s78, v0
	s_add_co_i32 s48, s9, s10
	v_subrev_nc_u32_e32 v2, s16, v2
	s_mul_hi_u32 s10, s13, s48
	v_cmp_eq_u32_e64 s9, 0, v4
	s_mul_i32 s10, s10, s35
	v_or_b32_e32 v4, 3, v1
	s_sub_co_i32 s11, s13, s10
	v_mul_lo_u32 v24, v30, s52
	s_sub_co_i32 s12, s11, s35
	v_cmp_ne_u32_e64 s10, v3, v28
	s_cmp_ge_u32 s11, s35
	v_or_b32_e32 v3, 2, v1
	s_cselect_b32 s17, s12, s11
	v_mul_lo_u32 v35, s52, v4
	s_sub_co_i32 s18, s17, s35
	s_cmp_ge_u32 s17, s35
	v_mul_lo_u32 v34, s52, v3
	v_mul_lo_u32 v37, s52, v2
	s_cselect_b32 s17, s18, s17
	v_add_nc_u64_e32 v[26:27], s[38:39], v[24:25]
	s_sub_co_i32 s79, s13, s17
	v_cmp_gt_u32_e64 s6, 2, v0
	v_cmp_gt_u32_e64 s11, s78, v1
	;; [unrolled: 1-line block ×4, first 2 shown]
	v_lshl_or_b32 v38, v19, 2, 0xc00
	v_dual_mov_b32 v41, s37 :: v_dual_mov_b32 v40, 0
	v_dual_mov_b32 v32, 0 :: v_dual_mov_b32 v39, 0
	s_mul_i32 s53, s52, s35
	s_mov_b32 s69, s52
	s_mov_b32 s72, s52
	;; [unrolled: 1-line block ×9, first 2 shown]
	s_lshl_b32 s80, s53, 2
	s_mov_b32 s81, 6
	s_add_nc_u64 s[50:51], s[14:15], s[44:45]
	s_mov_b32 s82, 0
	s_mov_b32 s84, 0
                                        ; implicit-def: $sgpr83
                                        ; implicit-def: $sgpr87
                                        ; implicit-def: $sgpr86
                                        ; implicit-def: $sgpr88
                                        ; implicit-def: $sgpr85
                                        ; implicit-def: $sgpr92
                                        ; implicit-def: $sgpr93
                                        ; implicit-def: $sgpr89
                                        ; implicit-def: $sgpr91
                                        ; implicit-def: $sgpr90
	s_branch .LBB17_6
.LBB17_4:                               ;   in Loop: Header=BB17_6 Depth=1
	s_or_b32 exec_lo, exec_lo, s17
	v_mov_b32_e32 v41, v5
	s_and_not1_b32 s17, s90, exec_lo
	s_and_b32 s16, s16, exec_lo
	s_and_not1_b32 s91, s91, exec_lo
	s_or_b32 s90, s17, s16
	s_and_not1_b32 s89, s89, exec_lo
	s_and_not1_b32 s93, s93, exec_lo
	;; [unrolled: 1-line block ×3, first 2 shown]
	s_or_not1_b32 s17, s15, exec_lo
.LBB17_5:                               ;   in Loop: Header=BB17_6 Depth=1
	s_or_b32 exec_lo, exec_lo, s14
	s_delay_alu instid0(SALU_CYCLE_1) | instskip(NEXT) | instid1(SALU_CYCLE_1)
	s_and_b32 s14, exec_lo, s17
	s_or_b32 s82, s14, s82
	s_and_not1_b32 s14, s85, exec_lo
	s_and_b32 s15, s90, exec_lo
	s_and_not1_b32 s16, s88, exec_lo
	s_or_b32 s85, s14, s15
	s_and_b32 s14, s91, exec_lo
	s_and_not1_b32 s15, s86, exec_lo
	s_and_b32 s17, s89, exec_lo
	s_or_b32 s88, s16, s14
	s_or_b32 s86, s15, s17
	s_and_not1_b32 s14, s87, exec_lo
	s_and_b32 s15, s93, exec_lo
	s_and_not1_b32 s16, s83, exec_lo
	s_and_b32 s17, s92, exec_lo
	s_or_b32 s87, s14, s15
	s_or_b32 s83, s16, s17
	s_and_not1_b32 exec_lo, exec_lo, s82
	s_cbranch_execz .LBB17_408
.LBB17_6:                               ; =>This Loop Header: Depth=1
                                        ;     Child Loop BB17_11 Depth 2
                                        ;     Child Loop BB17_32 Depth 2
	;; [unrolled: 1-line block ×26, first 2 shown]
	ds_load_b64 v[2:3], v25 offset:4096
	s_wait_dscnt 0x0
	v_readfirstlane_b32 s44, v2
	s_cmp_lg_u32 s44, 0
	s_cbranch_scc1 .LBB17_49
; %bb.7:                                ;   in Loop: Header=BB17_6 Depth=1
	s_and_b32 vcc_lo, exec_lo, s60
	s_cbranch_vccz .LBB17_19
; %bb.8:                                ;   in Loop: Header=BB17_6 Depth=1
	v_cmp_gt_u32_e32 vcc_lo, 0xc01, v3
	s_mov_b32 s16, 0
	s_mov_b32 s14, 0
	s_cbranch_vccz .LBB17_20
; %bb.9:                                ;   in Loop: Header=BB17_6 Depth=1
	global_load_u8 v3, v[20:21], off
	s_load_u16 s17, s[50:51], 0x0
	s_mov_b32 s18, 0
	s_wait_kmcnt 0x0
	v_dual_mov_b32 v4, v0 :: v_dual_add_nc_u32 v2, s17, v0
	s_mul_i32 s19, s52, s17
	s_delay_alu instid0(VALU_DEP_1)
	v_mul_lo_u32 v2, s52, v2
	s_branch .LBB17_11
.LBB17_10:                              ;   in Loop: Header=BB17_11 Depth=2
	s_or_b32 exec_lo, exec_lo, s15
	v_dual_mov_b32 v3, v5 :: v_dual_add_nc_u32 v2, s19, v2
	s_and_not1_b32 exec_lo, exec_lo, s18
	s_cbranch_execz .LBB17_26
.LBB17_11:                              ;   Parent Loop BB17_6 Depth=1
                                        ; =>  This Inner Loop Header: Depth=2
	s_wait_dscnt 0x0
	v_dual_add_nc_u32 v4, s17, v4 :: v_dual_mov_b32 v6, 0
	v_mov_b32_e32 v5, 0
	s_mov_b32 s15, exec_lo
	s_delay_alu instid0(VALU_DEP_2)
	v_cmp_le_u32_e32 vcc_lo, s36, v4
	v_cmpx_gt_u32_e64 s36, v4
	s_cbranch_execz .LBB17_13
; %bb.12:                               ;   in Loop: Header=BB17_11 Depth=2
	global_load_u8 v5, v2, s[38:39]
.LBB17_13:                              ;   in Loop: Header=BB17_11 Depth=2
	s_wait_xcnt 0x0
	s_or_b32 exec_lo, exec_lo, s15
	s_wait_loadcnt 0x0
	v_bfe_i32 v7, v3, 0, 8
	s_delay_alu instid0(VALU_DEP_1) | instskip(NEXT) | instid1(VALU_DEP_1)
	v_add_nc_u32_e32 v7, 0x80, v7
	v_and_b32_e32 v7, v7, v39
	s_delay_alu instid0(VALU_DEP_1) | instskip(SKIP_2) | instid1(SALU_CYCLE_1)
	v_cmp_eq_u32_e64 s14, v7, v32
	s_cmp_lg_u32 s14, 0
	s_cselect_b32 s15, -1, 0
	s_and_b32 s15, s2, s15
	s_delay_alu instid0(SALU_CYCLE_1)
	s_and_saveexec_b32 s20, s15
	s_cbranch_execz .LBB17_17
; %bb.14:                               ;   in Loop: Header=BB17_11 Depth=2
	s_mov_b32 s23, exec_lo
	s_bcnt1_i32_b32 s21, s14
	v_mbcnt_lo_u32_b32 v6, s23, 0
	s_mov_b32 s22, exec_lo
                                        ; implicit-def: $vgpr7
	s_delay_alu instid0(VALU_DEP_1)
	v_cmpx_eq_u32_e32 0, v6
; %bb.15:                               ;   in Loop: Header=BB17_11 Depth=2
	s_bcnt1_i32_b32 s15, s23
	s_delay_alu instid0(SALU_CYCLE_1) | instskip(NEXT) | instid1(SALU_CYCLE_1)
	s_mul_i32 s15, s21, s15
	v_mov_b32_e32 v7, s15
	ds_add_rtn_u32 v7, v25, v7 offset:4104
; %bb.16:                               ;   in Loop: Header=BB17_11 Depth=2
	s_or_b32 exec_lo, exec_lo, s22
	s_wait_dscnt 0x0
	v_readfirstlane_b32 s15, v7
	s_delay_alu instid0(VALU_DEP_1)
	v_mad_u32_u24 v6, s21, v6, s15
.LBB17_17:                              ;   in Loop: Header=BB17_11 Depth=2
	s_or_b32 exec_lo, exec_lo, s20
	ds_bpermute_b32 v6, v25, v6
	s_and_b32 s15, exec_lo, vcc_lo
	s_delay_alu instid0(SALU_CYCLE_1)
	s_or_b32 s18, s15, s18
	s_and_saveexec_b32 s15, s14
	s_cbranch_execz .LBB17_10
; %bb.18:                               ;   in Loop: Header=BB17_11 Depth=2
	v_and_b32_e32 v7, s14, v18
	s_wait_dscnt 0x0
	s_delay_alu instid0(VALU_DEP_1)
	v_bcnt_u32_b32 v6, v7, v6
	ds_store_b8 v6, v3
	s_branch .LBB17_10
.LBB17_19:                              ;   in Loop: Header=BB17_6 Depth=1
	s_mov_b32 s16, -1
	s_mov_b32 s14, 0
.LBB17_20:                              ;   in Loop: Header=BB17_6 Depth=1
	s_and_b32 vcc_lo, exec_lo, s16
	s_cbranch_vccz .LBB17_47
.LBB17_21:                              ;   in Loop: Header=BB17_6 Depth=1
	s_and_saveexec_b32 s15, s3
	s_cbranch_execz .LBB17_44
; %bb.22:                               ;   in Loop: Header=BB17_6 Depth=1
	global_load_u8 v24, v[20:21], off
	s_load_u16 s17, s[50:51], 0x0
	s_mov_b32 s16, exec_lo
	s_wait_kmcnt 0x0
	v_dual_mov_b32 v3, v0 :: v_dual_add_nc_u32 v2, s17, v0
	s_delay_alu instid0(VALU_DEP_1)
	v_cmpx_gt_u32_e64 s36, v2
	s_cbranch_execz .LBB17_43
; %bb.23:                               ;   in Loop: Header=BB17_6 Depth=1
	s_mov_b32 s14, 0
	s_mul_i32 s18, s52, s17
                                        ; implicit-def: $vgpr3
                                        ; implicit-def: $vgpr4
                                        ; implicit-def: $vgpr5
	s_and_saveexec_b32 s19, s7
	s_delay_alu instid0(SALU_CYCLE_1)
	s_xor_b32 s19, exec_lo, s19
	s_cbranch_execnz .LBB17_29
; %bb.24:                               ;   in Loop: Header=BB17_6 Depth=1
	s_and_not1_saveexec_b32 s19, s19
	s_cbranch_execnz .LBB17_38
.LBB17_25:                              ;   in Loop: Header=BB17_6 Depth=1
	s_or_b32 exec_lo, exec_lo, s19
	s_and_saveexec_b32 s18, s14
	s_cbranch_execnz .LBB17_39
	s_branch .LBB17_42
.LBB17_26:                              ;   in Loop: Header=BB17_6 Depth=1
	s_or_b32 exec_lo, exec_lo, s18
	s_wait_dscnt 0x0
	s_barrier_signal -1
	s_barrier_wait -1
	s_and_saveexec_b32 s14, s5
	s_cbranch_execz .LBB17_28
; %bb.27:                               ;   in Loop: Header=BB17_6 Depth=1
	ds_load_b32 v2, v25 offset:4104
	s_wait_dscnt 0x0
	ds_store_b32 v25, v2 offset:4096
.LBB17_28:                              ;   in Loop: Header=BB17_6 Depth=1
	s_or_b32 exec_lo, exec_lo, s14
	s_wait_dscnt 0x0
	s_barrier_signal -1
	s_mov_b32 s14, -1
	s_barrier_wait -1
	s_and_b32 vcc_lo, exec_lo, s16
	s_cbranch_vccnz .LBB17_21
	s_branch .LBB17_47
.LBB17_29:                              ;   in Loop: Header=BB17_6 Depth=1
	s_cvt_f32_u32 s14, s17
	v_add_max_u32_e64 v3, v2, s17, s36
	s_delay_alu instid0(SALU_CYCLE_2) | instskip(SKIP_1) | instid1(VALU_DEP_1)
	v_rcp_iflag_f32_e32 v4, s14
	s_lshl_b32 s14, s17, 1
	v_sub_nc_u32_e32 v3, v3, v0
	s_delay_alu instid0(VALU_DEP_1) | instskip(NEXT) | instid1(TRANS32_DEP_1)
	v_cmp_ne_u32_e32 vcc_lo, s14, v3
	v_readfirstlane_b32 s20, v4
	v_cndmask_b32_e64 v4, 0, 1, vcc_lo
	s_mul_f32 s20, s20, 0x4f7ffffe
	s_delay_alu instid0(VALU_DEP_1) | instskip(NEXT) | instid1(SALU_CYCLE_2)
	v_or_b32_e32 v4, s14, v4
	s_cvt_u32_f32 s14, s20
	s_sub_co_i32 s20, 0, s17
	s_delay_alu instid0(SALU_CYCLE_2) | instskip(NEXT) | instid1(VALU_DEP_1)
	s_mul_i32 s20, s20, s14
	v_sub_nc_u32_e32 v3, v3, v4
	s_mul_hi_u32 s20, s14, s20
	s_delay_alu instid0(SALU_CYCLE_1)
	s_add_co_i32 s14, s14, s20
	s_delay_alu instid0(VALU_DEP_1) | instid1(SALU_CYCLE_1)
	v_mul_hi_u32 v4, v3, s14
	s_delay_alu instid0(VALU_DEP_1) | instskip(NEXT) | instid1(VALU_DEP_1)
	v_mul_lo_u32 v5, v4, s17
	v_dual_sub_nc_u32 v3, v3, v5 :: v_dual_add_nc_u32 v5, 1, v4
	s_delay_alu instid0(VALU_DEP_1) | instskip(SKIP_1) | instid1(VALU_DEP_1)
	v_subrev_nc_u32_e32 v6, s17, v3
	v_cmp_le_u32_e64 s14, s17, v3
	v_dual_cndmask_b32 v4, v4, v5, s14 :: v_dual_cndmask_b32 v3, v3, v6, s14
	s_delay_alu instid0(VALU_DEP_1) | instskip(NEXT) | instid1(VALU_DEP_2)
	v_add_nc_u32_e32 v5, 1, v4
	v_cmp_le_u32_e64 s14, s17, v3
	s_delay_alu instid0(VALU_DEP_1) | instskip(SKIP_2) | instid1(VALU_DEP_2)
	v_cndmask_b32_e64 v3, v4, v5, s14
	v_mul_lo_u32 v4, s52, v2
	s_abs_i32 s14, s18
	v_add_co_ci_u32_e64 v3, null, 0, v3, vcc_lo
	s_delay_alu instid0(VALU_DEP_1) | instskip(SKIP_2) | instid1(SALU_CYCLE_1)
	v_mul_hi_u32 v5, s14, v3
	v_mul_lo_u32 v3, s14, v3
	s_not_b32 s14, s18
	s_ashr_i32 s14, s14, 31
	s_cmp_eq_u32 s17, 1
	s_delay_alu instid0(VALU_DEP_4) | instskip(SKIP_1) | instid1(VALU_DEP_3)
	v_xor_b32_e32 v4, s14, v4
	s_cselect_b32 s20, -1, 0
	v_cmp_eq_u32_e32 vcc_lo, 0, v5
	s_delay_alu instid0(VALU_DEP_2) | instskip(SKIP_2) | instid1(SALU_CYCLE_1)
	v_cmp_le_u32_e64 s14, v3, v4
	v_mov_b32_e32 v4, v0
                                        ; implicit-def: $vgpr3
	s_and_b32 s20, vcc_lo, s20
	s_and_b32 s21, s20, s14
	s_mov_b32 s20, -1
	s_and_saveexec_b32 s14, s21
	s_cbranch_execz .LBB17_37
; %bb.30:                               ;   in Loop: Header=BB17_6 Depth=1
	v_dual_add_nc_u32 v9, 7, v2 :: v_dual_add_nc_u32 v8, 6, v2
	v_dual_add_nc_u32 v7, 5, v2 :: v_dual_add_nc_u32 v6, 4, v2
	;; [unrolled: 1-line block ×3, first 2 shown]
	s_wait_loadcnt 0x0
	v_dual_add_nc_u32 v3, 1, v2 :: v_dual_lshlrev_b32 v42, 24, v24
	v_mov_b64_e32 v[16:17], v[8:9]
	v_mov_b64_e32 v[14:15], v[6:7]
	v_mov_b64_e32 v[12:13], v[4:5]
	s_delay_alu instid0(VALU_DEP_4)
	v_mov_b64_e32 v[10:11], v[2:3]
	v_mov_b32_e32 v44, 0
                                        ; implicit-def: $vgpr24
	s_and_saveexec_b32 s20, s8
	s_cbranch_execz .LBB17_34
; %bb.31:                               ;   in Loop: Header=BB17_6 Depth=1
	v_mov_b64_e32 v[16:17], v[8:9]
	v_mov_b64_e32 v[14:15], v[6:7]
	;; [unrolled: 1-line block ×4, first 2 shown]
	v_mov_b32_e32 v43, v31
	s_mov_b32 s21, 0
	s_mov_b32 s22, 0
.LBB17_32:                              ;   Parent Loop BB17_6 Depth=1
                                        ; =>  This Inner Loop Header: Depth=2
	s_delay_alu instid0(VALU_DEP_2)
	v_mul_lo_u32 v24, v10, s52
	v_dual_mov_b32 v53, v25 :: v_dual_add_nc_u32 v64, 8, v17
	v_dual_add_nc_u32 v56, 8, v13 :: v_dual_add_nc_u32 v58, 8, v14
	v_dual_add_nc_u32 v60, 8, v15 :: v_dual_add_nc_u32 v62, 8, v16
	v_mul_lo_u32 v44, v14, s74
	v_mul_lo_u32 v6, v16, s76
	v_dual_add_nc_u32 v52, 8, v11 :: v_dual_add_nc_u32 v54, 8, v12
	v_mul_lo_u32 v64, v64, s77
	v_mul_lo_u32 v4, v17, s77
	v_dual_mov_b32 v5, v25 :: v_dual_add_nc_u32 v3, 8, v10
	v_mul_lo_u32 v56, v56, s73
	v_mul_lo_u32 v8, v15, s75
	;; [unrolled: 1-line block ×8, first 2 shown]
	v_dual_mov_b32 v47, v25 :: v_dual_mov_b32 v45, v25
	v_mul_lo_u32 v54, v54, s72
	v_dual_mov_b32 v9, v25 :: v_dual_mov_b32 v7, v25
	v_dual_mov_b32 v63, v25 :: v_dual_mov_b32 v65, v25
	v_add_nc_u64_e32 v[66:67], s[38:39], v[24:25]
	v_mul_lo_u32 v24, v3, s52
	v_dual_mov_b32 v55, v25 :: v_dual_mov_b32 v57, v25
	v_mul_lo_u32 v52, v52, s69
	v_dual_mov_b32 v59, v25 :: v_dual_mov_b32 v61, v25
	v_dual_mov_b32 v51, v25 :: v_dual_mov_b32 v49, v25
	v_add_nc_u64_e32 v[44:45], s[38:39], v[44:45]
	v_add_nc_u64_e32 v[6:7], s[38:39], v[6:7]
	;; [unrolled: 1-line block ×13, first 2 shown]
	s_clause 0x7
	global_load_u8 v3, v[44:45], off
	global_load_u8 v6, v[6:7], off
	;; [unrolled: 1-line block ×8, first 2 shown]
	v_add_nc_u64_e32 v[4:5], s[38:39], v[24:25]
	v_add_nc_u64_e32 v[52:53], s[38:39], v[52:53]
	s_clause 0x7
	global_load_u8 v24, v[64:65], off
	global_load_u8 v48, v[56:57], off
	;; [unrolled: 1-line block ×8, first 2 shown]
	v_dual_add_nc_u32 v43, -2, v43 :: v_dual_add_nc_u32 v12, 16, v12
	s_wait_xcnt 0x0
	v_dual_add_nc_u32 v52, s22, v0 :: v_dual_add_nc_u32 v17, 16, v17
	s_add_co_i32 s22, s22, 16
	s_delay_alu instid0(VALU_DEP_2)
	v_cmp_eq_u32_e32 vcc_lo, 0, v43
	v_dual_add_nc_u32 v16, 16, v16 :: v_dual_add_nc_u32 v15, 16, v15
	v_dual_add_nc_u32 v14, 16, v14 :: v_dual_add_nc_u32 v13, 16, v13
	;; [unrolled: 1-line block ×3, first 2 shown]
	v_mov_b32_e32 v44, s22
	s_or_b32 s21, vcc_lo, s21
	s_wait_loadcnt 0xc
	v_perm_b32 v6, v8, v6, 0xc0c0004
	s_wait_loadcnt 0xb
	v_perm_b32 v3, v9, v3, 0xc0c0004
	;; [unrolled: 2-line block ×6, first 2 shown]
	v_perm_b32 v46, v49, v51, 0xc0c0004
	s_wait_loadcnt 0x1
	v_perm_b32 v47, v7, v4, 0xc0c0004
	s_wait_loadcnt 0x0
	v_perm_b32 v48, v5, v54, 0xc0c0004
	v_perm_b32 v49, v50, v24, 0xc0c0004
	v_lshl_or_b32 v5, v6, 16, v3
	v_lshl_or_b32 v4, v8, 16, v9
	;; [unrolled: 1-line block ×5, first 2 shown]
	ds_store_b128 v52, v[4:7]
	s_and_not1_b32 exec_lo, exec_lo, s21
	s_cbranch_execnz .LBB17_32
; %bb.33:                               ;   in Loop: Header=BB17_6 Depth=1
	s_or_b32 exec_lo, exec_lo, s21
.LBB17_34:                              ;   in Loop: Header=BB17_6 Depth=1
	s_delay_alu instid0(SALU_CYCLE_1)
	s_or_b32 exec_lo, exec_lo, s20
	s_and_saveexec_b32 s20, s9
	s_cbranch_execz .LBB17_36
; %bb.35:                               ;   in Loop: Header=BB17_6 Depth=1
	v_mul_lo_u32 v24, v10, s52
	v_mul_lo_u32 v10, v14, s74
	;; [unrolled: 1-line block ×8, first 2 shown]
	v_dual_mov_b32 v17, v25 :: v_dual_mov_b32 v11, v25
	v_dual_mov_b32 v7, v25 :: v_dual_mov_b32 v9, v25
	v_dual_mov_b32 v15, v25 :: v_dual_mov_b32 v13, v25
	s_delay_alu instid0(VALU_DEP_3) | instskip(NEXT) | instid1(VALU_DEP_3)
	v_add_nc_u64_e32 v[10:11], s[38:39], v[10:11]
	v_add_nc_u64_e32 v[6:7], s[38:39], v[6:7]
	s_delay_alu instid0(VALU_DEP_4) | instskip(NEXT) | instid1(VALU_DEP_4)
	v_add_nc_u64_e32 v[8:9], s[38:39], v[8:9]
	v_add_nc_u64_e32 v[14:15], s[38:39], v[14:15]
	;; [unrolled: 1-line block ×4, first 2 shown]
	v_mov_b32_e32 v5, v25
	v_add_nc_u64_e32 v[46:47], s[38:39], v[24:25]
	s_clause 0x6
	global_load_u8 v3, v[10:11], off
	global_load_u8 v6, v[6:7], off
	;; [unrolled: 1-line block ×7, first 2 shown]
	v_add_nc_u64_e32 v[4:5], s[38:39], v[4:5]
	global_load_u8 v24, v[4:5], off
	s_wait_loadcnt 0x5
	s_wait_xcnt 0x0
	v_perm_b32 v4, v7, v6, 0xc0c0004
	s_wait_loadcnt 0x4
	v_perm_b32 v3, v8, v3, 0xc0c0004
	s_wait_loadcnt 0x2
	;; [unrolled: 2-line block ×3, first 2 shown]
	v_perm_b32 v7, v42, v11, 0xc0c0007
	v_lshl_or_b32 v5, v4, 16, v3
	v_add_nc_u32_e32 v3, v0, v44
	s_delay_alu instid0(VALU_DEP_3)
	v_lshl_or_b32 v4, v6, 16, v7
	ds_store_b64 v3, v[4:5]
.LBB17_36:                              ;   in Loop: Header=BB17_6 Depth=1
	s_or_b32 exec_lo, exec_lo, s20
	v_dual_add_nc_u32 v2, v2, v28 :: v_dual_mov_b32 v4, v29
	s_or_not1_b32 s20, s10, exec_lo
	s_delay_alu instid0(VALU_DEP_1)
	v_add_nc_u32_e32 v3, -1, v2
.LBB17_37:                              ;   in Loop: Header=BB17_6 Depth=1
	s_or_b32 exec_lo, exec_lo, s14
	v_mov_b32_e32 v5, s18
	s_and_b32 s14, s20, exec_lo
	s_and_not1_saveexec_b32 s19, s19
	s_cbranch_execz .LBB17_25
.LBB17_38:                              ;   in Loop: Header=BB17_6 Depth=1
	v_dual_mov_b32 v5, s18 :: v_dual_mov_b32 v4, v0
	s_or_b32 s14, s14, exec_lo
	s_or_b32 exec_lo, exec_lo, s19
	s_and_saveexec_b32 s18, s14
	s_cbranch_execz .LBB17_42
.LBB17_39:                              ;   in Loop: Header=BB17_6 Depth=1
	v_mul_lo_u32 v3, s52, v2
	s_mov_b32 s19, 0
	s_sub_co_i32 s14, 0, s17
.LBB17_40:                              ;   Parent Loop BB17_6 Depth=1
                                        ; =>  This Inner Loop Header: Depth=2
	global_load_u8 v6, v3, s[38:39]
	s_wait_xcnt 0x0
	v_dual_mov_b32 v7, v2 :: v_dual_add_nc_u32 v3, v3, v5
	s_wait_loadcnt 0x1
	ds_store_b8 v4, v24
	v_dual_add_nc_u32 v2, s17, v7 :: v_dual_mov_b32 v4, v7
	s_delay_alu instid0(VALU_DEP_1)
	v_cmp_le_u32_e32 vcc_lo, s36, v2
	s_or_b32 s19, vcc_lo, s19
	s_wait_loadcnt 0x0
	v_mov_b32_e32 v24, v6
	s_and_not1_b32 exec_lo, exec_lo, s19
	s_cbranch_execnz .LBB17_40
; %bb.41:                               ;   in Loop: Header=BB17_6 Depth=1
	s_or_b32 exec_lo, exec_lo, s19
	v_dual_mov_b32 v24, v6 :: v_dual_add_nc_u32 v3, s14, v2
.LBB17_42:                              ;   in Loop: Header=BB17_6 Depth=1
	s_or_b32 exec_lo, exec_lo, s18
.LBB17_43:                              ;   in Loop: Header=BB17_6 Depth=1
	s_delay_alu instid0(SALU_CYCLE_1)
	s_or_b32 exec_lo, exec_lo, s16
	s_wait_loadcnt 0x0
	ds_store_b8 v3, v24
.LBB17_44:                              ;   in Loop: Header=BB17_6 Depth=1
	s_or_b32 exec_lo, exec_lo, s15
	s_wait_dscnt 0x0
	s_barrier_signal -1
	s_barrier_wait -1
	s_and_saveexec_b32 s14, s5
; %bb.45:                               ;   in Loop: Header=BB17_6 Depth=1
	v_mov_b32_e32 v2, s36
	ds_store_b32 v25, v2 offset:4096
; %bb.46:                               ;   in Loop: Header=BB17_6 Depth=1
	s_or_b32 exec_lo, exec_lo, s14
	s_mov_b32 s14, -1
	s_wait_dscnt 0x0
	s_barrier_signal -1
	s_barrier_wait -1
.LBB17_47:                              ;   in Loop: Header=BB17_6 Depth=1
	s_and_b32 vcc_lo, exec_lo, s14
	s_mov_b32 s44, 0
	s_cbranch_vccz .LBB17_49
; %bb.48:                               ;   in Loop: Header=BB17_6 Depth=1
	ds_load_b32 v2, v25 offset:4096
	s_wait_dscnt 0x0
	v_readfirstlane_b32 s44, v2
.LBB17_49:                              ;   in Loop: Header=BB17_6 Depth=1
	s_delay_alu instid0(VALU_DEP_1)
	s_cmp_lt_i32 s44, 1
	s_mov_b32 s14, -1
                                        ; implicit-def: $vgpr5
	s_cbranch_scc1 .LBB17_62
; %bb.50:                               ;   in Loop: Header=BB17_6 Depth=1
	s_and_b32 vcc_lo, exec_lo, s14
	s_cbranch_vccnz .LBB17_73
.LBB17_51:                              ;   in Loop: Header=BB17_6 Depth=1
	s_lshl_b32 s16, s84, 7
	s_and_saveexec_b32 s14, s2
.LBB17_52:                              ;   in Loop: Header=BB17_6 Depth=1
	v_lshl_add_u32 v6, s16, 2, v23
	ds_store_b128 v6, v[2:5]
.LBB17_53:                              ;   in Loop: Header=BB17_6 Depth=1
	s_or_b32 exec_lo, exec_lo, s14
	s_wait_dscnt 0x0
	s_barrier_signal -1
	s_barrier_wait -1
	s_and_saveexec_b32 s17, s59
	s_cbranch_execz .LBB17_86
; %bb.54:                               ;   in Loop: Header=BB17_6 Depth=1
	v_dual_add_nc_u32 v4, s16, v19 :: v_dual_mov_b32 v2, 0
	s_and_not1_b32 vcc_lo, exec_lo, s61
	s_cbranch_vccnz .LBB17_85
; %bb.55:                               ;   in Loop: Header=BB17_6 Depth=1
	s_and_not1_b32 vcc_lo, exec_lo, s64
	s_cbranch_vccnz .LBB17_82
; %bb.56:                               ;   in Loop: Header=BB17_6 Depth=1
	v_lshl_add_u32 v5, v4, 2, 0xc00
	s_and_not1_b32 vcc_lo, exec_lo, s67
	s_cbranch_vccnz .LBB17_110
; %bb.57:                               ;   in Loop: Header=BB17_6 Depth=1
	v_dual_mov_b32 v2, 0 :: v_dual_mov_b32 v3, 0
	s_mov_b32 s15, 1
	s_mov_b32 s14, 0
	;; [unrolled: 1-line block ×3, first 2 shown]
.LBB17_58:                              ;   Parent Loop BB17_6 Depth=1
                                        ; =>  This Inner Loop Header: Depth=2
	v_lshl_add_u32 v24, s15, 4, v5
	v_lshl_add_u32 v44, s14, 4, v5
	s_add_co_i32 s18, s18, -8
	s_add_co_i32 s15, s15, 16
	s_add_co_i32 s14, s14, 16
	ds_load_2addr_b32 v[6:7], v24 offset1:8
	ds_load_2addr_b32 v[8:9], v44 offset1:8
	ds_load_2addr_b32 v[10:11], v24 offset0:16 offset1:24
	ds_load_2addr_b32 v[12:13], v44 offset0:16 offset1:24
	;; [unrolled: 1-line block ×6, first 2 shown]
	s_cmp_lg_u32 s18, 0
	s_wait_dscnt 0x7
	v_add3_u32 v3, v6, v3, v7
	s_wait_dscnt 0x6
	v_add3_u32 v2, v8, v2, v9
	s_wait_dscnt 0x5
	s_delay_alu instid0(VALU_DEP_2) | instskip(SKIP_1) | instid1(VALU_DEP_2)
	v_add3_u32 v3, v10, v3, v11
	s_wait_dscnt 0x4
	v_add3_u32 v2, v12, v2, v13
	s_wait_dscnt 0x3
	s_delay_alu instid0(VALU_DEP_2) | instskip(SKIP_1) | instid1(VALU_DEP_2)
	;; [unrolled: 5-line block ×3, first 2 shown]
	v_add3_u32 v3, v42, v3, v43
	s_wait_dscnt 0x0
	v_add3_u32 v2, v44, v2, v45
	s_cbranch_scc1 .LBB17_58
; %bb.59:                               ;   in Loop: Header=BB17_6 Depth=1
	s_and_not1_b32 vcc_lo, exec_lo, s70
	s_mov_b32 s18, s66
	s_cbranch_vccnz .LBB17_61
.LBB17_60:                              ;   Parent Loop BB17_6 Depth=1
                                        ; =>  This Inner Loop Header: Depth=2
	v_lshl_add_u32 v6, s15, 4, v5
	v_lshl_add_u32 v7, s14, 4, v5
	s_add_co_i32 s18, s18, -1
	s_add_co_i32 s15, s15, 2
	s_add_co_i32 s14, s14, 2
	ds_load_b32 v6, v6
	ds_load_b32 v7, v7
	s_cmp_lg_u32 s18, 0
	s_wait_dscnt 0x0
	v_dual_add_nc_u32 v3, v6, v3 :: v_dual_add_nc_u32 v2, v7, v2
	s_cbranch_scc1 .LBB17_60
.LBB17_61:                              ;   in Loop: Header=BB17_6 Depth=1
	s_delay_alu instid0(VALU_DEP_1) | instskip(SKIP_2) | instid1(SALU_CYCLE_1)
	v_add_nc_u32_e32 v2, v2, v3
	s_mov_b32 s14, s65
	s_mov_b32 s15, s71
	s_and_b32 vcc_lo, exec_lo, s15
	s_cbranch_vccnz .LBB17_83
	s_branch .LBB17_85
.LBB17_62:                              ;   in Loop: Header=BB17_6 Depth=1
	v_dual_mov_b32 v2, 0 :: v_dual_mov_b32 v3, 0
	v_dual_mov_b32 v4, 0 :: v_dual_mov_b32 v5, 0
	s_and_saveexec_b32 s94, s11
	s_cbranch_execz .LBB17_66
; %bb.63:                               ;   in Loop: Header=BB17_6 Depth=1
	v_mov_b32_e32 v6, v1
	s_mov_b32 s95, 0
	s_mov_b32 s96, 0
	;; [unrolled: 1-line block ×6, first 2 shown]
.LBB17_64:                              ;   Parent Loop BB17_6 Depth=1
                                        ; =>  This Inner Loop Header: Depth=2
	v_dual_add_nc_u32 v2, s96, v36 :: v_dual_add_nc_u32 v3, s96, v33
	v_dual_add_nc_u32 v4, s96, v34 :: v_dual_add_nc_u32 v5, s96, v35
	s_add_co_i32 s96, s96, s80
	s_clause 0x3
	global_load_i8 v2, v2, s[38:39]
	global_load_i8 v3, v3, s[38:39]
	;; [unrolled: 1-line block ×4, first 2 shown]
	s_wait_loadcnt 0x3
	s_wait_xcnt 0x3
	v_add_nc_u32_e32 v2, 0x80, v2
	s_wait_loadcnt 0x2
	s_wait_xcnt 0x2
	v_add_nc_u32_e32 v3, 0x80, v3
	;; [unrolled: 3-line block ×3, first 2 shown]
	v_add_nc_u32_e32 v6, s58, v6
	s_wait_loadcnt 0x0
	v_add_nc_u32_e32 v5, 0x80, v5
	v_and_b32_e32 v7, v2, v39
	v_bfe_u32 v2, v2, s81, 2
	v_and_b32_e32 v8, v3, v39
	v_bfe_u32 v3, v3, s81, 2
	;; [unrolled: 2-line block ×3, first 2 shown]
	v_cmp_eq_u32_e64 s14, v7, v32
	v_cmp_eq_u32_e64 s18, 0, v2
	v_and_b32_e32 v10, v5, v39
	v_bfe_u32 v5, v5, s81, 2
	v_cmp_eq_u32_e64 s15, v8, v32
	v_cmp_eq_u32_e64 s19, 0, v3
	;; [unrolled: 1-line block ×4, first 2 shown]
	s_and_b32 s18, s14, s18
	v_cmp_eq_u32_e64 s17, v10, v32
	v_cmp_eq_u32_e64 s21, 0, v5
	;; [unrolled: 1-line block ×5, first 2 shown]
	v_cndmask_b32_e64 v2, 0, 1, s18
	s_and_b32 s18, s15, s19
	v_cmp_eq_u32_e64 s23, 1, v3
	v_cmp_eq_u32_e64 s27, 2, v3
	v_cmp_eq_u32_e64 s31, 3, v3
	v_cndmask_b32_e64 v3, 0, 1, s18
	s_and_b32 s18, s16, s20
	v_cmp_eq_u32_e64 s24, 1, v4
	v_cmp_eq_u32_e64 s28, 2, v4
	v_cmp_eq_u32_e64 s33, 3, v4
	;; [unrolled: 5-line block ×3, first 2 shown]
	v_cndmask_b32_e64 v5, 0, 1, s18
	s_and_b32 s18, s14, s22
	v_cmp_le_u32_e32 vcc_lo, s78, v6
	v_cndmask_b32_e64 v7, 0, 1, s18
	s_and_b32 s18, s15, s23
	s_delay_alu instid0(SALU_CYCLE_1) | instskip(SKIP_1) | instid1(SALU_CYCLE_1)
	v_cndmask_b32_e64 v8, 0, 1, s18
	s_and_b32 s18, s16, s24
	v_cndmask_b32_e64 v9, 0, 1, s18
	s_and_b32 s18, s17, s25
	s_delay_alu instid0(VALU_DEP_2)
	v_cmp_ne_u32_e64 s19, 0, v8
	v_cndmask_b32_e64 v10, 0, 1, s18
	s_and_b32 s18, s14, s26
	s_and_b32 s14, s14, s30
	v_cndmask_b32_e64 v11, 0, 1, s18
	s_and_b32 s18, s15, s27
	v_cndmask_b32_e64 v15, 0, 1, s14
	;; [unrolled: 2-line block ×7, first 2 shown]
	v_cndmask_b32_e64 v24, 0, 1, s14
	v_cmp_ne_u32_e64 s14, 0, v2
	v_cmp_ne_u32_e64 s18, 0, v7
	;; [unrolled: 1-line block ×11, first 2 shown]
	s_bcnt1_i32_b32 s14, s14
	s_bcnt1_i32_b32 s18, s18
	;; [unrolled: 1-line block ×4, first 2 shown]
	v_cmp_ne_u32_e64 s17, 0, v5
	v_cmp_ne_u32_e64 s21, 0, v10
	;; [unrolled: 1-line block ×4, first 2 shown]
	s_bcnt1_i32_b32 s15, s15
	s_bcnt1_i32_b32 s19, s19
	s_bcnt1_i32_b32 s23, s23
	s_bcnt1_i32_b32 s27, s27
	s_add_co_i32 s14, s14, s100
	s_add_co_i32 s18, s18, s99
	s_add_co_i32 s22, s22, s98
	s_add_co_i32 s26, s26, s97
	s_bcnt1_i32_b32 s16, s16
	s_bcnt1_i32_b32 s20, s20
	s_bcnt1_i32_b32 s24, s24
	s_bcnt1_i32_b32 s28, s28
	s_add_co_i32 s14, s14, s15
	s_add_co_i32 s15, s18, s19
	s_add_co_i32 s18, s22, s23
	s_add_co_i32 s19, s26, s27
	;; [unrolled: 8-line block ×3, first 2 shown]
	s_add_co_i32 s100, s14, s17
	s_add_co_i32 s99, s15, s21
	;; [unrolled: 1-line block ×4, first 2 shown]
	v_dual_mov_b32 v2, s100 :: v_dual_mov_b32 v3, s99
	v_dual_mov_b32 v4, s98 :: v_dual_mov_b32 v5, s97
	s_or_b32 s95, vcc_lo, s95
	s_delay_alu instid0(SALU_CYCLE_1)
	s_and_not1_b32 exec_lo, exec_lo, s95
	s_cbranch_execnz .LBB17_64
; %bb.65:                               ;   in Loop: Header=BB17_6 Depth=1
	s_or_b32 exec_lo, exec_lo, s95
.LBB17_66:                              ;   in Loop: Header=BB17_6 Depth=1
	s_delay_alu instid0(SALU_CYCLE_1)
	s_or_b32 exec_lo, exec_lo, s94
	s_and_saveexec_b32 s18, s12
	s_cbranch_execz .LBB17_72
; %bb.67:                               ;   in Loop: Header=BB17_6 Depth=1
	global_load_u8 v9, v[26:27], off
	v_dual_mov_b32 v6, v37 :: v_dual_mov_b32 v7, v30
	s_mov_b32 s19, 0
	s_branch .LBB17_69
.LBB17_68:                              ;   in Loop: Header=BB17_69 Depth=2
	s_wait_xcnt 0x0
	s_or_b32 exec_lo, exec_lo, s15
	s_wait_loadcnt 0x0
	v_bfe_i32 v9, v9, 0, 8
	s_and_b32 s15, exec_lo, vcc_lo
	v_add_nc_u32_e32 v6, s53, v6
	s_or_b32 s19, s15, s19
	s_delay_alu instid0(VALU_DEP_2) | instskip(NEXT) | instid1(VALU_DEP_1)
	v_add_nc_u32_e32 v9, 0x80, v9
	v_and_b32_e32 v10, v9, v39
	v_bfe_u32 v9, v9, s81, 2
	s_delay_alu instid0(VALU_DEP_2) | instskip(NEXT) | instid1(VALU_DEP_2)
	v_cmp_eq_u32_e32 vcc_lo, v10, v32
	v_cmp_eq_u32_e64 s14, 0, v9
	v_cmp_eq_u32_e64 s15, 1, v9
	;; [unrolled: 1-line block ×4, first 2 shown]
	s_and_b32 s14, vcc_lo, s14
	s_delay_alu instid0(SALU_CYCLE_1) | instskip(SKIP_1) | instid1(SALU_CYCLE_1)
	v_cndmask_b32_e64 v9, 0, 1, s14
	s_and_b32 s14, vcc_lo, s15
	v_cndmask_b32_e64 v10, 0, 1, s14
	s_and_b32 s14, vcc_lo, s16
	s_delay_alu instid0(SALU_CYCLE_1)
	v_cndmask_b32_e64 v11, 0, 1, s14
	s_and_b32 s14, vcc_lo, s17
	v_cmp_ne_u32_e32 vcc_lo, 0, v9
	v_cndmask_b32_e64 v12, 0, 1, s14
	v_cmp_ne_u32_e64 s14, 0, v10
	v_cmp_ne_u32_e64 s15, 0, v11
	v_mov_b32_e32 v9, v8
	s_bcnt1_i32_b32 s17, vcc_lo
	v_cmp_ne_u32_e64 s16, 0, v12
	s_bcnt1_i32_b32 s14, s14
	s_bcnt1_i32_b32 s15, s15
	v_dual_add_nc_u32 v2, s17, v2 :: v_dual_add_nc_u32 v3, s14, v3
	s_bcnt1_i32_b32 s16, s16
	s_delay_alu instid0(SALU_CYCLE_1)
	v_dual_add_nc_u32 v4, s15, v4 :: v_dual_add_nc_u32 v5, s16, v5
	s_and_not1_b32 exec_lo, exec_lo, s19
	s_cbranch_execz .LBB17_71
.LBB17_69:                              ;   Parent Loop BB17_6 Depth=1
                                        ; =>  This Inner Loop Header: Depth=2
	s_delay_alu instid0(VALU_DEP_1) | instskip(SKIP_1) | instid1(VALU_DEP_1)
	v_dual_mov_b32 v8, 0 :: v_dual_add_nc_u32 v7, s35, v7
	s_mov_b32 s15, exec_lo
	v_cmp_le_u32_e32 vcc_lo, s36, v7
	s_wait_xcnt 0x0
	v_cmpx_gt_u32_e64 s36, v7
	s_cbranch_execz .LBB17_68
; %bb.70:                               ;   in Loop: Header=BB17_69 Depth=2
	global_load_u8 v8, v6, s[38:39]
	s_branch .LBB17_68
.LBB17_71:                              ;   in Loop: Header=BB17_6 Depth=1
	s_or_b32 exec_lo, exec_lo, s19
.LBB17_72:                              ;   in Loop: Header=BB17_6 Depth=1
	s_delay_alu instid0(SALU_CYCLE_1)
	s_or_b32 exec_lo, exec_lo, s18
	s_branch .LBB17_51
.LBB17_73:                              ;   in Loop: Header=BB17_6 Depth=1
	s_mul_u64 s[14:15], s[44:45], s[46:47]
	v_dual_mov_b32 v2, 0 :: v_dual_mov_b32 v3, 0
	s_mul_i32 s14, s15, s58
	v_dual_mov_b32 v4, 0 :: v_dual_mov_b32 v5, 0
	s_sub_co_i32 s14, s44, s14
	s_mov_b32 s95, exec_lo
	s_sub_co_i32 s15, s14, s58
	s_cmp_ge_u32 s14, s58
	s_cselect_b32 s14, s15, s14
	s_delay_alu instid0(SALU_CYCLE_1) | instskip(SKIP_2) | instid1(SALU_CYCLE_1)
	s_sub_co_i32 s15, s14, s58
	s_cmp_ge_u32 s14, s58
	s_cselect_b32 s14, s15, s14
	s_sub_co_i32 s94, s44, s14
	s_delay_alu instid0(SALU_CYCLE_1)
	v_cmpx_gt_u32_e64 s94, v1
	s_cbranch_execz .LBB17_77
; %bb.74:                               ;   in Loop: Header=BB17_6 Depth=1
	v_mov_b32_e32 v6, v1
	s_mov_b32 s96, 0
	s_mov_b32 s97, 0
	;; [unrolled: 1-line block ×5, first 2 shown]
.LBB17_75:                              ;   Parent Loop BB17_6 Depth=1
                                        ; =>  This Inner Loop Header: Depth=2
	ds_load_b32 v2, v6
	s_wait_dscnt 0x0
	v_bfe_i32 v3, v2, 0, 8
	v_bfe_i32 v4, v2, 8, 8
	;; [unrolled: 1-line block ×3, first 2 shown]
	s_delay_alu instid0(VALU_DEP_3) | instskip(NEXT) | instid1(VALU_DEP_3)
	v_add_nc_u32_e32 v3, 0x80, v3
	v_add_nc_u32_e32 v4, 0x80, v4
	v_ashrrev_i32_e32 v2, 24, v2
	s_delay_alu instid0(VALU_DEP_4) | instskip(NEXT) | instid1(VALU_DEP_4)
	v_add_nc_u32_e32 v5, 0x80, v5
	v_dual_add_nc_u32 v6, s58, v6 :: v_dual_bitop2_b32 v7, v3, v39 bitop3:0x40
	v_bfe_u32 v3, v3, s81, 2
	v_and_b32_e32 v8, v4, v39
	v_add_nc_u32_e32 v2, 0x80, v2
	v_bfe_u32 v4, v4, s81, 2
	v_and_b32_e32 v9, v5, v39
	v_bfe_u32 v5, v5, s81, 2
	v_cmp_eq_u32_e64 s14, v7, v32
	v_cmp_eq_u32_e64 s18, 0, v3
	v_and_b32_e32 v10, v2, v39
	v_bfe_u32 v2, v2, s81, 2
	v_cmp_eq_u32_e64 s15, v8, v32
	v_cmp_eq_u32_e64 s19, 0, v4
	;; [unrolled: 1-line block ×4, first 2 shown]
	s_and_b32 s18, s14, s18
	v_cmp_eq_u32_e64 s17, v10, v32
	v_cmp_eq_u32_e64 s21, 0, v2
	;; [unrolled: 1-line block ×5, first 2 shown]
	v_cndmask_b32_e64 v2, 0, 1, s18
	s_and_b32 s18, s15, s19
	v_cmp_eq_u32_e64 s22, 1, v3
	v_cmp_eq_u32_e64 s26, 2, v3
	v_cmp_eq_u32_e64 s30, 3, v3
	v_cndmask_b32_e64 v3, 0, 1, s18
	s_and_b32 s18, s16, s20
	v_cmp_eq_u32_e64 s23, 1, v4
	v_cmp_eq_u32_e64 s27, 2, v4
	v_cmp_eq_u32_e64 s31, 3, v4
	;; [unrolled: 5-line block ×3, first 2 shown]
	v_cndmask_b32_e64 v5, 0, 1, s18
	s_and_b32 s18, s14, s22
	v_cmp_le_u32_e32 vcc_lo, s94, v6
	v_cndmask_b32_e64 v7, 0, 1, s18
	s_and_b32 s18, s15, s23
	s_delay_alu instid0(SALU_CYCLE_1) | instskip(SKIP_1) | instid1(SALU_CYCLE_1)
	v_cndmask_b32_e64 v8, 0, 1, s18
	s_and_b32 s18, s16, s24
	v_cndmask_b32_e64 v9, 0, 1, s18
	s_and_b32 s18, s17, s25
	s_delay_alu instid0(VALU_DEP_2)
	v_cmp_ne_u32_e64 s19, 0, v8
	v_cndmask_b32_e64 v10, 0, 1, s18
	s_and_b32 s18, s14, s26
	s_and_b32 s14, s14, s30
	v_cndmask_b32_e64 v11, 0, 1, s18
	s_and_b32 s18, s15, s27
	v_cndmask_b32_e64 v15, 0, 1, s14
	;; [unrolled: 2-line block ×7, first 2 shown]
	v_cndmask_b32_e64 v24, 0, 1, s14
	v_cmp_ne_u32_e64 s14, 0, v2
	v_cmp_ne_u32_e64 s18, 0, v7
	;; [unrolled: 1-line block ×11, first 2 shown]
	s_bcnt1_i32_b32 s14, s14
	s_bcnt1_i32_b32 s18, s18
	;; [unrolled: 1-line block ×4, first 2 shown]
	v_cmp_ne_u32_e64 s17, 0, v5
	v_cmp_ne_u32_e64 s21, 0, v10
	;; [unrolled: 1-line block ×4, first 2 shown]
	s_bcnt1_i32_b32 s15, s15
	s_bcnt1_i32_b32 s19, s19
	s_bcnt1_i32_b32 s23, s23
	s_bcnt1_i32_b32 s27, s27
	s_add_co_i32 s14, s14, s100
	s_add_co_i32 s18, s18, s99
	s_add_co_i32 s22, s22, s98
	s_add_co_i32 s26, s26, s97
	s_bcnt1_i32_b32 s16, s16
	s_bcnt1_i32_b32 s20, s20
	s_bcnt1_i32_b32 s24, s24
	s_bcnt1_i32_b32 s28, s28
	s_add_co_i32 s14, s14, s15
	s_add_co_i32 s15, s18, s19
	s_add_co_i32 s18, s22, s23
	s_add_co_i32 s19, s26, s27
	;; [unrolled: 8-line block ×3, first 2 shown]
	s_add_co_i32 s100, s14, s17
	s_add_co_i32 s99, s15, s21
	s_add_co_i32 s98, s16, s25
	s_add_co_i32 s97, s18, s29
	v_dual_mov_b32 v2, s100 :: v_dual_mov_b32 v3, s99
	v_dual_mov_b32 v4, s98 :: v_dual_mov_b32 v5, s97
	s_or_b32 s96, vcc_lo, s96
	s_delay_alu instid0(SALU_CYCLE_1)
	s_and_not1_b32 exec_lo, exec_lo, s96
	s_cbranch_execnz .LBB17_75
; %bb.76:                               ;   in Loop: Header=BB17_6 Depth=1
	s_or_b32 exec_lo, exec_lo, s96
.LBB17_77:                              ;   in Loop: Header=BB17_6 Depth=1
	s_delay_alu instid0(SALU_CYCLE_1) | instskip(SKIP_2) | instid1(VALU_DEP_1)
	s_or_b32 exec_lo, exec_lo, s95
	v_add_nc_u32_e32 v6, s94, v0
	s_mov_b32 s19, exec_lo
	v_cmpx_gt_u32_e64 s44, v6
	s_cbranch_execz .LBB17_81
; %bb.78:                               ;   in Loop: Header=BB17_6 Depth=1
	s_mov_b32 s20, 0
.LBB17_79:                              ;   Parent Loop BB17_6 Depth=1
                                        ; =>  This Inner Loop Header: Depth=2
	ds_load_i8 v7, v6
	s_wait_dscnt 0x0
	v_add_nc_u32_e32 v7, 0x80, v7
	s_delay_alu instid0(VALU_DEP_1) | instskip(SKIP_1) | instid1(VALU_DEP_2)
	v_dual_add_nc_u32 v6, s35, v6 :: v_dual_bitop2_b32 v8, v7, v39 bitop3:0x40
	v_bfe_u32 v7, v7, s81, 2
	v_cmp_le_u32_e32 vcc_lo, s44, v6
	s_delay_alu instid0(VALU_DEP_3) | instskip(NEXT) | instid1(VALU_DEP_3)
	v_cmp_eq_u32_e64 s14, v8, v32
	v_cmp_eq_u32_e64 s15, 0, v7
	;; [unrolled: 1-line block ×5, first 2 shown]
	s_and_b32 s15, s14, s15
	s_delay_alu instid0(SALU_CYCLE_1) | instskip(SKIP_1) | instid1(SALU_CYCLE_1)
	v_cndmask_b32_e64 v7, 0, 1, s15
	s_and_b32 s15, s14, s16
	v_cndmask_b32_e64 v8, 0, 1, s15
	s_and_b32 s15, s14, s17
	s_and_b32 s14, s14, s18
	v_cndmask_b32_e64 v9, 0, 1, s15
	v_cndmask_b32_e64 v10, 0, 1, s14
	v_cmp_ne_u32_e64 s14, 0, v7
	v_cmp_ne_u32_e64 s15, 0, v8
	s_delay_alu instid0(VALU_DEP_4) | instskip(NEXT) | instid1(VALU_DEP_4)
	v_cmp_ne_u32_e64 s16, 0, v9
	v_cmp_ne_u32_e64 s17, 0, v10
	s_bcnt1_i32_b32 s14, s14
	s_bcnt1_i32_b32 s15, s15
	s_delay_alu instid0(SALU_CYCLE_1) | instskip(SKIP_2) | instid1(SALU_CYCLE_1)
	v_dual_add_nc_u32 v2, s14, v2 :: v_dual_add_nc_u32 v3, s15, v3
	s_bcnt1_i32_b32 s16, s16
	s_bcnt1_i32_b32 s17, s17
	v_dual_add_nc_u32 v4, s16, v4 :: v_dual_add_nc_u32 v5, s17, v5
	s_or_b32 s20, vcc_lo, s20
	s_delay_alu instid0(SALU_CYCLE_1)
	s_and_not1_b32 exec_lo, exec_lo, s20
	s_cbranch_execnz .LBB17_79
; %bb.80:                               ;   in Loop: Header=BB17_6 Depth=1
	s_or_b32 exec_lo, exec_lo, s20
.LBB17_81:                              ;   in Loop: Header=BB17_6 Depth=1
	s_delay_alu instid0(SALU_CYCLE_1)
	s_or_b32 exec_lo, exec_lo, s19
	s_lshl_b32 s16, s84, 7
	s_and_saveexec_b32 s14, s2
	s_cbranch_execnz .LBB17_52
	s_branch .LBB17_53
.LBB17_82:                              ;   in Loop: Header=BB17_6 Depth=1
	v_mov_b32_e32 v2, 0
	s_mov_b32 s14, 0
	s_cbranch_execz .LBB17_85
.LBB17_83:                              ;   in Loop: Header=BB17_6 Depth=1
	s_lshl_b32 s15, s84, 9
	s_lshl_b32 s18, s14, 4
	s_sub_co_i32 s14, s63, s14
	v_add3_u32 v3, s15, s18, v38
.LBB17_84:                              ;   Parent Loop BB17_6 Depth=1
                                        ; =>  This Inner Loop Header: Depth=2
	ds_load_b32 v5, v3
	v_add_nc_u32_e32 v3, 16, v3
	s_add_co_i32 s14, s14, -1
	s_delay_alu instid0(SALU_CYCLE_1)
	s_cmp_eq_u32 s14, 0
	s_wait_dscnt 0x0
	v_add_nc_u32_e32 v2, v5, v2
	s_cbranch_scc0 .LBB17_84
.LBB17_85:                              ;   in Loop: Header=BB17_6 Depth=1
	s_delay_alu instid0(VALU_DEP_1)
	v_lshlrev_b32_e32 v3, 2, v4
	ds_store_b32 v3, v2 offset:3072
.LBB17_86:                              ;   in Loop: Header=BB17_6 Depth=1
	s_or_b32 exec_lo, exec_lo, s17
	s_lshl_b32 s14, s16, 2
	s_wait_dscnt 0x0
	v_mov_b32_e32 v2, s14
	s_barrier_signal -1
	s_barrier_wait -1
	v_cmp_eq_u32_e64 s14, 1, v41
	ds_load_b128 v[2:5], v2 offset:3072
	s_lshl_b32 s18, 3, s81
	s_mov_b32 s26, -1
	s_not_b32 s19, s18
	s_mov_b32 s16, 0
	s_and_not1_b32 vcc_lo, exec_lo, s57
	s_mov_b32 s23, 0
	s_mov_b32 s15, 0
                                        ; implicit-def: $sgpr24
                                        ; implicit-def: $sgpr25
                                        ; implicit-def: $vgpr6
	s_wait_dscnt 0x0
	v_readfirstlane_b32 s17, v2
	v_readfirstlane_b32 s20, v3
	;; [unrolled: 1-line block ×4, first 2 shown]
                                        ; implicit-def: $vgpr5
                                        ; implicit-def: $vgpr2
                                        ; implicit-def: $vgpr3
                                        ; implicit-def: $vgpr4
	s_cbranch_vccnz .LBB17_245
; %bb.87:                               ;   in Loop: Header=BB17_6 Depth=1
	s_cmp_eq_u32 s17, 1
	v_dual_mov_b32 v3, v32 :: v_dual_mov_b32 v4, v39
	v_mov_b32_e32 v6, v40
	s_cselect_b32 s15, -1, 0
	s_mov_b32 s29, -1
	s_and_b32 s28, s15, s14
                                        ; implicit-def: $sgpr25
                                        ; implicit-def: $sgpr24
	s_delay_alu instid0(SALU_CYCLE_1)
	s_and_saveexec_b32 s15, s28
	s_cbranch_execz .LBB17_114
; %bb.88:                               ;   in Loop: Header=BB17_6 Depth=1
	ds_load_b32 v2, v25 offset:4096
	s_wait_dscnt 0x0
	s_barrier_signal -1
	s_barrier_wait -1
	v_readfirstlane_b32 s26, v2
	s_and_saveexec_b32 s23, s6
; %bb.89:                               ;   in Loop: Header=BB17_6 Depth=1
	ds_store_b8 v0, v25 offset:3072
; %bb.90:                               ;   in Loop: Header=BB17_6 Depth=1
	s_or_b32 exec_lo, exec_lo, s23
	v_and_b32_e32 v3, s19, v32
	v_or_b32_e32 v4, s18, v39
	s_mov_b32 s24, -1
	s_mov_b32 s25, 0
	s_cmp_eq_u32 s26, 0
	s_mov_b32 s23, 0
	s_mov_b32 s27, -1
	s_wait_dscnt 0x0
	s_barrier_signal -1
	s_barrier_wait -1
                                        ; implicit-def: $vgpr6
	s_cbranch_scc1 .LBB17_101
; %bb.91:                               ;   in Loop: Header=BB17_6 Depth=1
	s_add_co_i32 s44, s26, s62
	s_mov_b32 s29, exec_lo
	s_mul_u64 s[30:31], s[44:45], s[48:49]
                                        ; implicit-def: $vgpr6
	s_delay_alu instid0(SALU_CYCLE_1) | instskip(NEXT) | instid1(SALU_CYCLE_1)
	s_mul_i32 s23, s31, s35
	s_sub_co_i32 s23, s44, s23
	s_delay_alu instid0(SALU_CYCLE_1) | instskip(SKIP_2) | instid1(SALU_CYCLE_1)
	s_sub_co_i32 s27, s23, s35
	s_cmp_ge_u32 s23, s35
	s_cselect_b32 s23, s27, s23
	s_sub_co_i32 s27, s23, s35
	s_cmp_ge_u32 s23, s35
	s_cselect_b32 s23, s27, s23
	s_mov_b32 s27, 0
	s_sub_co_i32 s30, s44, s23
	s_mov_b32 s23, 0
	v_cmpx_gt_u32_e64 s30, v0
	s_cbranch_execz .LBB17_100
; %bb.92:                               ;   in Loop: Header=BB17_6 Depth=1
	v_mov_b32_e32 v2, v0
                                        ; implicit-def: $sgpr31
	s_branch .LBB17_95
.LBB17_93:                              ;   in Loop: Header=BB17_95 Depth=2
	s_or_b32 exec_lo, exec_lo, s33
	s_wait_dscnt 0x0
	s_barrier_signal -1
	s_barrier_wait -1
	ds_load_u16 v5, v25 offset:3072
	s_mov_b32 s34, -1
	s_mov_b32 s33, -1
	s_wait_dscnt 0x0
	s_barrier_signal -1
	s_barrier_wait -1
	v_and_b32_e32 v6, 0xff, v5
	s_delay_alu instid0(VALU_DEP_1)
	v_cmp_ne_u32_e32 vcc_lo, 0, v6
	s_cbranch_vccz .LBB17_98
.LBB17_94:                              ;   in Loop: Header=BB17_95 Depth=2
	s_and_b32 s34, exec_lo, s34
	s_delay_alu instid0(SALU_CYCLE_1) | instskip(SKIP_2) | instid1(SALU_CYCLE_1)
	s_or_b32 s23, s34, s23
	s_and_not1_b32 s31, s31, exec_lo
	s_and_b32 s33, s33, exec_lo
	s_or_b32 s31, s31, s33
	s_and_not1_b32 exec_lo, exec_lo, s23
	s_cbranch_execz .LBB17_99
.LBB17_95:                              ;   Parent Loop BB17_6 Depth=1
                                        ; =>  This Inner Loop Header: Depth=2
	s_mov_b32 s33, exec_lo
	s_delay_alu instid0(VALU_DEP_1)
	v_cmpx_gt_u32_e64 s26, v2
	s_cbranch_execz .LBB17_93
; %bb.96:                               ;   in Loop: Header=BB17_95 Depth=2
	ds_load_u8 v5, v2
	s_wait_dscnt 0x0
	v_bfe_i32 v6, v5, 0, 8
	s_delay_alu instid0(VALU_DEP_1) | instskip(NEXT) | instid1(VALU_DEP_1)
	v_add_nc_u32_e32 v6, 0x80, v6
	v_and_b32_e32 v6, v6, v4
	s_delay_alu instid0(VALU_DEP_1)
	v_cmp_eq_u32_e32 vcc_lo, v6, v3
	s_and_b32 exec_lo, exec_lo, vcc_lo
	s_cbranch_execz .LBB17_93
; %bb.97:                               ;   in Loop: Header=BB17_95 Depth=2
	v_lshlrev_b16 v5, 8, v5
	s_delay_alu instid0(VALU_DEP_1)
	v_or_b32_e32 v5, 1, v5
	ds_store_b16 v25, v5 offset:3072
	s_branch .LBB17_93
.LBB17_98:                              ;   in Loop: Header=BB17_95 Depth=2
	v_add_nc_u32_e32 v2, s35, v2
	s_mov_b32 s33, 0
	s_delay_alu instid0(VALU_DEP_1)
	v_cmp_le_u32_e32 vcc_lo, s30, v2
	s_or_not1_b32 s34, vcc_lo, exec_lo
	s_branch .LBB17_94
.LBB17_99:                              ;   in Loop: Header=BB17_6 Depth=1
	s_or_b32 exec_lo, exec_lo, s23
	v_and_b32_e32 v2, 0xffff, v5
	s_and_b32 s23, s31, exec_lo
	s_delay_alu instid0(VALU_DEP_1)
	v_lshrrev_b32_e32 v6, 8, v2
.LBB17_100:                             ;   in Loop: Header=BB17_6 Depth=1
	s_or_b32 exec_lo, exec_lo, s29
.LBB17_101:                             ;   in Loop: Header=BB17_6 Depth=1
	s_delay_alu instid0(SALU_CYCLE_1)
	s_and_b32 vcc_lo, exec_lo, s27
	s_cbranch_vccz .LBB17_113
; %bb.102:                              ;   in Loop: Header=BB17_6 Depth=1
                                        ; implicit-def: $vgpr6
	s_and_saveexec_b32 s24, s13
	s_cbranch_execz .LBB17_112
; %bb.103:                              ;   in Loop: Header=BB17_6 Depth=1
	v_dual_mov_b32 v2, v22 :: v_dual_mov_b32 v5, v0
	s_mov_b32 s26, 0
                                        ; implicit-def: $sgpr25
	s_branch .LBB17_106
.LBB17_104:                             ;   in Loop: Header=BB17_106 Depth=2
	s_or_b32 exec_lo, exec_lo, s27
	s_wait_dscnt 0x0
	s_barrier_signal -1
	s_barrier_wait -1
	ds_load_u16 v6, v25 offset:3072
	s_mov_b32 s27, -1
	s_mov_b32 s29, -1
	s_wait_dscnt 0x0
	s_barrier_signal -1
	s_barrier_wait -1
	v_and_b32_e32 v7, 0xff, v6
	s_delay_alu instid0(VALU_DEP_1)
	v_cmp_ne_u32_e32 vcc_lo, 0, v7
	s_cbranch_vccz .LBB17_109
.LBB17_105:                             ;   in Loop: Header=BB17_106 Depth=2
	s_and_b32 s27, exec_lo, s27
	s_delay_alu instid0(SALU_CYCLE_1) | instskip(SKIP_2) | instid1(SALU_CYCLE_1)
	s_or_b32 s26, s27, s26
	s_and_not1_b32 s25, s25, exec_lo
	s_and_b32 s27, s29, exec_lo
	s_or_b32 s25, s25, s27
	s_and_not1_b32 exec_lo, exec_lo, s26
	s_cbranch_execz .LBB17_111
.LBB17_106:                             ;   Parent Loop BB17_6 Depth=1
                                        ; =>  This Inner Loop Header: Depth=2
	s_mov_b32 s27, exec_lo
	s_delay_alu instid0(VALU_DEP_1)
	v_cmpx_gt_u32_e64 s36, v5
	s_cbranch_execz .LBB17_104
; %bb.107:                              ;   in Loop: Header=BB17_106 Depth=2
	global_load_u8 v6, v2, s[38:39]
	s_wait_loadcnt 0x0
	v_bfe_i32 v7, v6, 0, 8
	s_delay_alu instid0(VALU_DEP_1) | instskip(NEXT) | instid1(VALU_DEP_1)
	v_add_nc_u32_e32 v7, 0x80, v7
	v_and_b32_e32 v7, v7, v4
	s_delay_alu instid0(VALU_DEP_1)
	v_cmp_eq_u32_e32 vcc_lo, v7, v3
	s_and_b32 exec_lo, exec_lo, vcc_lo
	s_cbranch_execz .LBB17_104
; %bb.108:                              ;   in Loop: Header=BB17_106 Depth=2
	v_lshlrev_b16 v6, 8, v6
	s_delay_alu instid0(VALU_DEP_1)
	v_or_b32_e32 v6, 1, v6
	ds_store_b16 v25, v6 offset:3072
	s_branch .LBB17_104
.LBB17_109:                             ;   in Loop: Header=BB17_106 Depth=2
	v_dual_add_nc_u32 v5, s35, v5 :: v_dual_add_nc_u32 v2, s53, v2
	s_mov_b32 s29, 0
	s_delay_alu instid0(VALU_DEP_1)
	v_cmp_le_u32_e32 vcc_lo, s79, v5
	s_or_not1_b32 s27, vcc_lo, exec_lo
	s_branch .LBB17_105
.LBB17_110:                             ;   in Loop: Header=BB17_6 Depth=1
	s_mov_b64 s[14:15], 0x100000000
	v_mov_b64_e32 v[2:3], 0
	s_and_not1_b32 vcc_lo, exec_lo, s70
	s_mov_b32 s18, s66
	s_cbranch_vccz .LBB17_60
	s_branch .LBB17_61
.LBB17_111:                             ;   in Loop: Header=BB17_6 Depth=1
	s_or_b32 exec_lo, exec_lo, s26
	v_and_b32_e32 v2, 0xffff, v6
	s_and_not1_b32 s23, s23, exec_lo
	s_and_b32 s25, s25, exec_lo
	s_delay_alu instid0(SALU_CYCLE_1) | instskip(NEXT) | instid1(VALU_DEP_1)
	s_or_b32 s23, s23, s25
	v_lshrrev_b32_e32 v6, 8, v2
.LBB17_112:                             ;   in Loop: Header=BB17_6 Depth=1
	s_or_b32 exec_lo, exec_lo, s24
	s_mov_b32 s24, 0
	s_mov_b32 s25, -1
.LBB17_113:                             ;   in Loop: Header=BB17_6 Depth=1
	s_or_not1_b32 s29, s23, exec_lo
.LBB17_114:                             ;   in Loop: Header=BB17_6 Depth=1
	s_or_b32 exec_lo, exec_lo, s15
	s_mov_b32 s26, 0
	s_mov_b32 s23, 0
	;; [unrolled: 1-line block ×3, first 2 shown]
                                        ; implicit-def: $vgpr5
                                        ; implicit-def: $vgpr2
	s_and_saveexec_b32 s27, s29
	s_cbranch_execz .LBB17_244
; %bb.115:                              ;   in Loop: Header=BB17_6 Depth=1
	v_dual_mov_b32 v5, 1 :: v_dual_mov_b32 v2, 1
	s_xor_b32 s23, s28, -1
	s_mov_b32 s30, 0
	s_and_saveexec_b32 s15, s23
	s_cbranch_execz .LBB17_124
; %bb.116:                              ;   in Loop: Header=BB17_6 Depth=1
	s_mov_b32 s23, exec_lo
	v_cmpx_ge_u32_e64 s17, v41
	s_xor_b32 s23, exec_lo, s23
	s_cbranch_execz .LBB17_121
; %bb.117:                              ;   in Loop: Header=BB17_6 Depth=1
	ds_load_b32 v2, v25 offset:4096
	v_and_b32_e32 v3, s19, v3
	v_or_b32_e32 v4, s18, v4
	s_wait_dscnt 0x0
	v_cmp_ne_u32_e32 vcc_lo, 0, v2
	s_cbranch_vccnz .LBB17_121
; %bb.118:                              ;   in Loop: Header=BB17_6 Depth=1
	s_and_saveexec_b32 s28, s5
; %bb.119:                              ;   in Loop: Header=BB17_6 Depth=1
	v_mov_b32_e32 v2, s17
	ds_store_b32 v25, v2 offset:4100
; %bb.120:                              ;   in Loop: Header=BB17_6 Depth=1
	s_or_b32 exec_lo, exec_lo, s28
	s_wait_dscnt 0x0
	s_barrier_signal -1
	s_barrier_wait -1
.LBB17_121:                             ;   in Loop: Header=BB17_6 Depth=1
	s_or_saveexec_b32 s23, s23
	v_dual_mov_b32 v2, 8 :: v_dual_mov_b32 v5, v41
	s_mov_b32 s28, 0
	s_xor_b32 exec_lo, exec_lo, s23
; %bb.122:                              ;   in Loop: Header=BB17_6 Depth=1
	v_subrev_nc_u32_e32 v5, s17, v41
	v_mov_b32_e32 v2, 0
	s_mov_b32 s28, exec_lo
; %bb.123:                              ;   in Loop: Header=BB17_6 Depth=1
	s_or_b32 exec_lo, exec_lo, s23
	s_delay_alu instid0(SALU_CYCLE_1)
	s_and_b32 s30, s28, exec_lo
.LBB17_124:                             ;   in Loop: Header=BB17_6 Depth=1
	s_or_b32 exec_lo, exec_lo, s15
	s_mov_b32 s29, -1
                                        ; implicit-def: $sgpr23
                                        ; implicit-def: $sgpr28
	s_and_saveexec_b32 s15, s30
	s_delay_alu instid0(SALU_CYCLE_1)
	s_xor_b32 s15, exec_lo, s15
	s_cbranch_execz .LBB17_241
; %bb.125:                              ;   in Loop: Header=BB17_6 Depth=1
	v_cmp_eq_u32_e32 vcc_lo, 1, v5
	s_cmp_eq_u32 s20, 1
	s_mov_b32 s31, -1
	s_cselect_b32 s23, -1, 0
                                        ; implicit-def: $sgpr28
	s_delay_alu instid0(SALU_CYCLE_1) | instskip(NEXT) | instid1(SALU_CYCLE_1)
	s_and_b32 s30, s23, vcc_lo
                                        ; implicit-def: $sgpr23
	s_and_saveexec_b32 s29, s30
	s_cbranch_execz .LBB17_151
; %bb.126:                              ;   in Loop: Header=BB17_6 Depth=1
	ds_load_b32 v6, v25 offset:4096
	s_wait_dscnt 0x0
	s_barrier_signal -1
	s_barrier_wait -1
	v_readfirstlane_b32 s33, v6
	s_and_saveexec_b32 s23, s6
; %bb.127:                              ;   in Loop: Header=BB17_6 Depth=1
	ds_store_b8 v0, v25 offset:3072
; %bb.128:                              ;   in Loop: Header=BB17_6 Depth=1
	s_or_b32 exec_lo, exec_lo, s23
	s_lshl_b32 s23, 1, s81
	v_or_b32_e32 v4, s18, v4
	v_and_or_b32 v3, v3, s19, s23
	s_mov_b32 s23, -1
	s_mov_b32 s28, 0
	s_cmp_eq_u32 s33, 0
	s_mov_b32 s31, 0
	s_mov_b32 s34, -1
	s_wait_dscnt 0x0
	s_barrier_signal -1
	s_barrier_wait -1
                                        ; implicit-def: $vgpr6
	s_cbranch_scc1 .LBB17_139
; %bb.129:                              ;   in Loop: Header=BB17_6 Depth=1
	s_add_co_i32 s44, s33, s62
                                        ; implicit-def: $vgpr6
	s_delay_alu instid0(SALU_CYCLE_1) | instskip(NEXT) | instid1(SALU_CYCLE_1)
	s_mul_u64 s[94:95], s[44:45], s[48:49]
	s_mul_i32 s31, s95, s35
	s_delay_alu instid0(SALU_CYCLE_1) | instskip(NEXT) | instid1(SALU_CYCLE_1)
	s_sub_co_i32 s31, s44, s31
	s_sub_co_i32 s34, s31, s35
	s_cmp_ge_u32 s31, s35
	s_cselect_b32 s31, s34, s31
	s_delay_alu instid0(SALU_CYCLE_1)
	s_sub_co_i32 s34, s31, s35
	s_cmp_ge_u32 s31, s35
	s_cselect_b32 s31, s34, s31
	s_mov_b32 s34, 0
	s_sub_co_i32 s94, s44, s31
	s_mov_b32 s31, 0
	s_mov_b32 s44, exec_lo
	v_cmpx_gt_u32_e64 s94, v0
	s_cbranch_execz .LBB17_138
; %bb.130:                              ;   in Loop: Header=BB17_6 Depth=1
	v_mov_b32_e32 v6, v0
                                        ; implicit-def: $sgpr95
	s_branch .LBB17_133
.LBB17_131:                             ;   in Loop: Header=BB17_133 Depth=2
	s_or_b32 exec_lo, exec_lo, s96
	s_wait_dscnt 0x0
	s_barrier_signal -1
	s_barrier_wait -1
	ds_load_u16 v7, v25 offset:3072
	s_mov_b32 s97, -1
	s_mov_b32 s96, -1
	s_wait_dscnt 0x0
	s_barrier_signal -1
	s_barrier_wait -1
	v_and_b32_e32 v8, 0xff, v7
	s_delay_alu instid0(VALU_DEP_1)
	v_cmp_ne_u32_e32 vcc_lo, 0, v8
	s_cbranch_vccz .LBB17_136
.LBB17_132:                             ;   in Loop: Header=BB17_133 Depth=2
	s_and_b32 s97, exec_lo, s97
	s_delay_alu instid0(SALU_CYCLE_1) | instskip(SKIP_2) | instid1(SALU_CYCLE_1)
	s_or_b32 s31, s97, s31
	s_and_not1_b32 s95, s95, exec_lo
	s_and_b32 s96, s96, exec_lo
	s_or_b32 s95, s95, s96
	s_and_not1_b32 exec_lo, exec_lo, s31
	s_cbranch_execz .LBB17_137
.LBB17_133:                             ;   Parent Loop BB17_6 Depth=1
                                        ; =>  This Inner Loop Header: Depth=2
	s_mov_b32 s96, exec_lo
	s_delay_alu instid0(VALU_DEP_1)
	v_cmpx_gt_u32_e64 s33, v6
	s_cbranch_execz .LBB17_131
; %bb.134:                              ;   in Loop: Header=BB17_133 Depth=2
	ds_load_u8 v7, v6
	s_wait_dscnt 0x0
	v_bfe_i32 v8, v7, 0, 8
	s_delay_alu instid0(VALU_DEP_1) | instskip(NEXT) | instid1(VALU_DEP_1)
	v_add_nc_u32_e32 v8, 0x80, v8
	v_and_b32_e32 v8, v8, v4
	s_delay_alu instid0(VALU_DEP_1)
	v_cmp_eq_u32_e32 vcc_lo, v8, v3
	s_and_b32 exec_lo, exec_lo, vcc_lo
	s_cbranch_execz .LBB17_131
; %bb.135:                              ;   in Loop: Header=BB17_133 Depth=2
	v_lshlrev_b16 v7, 8, v7
	s_delay_alu instid0(VALU_DEP_1)
	v_or_b32_e32 v7, 1, v7
	ds_store_b16 v25, v7 offset:3072
	s_branch .LBB17_131
.LBB17_136:                             ;   in Loop: Header=BB17_133 Depth=2
	v_add_nc_u32_e32 v6, s35, v6
	s_mov_b32 s96, 0
	s_delay_alu instid0(VALU_DEP_1)
	v_cmp_le_u32_e32 vcc_lo, s94, v6
	s_or_not1_b32 s97, vcc_lo, exec_lo
	s_branch .LBB17_132
.LBB17_137:                             ;   in Loop: Header=BB17_6 Depth=1
	s_or_b32 exec_lo, exec_lo, s31
	v_and_b32_e32 v6, 0xffff, v7
	s_and_b32 s31, s95, exec_lo
	s_delay_alu instid0(VALU_DEP_1)
	v_lshrrev_b32_e32 v6, 8, v6
.LBB17_138:                             ;   in Loop: Header=BB17_6 Depth=1
	s_or_b32 exec_lo, exec_lo, s44
.LBB17_139:                             ;   in Loop: Header=BB17_6 Depth=1
	s_delay_alu instid0(SALU_CYCLE_1)
	s_and_b32 vcc_lo, exec_lo, s34
	s_cbranch_vccz .LBB17_150
; %bb.140:                              ;   in Loop: Header=BB17_6 Depth=1
                                        ; implicit-def: $vgpr6
	s_and_saveexec_b32 s23, s13
	s_cbranch_execz .LBB17_149
; %bb.141:                              ;   in Loop: Header=BB17_6 Depth=1
	v_dual_mov_b32 v6, v22 :: v_dual_mov_b32 v7, v0
	s_mov_b32 s28, 0
                                        ; implicit-def: $sgpr33
	s_branch .LBB17_144
.LBB17_142:                             ;   in Loop: Header=BB17_144 Depth=2
	s_or_b32 exec_lo, exec_lo, s34
	s_wait_dscnt 0x0
	s_barrier_signal -1
	s_barrier_wait -1
	ds_load_u16 v8, v25 offset:3072
	s_mov_b32 s34, -1
	s_mov_b32 s44, -1
	s_wait_dscnt 0x0
	s_barrier_signal -1
	s_barrier_wait -1
	v_and_b32_e32 v9, 0xff, v8
	s_delay_alu instid0(VALU_DEP_1)
	v_cmp_eq_u32_e32 vcc_lo, 0, v9
	s_cbranch_vccnz .LBB17_147
.LBB17_143:                             ;   in Loop: Header=BB17_144 Depth=2
	s_and_b32 s34, exec_lo, s34
	s_delay_alu instid0(SALU_CYCLE_1) | instskip(SKIP_2) | instid1(SALU_CYCLE_1)
	s_or_b32 s28, s34, s28
	s_and_not1_b32 s33, s33, exec_lo
	s_and_b32 s34, s44, exec_lo
	s_or_b32 s33, s33, s34
	s_and_not1_b32 exec_lo, exec_lo, s28
	s_cbranch_execz .LBB17_148
.LBB17_144:                             ;   Parent Loop BB17_6 Depth=1
                                        ; =>  This Inner Loop Header: Depth=2
	s_mov_b32 s34, exec_lo
	s_delay_alu instid0(VALU_DEP_1)
	v_cmpx_gt_u32_e64 s36, v7
	s_cbranch_execz .LBB17_142
; %bb.145:                              ;   in Loop: Header=BB17_144 Depth=2
	global_load_u8 v8, v6, s[38:39]
	s_wait_loadcnt 0x0
	v_bfe_i32 v9, v8, 0, 8
	s_delay_alu instid0(VALU_DEP_1) | instskip(NEXT) | instid1(VALU_DEP_1)
	v_add_nc_u32_e32 v9, 0x80, v9
	v_and_b32_e32 v9, v9, v4
	s_delay_alu instid0(VALU_DEP_1)
	v_cmp_eq_u32_e32 vcc_lo, v9, v3
	s_and_b32 exec_lo, exec_lo, vcc_lo
	s_cbranch_execz .LBB17_142
; %bb.146:                              ;   in Loop: Header=BB17_144 Depth=2
	v_lshlrev_b16 v8, 8, v8
	s_delay_alu instid0(VALU_DEP_1)
	v_or_b32_e32 v8, 1, v8
	ds_store_b16 v25, v8 offset:3072
	s_branch .LBB17_142
.LBB17_147:                             ;   in Loop: Header=BB17_144 Depth=2
	v_dual_add_nc_u32 v7, s35, v7 :: v_dual_add_nc_u32 v6, s53, v6
	s_mov_b32 s44, 0
	s_delay_alu instid0(VALU_DEP_1)
	v_cmp_le_u32_e32 vcc_lo, s79, v7
	s_or_not1_b32 s34, vcc_lo, exec_lo
	s_branch .LBB17_143
.LBB17_148:                             ;   in Loop: Header=BB17_6 Depth=1
	s_or_b32 exec_lo, exec_lo, s28
	v_and_b32_e32 v6, 0xffff, v8
	s_and_not1_b32 s28, s31, exec_lo
	s_and_b32 s31, s33, exec_lo
	s_delay_alu instid0(SALU_CYCLE_1) | instskip(NEXT) | instid1(VALU_DEP_1)
	s_or_b32 s31, s28, s31
	v_lshrrev_b32_e32 v6, 8, v6
.LBB17_149:                             ;   in Loop: Header=BB17_6 Depth=1
	s_or_b32 exec_lo, exec_lo, s23
	s_mov_b32 s23, 0
	s_mov_b32 s28, -1
.LBB17_150:                             ;   in Loop: Header=BB17_6 Depth=1
	s_or_not1_b32 s31, s31, exec_lo
.LBB17_151:                             ;   in Loop: Header=BB17_6 Depth=1
	s_or_b32 exec_lo, exec_lo, s29
	s_mov_b32 s33, 0
	s_and_saveexec_b32 s29, s31
	s_cbranch_execz .LBB17_240
; %bb.152:                              ;   in Loop: Header=BB17_6 Depth=1
	v_dual_mov_b32 v7, 1 :: v_dual_mov_b32 v2, 1
	s_xor_b32 s31, s30, -1
	s_mov_b32 s44, 0
	s_and_saveexec_b32 s30, s31
	s_cbranch_execz .LBB17_161
; %bb.153:                              ;   in Loop: Header=BB17_6 Depth=1
	s_mov_b32 s31, exec_lo
	v_cmpx_ge_u32_e64 s20, v5
	s_xor_b32 s31, exec_lo, s31
	s_cbranch_execz .LBB17_158
; %bb.154:                              ;   in Loop: Header=BB17_6 Depth=1
	ds_load_b32 v2, v25 offset:4096
	s_lshl_b32 s33, 1, s81
	v_or_b32_e32 v4, s18, v4
	v_and_or_b32 v3, v3, s19, s33
	s_wait_dscnt 0x0
	v_cmp_ne_u32_e32 vcc_lo, 0, v2
	s_cbranch_vccnz .LBB17_158
; %bb.155:                              ;   in Loop: Header=BB17_6 Depth=1
	s_and_saveexec_b32 s33, s5
; %bb.156:                              ;   in Loop: Header=BB17_6 Depth=1
	v_mov_b32_e32 v2, s20
	ds_store_b32 v25, v2 offset:4100
; %bb.157:                              ;   in Loop: Header=BB17_6 Depth=1
	s_or_b32 exec_lo, exec_lo, s33
	s_wait_dscnt 0x0
	s_barrier_signal -1
	s_barrier_wait -1
.LBB17_158:                             ;   in Loop: Header=BB17_6 Depth=1
	s_or_saveexec_b32 s31, s31
	v_mov_b32_e32 v2, 8
	s_mov_b32 s33, 0
	s_xor_b32 exec_lo, exec_lo, s31
; %bb.159:                              ;   in Loop: Header=BB17_6 Depth=1
	v_subrev_nc_u32_e32 v5, s20, v5
	v_mov_b32_e32 v2, 0
	s_mov_b32 s33, exec_lo
; %bb.160:                              ;   in Loop: Header=BB17_6 Depth=1
	s_or_b32 exec_lo, exec_lo, s31
	s_delay_alu instid0(VALU_DEP_2)
	v_mov_b32_e32 v7, v5
	s_and_b32 s44, s33, exec_lo
.LBB17_161:                             ;   in Loop: Header=BB17_6 Depth=1
	s_or_b32 exec_lo, exec_lo, s30
	s_mov_b32 s34, -1
                                        ; implicit-def: $sgpr31
                                        ; implicit-def: $sgpr33
	s_and_saveexec_b32 s30, s44
	s_cbranch_execz .LBB17_239
; %bb.162:                              ;   in Loop: Header=BB17_6 Depth=1
	v_cmp_eq_u32_e32 vcc_lo, 1, v7
	s_cmp_eq_u32 s21, 1
	s_mov_b32 s44, -1
	s_cselect_b32 s31, -1, 0
                                        ; implicit-def: $sgpr33
	s_delay_alu instid0(SALU_CYCLE_1) | instskip(NEXT) | instid1(SALU_CYCLE_1)
	s_and_b32 s94, s31, vcc_lo
                                        ; implicit-def: $sgpr31
	s_and_saveexec_b32 s34, s94
	s_cbranch_execz .LBB17_188
; %bb.163:                              ;   in Loop: Header=BB17_6 Depth=1
	ds_load_b32 v5, v25 offset:4096
	s_wait_dscnt 0x0
	s_barrier_signal -1
	s_barrier_wait -1
	v_readfirstlane_b32 s95, v5
	s_and_saveexec_b32 s31, s6
; %bb.164:                              ;   in Loop: Header=BB17_6 Depth=1
	ds_store_b8 v0, v25 offset:3072
; %bb.165:                              ;   in Loop: Header=BB17_6 Depth=1
	s_or_b32 exec_lo, exec_lo, s31
	s_lshl_b32 s31, 2, s81
	v_or_b32_e32 v4, s18, v4
	v_and_or_b32 v3, v3, s19, s31
	s_mov_b32 s31, -1
	s_mov_b32 s33, 0
	s_cmp_eq_u32 s95, 0
	s_mov_b32 s44, 0
	s_mov_b32 s96, -1
	s_wait_dscnt 0x0
	s_barrier_signal -1
	s_barrier_wait -1
                                        ; implicit-def: $vgpr6
	s_cbranch_scc1 .LBB17_176
; %bb.166:                              ;   in Loop: Header=BB17_6 Depth=1
	s_add_co_i32 s44, s95, s62
                                        ; implicit-def: $vgpr6
	s_delay_alu instid0(SALU_CYCLE_1) | instskip(NEXT) | instid1(SALU_CYCLE_1)
	s_mul_u64 s[96:97], s[44:45], s[48:49]
	s_mul_i32 s96, s97, s35
	s_delay_alu instid0(SALU_CYCLE_1) | instskip(NEXT) | instid1(SALU_CYCLE_1)
	s_sub_co_i32 s96, s44, s96
	s_sub_co_i32 s97, s96, s35
	s_cmp_ge_u32 s96, s35
	s_cselect_b32 s96, s97, s96
	s_delay_alu instid0(SALU_CYCLE_1)
	s_sub_co_i32 s97, s96, s35
	s_cmp_ge_u32 s96, s35
	s_cselect_b32 s96, s97, s96
	s_mov_b32 s97, exec_lo
	s_sub_co_i32 s98, s44, s96
	s_mov_b32 s96, 0
	s_mov_b32 s44, 0
	v_cmpx_gt_u32_e64 s98, v0
	s_cbranch_execz .LBB17_175
; %bb.167:                              ;   in Loop: Header=BB17_6 Depth=1
	v_mov_b32_e32 v5, v0
                                        ; implicit-def: $sgpr99
	s_branch .LBB17_170
.LBB17_168:                             ;   in Loop: Header=BB17_170 Depth=2
	s_or_b32 exec_lo, exec_lo, s100
	s_wait_dscnt 0x0
	s_barrier_signal -1
	s_barrier_wait -1
	ds_load_u16 v6, v25 offset:3072
	s_mov_b32 s101, -1
	s_mov_b32 s100, -1
	s_wait_dscnt 0x0
	s_barrier_signal -1
	s_barrier_wait -1
	v_and_b32_e32 v8, 0xff, v6
	s_delay_alu instid0(VALU_DEP_1)
	v_cmp_ne_u32_e32 vcc_lo, 0, v8
	s_cbranch_vccz .LBB17_173
.LBB17_169:                             ;   in Loop: Header=BB17_170 Depth=2
	s_and_b32 s101, exec_lo, s101
	s_delay_alu instid0(SALU_CYCLE_1) | instskip(SKIP_2) | instid1(SALU_CYCLE_1)
	s_or_b32 s44, s101, s44
	s_and_not1_b32 s99, s99, exec_lo
	s_and_b32 s100, s100, exec_lo
	s_or_b32 s99, s99, s100
	s_and_not1_b32 exec_lo, exec_lo, s44
	s_cbranch_execz .LBB17_174
.LBB17_170:                             ;   Parent Loop BB17_6 Depth=1
                                        ; =>  This Inner Loop Header: Depth=2
	s_mov_b32 s100, exec_lo
	s_delay_alu instid0(VALU_DEP_1)
	v_cmpx_gt_u32_e64 s95, v5
	s_cbranch_execz .LBB17_168
; %bb.171:                              ;   in Loop: Header=BB17_170 Depth=2
	ds_load_u8 v6, v5
	s_wait_dscnt 0x0
	v_bfe_i32 v8, v6, 0, 8
	s_delay_alu instid0(VALU_DEP_1) | instskip(NEXT) | instid1(VALU_DEP_1)
	v_add_nc_u32_e32 v8, 0x80, v8
	v_and_b32_e32 v8, v8, v4
	s_delay_alu instid0(VALU_DEP_1)
	v_cmp_eq_u32_e32 vcc_lo, v8, v3
	s_and_b32 exec_lo, exec_lo, vcc_lo
	s_cbranch_execz .LBB17_168
; %bb.172:                              ;   in Loop: Header=BB17_170 Depth=2
	v_lshlrev_b16 v6, 8, v6
	s_delay_alu instid0(VALU_DEP_1)
	v_or_b32_e32 v6, 1, v6
	ds_store_b16 v25, v6 offset:3072
	s_branch .LBB17_168
.LBB17_173:                             ;   in Loop: Header=BB17_170 Depth=2
	v_add_nc_u32_e32 v5, s35, v5
	s_mov_b32 s100, 0
	s_delay_alu instid0(VALU_DEP_1)
	v_cmp_le_u32_e32 vcc_lo, s98, v5
	s_or_not1_b32 s101, vcc_lo, exec_lo
	s_branch .LBB17_169
.LBB17_174:                             ;   in Loop: Header=BB17_6 Depth=1
	s_or_b32 exec_lo, exec_lo, s44
	v_and_b32_e32 v5, 0xffff, v6
	s_and_b32 s44, s99, exec_lo
	s_delay_alu instid0(VALU_DEP_1)
	v_lshrrev_b32_e32 v6, 8, v5
.LBB17_175:                             ;   in Loop: Header=BB17_6 Depth=1
	s_or_b32 exec_lo, exec_lo, s97
.LBB17_176:                             ;   in Loop: Header=BB17_6 Depth=1
	s_delay_alu instid0(SALU_CYCLE_1)
	s_and_b32 vcc_lo, exec_lo, s96
	s_cbranch_vccz .LBB17_187
; %bb.177:                              ;   in Loop: Header=BB17_6 Depth=1
                                        ; implicit-def: $vgpr6
	s_and_saveexec_b32 s31, s13
	s_cbranch_execz .LBB17_186
; %bb.178:                              ;   in Loop: Header=BB17_6 Depth=1
	v_dual_mov_b32 v5, v22 :: v_dual_mov_b32 v6, v0
	s_mov_b32 s33, 0
                                        ; implicit-def: $sgpr95
	s_branch .LBB17_181
.LBB17_179:                             ;   in Loop: Header=BB17_181 Depth=2
	s_or_b32 exec_lo, exec_lo, s96
	s_wait_dscnt 0x0
	s_barrier_signal -1
	s_barrier_wait -1
	ds_load_u16 v8, v25 offset:3072
	s_mov_b32 s96, -1
	s_mov_b32 s97, -1
	s_wait_dscnt 0x0
	s_barrier_signal -1
	s_barrier_wait -1
	v_and_b32_e32 v9, 0xff, v8
	s_delay_alu instid0(VALU_DEP_1)
	v_cmp_eq_u32_e32 vcc_lo, 0, v9
	s_cbranch_vccnz .LBB17_184
.LBB17_180:                             ;   in Loop: Header=BB17_181 Depth=2
	s_and_b32 s96, exec_lo, s96
	s_delay_alu instid0(SALU_CYCLE_1) | instskip(SKIP_2) | instid1(SALU_CYCLE_1)
	s_or_b32 s33, s96, s33
	s_and_not1_b32 s95, s95, exec_lo
	s_and_b32 s96, s97, exec_lo
	s_or_b32 s95, s95, s96
	s_and_not1_b32 exec_lo, exec_lo, s33
	s_cbranch_execz .LBB17_185
.LBB17_181:                             ;   Parent Loop BB17_6 Depth=1
                                        ; =>  This Inner Loop Header: Depth=2
	s_mov_b32 s96, exec_lo
	s_delay_alu instid0(VALU_DEP_1)
	v_cmpx_gt_u32_e64 s36, v6
	s_cbranch_execz .LBB17_179
; %bb.182:                              ;   in Loop: Header=BB17_181 Depth=2
	global_load_u8 v8, v5, s[38:39]
	s_wait_loadcnt 0x0
	v_bfe_i32 v9, v8, 0, 8
	s_delay_alu instid0(VALU_DEP_1) | instskip(NEXT) | instid1(VALU_DEP_1)
	v_add_nc_u32_e32 v9, 0x80, v9
	v_and_b32_e32 v9, v9, v4
	s_delay_alu instid0(VALU_DEP_1)
	v_cmp_eq_u32_e32 vcc_lo, v9, v3
	s_and_b32 exec_lo, exec_lo, vcc_lo
	s_cbranch_execz .LBB17_179
; %bb.183:                              ;   in Loop: Header=BB17_181 Depth=2
	v_lshlrev_b16 v8, 8, v8
	s_delay_alu instid0(VALU_DEP_1)
	v_or_b32_e32 v8, 1, v8
	ds_store_b16 v25, v8 offset:3072
	s_branch .LBB17_179
.LBB17_184:                             ;   in Loop: Header=BB17_181 Depth=2
	v_dual_add_nc_u32 v6, s35, v6 :: v_dual_add_nc_u32 v5, s53, v5
	s_mov_b32 s97, 0
	s_delay_alu instid0(VALU_DEP_1)
	v_cmp_le_u32_e32 vcc_lo, s79, v6
	s_or_not1_b32 s96, vcc_lo, exec_lo
	s_branch .LBB17_180
.LBB17_185:                             ;   in Loop: Header=BB17_6 Depth=1
	s_or_b32 exec_lo, exec_lo, s33
	v_and_b32_e32 v5, 0xffff, v8
	s_and_not1_b32 s33, s44, exec_lo
	s_and_b32 s44, s95, exec_lo
	s_delay_alu instid0(SALU_CYCLE_1) | instskip(NEXT) | instid1(VALU_DEP_1)
	s_or_b32 s44, s33, s44
	v_lshrrev_b32_e32 v6, 8, v5
.LBB17_186:                             ;   in Loop: Header=BB17_6 Depth=1
	s_or_b32 exec_lo, exec_lo, s31
	s_mov_b32 s31, 0
	s_mov_b32 s33, -1
.LBB17_187:                             ;   in Loop: Header=BB17_6 Depth=1
	s_or_not1_b32 s44, s44, exec_lo
.LBB17_188:                             ;   in Loop: Header=BB17_6 Depth=1
	s_or_b32 exec_lo, exec_lo, s34
	s_mov_b32 s95, 0
	s_and_saveexec_b32 s34, s44
	s_cbranch_execz .LBB17_238
; %bb.189:                              ;   in Loop: Header=BB17_6 Depth=1
	v_dual_mov_b32 v5, 1 :: v_dual_mov_b32 v2, 1
	s_xor_b32 s94, s94, -1
	s_delay_alu instid0(SALU_CYCLE_1)
	s_and_saveexec_b32 s44, s94
	s_cbranch_execz .LBB17_198
; %bb.190:                              ;   in Loop: Header=BB17_6 Depth=1
	s_mov_b32 s94, exec_lo
	v_cmpx_ge_u32_e64 s21, v7
	s_xor_b32 s94, exec_lo, s94
	s_cbranch_execz .LBB17_195
; %bb.191:                              ;   in Loop: Header=BB17_6 Depth=1
	ds_load_b32 v2, v25 offset:4096
	s_lshl_b32 s95, 2, s81
	v_or_b32_e32 v4, s18, v4
	v_and_or_b32 v3, v3, s19, s95
	s_wait_dscnt 0x0
	v_cmp_ne_u32_e32 vcc_lo, 0, v2
	s_cbranch_vccnz .LBB17_195
; %bb.192:                              ;   in Loop: Header=BB17_6 Depth=1
	s_and_saveexec_b32 s95, s5
; %bb.193:                              ;   in Loop: Header=BB17_6 Depth=1
	v_mov_b32_e32 v2, s21
	ds_store_b32 v25, v2 offset:4100
; %bb.194:                              ;   in Loop: Header=BB17_6 Depth=1
	s_or_b32 exec_lo, exec_lo, s95
	s_wait_dscnt 0x0
	s_barrier_signal -1
	s_barrier_wait -1
.LBB17_195:                             ;   in Loop: Header=BB17_6 Depth=1
	s_or_saveexec_b32 s94, s94
	v_mov_b32_e32 v2, 8
	s_mov_b32 s95, 0
	s_xor_b32 exec_lo, exec_lo, s94
; %bb.196:                              ;   in Loop: Header=BB17_6 Depth=1
	v_subrev_nc_u32_e32 v7, s21, v7
	v_mov_b32_e32 v2, 0
	s_mov_b32 s95, exec_lo
; %bb.197:                              ;   in Loop: Header=BB17_6 Depth=1
	s_or_b32 exec_lo, exec_lo, s94
	s_delay_alu instid0(VALU_DEP_2)
	v_mov_b32_e32 v5, v7
	s_and_b32 s95, s95, exec_lo
.LBB17_198:                             ;   in Loop: Header=BB17_6 Depth=1
	s_or_b32 exec_lo, exec_lo, s44
	s_mov_b32 s44, -1
                                        ; implicit-def: $sgpr97
                                        ; implicit-def: $sgpr96
	s_and_saveexec_b32 s94, s95
	s_cbranch_execz .LBB17_237
; %bb.199:                              ;   in Loop: Header=BB17_6 Depth=1
	v_cmp_eq_u32_e32 vcc_lo, 1, v5
	s_cmp_eq_u32 s22, 1
	s_mov_b32 s99, -1
	s_cselect_b32 s44, -1, 0
                                        ; implicit-def: $sgpr97
                                        ; implicit-def: $sgpr96
	s_delay_alu instid0(SALU_CYCLE_1) | instskip(NEXT) | instid1(SALU_CYCLE_1)
	s_and_b32 s95, s44, vcc_lo
	s_and_saveexec_b32 s98, s95
	s_cbranch_execz .LBB17_225
; %bb.200:                              ;   in Loop: Header=BB17_6 Depth=1
	ds_load_b32 v6, v25 offset:4096
	s_wait_dscnt 0x0
	s_barrier_signal -1
	s_barrier_wait -1
	v_readfirstlane_b32 s99, v6
	s_and_saveexec_b32 s44, s6
; %bb.201:                              ;   in Loop: Header=BB17_6 Depth=1
	ds_store_b8 v0, v25 offset:3072
; %bb.202:                              ;   in Loop: Header=BB17_6 Depth=1
	s_or_b32 exec_lo, exec_lo, s44
	v_or_b32_e32 v3, s18, v3
	v_or_b32_e32 v4, s18, v4
	s_mov_b32 s96, -1
	s_mov_b32 s97, 0
	s_cmp_eq_u32 s99, 0
	s_mov_b32 s44, 0
	s_mov_b32 s100, -1
	s_wait_dscnt 0x0
	s_barrier_signal -1
	s_barrier_wait -1
                                        ; implicit-def: $vgpr6
	s_cbranch_scc1 .LBB17_213
; %bb.203:                              ;   in Loop: Header=BB17_6 Depth=1
	s_add_co_i32 s44, s99, s62
                                        ; implicit-def: $vgpr6
	s_delay_alu instid0(SALU_CYCLE_1) | instskip(NEXT) | instid1(SALU_CYCLE_1)
	s_mul_u64 s[100:101], s[44:45], s[48:49]
	s_mul_i32 s100, s101, s35
	s_delay_alu instid0(SALU_CYCLE_1) | instskip(NEXT) | instid1(SALU_CYCLE_1)
	s_sub_co_i32 s100, s44, s100
	s_sub_co_i32 s101, s100, s35
	s_cmp_ge_u32 s100, s35
	s_cselect_b32 s100, s101, s100
	s_delay_alu instid0(SALU_CYCLE_1)
	s_sub_co_i32 s101, s100, s35
	s_cmp_ge_u32 s100, s35
	s_cselect_b32 s100, s101, s100
	s_mov_b32 s101, exec_lo
	s_sub_co_i32 s102, s44, s100
	s_mov_b32 s100, 0
	s_mov_b32 s44, 0
	v_cmpx_gt_u32_e64 s102, v0
	s_cbranch_execz .LBB17_212
; %bb.204:                              ;   in Loop: Header=BB17_6 Depth=1
	v_mov_b32_e32 v6, v0
                                        ; implicit-def: $sgpr103
	s_branch .LBB17_207
.LBB17_205:                             ;   in Loop: Header=BB17_207 Depth=2
	s_or_b32 exec_lo, exec_lo, s104
	s_wait_dscnt 0x0
	s_barrier_signal -1
	s_barrier_wait -1
	ds_load_u16 v7, v25 offset:3072
	s_mov_b32 vcc_hi, -1
	s_mov_b32 s104, -1
	s_wait_dscnt 0x0
	s_barrier_signal -1
	s_barrier_wait -1
	v_and_b32_e32 v8, 0xff, v7
	s_delay_alu instid0(VALU_DEP_1)
	v_cmp_ne_u32_e32 vcc_lo, 0, v8
	s_cbranch_vccz .LBB17_210
.LBB17_206:                             ;   in Loop: Header=BB17_207 Depth=2
	s_and_b32 vcc_lo, exec_lo, vcc_hi
	s_delay_alu instid0(SALU_CYCLE_1) | instskip(SKIP_2) | instid1(SALU_CYCLE_1)
	s_or_b32 s44, vcc_lo, s44
	s_and_not1_b32 s103, s103, exec_lo
	s_and_b32 s104, s104, exec_lo
	s_or_b32 s103, s103, s104
	s_and_not1_b32 exec_lo, exec_lo, s44
	s_cbranch_execz .LBB17_211
.LBB17_207:                             ;   Parent Loop BB17_6 Depth=1
                                        ; =>  This Inner Loop Header: Depth=2
	s_mov_b32 s104, exec_lo
	s_delay_alu instid0(VALU_DEP_1)
	v_cmpx_gt_u32_e64 s99, v6
	s_cbranch_execz .LBB17_205
; %bb.208:                              ;   in Loop: Header=BB17_207 Depth=2
	ds_load_u8 v7, v6
	s_wait_dscnt 0x0
	v_bfe_i32 v8, v7, 0, 8
	s_delay_alu instid0(VALU_DEP_1) | instskip(NEXT) | instid1(VALU_DEP_1)
	v_add_nc_u32_e32 v8, 0x80, v8
	v_and_b32_e32 v8, v8, v4
	s_delay_alu instid0(VALU_DEP_1)
	v_cmp_eq_u32_e32 vcc_lo, v8, v3
	s_and_b32 exec_lo, exec_lo, vcc_lo
	s_cbranch_execz .LBB17_205
; %bb.209:                              ;   in Loop: Header=BB17_207 Depth=2
	v_lshlrev_b16 v7, 8, v7
	s_delay_alu instid0(VALU_DEP_1)
	v_or_b32_e32 v7, 1, v7
	ds_store_b16 v25, v7 offset:3072
	s_branch .LBB17_205
.LBB17_210:                             ;   in Loop: Header=BB17_207 Depth=2
	v_add_nc_u32_e32 v6, s35, v6
	s_mov_b32 s104, 0
	s_delay_alu instid0(VALU_DEP_1)
	v_cmp_le_u32_e32 vcc_lo, s102, v6
	s_or_not1_b32 vcc_hi, vcc_lo, exec_lo
	s_branch .LBB17_206
.LBB17_211:                             ;   in Loop: Header=BB17_6 Depth=1
	s_or_b32 exec_lo, exec_lo, s44
	v_and_b32_e32 v6, 0xffff, v7
	s_and_b32 s44, s103, exec_lo
	s_delay_alu instid0(VALU_DEP_1)
	v_lshrrev_b32_e32 v6, 8, v6
.LBB17_212:                             ;   in Loop: Header=BB17_6 Depth=1
	s_or_b32 exec_lo, exec_lo, s101
.LBB17_213:                             ;   in Loop: Header=BB17_6 Depth=1
	s_delay_alu instid0(SALU_CYCLE_1)
	s_and_b32 vcc_lo, exec_lo, s100
	s_cbranch_vccz .LBB17_224
; %bb.214:                              ;   in Loop: Header=BB17_6 Depth=1
                                        ; implicit-def: $vgpr6
	s_and_saveexec_b32 s96, s13
	s_cbranch_execz .LBB17_223
; %bb.215:                              ;   in Loop: Header=BB17_6 Depth=1
	v_dual_mov_b32 v6, v22 :: v_dual_mov_b32 v7, v0
	s_mov_b32 s97, 0
                                        ; implicit-def: $sgpr99
	s_branch .LBB17_218
.LBB17_216:                             ;   in Loop: Header=BB17_218 Depth=2
	s_or_b32 exec_lo, exec_lo, s100
	s_wait_dscnt 0x0
	s_barrier_signal -1
	s_barrier_wait -1
	ds_load_u16 v8, v25 offset:3072
	s_mov_b32 s100, -1
	s_mov_b32 s101, -1
	s_wait_dscnt 0x0
	s_barrier_signal -1
	s_barrier_wait -1
	v_and_b32_e32 v9, 0xff, v8
	s_delay_alu instid0(VALU_DEP_1)
	v_cmp_eq_u32_e32 vcc_lo, 0, v9
	s_cbranch_vccnz .LBB17_221
.LBB17_217:                             ;   in Loop: Header=BB17_218 Depth=2
	s_and_b32 s100, exec_lo, s100
	s_delay_alu instid0(SALU_CYCLE_1) | instskip(SKIP_2) | instid1(SALU_CYCLE_1)
	s_or_b32 s97, s100, s97
	s_and_not1_b32 s99, s99, exec_lo
	s_and_b32 s100, s101, exec_lo
	s_or_b32 s99, s99, s100
	s_and_not1_b32 exec_lo, exec_lo, s97
	s_cbranch_execz .LBB17_222
.LBB17_218:                             ;   Parent Loop BB17_6 Depth=1
                                        ; =>  This Inner Loop Header: Depth=2
	s_mov_b32 s100, exec_lo
	s_delay_alu instid0(VALU_DEP_1)
	v_cmpx_gt_u32_e64 s36, v7
	s_cbranch_execz .LBB17_216
; %bb.219:                              ;   in Loop: Header=BB17_218 Depth=2
	global_load_u8 v8, v6, s[38:39]
	s_wait_loadcnt 0x0
	v_bfe_i32 v9, v8, 0, 8
	s_delay_alu instid0(VALU_DEP_1) | instskip(NEXT) | instid1(VALU_DEP_1)
	v_add_nc_u32_e32 v9, 0x80, v9
	v_and_b32_e32 v9, v9, v4
	s_delay_alu instid0(VALU_DEP_1)
	v_cmp_eq_u32_e32 vcc_lo, v9, v3
	s_and_b32 exec_lo, exec_lo, vcc_lo
	s_cbranch_execz .LBB17_216
; %bb.220:                              ;   in Loop: Header=BB17_218 Depth=2
	v_lshlrev_b16 v8, 8, v8
	s_delay_alu instid0(VALU_DEP_1)
	v_or_b32_e32 v8, 1, v8
	ds_store_b16 v25, v8 offset:3072
	s_branch .LBB17_216
.LBB17_221:                             ;   in Loop: Header=BB17_218 Depth=2
	v_dual_add_nc_u32 v7, s35, v7 :: v_dual_add_nc_u32 v6, s53, v6
	s_mov_b32 s101, 0
	s_delay_alu instid0(VALU_DEP_1)
	v_cmp_le_u32_e32 vcc_lo, s79, v7
	s_or_not1_b32 s100, vcc_lo, exec_lo
	s_branch .LBB17_217
.LBB17_222:                             ;   in Loop: Header=BB17_6 Depth=1
	s_or_b32 exec_lo, exec_lo, s97
	v_and_b32_e32 v6, 0xffff, v8
	s_and_not1_b32 s44, s44, exec_lo
	s_and_b32 s97, s99, exec_lo
	s_delay_alu instid0(SALU_CYCLE_1) | instskip(NEXT) | instid1(VALU_DEP_1)
	s_or_b32 s44, s44, s97
	v_lshrrev_b32_e32 v6, 8, v6
.LBB17_223:                             ;   in Loop: Header=BB17_6 Depth=1
	s_or_b32 exec_lo, exec_lo, s96
	s_mov_b32 s96, 0
	s_mov_b32 s97, -1
.LBB17_224:                             ;   in Loop: Header=BB17_6 Depth=1
	s_or_not1_b32 s99, s44, exec_lo
.LBB17_225:                             ;   in Loop: Header=BB17_6 Depth=1
	s_or_b32 exec_lo, exec_lo, s98
	s_mov_b32 s98, 0
	s_and_saveexec_b32 s44, s99
	s_cbranch_execz .LBB17_236
; %bb.226:                              ;   in Loop: Header=BB17_6 Depth=1
	v_dual_mov_b32 v2, 1 :: v_dual_mov_b32 v7, 1
	s_xor_b32 s98, s95, -1
	s_delay_alu instid0(SALU_CYCLE_1)
	s_and_saveexec_b32 s95, s98
	s_cbranch_execz .LBB17_235
; %bb.227:                              ;   in Loop: Header=BB17_6 Depth=1
	s_mov_b32 s98, exec_lo
	v_cmpx_ge_u32_e64 s22, v5
	s_xor_b32 s98, exec_lo, s98
	s_cbranch_execz .LBB17_232
; %bb.228:                              ;   in Loop: Header=BB17_6 Depth=1
	ds_load_b32 v2, v25 offset:4096
	v_or_b32_e32 v3, s18, v3
	v_or_b32_e32 v4, s18, v4
	s_wait_dscnt 0x0
	v_cmp_ne_u32_e32 vcc_lo, 0, v2
	s_cbranch_vccnz .LBB17_232
; %bb.229:                              ;   in Loop: Header=BB17_6 Depth=1
	s_and_saveexec_b32 s99, s5
; %bb.230:                              ;   in Loop: Header=BB17_6 Depth=1
	v_mov_b32_e32 v2, s22
	ds_store_b32 v25, v2 offset:4100
; %bb.231:                              ;   in Loop: Header=BB17_6 Depth=1
	s_or_b32 exec_lo, exec_lo, s99
	s_wait_dscnt 0x0
	s_barrier_signal -1
	s_barrier_wait -1
.LBB17_232:                             ;   in Loop: Header=BB17_6 Depth=1
	s_and_not1_saveexec_b32 s98, s98
; %bb.233:                              ;   in Loop: Header=BB17_6 Depth=1
	v_subrev_nc_u32_e32 v5, s22, v5
; %bb.234:                              ;   in Loop: Header=BB17_6 Depth=1
	s_or_b32 exec_lo, exec_lo, s98
	s_delay_alu instid0(VALU_DEP_1)
	v_dual_mov_b32 v2, 8 :: v_dual_mov_b32 v7, v5
.LBB17_235:                             ;   in Loop: Header=BB17_6 Depth=1
	s_or_b32 exec_lo, exec_lo, s95
	s_delay_alu instid0(VALU_DEP_1)
	v_mov_b32_e32 v5, v7
	s_mov_b32 s98, exec_lo
.LBB17_236:                             ;   in Loop: Header=BB17_6 Depth=1
	s_or_b32 exec_lo, exec_lo, s44
	s_delay_alu instid0(SALU_CYCLE_1)
	s_or_not1_b32 s44, s98, exec_lo
.LBB17_237:                             ;   in Loop: Header=BB17_6 Depth=1
	s_or_b32 exec_lo, exec_lo, s94
	v_mov_b32_e32 v7, v5
	s_and_not1_b32 s33, s33, exec_lo
	s_and_b32 s94, s97, exec_lo
	s_and_not1_b32 s31, s31, exec_lo
	s_and_b32 s95, s96, exec_lo
	s_or_b32 s33, s33, s94
	s_or_b32 s31, s31, s95
	s_and_b32 s95, s44, exec_lo
.LBB17_238:                             ;   in Loop: Header=BB17_6 Depth=1
	s_or_b32 exec_lo, exec_lo, s34
	s_delay_alu instid0(SALU_CYCLE_1)
	s_or_not1_b32 s34, s95, exec_lo
.LBB17_239:                             ;   in Loop: Header=BB17_6 Depth=1
	s_or_b32 exec_lo, exec_lo, s30
	v_mov_b32_e32 v5, v7
	s_and_not1_b32 s28, s28, exec_lo
	s_and_b32 s30, s33, exec_lo
	s_and_not1_b32 s23, s23, exec_lo
	s_and_b32 s31, s31, exec_lo
	s_or_b32 s28, s28, s30
	s_or_b32 s23, s23, s31
	s_and_b32 s33, s34, exec_lo
.LBB17_240:                             ;   in Loop: Header=BB17_6 Depth=1
	s_or_b32 exec_lo, exec_lo, s29
	s_delay_alu instid0(SALU_CYCLE_1)
	s_or_not1_b32 s29, s33, exec_lo
.LBB17_241:                             ;   in Loop: Header=BB17_6 Depth=1
	s_or_b32 exec_lo, exec_lo, s15
	s_mov_b32 s30, 0
	s_mov_b32 s31, 0
	s_and_saveexec_b32 s15, s29
	s_delay_alu instid0(SALU_CYCLE_1)
	s_xor_b32 s29, exec_lo, s15
; %bb.242:                              ;   in Loop: Header=BB17_6 Depth=1
	v_cmp_ne_u32_e32 vcc_lo, 8, v2
	v_cmp_eq_u32_e64 s15, 8, v2
	s_and_b32 s31, vcc_lo, exec_lo
	s_and_b32 s30, s15, exec_lo
; %bb.243:                              ;   in Loop: Header=BB17_6 Depth=1
	s_or_b32 exec_lo, exec_lo, s29
	s_delay_alu instid0(SALU_CYCLE_1)
	s_and_not1_b32 s15, s25, exec_lo
	s_and_b32 s25, s28, exec_lo
	s_and_not1_b32 s24, s24, exec_lo
	s_and_b32 s23, s23, exec_lo
	s_or_b32 s25, s15, s25
	s_or_b32 s24, s24, s23
	s_and_b32 s15, s31, exec_lo
	s_and_b32 s23, s30, exec_lo
.LBB17_244:                             ;   in Loop: Header=BB17_6 Depth=1
	s_or_b32 exec_lo, exec_lo, s27
.LBB17_245:                             ;   in Loop: Header=BB17_6 Depth=1
	s_delay_alu instid0(SALU_CYCLE_1)
	s_and_b32 vcc_lo, exec_lo, s26
	s_cbranch_vccz .LBB17_258
; %bb.246:                              ;   in Loop: Header=BB17_6 Depth=1
	s_cmp_eq_u32 s22, 1
	s_mov_b32 s25, -1
	s_cselect_b32 s16, -1, 0
                                        ; implicit-def: $sgpr26
	s_delay_alu instid0(SALU_CYCLE_1) | instskip(NEXT) | instid1(SALU_CYCLE_1)
	s_and_b32 s14, s16, s14
                                        ; implicit-def: $sgpr16
	s_and_saveexec_b32 s24, s14
	s_cbranch_execz .LBB17_273
; %bb.247:                              ;   in Loop: Header=BB17_6 Depth=1
	ds_load_b32 v2, v25 offset:4096
	s_wait_dscnt 0x0
	s_barrier_signal -1
	s_barrier_wait -1
	v_readfirstlane_b32 s27, v2
	s_and_saveexec_b32 s16, s6
; %bb.248:                              ;   in Loop: Header=BB17_6 Depth=1
	ds_store_b8 v0, v25 offset:3072
; %bb.249:                              ;   in Loop: Header=BB17_6 Depth=1
	s_or_b32 exec_lo, exec_lo, s16
	v_or_b32_e32 v32, s18, v32
	v_or_b32_e32 v39, s18, v39
	s_mov_b32 s16, -1
	s_mov_b32 s26, 0
	s_cmp_eq_u32 s27, 0
	s_mov_b32 s25, 0
	s_mov_b32 s28, -1
	s_wait_dscnt 0x0
	s_barrier_signal -1
	s_barrier_wait -1
                                        ; implicit-def: $vgpr40
	s_cbranch_scc1 .LBB17_261
; %bb.250:                              ;   in Loop: Header=BB17_6 Depth=1
	s_add_co_i32 s44, s27, s62
                                        ; implicit-def: $vgpr40
	s_delay_alu instid0(SALU_CYCLE_1) | instskip(NEXT) | instid1(SALU_CYCLE_1)
	s_mul_u64 s[28:29], s[44:45], s[48:49]
	s_mul_i32 s25, s29, s35
	s_mov_b32 s29, exec_lo
	s_sub_co_i32 s25, s44, s25
	s_delay_alu instid0(SALU_CYCLE_1) | instskip(SKIP_2) | instid1(SALU_CYCLE_1)
	s_sub_co_i32 s28, s25, s35
	s_cmp_ge_u32 s25, s35
	s_cselect_b32 s25, s28, s25
	s_sub_co_i32 s28, s25, s35
	s_cmp_ge_u32 s25, s35
	s_cselect_b32 s25, s28, s25
	s_mov_b32 s28, 0
	s_sub_co_i32 s30, s44, s25
	s_mov_b32 s25, 0
	v_cmpx_gt_u32_e64 s30, v0
	s_cbranch_execz .LBB17_260
; %bb.251:                              ;   in Loop: Header=BB17_6 Depth=1
	v_mov_b32_e32 v2, v0
                                        ; implicit-def: $sgpr31
	s_branch .LBB17_254
.LBB17_252:                             ;   in Loop: Header=BB17_254 Depth=2
	s_or_b32 exec_lo, exec_lo, s33
	s_wait_dscnt 0x0
	s_barrier_signal -1
	s_barrier_wait -1
	ds_load_u16 v3, v25 offset:3072
	s_mov_b32 s34, -1
	s_mov_b32 s33, -1
	s_wait_dscnt 0x0
	s_barrier_signal -1
	s_barrier_wait -1
	v_and_b32_e32 v4, 0xff, v3
	s_delay_alu instid0(VALU_DEP_1)
	v_cmp_ne_u32_e32 vcc_lo, 0, v4
	s_cbranch_vccz .LBB17_257
.LBB17_253:                             ;   in Loop: Header=BB17_254 Depth=2
	s_and_b32 s34, exec_lo, s34
	s_delay_alu instid0(SALU_CYCLE_1) | instskip(SKIP_2) | instid1(SALU_CYCLE_1)
	s_or_b32 s25, s34, s25
	s_and_not1_b32 s31, s31, exec_lo
	s_and_b32 s33, s33, exec_lo
	s_or_b32 s31, s31, s33
	s_and_not1_b32 exec_lo, exec_lo, s25
	s_cbranch_execz .LBB17_259
.LBB17_254:                             ;   Parent Loop BB17_6 Depth=1
                                        ; =>  This Inner Loop Header: Depth=2
	s_mov_b32 s33, exec_lo
	s_delay_alu instid0(VALU_DEP_1)
	v_cmpx_gt_u32_e64 s27, v2
	s_cbranch_execz .LBB17_252
; %bb.255:                              ;   in Loop: Header=BB17_254 Depth=2
	ds_load_u8 v3, v2
	s_wait_dscnt 0x0
	v_bfe_i32 v4, v3, 0, 8
	s_delay_alu instid0(VALU_DEP_1) | instskip(NEXT) | instid1(VALU_DEP_1)
	v_add_nc_u32_e32 v4, 0x80, v4
	v_and_b32_e32 v4, v4, v39
	s_delay_alu instid0(VALU_DEP_1)
	v_cmp_eq_u32_e32 vcc_lo, v4, v32
	s_and_b32 exec_lo, exec_lo, vcc_lo
	s_cbranch_execz .LBB17_252
; %bb.256:                              ;   in Loop: Header=BB17_254 Depth=2
	v_lshlrev_b16 v3, 8, v3
	s_delay_alu instid0(VALU_DEP_1)
	v_or_b32_e32 v3, 1, v3
	ds_store_b16 v25, v3 offset:3072
	s_branch .LBB17_252
.LBB17_257:                             ;   in Loop: Header=BB17_254 Depth=2
	v_add_nc_u32_e32 v2, s35, v2
	s_mov_b32 s33, 0
	s_delay_alu instid0(VALU_DEP_1)
	v_cmp_le_u32_e32 vcc_lo, s30, v2
	s_or_not1_b32 s34, vcc_lo, exec_lo
	s_branch .LBB17_253
.LBB17_258:                             ;   in Loop: Header=BB17_6 Depth=1
	v_dual_mov_b32 v32, v3 :: v_dual_mov_b32 v39, v4
	v_mov_b32_e32 v40, v6
	s_mov_b32 s26, 0
	s_and_saveexec_b32 s14, s23
	s_cbranch_execnz .LBB17_404
	s_branch .LBB17_405
.LBB17_259:                             ;   in Loop: Header=BB17_6 Depth=1
	s_or_b32 exec_lo, exec_lo, s25
	v_and_b32_e32 v2, 0xffff, v3
	s_and_b32 s25, s31, exec_lo
	s_delay_alu instid0(VALU_DEP_1)
	v_lshrrev_b32_e32 v40, 8, v2
.LBB17_260:                             ;   in Loop: Header=BB17_6 Depth=1
	s_or_b32 exec_lo, exec_lo, s29
.LBB17_261:                             ;   in Loop: Header=BB17_6 Depth=1
	s_delay_alu instid0(SALU_CYCLE_1)
	s_and_b32 vcc_lo, exec_lo, s28
	s_cbranch_vccz .LBB17_272
; %bb.262:                              ;   in Loop: Header=BB17_6 Depth=1
                                        ; implicit-def: $vgpr40
	s_and_saveexec_b32 s16, s13
	s_cbranch_execz .LBB17_271
; %bb.263:                              ;   in Loop: Header=BB17_6 Depth=1
	v_dual_mov_b32 v2, v22 :: v_dual_mov_b32 v3, v0
	s_mov_b32 s27, 0
                                        ; implicit-def: $sgpr26
	s_branch .LBB17_266
.LBB17_264:                             ;   in Loop: Header=BB17_266 Depth=2
	s_or_b32 exec_lo, exec_lo, s28
	s_wait_dscnt 0x0
	s_barrier_signal -1
	s_barrier_wait -1
	ds_load_u16 v4, v25 offset:3072
	s_mov_b32 s28, -1
	s_mov_b32 s29, -1
	s_wait_dscnt 0x0
	s_barrier_signal -1
	s_barrier_wait -1
	v_and_b32_e32 v5, 0xff, v4
	s_delay_alu instid0(VALU_DEP_1)
	v_cmp_ne_u32_e32 vcc_lo, 0, v5
	s_cbranch_vccz .LBB17_269
.LBB17_265:                             ;   in Loop: Header=BB17_266 Depth=2
	s_and_b32 s28, exec_lo, s28
	s_delay_alu instid0(SALU_CYCLE_1) | instskip(SKIP_2) | instid1(SALU_CYCLE_1)
	s_or_b32 s27, s28, s27
	s_and_not1_b32 s26, s26, exec_lo
	s_and_b32 s28, s29, exec_lo
	s_or_b32 s26, s26, s28
	s_and_not1_b32 exec_lo, exec_lo, s27
	s_cbranch_execz .LBB17_270
.LBB17_266:                             ;   Parent Loop BB17_6 Depth=1
                                        ; =>  This Inner Loop Header: Depth=2
	s_mov_b32 s28, exec_lo
	s_delay_alu instid0(VALU_DEP_1)
	v_cmpx_gt_u32_e64 s36, v3
	s_cbranch_execz .LBB17_264
; %bb.267:                              ;   in Loop: Header=BB17_266 Depth=2
	global_load_u8 v4, v2, s[38:39]
	s_wait_loadcnt 0x0
	v_bfe_i32 v5, v4, 0, 8
	s_delay_alu instid0(VALU_DEP_1) | instskip(NEXT) | instid1(VALU_DEP_1)
	v_add_nc_u32_e32 v5, 0x80, v5
	v_and_b32_e32 v5, v5, v39
	s_delay_alu instid0(VALU_DEP_1)
	v_cmp_eq_u32_e32 vcc_lo, v5, v32
	s_and_b32 exec_lo, exec_lo, vcc_lo
	s_cbranch_execz .LBB17_264
; %bb.268:                              ;   in Loop: Header=BB17_266 Depth=2
	v_lshlrev_b16 v4, 8, v4
	s_delay_alu instid0(VALU_DEP_1)
	v_or_b32_e32 v4, 1, v4
	ds_store_b16 v25, v4 offset:3072
	s_branch .LBB17_264
.LBB17_269:                             ;   in Loop: Header=BB17_266 Depth=2
	v_dual_add_nc_u32 v3, s35, v3 :: v_dual_add_nc_u32 v2, s53, v2
	s_mov_b32 s29, 0
	s_delay_alu instid0(VALU_DEP_1)
	v_cmp_le_u32_e32 vcc_lo, s79, v3
	s_or_not1_b32 s28, vcc_lo, exec_lo
	s_branch .LBB17_265
.LBB17_270:                             ;   in Loop: Header=BB17_6 Depth=1
	s_or_b32 exec_lo, exec_lo, s27
	v_and_b32_e32 v2, 0xffff, v4
	s_and_not1_b32 s25, s25, exec_lo
	s_and_b32 s26, s26, exec_lo
	s_delay_alu instid0(SALU_CYCLE_1) | instskip(NEXT) | instid1(VALU_DEP_1)
	s_or_b32 s25, s25, s26
	v_lshrrev_b32_e32 v40, 8, v2
.LBB17_271:                             ;   in Loop: Header=BB17_6 Depth=1
	s_or_b32 exec_lo, exec_lo, s16
	s_mov_b32 s16, 0
	s_mov_b32 s26, -1
.LBB17_272:                             ;   in Loop: Header=BB17_6 Depth=1
	s_or_not1_b32 s25, s25, exec_lo
.LBB17_273:                             ;   in Loop: Header=BB17_6 Depth=1
	s_or_b32 exec_lo, exec_lo, s24
                                        ; implicit-def: $vgpr5
                                        ; implicit-def: $vgpr2
	s_and_saveexec_b32 s24, s25
	s_cbranch_execz .LBB17_403
; %bb.274:                              ;   in Loop: Header=BB17_6 Depth=1
	v_dual_mov_b32 v5, 1 :: v_dual_mov_b32 v2, 1
	s_xor_b32 s25, s14, -1
	s_mov_b32 s28, 0
	s_and_saveexec_b32 s14, s25
	s_cbranch_execz .LBB17_283
; %bb.275:                              ;   in Loop: Header=BB17_6 Depth=1
	s_mov_b32 s25, exec_lo
	v_cmpx_ge_u32_e64 s22, v41
	s_xor_b32 s25, exec_lo, s25
	s_cbranch_execz .LBB17_280
; %bb.276:                              ;   in Loop: Header=BB17_6 Depth=1
	ds_load_b32 v2, v25 offset:4096
	v_or_b32_e32 v32, s18, v32
	v_or_b32_e32 v39, s18, v39
	s_wait_dscnt 0x0
	v_cmp_ne_u32_e32 vcc_lo, 0, v2
	s_cbranch_vccnz .LBB17_280
; %bb.277:                              ;   in Loop: Header=BB17_6 Depth=1
	s_and_saveexec_b32 s27, s5
; %bb.278:                              ;   in Loop: Header=BB17_6 Depth=1
	v_mov_b32_e32 v2, s22
	ds_store_b32 v25, v2 offset:4100
; %bb.279:                              ;   in Loop: Header=BB17_6 Depth=1
	s_or_b32 exec_lo, exec_lo, s27
	s_wait_dscnt 0x0
	s_barrier_signal -1
	s_barrier_wait -1
.LBB17_280:                             ;   in Loop: Header=BB17_6 Depth=1
	s_or_saveexec_b32 s25, s25
	v_mov_b32_e32 v2, 5
	s_mov_b32 s27, 0
	s_xor_b32 exec_lo, exec_lo, s25
; %bb.281:                              ;   in Loop: Header=BB17_6 Depth=1
	v_subrev_nc_u32_e32 v41, s22, v41
	v_mov_b32_e32 v2, 0
	s_mov_b32 s27, exec_lo
; %bb.282:                              ;   in Loop: Header=BB17_6 Depth=1
	s_or_b32 exec_lo, exec_lo, s25
	s_delay_alu instid0(VALU_DEP_2)
	v_mov_b32_e32 v5, v41
	s_and_b32 s28, s27, exec_lo
.LBB17_283:                             ;   in Loop: Header=BB17_6 Depth=1
	s_or_b32 exec_lo, exec_lo, s14
	s_mov_b32 s27, -1
                                        ; implicit-def: $sgpr22
                                        ; implicit-def: $sgpr25
	s_and_saveexec_b32 s14, s28
	s_delay_alu instid0(SALU_CYCLE_1)
	s_xor_b32 s14, exec_lo, s14
	s_cbranch_execz .LBB17_400
; %bb.284:                              ;   in Loop: Header=BB17_6 Depth=1
	v_cmp_eq_u32_e32 vcc_lo, 1, v5
	s_cmp_eq_u32 s21, 1
	s_mov_b32 s29, -1
	s_cselect_b32 s22, -1, 0
                                        ; implicit-def: $sgpr25
	s_delay_alu instid0(SALU_CYCLE_1) | instskip(NEXT) | instid1(SALU_CYCLE_1)
	s_and_b32 s28, s22, vcc_lo
                                        ; implicit-def: $sgpr22
	s_and_saveexec_b32 s27, s28
	s_cbranch_execz .LBB17_310
; %bb.285:                              ;   in Loop: Header=BB17_6 Depth=1
	ds_load_b32 v3, v25 offset:4096
	s_wait_dscnt 0x0
	s_barrier_signal -1
	s_barrier_wait -1
	v_readfirstlane_b32 s30, v3
	s_and_saveexec_b32 s22, s6
; %bb.286:                              ;   in Loop: Header=BB17_6 Depth=1
	ds_store_b8 v0, v25 offset:3072
; %bb.287:                              ;   in Loop: Header=BB17_6 Depth=1
	s_or_b32 exec_lo, exec_lo, s22
	s_lshl_b32 s22, 2, s81
	v_or_b32_e32 v39, s18, v39
	v_and_or_b32 v32, v32, s19, s22
	s_mov_b32 s22, -1
	s_mov_b32 s25, 0
	s_cmp_eq_u32 s30, 0
	s_mov_b32 s29, 0
	s_mov_b32 s31, -1
	s_wait_dscnt 0x0
	s_barrier_signal -1
	s_barrier_wait -1
                                        ; implicit-def: $vgpr40
	s_cbranch_scc1 .LBB17_298
; %bb.288:                              ;   in Loop: Header=BB17_6 Depth=1
	s_add_co_i32 s44, s30, s62
	s_mov_b32 s33, exec_lo
	s_mul_u64 s[94:95], s[44:45], s[48:49]
                                        ; implicit-def: $vgpr40
	s_delay_alu instid0(SALU_CYCLE_1) | instskip(NEXT) | instid1(SALU_CYCLE_1)
	s_mul_i32 s29, s95, s35
	s_sub_co_i32 s29, s44, s29
	s_delay_alu instid0(SALU_CYCLE_1) | instskip(SKIP_2) | instid1(SALU_CYCLE_1)
	s_sub_co_i32 s31, s29, s35
	s_cmp_ge_u32 s29, s35
	s_cselect_b32 s29, s31, s29
	s_sub_co_i32 s31, s29, s35
	s_cmp_ge_u32 s29, s35
	s_cselect_b32 s29, s31, s29
	s_mov_b32 s31, 0
	s_sub_co_i32 s34, s44, s29
	s_mov_b32 s29, 0
	v_cmpx_gt_u32_e64 s34, v0
	s_cbranch_execz .LBB17_297
; %bb.289:                              ;   in Loop: Header=BB17_6 Depth=1
	v_mov_b32_e32 v3, v0
                                        ; implicit-def: $sgpr44
	s_branch .LBB17_292
.LBB17_290:                             ;   in Loop: Header=BB17_292 Depth=2
	s_or_b32 exec_lo, exec_lo, s94
	s_wait_dscnt 0x0
	s_barrier_signal -1
	s_barrier_wait -1
	ds_load_u16 v4, v25 offset:3072
	s_mov_b32 s95, -1
	s_mov_b32 s94, -1
	s_wait_dscnt 0x0
	s_barrier_signal -1
	s_barrier_wait -1
	v_and_b32_e32 v6, 0xff, v4
	s_delay_alu instid0(VALU_DEP_1)
	v_cmp_ne_u32_e32 vcc_lo, 0, v6
	s_cbranch_vccz .LBB17_295
.LBB17_291:                             ;   in Loop: Header=BB17_292 Depth=2
	s_and_b32 s95, exec_lo, s95
	s_delay_alu instid0(SALU_CYCLE_1) | instskip(SKIP_2) | instid1(SALU_CYCLE_1)
	s_or_b32 s29, s95, s29
	s_and_not1_b32 s44, s44, exec_lo
	s_and_b32 s94, s94, exec_lo
	s_or_b32 s44, s44, s94
	s_and_not1_b32 exec_lo, exec_lo, s29
	s_cbranch_execz .LBB17_296
.LBB17_292:                             ;   Parent Loop BB17_6 Depth=1
                                        ; =>  This Inner Loop Header: Depth=2
	s_mov_b32 s94, exec_lo
	s_delay_alu instid0(VALU_DEP_1)
	v_cmpx_gt_u32_e64 s30, v3
	s_cbranch_execz .LBB17_290
; %bb.293:                              ;   in Loop: Header=BB17_292 Depth=2
	ds_load_u8 v4, v3
	s_wait_dscnt 0x0
	v_bfe_i32 v6, v4, 0, 8
	s_delay_alu instid0(VALU_DEP_1) | instskip(NEXT) | instid1(VALU_DEP_1)
	v_add_nc_u32_e32 v6, 0x80, v6
	v_and_b32_e32 v6, v6, v39
	s_delay_alu instid0(VALU_DEP_1)
	v_cmp_eq_u32_e32 vcc_lo, v6, v32
	s_and_b32 exec_lo, exec_lo, vcc_lo
	s_cbranch_execz .LBB17_290
; %bb.294:                              ;   in Loop: Header=BB17_292 Depth=2
	v_lshlrev_b16 v4, 8, v4
	s_delay_alu instid0(VALU_DEP_1)
	v_or_b32_e32 v4, 1, v4
	ds_store_b16 v25, v4 offset:3072
	s_branch .LBB17_290
.LBB17_295:                             ;   in Loop: Header=BB17_292 Depth=2
	v_add_nc_u32_e32 v3, s35, v3
	s_mov_b32 s94, 0
	s_delay_alu instid0(VALU_DEP_1)
	v_cmp_le_u32_e32 vcc_lo, s34, v3
	s_or_not1_b32 s95, vcc_lo, exec_lo
	s_branch .LBB17_291
.LBB17_296:                             ;   in Loop: Header=BB17_6 Depth=1
	s_or_b32 exec_lo, exec_lo, s29
	v_and_b32_e32 v3, 0xffff, v4
	s_and_b32 s29, s44, exec_lo
	s_delay_alu instid0(VALU_DEP_1)
	v_lshrrev_b32_e32 v40, 8, v3
.LBB17_297:                             ;   in Loop: Header=BB17_6 Depth=1
	s_or_b32 exec_lo, exec_lo, s33
.LBB17_298:                             ;   in Loop: Header=BB17_6 Depth=1
	s_delay_alu instid0(SALU_CYCLE_1)
	s_and_b32 vcc_lo, exec_lo, s31
	s_cbranch_vccz .LBB17_309
; %bb.299:                              ;   in Loop: Header=BB17_6 Depth=1
                                        ; implicit-def: $vgpr40
	s_and_saveexec_b32 s22, s13
	s_cbranch_execz .LBB17_308
; %bb.300:                              ;   in Loop: Header=BB17_6 Depth=1
	v_dual_mov_b32 v3, v22 :: v_dual_mov_b32 v4, v0
	s_mov_b32 s25, 0
                                        ; implicit-def: $sgpr30
	s_branch .LBB17_303
.LBB17_301:                             ;   in Loop: Header=BB17_303 Depth=2
	s_or_b32 exec_lo, exec_lo, s31
	s_wait_dscnt 0x0
	s_barrier_signal -1
	s_barrier_wait -1
	ds_load_u16 v6, v25 offset:3072
	s_mov_b32 s31, -1
	s_mov_b32 s33, -1
	s_wait_dscnt 0x0
	s_barrier_signal -1
	s_barrier_wait -1
	v_and_b32_e32 v7, 0xff, v6
	s_delay_alu instid0(VALU_DEP_1)
	v_cmp_eq_u32_e32 vcc_lo, 0, v7
	s_cbranch_vccnz .LBB17_306
.LBB17_302:                             ;   in Loop: Header=BB17_303 Depth=2
	s_and_b32 s31, exec_lo, s31
	s_delay_alu instid0(SALU_CYCLE_1) | instskip(SKIP_2) | instid1(SALU_CYCLE_1)
	s_or_b32 s25, s31, s25
	s_and_not1_b32 s30, s30, exec_lo
	s_and_b32 s31, s33, exec_lo
	s_or_b32 s30, s30, s31
	s_and_not1_b32 exec_lo, exec_lo, s25
	s_cbranch_execz .LBB17_307
.LBB17_303:                             ;   Parent Loop BB17_6 Depth=1
                                        ; =>  This Inner Loop Header: Depth=2
	s_mov_b32 s31, exec_lo
	s_delay_alu instid0(VALU_DEP_1)
	v_cmpx_gt_u32_e64 s36, v4
	s_cbranch_execz .LBB17_301
; %bb.304:                              ;   in Loop: Header=BB17_303 Depth=2
	global_load_u8 v6, v3, s[38:39]
	s_wait_loadcnt 0x0
	v_bfe_i32 v7, v6, 0, 8
	s_delay_alu instid0(VALU_DEP_1) | instskip(NEXT) | instid1(VALU_DEP_1)
	v_add_nc_u32_e32 v7, 0x80, v7
	v_and_b32_e32 v7, v7, v39
	s_delay_alu instid0(VALU_DEP_1)
	v_cmp_eq_u32_e32 vcc_lo, v7, v32
	s_and_b32 exec_lo, exec_lo, vcc_lo
	s_cbranch_execz .LBB17_301
; %bb.305:                              ;   in Loop: Header=BB17_303 Depth=2
	v_lshlrev_b16 v6, 8, v6
	s_delay_alu instid0(VALU_DEP_1)
	v_or_b32_e32 v6, 1, v6
	ds_store_b16 v25, v6 offset:3072
	s_branch .LBB17_301
.LBB17_306:                             ;   in Loop: Header=BB17_303 Depth=2
	v_dual_add_nc_u32 v4, s35, v4 :: v_dual_add_nc_u32 v3, s53, v3
	s_mov_b32 s33, 0
	s_delay_alu instid0(VALU_DEP_1)
	v_cmp_le_u32_e32 vcc_lo, s79, v4
	s_or_not1_b32 s31, vcc_lo, exec_lo
	s_branch .LBB17_302
.LBB17_307:                             ;   in Loop: Header=BB17_6 Depth=1
	s_or_b32 exec_lo, exec_lo, s25
	v_and_b32_e32 v3, 0xffff, v6
	s_and_not1_b32 s25, s29, exec_lo
	s_and_b32 s29, s30, exec_lo
	s_delay_alu instid0(SALU_CYCLE_1) | instskip(NEXT) | instid1(VALU_DEP_1)
	s_or_b32 s29, s25, s29
	v_lshrrev_b32_e32 v40, 8, v3
.LBB17_308:                             ;   in Loop: Header=BB17_6 Depth=1
	s_or_b32 exec_lo, exec_lo, s22
	s_mov_b32 s22, 0
	s_mov_b32 s25, -1
.LBB17_309:                             ;   in Loop: Header=BB17_6 Depth=1
	s_or_not1_b32 s29, s29, exec_lo
.LBB17_310:                             ;   in Loop: Header=BB17_6 Depth=1
	s_or_b32 exec_lo, exec_lo, s27
	s_mov_b32 s30, 0
	s_and_saveexec_b32 s27, s29
	s_cbranch_execz .LBB17_399
; %bb.311:                              ;   in Loop: Header=BB17_6 Depth=1
	v_dual_mov_b32 v3, 1 :: v_dual_mov_b32 v2, 1
	s_xor_b32 s29, s28, -1
	s_mov_b32 s31, 0
	s_and_saveexec_b32 s28, s29
	s_cbranch_execz .LBB17_320
; %bb.312:                              ;   in Loop: Header=BB17_6 Depth=1
	s_mov_b32 s29, exec_lo
	v_cmpx_ge_u32_e64 s21, v5
	s_xor_b32 s29, exec_lo, s29
	s_cbranch_execz .LBB17_317
; %bb.313:                              ;   in Loop: Header=BB17_6 Depth=1
	ds_load_b32 v2, v25 offset:4096
	s_lshl_b32 s30, 2, s81
	v_or_b32_e32 v39, s18, v39
	v_and_or_b32 v32, v32, s19, s30
	s_wait_dscnt 0x0
	v_cmp_ne_u32_e32 vcc_lo, 0, v2
	s_cbranch_vccnz .LBB17_317
; %bb.314:                              ;   in Loop: Header=BB17_6 Depth=1
	s_and_saveexec_b32 s30, s5
; %bb.315:                              ;   in Loop: Header=BB17_6 Depth=1
	v_mov_b32_e32 v2, s21
	ds_store_b32 v25, v2 offset:4100
; %bb.316:                              ;   in Loop: Header=BB17_6 Depth=1
	s_or_b32 exec_lo, exec_lo, s30
	s_wait_dscnt 0x0
	s_barrier_signal -1
	s_barrier_wait -1
.LBB17_317:                             ;   in Loop: Header=BB17_6 Depth=1
	s_or_saveexec_b32 s29, s29
	v_mov_b32_e32 v2, 5
	s_mov_b32 s30, 0
	s_xor_b32 exec_lo, exec_lo, s29
; %bb.318:                              ;   in Loop: Header=BB17_6 Depth=1
	v_subrev_nc_u32_e32 v5, s21, v5
	v_mov_b32_e32 v2, 0
	s_mov_b32 s30, exec_lo
; %bb.319:                              ;   in Loop: Header=BB17_6 Depth=1
	s_or_b32 exec_lo, exec_lo, s29
	s_delay_alu instid0(VALU_DEP_2)
	v_mov_b32_e32 v3, v5
	s_and_b32 s31, s30, exec_lo
.LBB17_320:                             ;   in Loop: Header=BB17_6 Depth=1
	s_or_b32 exec_lo, exec_lo, s28
	s_mov_b32 s30, -1
                                        ; implicit-def: $sgpr28
                                        ; implicit-def: $sgpr29
	s_and_saveexec_b32 s21, s31
	s_cbranch_execz .LBB17_398
; %bb.321:                              ;   in Loop: Header=BB17_6 Depth=1
	v_cmp_eq_u32_e32 vcc_lo, 1, v3
	s_cmp_eq_u32 s20, 1
	s_mov_b32 s33, -1
	s_cselect_b32 s28, -1, 0
                                        ; implicit-def: $sgpr29
	s_delay_alu instid0(SALU_CYCLE_1) | instskip(NEXT) | instid1(SALU_CYCLE_1)
	s_and_b32 s31, s28, vcc_lo
                                        ; implicit-def: $sgpr28
	s_and_saveexec_b32 s30, s31
	s_cbranch_execz .LBB17_347
; %bb.322:                              ;   in Loop: Header=BB17_6 Depth=1
	ds_load_b32 v4, v25 offset:4096
	s_wait_dscnt 0x0
	s_barrier_signal -1
	s_barrier_wait -1
	v_readfirstlane_b32 s34, v4
	s_and_saveexec_b32 s28, s6
; %bb.323:                              ;   in Loop: Header=BB17_6 Depth=1
	ds_store_b8 v0, v25 offset:3072
; %bb.324:                              ;   in Loop: Header=BB17_6 Depth=1
	s_or_b32 exec_lo, exec_lo, s28
	s_lshl_b32 s28, 1, s81
	v_or_b32_e32 v39, s18, v39
	v_and_or_b32 v32, v32, s19, s28
	s_mov_b32 s28, -1
	s_mov_b32 s29, 0
	s_cmp_eq_u32 s34, 0
	s_mov_b32 s33, 0
	s_mov_b32 s44, -1
	s_wait_dscnt 0x0
	s_barrier_signal -1
	s_barrier_wait -1
                                        ; implicit-def: $vgpr40
	s_cbranch_scc1 .LBB17_335
; %bb.325:                              ;   in Loop: Header=BB17_6 Depth=1
	s_add_co_i32 s44, s34, s62
                                        ; implicit-def: $vgpr40
	s_delay_alu instid0(SALU_CYCLE_1) | instskip(NEXT) | instid1(SALU_CYCLE_1)
	s_mul_u64 s[94:95], s[44:45], s[48:49]
	s_mul_i32 s33, s95, s35
	s_delay_alu instid0(SALU_CYCLE_1) | instskip(NEXT) | instid1(SALU_CYCLE_1)
	s_sub_co_i32 s33, s44, s33
	s_sub_co_i32 s94, s33, s35
	s_cmp_ge_u32 s33, s35
	s_cselect_b32 s33, s94, s33
	s_delay_alu instid0(SALU_CYCLE_1)
	s_sub_co_i32 s94, s33, s35
	s_cmp_ge_u32 s33, s35
	s_cselect_b32 s33, s94, s33
	s_mov_b32 s94, exec_lo
	s_sub_co_i32 s95, s44, s33
	s_mov_b32 s44, 0
	s_mov_b32 s33, 0
	v_cmpx_gt_u32_e64 s95, v0
	s_cbranch_execz .LBB17_334
; %bb.326:                              ;   in Loop: Header=BB17_6 Depth=1
	v_mov_b32_e32 v4, v0
                                        ; implicit-def: $sgpr96
	s_branch .LBB17_329
.LBB17_327:                             ;   in Loop: Header=BB17_329 Depth=2
	s_or_b32 exec_lo, exec_lo, s97
	s_wait_dscnt 0x0
	s_barrier_signal -1
	s_barrier_wait -1
	ds_load_u16 v5, v25 offset:3072
	s_mov_b32 s98, -1
	s_mov_b32 s97, -1
	s_wait_dscnt 0x0
	s_barrier_signal -1
	s_barrier_wait -1
	v_and_b32_e32 v6, 0xff, v5
	s_delay_alu instid0(VALU_DEP_1)
	v_cmp_ne_u32_e32 vcc_lo, 0, v6
	s_cbranch_vccz .LBB17_332
.LBB17_328:                             ;   in Loop: Header=BB17_329 Depth=2
	s_and_b32 s98, exec_lo, s98
	s_delay_alu instid0(SALU_CYCLE_1) | instskip(SKIP_2) | instid1(SALU_CYCLE_1)
	s_or_b32 s33, s98, s33
	s_and_not1_b32 s96, s96, exec_lo
	s_and_b32 s97, s97, exec_lo
	s_or_b32 s96, s96, s97
	s_and_not1_b32 exec_lo, exec_lo, s33
	s_cbranch_execz .LBB17_333
.LBB17_329:                             ;   Parent Loop BB17_6 Depth=1
                                        ; =>  This Inner Loop Header: Depth=2
	s_mov_b32 s97, exec_lo
	s_delay_alu instid0(VALU_DEP_1)
	v_cmpx_gt_u32_e64 s34, v4
	s_cbranch_execz .LBB17_327
; %bb.330:                              ;   in Loop: Header=BB17_329 Depth=2
	ds_load_u8 v5, v4
	s_wait_dscnt 0x0
	v_bfe_i32 v6, v5, 0, 8
	s_delay_alu instid0(VALU_DEP_1) | instskip(NEXT) | instid1(VALU_DEP_1)
	v_add_nc_u32_e32 v6, 0x80, v6
	v_and_b32_e32 v6, v6, v39
	s_delay_alu instid0(VALU_DEP_1)
	v_cmp_eq_u32_e32 vcc_lo, v6, v32
	s_and_b32 exec_lo, exec_lo, vcc_lo
	s_cbranch_execz .LBB17_327
; %bb.331:                              ;   in Loop: Header=BB17_329 Depth=2
	v_lshlrev_b16 v5, 8, v5
	s_delay_alu instid0(VALU_DEP_1)
	v_or_b32_e32 v5, 1, v5
	ds_store_b16 v25, v5 offset:3072
	s_branch .LBB17_327
.LBB17_332:                             ;   in Loop: Header=BB17_329 Depth=2
	v_add_nc_u32_e32 v4, s35, v4
	s_mov_b32 s97, 0
	s_delay_alu instid0(VALU_DEP_1)
	v_cmp_le_u32_e32 vcc_lo, s95, v4
	s_or_not1_b32 s98, vcc_lo, exec_lo
	s_branch .LBB17_328
.LBB17_333:                             ;   in Loop: Header=BB17_6 Depth=1
	s_or_b32 exec_lo, exec_lo, s33
	v_and_b32_e32 v4, 0xffff, v5
	s_and_b32 s33, s96, exec_lo
	s_delay_alu instid0(VALU_DEP_1)
	v_lshrrev_b32_e32 v40, 8, v4
.LBB17_334:                             ;   in Loop: Header=BB17_6 Depth=1
	s_or_b32 exec_lo, exec_lo, s94
.LBB17_335:                             ;   in Loop: Header=BB17_6 Depth=1
	s_delay_alu instid0(SALU_CYCLE_1)
	s_and_b32 vcc_lo, exec_lo, s44
	s_cbranch_vccz .LBB17_346
; %bb.336:                              ;   in Loop: Header=BB17_6 Depth=1
                                        ; implicit-def: $vgpr40
	s_and_saveexec_b32 s28, s13
	s_cbranch_execz .LBB17_345
; %bb.337:                              ;   in Loop: Header=BB17_6 Depth=1
	v_dual_mov_b32 v4, v22 :: v_dual_mov_b32 v5, v0
	s_mov_b32 s29, 0
                                        ; implicit-def: $sgpr34
	s_branch .LBB17_340
.LBB17_338:                             ;   in Loop: Header=BB17_340 Depth=2
	s_or_b32 exec_lo, exec_lo, s44
	s_wait_dscnt 0x0
	s_barrier_signal -1
	s_barrier_wait -1
	ds_load_u16 v6, v25 offset:3072
	s_mov_b32 s44, -1
	s_mov_b32 s94, -1
	s_wait_dscnt 0x0
	s_barrier_signal -1
	s_barrier_wait -1
	v_and_b32_e32 v7, 0xff, v6
	s_delay_alu instid0(VALU_DEP_1)
	v_cmp_eq_u32_e32 vcc_lo, 0, v7
	s_cbranch_vccnz .LBB17_343
.LBB17_339:                             ;   in Loop: Header=BB17_340 Depth=2
	s_and_b32 s44, exec_lo, s44
	s_delay_alu instid0(SALU_CYCLE_1) | instskip(SKIP_2) | instid1(SALU_CYCLE_1)
	s_or_b32 s29, s44, s29
	s_and_not1_b32 s34, s34, exec_lo
	s_and_b32 s44, s94, exec_lo
	s_or_b32 s34, s34, s44
	s_and_not1_b32 exec_lo, exec_lo, s29
	s_cbranch_execz .LBB17_344
.LBB17_340:                             ;   Parent Loop BB17_6 Depth=1
                                        ; =>  This Inner Loop Header: Depth=2
	s_mov_b32 s44, exec_lo
	s_delay_alu instid0(VALU_DEP_1)
	v_cmpx_gt_u32_e64 s36, v5
	s_cbranch_execz .LBB17_338
; %bb.341:                              ;   in Loop: Header=BB17_340 Depth=2
	global_load_u8 v6, v4, s[38:39]
	s_wait_loadcnt 0x0
	v_bfe_i32 v7, v6, 0, 8
	s_delay_alu instid0(VALU_DEP_1) | instskip(NEXT) | instid1(VALU_DEP_1)
	v_add_nc_u32_e32 v7, 0x80, v7
	v_and_b32_e32 v7, v7, v39
	s_delay_alu instid0(VALU_DEP_1)
	v_cmp_eq_u32_e32 vcc_lo, v7, v32
	s_and_b32 exec_lo, exec_lo, vcc_lo
	s_cbranch_execz .LBB17_338
; %bb.342:                              ;   in Loop: Header=BB17_340 Depth=2
	v_lshlrev_b16 v6, 8, v6
	s_delay_alu instid0(VALU_DEP_1)
	v_or_b32_e32 v6, 1, v6
	ds_store_b16 v25, v6 offset:3072
	s_branch .LBB17_338
.LBB17_343:                             ;   in Loop: Header=BB17_340 Depth=2
	v_dual_add_nc_u32 v5, s35, v5 :: v_dual_add_nc_u32 v4, s53, v4
	s_mov_b32 s94, 0
	s_delay_alu instid0(VALU_DEP_1)
	v_cmp_le_u32_e32 vcc_lo, s79, v5
	s_or_not1_b32 s44, vcc_lo, exec_lo
	s_branch .LBB17_339
.LBB17_344:                             ;   in Loop: Header=BB17_6 Depth=1
	s_or_b32 exec_lo, exec_lo, s29
	v_and_b32_e32 v4, 0xffff, v6
	s_and_not1_b32 s29, s33, exec_lo
	s_and_b32 s33, s34, exec_lo
	s_delay_alu instid0(SALU_CYCLE_1) | instskip(NEXT) | instid1(VALU_DEP_1)
	s_or_b32 s33, s29, s33
	v_lshrrev_b32_e32 v40, 8, v4
.LBB17_345:                             ;   in Loop: Header=BB17_6 Depth=1
	s_or_b32 exec_lo, exec_lo, s28
	s_mov_b32 s28, 0
	s_mov_b32 s29, -1
.LBB17_346:                             ;   in Loop: Header=BB17_6 Depth=1
	s_or_not1_b32 s33, s33, exec_lo
.LBB17_347:                             ;   in Loop: Header=BB17_6 Depth=1
	s_or_b32 exec_lo, exec_lo, s30
	s_mov_b32 s34, 0
	s_and_saveexec_b32 s30, s33
	s_cbranch_execz .LBB17_397
; %bb.348:                              ;   in Loop: Header=BB17_6 Depth=1
	v_dual_mov_b32 v4, 1 :: v_dual_mov_b32 v2, 1
	s_xor_b32 s33, s31, -1
	s_mov_b32 s44, 0
	s_and_saveexec_b32 s31, s33
	s_cbranch_execz .LBB17_357
; %bb.349:                              ;   in Loop: Header=BB17_6 Depth=1
	s_mov_b32 s33, exec_lo
	v_cmpx_ge_u32_e64 s20, v3
	s_xor_b32 s33, exec_lo, s33
	s_cbranch_execz .LBB17_354
; %bb.350:                              ;   in Loop: Header=BB17_6 Depth=1
	ds_load_b32 v2, v25 offset:4096
	s_lshl_b32 s34, 1, s81
	v_or_b32_e32 v39, s18, v39
	v_and_or_b32 v32, v32, s19, s34
	s_wait_dscnt 0x0
	v_cmp_ne_u32_e32 vcc_lo, 0, v2
	s_cbranch_vccnz .LBB17_354
; %bb.351:                              ;   in Loop: Header=BB17_6 Depth=1
	s_and_saveexec_b32 s34, s5
; %bb.352:                              ;   in Loop: Header=BB17_6 Depth=1
	v_mov_b32_e32 v2, s20
	ds_store_b32 v25, v2 offset:4100
; %bb.353:                              ;   in Loop: Header=BB17_6 Depth=1
	s_or_b32 exec_lo, exec_lo, s34
	s_wait_dscnt 0x0
	s_barrier_signal -1
	s_barrier_wait -1
.LBB17_354:                             ;   in Loop: Header=BB17_6 Depth=1
	s_or_saveexec_b32 s33, s33
	v_mov_b32_e32 v2, 5
	s_mov_b32 s34, 0
	s_xor_b32 exec_lo, exec_lo, s33
; %bb.355:                              ;   in Loop: Header=BB17_6 Depth=1
	v_subrev_nc_u32_e32 v3, s20, v3
	v_mov_b32_e32 v2, 0
	s_mov_b32 s34, exec_lo
; %bb.356:                              ;   in Loop: Header=BB17_6 Depth=1
	s_or_b32 exec_lo, exec_lo, s33
	s_delay_alu instid0(VALU_DEP_2)
	v_mov_b32_e32 v4, v3
	s_and_b32 s44, s34, exec_lo
.LBB17_357:                             ;   in Loop: Header=BB17_6 Depth=1
	s_or_b32 exec_lo, exec_lo, s31
	s_mov_b32 s31, -1
                                        ; implicit-def: $sgpr34
                                        ; implicit-def: $sgpr33
	s_and_saveexec_b32 s20, s44
	s_cbranch_execz .LBB17_396
; %bb.358:                              ;   in Loop: Header=BB17_6 Depth=1
	v_cmp_eq_u32_e32 vcc_lo, 1, v4
	s_cmp_eq_u32 s17, 1
	s_mov_b32 s95, -1
	s_cselect_b32 s31, -1, 0
                                        ; implicit-def: $sgpr34
                                        ; implicit-def: $sgpr33
	s_delay_alu instid0(SALU_CYCLE_1) | instskip(NEXT) | instid1(SALU_CYCLE_1)
	s_and_b32 s31, s31, vcc_lo
	s_and_saveexec_b32 s94, s31
	s_cbranch_execz .LBB17_384
; %bb.359:                              ;   in Loop: Header=BB17_6 Depth=1
	ds_load_b32 v3, v25 offset:4096
	s_wait_dscnt 0x0
	s_barrier_signal -1
	s_barrier_wait -1
	v_readfirstlane_b32 s95, v3
	s_and_saveexec_b32 s33, s6
; %bb.360:                              ;   in Loop: Header=BB17_6 Depth=1
	ds_store_b8 v0, v25 offset:3072
; %bb.361:                              ;   in Loop: Header=BB17_6 Depth=1
	s_or_b32 exec_lo, exec_lo, s33
	v_and_b32_e32 v32, s19, v32
	v_or_b32_e32 v39, s18, v39
	s_mov_b32 s33, -1
	s_mov_b32 s34, 0
	s_cmp_eq_u32 s95, 0
	s_mov_b32 s44, 0
	s_mov_b32 s96, -1
	s_wait_dscnt 0x0
	s_barrier_signal -1
	s_barrier_wait -1
                                        ; implicit-def: $vgpr40
	s_cbranch_scc1 .LBB17_372
; %bb.362:                              ;   in Loop: Header=BB17_6 Depth=1
	s_add_co_i32 s44, s95, s62
                                        ; implicit-def: $vgpr40
	s_delay_alu instid0(SALU_CYCLE_1) | instskip(NEXT) | instid1(SALU_CYCLE_1)
	s_mul_u64 s[96:97], s[44:45], s[48:49]
	s_mul_i32 s96, s97, s35
	s_delay_alu instid0(SALU_CYCLE_1) | instskip(NEXT) | instid1(SALU_CYCLE_1)
	s_sub_co_i32 s96, s44, s96
	s_sub_co_i32 s97, s96, s35
	s_cmp_ge_u32 s96, s35
	s_cselect_b32 s96, s97, s96
	s_delay_alu instid0(SALU_CYCLE_1)
	s_sub_co_i32 s97, s96, s35
	s_cmp_ge_u32 s96, s35
	s_cselect_b32 s96, s97, s96
	s_mov_b32 s97, exec_lo
	s_sub_co_i32 s98, s44, s96
	s_mov_b32 s96, 0
	s_mov_b32 s44, 0
	v_cmpx_gt_u32_e64 s98, v0
	s_cbranch_execz .LBB17_371
; %bb.363:                              ;   in Loop: Header=BB17_6 Depth=1
	v_mov_b32_e32 v3, v0
                                        ; implicit-def: $sgpr99
	s_branch .LBB17_366
.LBB17_364:                             ;   in Loop: Header=BB17_366 Depth=2
	s_or_b32 exec_lo, exec_lo, s100
	s_wait_dscnt 0x0
	s_barrier_signal -1
	s_barrier_wait -1
	ds_load_u16 v5, v25 offset:3072
	s_mov_b32 s101, -1
	s_mov_b32 s100, -1
	s_wait_dscnt 0x0
	s_barrier_signal -1
	s_barrier_wait -1
	v_and_b32_e32 v6, 0xff, v5
	s_delay_alu instid0(VALU_DEP_1)
	v_cmp_ne_u32_e32 vcc_lo, 0, v6
	s_cbranch_vccz .LBB17_369
.LBB17_365:                             ;   in Loop: Header=BB17_366 Depth=2
	s_and_b32 s101, exec_lo, s101
	s_delay_alu instid0(SALU_CYCLE_1) | instskip(SKIP_2) | instid1(SALU_CYCLE_1)
	s_or_b32 s44, s101, s44
	s_and_not1_b32 s99, s99, exec_lo
	s_and_b32 s100, s100, exec_lo
	s_or_b32 s99, s99, s100
	s_and_not1_b32 exec_lo, exec_lo, s44
	s_cbranch_execz .LBB17_370
.LBB17_366:                             ;   Parent Loop BB17_6 Depth=1
                                        ; =>  This Inner Loop Header: Depth=2
	s_mov_b32 s100, exec_lo
	s_delay_alu instid0(VALU_DEP_1)
	v_cmpx_gt_u32_e64 s95, v3
	s_cbranch_execz .LBB17_364
; %bb.367:                              ;   in Loop: Header=BB17_366 Depth=2
	ds_load_u8 v5, v3
	s_wait_dscnt 0x0
	v_bfe_i32 v6, v5, 0, 8
	s_delay_alu instid0(VALU_DEP_1) | instskip(NEXT) | instid1(VALU_DEP_1)
	v_add_nc_u32_e32 v6, 0x80, v6
	v_and_b32_e32 v6, v6, v39
	s_delay_alu instid0(VALU_DEP_1)
	v_cmp_eq_u32_e32 vcc_lo, v6, v32
	s_and_b32 exec_lo, exec_lo, vcc_lo
	s_cbranch_execz .LBB17_364
; %bb.368:                              ;   in Loop: Header=BB17_366 Depth=2
	v_lshlrev_b16 v5, 8, v5
	s_delay_alu instid0(VALU_DEP_1)
	v_or_b32_e32 v5, 1, v5
	ds_store_b16 v25, v5 offset:3072
	s_branch .LBB17_364
.LBB17_369:                             ;   in Loop: Header=BB17_366 Depth=2
	v_add_nc_u32_e32 v3, s35, v3
	s_mov_b32 s100, 0
	s_delay_alu instid0(VALU_DEP_1)
	v_cmp_le_u32_e32 vcc_lo, s98, v3
	s_or_not1_b32 s101, vcc_lo, exec_lo
	s_branch .LBB17_365
.LBB17_370:                             ;   in Loop: Header=BB17_6 Depth=1
	s_or_b32 exec_lo, exec_lo, s44
	v_and_b32_e32 v3, 0xffff, v5
	s_and_b32 s44, s99, exec_lo
	s_delay_alu instid0(VALU_DEP_1)
	v_lshrrev_b32_e32 v40, 8, v3
.LBB17_371:                             ;   in Loop: Header=BB17_6 Depth=1
	s_or_b32 exec_lo, exec_lo, s97
.LBB17_372:                             ;   in Loop: Header=BB17_6 Depth=1
	s_delay_alu instid0(SALU_CYCLE_1)
	s_and_b32 vcc_lo, exec_lo, s96
	s_cbranch_vccz .LBB17_383
; %bb.373:                              ;   in Loop: Header=BB17_6 Depth=1
                                        ; implicit-def: $vgpr40
	s_and_saveexec_b32 s33, s13
	s_cbranch_execz .LBB17_382
; %bb.374:                              ;   in Loop: Header=BB17_6 Depth=1
	v_dual_mov_b32 v3, v22 :: v_dual_mov_b32 v5, v0
	s_mov_b32 s34, 0
                                        ; implicit-def: $sgpr95
	s_branch .LBB17_377
.LBB17_375:                             ;   in Loop: Header=BB17_377 Depth=2
	s_or_b32 exec_lo, exec_lo, s96
	s_wait_dscnt 0x0
	s_barrier_signal -1
	s_barrier_wait -1
	ds_load_u16 v6, v25 offset:3072
	s_mov_b32 s96, -1
	s_mov_b32 s97, -1
	s_wait_dscnt 0x0
	s_barrier_signal -1
	s_barrier_wait -1
	v_and_b32_e32 v7, 0xff, v6
	s_delay_alu instid0(VALU_DEP_1)
	v_cmp_eq_u32_e32 vcc_lo, 0, v7
	s_cbranch_vccnz .LBB17_380
.LBB17_376:                             ;   in Loop: Header=BB17_377 Depth=2
	s_and_b32 s96, exec_lo, s96
	s_delay_alu instid0(SALU_CYCLE_1) | instskip(SKIP_2) | instid1(SALU_CYCLE_1)
	s_or_b32 s34, s96, s34
	s_and_not1_b32 s95, s95, exec_lo
	s_and_b32 s96, s97, exec_lo
	s_or_b32 s95, s95, s96
	s_and_not1_b32 exec_lo, exec_lo, s34
	s_cbranch_execz .LBB17_381
.LBB17_377:                             ;   Parent Loop BB17_6 Depth=1
                                        ; =>  This Inner Loop Header: Depth=2
	s_mov_b32 s96, exec_lo
	s_delay_alu instid0(VALU_DEP_1)
	v_cmpx_gt_u32_e64 s36, v5
	s_cbranch_execz .LBB17_375
; %bb.378:                              ;   in Loop: Header=BB17_377 Depth=2
	global_load_u8 v6, v3, s[38:39]
	s_wait_loadcnt 0x0
	v_bfe_i32 v7, v6, 0, 8
	s_delay_alu instid0(VALU_DEP_1) | instskip(NEXT) | instid1(VALU_DEP_1)
	v_add_nc_u32_e32 v7, 0x80, v7
	v_and_b32_e32 v7, v7, v39
	s_delay_alu instid0(VALU_DEP_1)
	v_cmp_eq_u32_e32 vcc_lo, v7, v32
	s_and_b32 exec_lo, exec_lo, vcc_lo
	s_cbranch_execz .LBB17_375
; %bb.379:                              ;   in Loop: Header=BB17_377 Depth=2
	v_lshlrev_b16 v6, 8, v6
	s_delay_alu instid0(VALU_DEP_1)
	v_or_b32_e32 v6, 1, v6
	ds_store_b16 v25, v6 offset:3072
	s_branch .LBB17_375
.LBB17_380:                             ;   in Loop: Header=BB17_377 Depth=2
	v_dual_add_nc_u32 v5, s35, v5 :: v_dual_add_nc_u32 v3, s53, v3
	s_mov_b32 s97, 0
	s_delay_alu instid0(VALU_DEP_1)
	v_cmp_le_u32_e32 vcc_lo, s79, v5
	s_or_not1_b32 s96, vcc_lo, exec_lo
	s_branch .LBB17_376
.LBB17_381:                             ;   in Loop: Header=BB17_6 Depth=1
	s_or_b32 exec_lo, exec_lo, s34
	v_and_b32_e32 v3, 0xffff, v6
	s_and_not1_b32 s34, s44, exec_lo
	s_and_b32 s44, s95, exec_lo
	s_delay_alu instid0(SALU_CYCLE_1) | instskip(NEXT) | instid1(VALU_DEP_1)
	s_or_b32 s44, s34, s44
	v_lshrrev_b32_e32 v40, 8, v3
.LBB17_382:                             ;   in Loop: Header=BB17_6 Depth=1
	s_or_b32 exec_lo, exec_lo, s33
	s_mov_b32 s33, 0
	s_mov_b32 s34, -1
.LBB17_383:                             ;   in Loop: Header=BB17_6 Depth=1
	s_or_not1_b32 s95, s44, exec_lo
.LBB17_384:                             ;   in Loop: Header=BB17_6 Depth=1
	s_or_b32 exec_lo, exec_lo, s94
	s_mov_b32 s94, 0
	s_and_saveexec_b32 s44, s95
	s_cbranch_execz .LBB17_395
; %bb.385:                              ;   in Loop: Header=BB17_6 Depth=1
	v_dual_mov_b32 v2, 1 :: v_dual_mov_b32 v3, 1
	s_xor_b32 s94, s31, -1
	s_delay_alu instid0(SALU_CYCLE_1)
	s_and_saveexec_b32 s31, s94
	s_cbranch_execz .LBB17_394
; %bb.386:                              ;   in Loop: Header=BB17_6 Depth=1
	s_mov_b32 s94, exec_lo
	v_cmpx_ge_u32_e64 s17, v4
	s_xor_b32 s94, exec_lo, s94
	s_cbranch_execz .LBB17_391
; %bb.387:                              ;   in Loop: Header=BB17_6 Depth=1
	ds_load_b32 v2, v25 offset:4096
	v_and_b32_e32 v32, s19, v32
	v_or_b32_e32 v39, s18, v39
	s_wait_dscnt 0x0
	v_cmp_ne_u32_e32 vcc_lo, 0, v2
	s_cbranch_vccnz .LBB17_391
; %bb.388:                              ;   in Loop: Header=BB17_6 Depth=1
	s_and_saveexec_b32 s18, s5
; %bb.389:                              ;   in Loop: Header=BB17_6 Depth=1
	v_mov_b32_e32 v2, s17
	ds_store_b32 v25, v2 offset:4100
; %bb.390:                              ;   in Loop: Header=BB17_6 Depth=1
	s_or_b32 exec_lo, exec_lo, s18
	s_wait_dscnt 0x0
	s_barrier_signal -1
	s_barrier_wait -1
.LBB17_391:                             ;   in Loop: Header=BB17_6 Depth=1
	s_and_not1_saveexec_b32 s18, s94
; %bb.392:                              ;   in Loop: Header=BB17_6 Depth=1
	v_subrev_nc_u32_e32 v4, s17, v4
; %bb.393:                              ;   in Loop: Header=BB17_6 Depth=1
	s_or_b32 exec_lo, exec_lo, s18
	s_delay_alu instid0(VALU_DEP_1)
	v_dual_mov_b32 v2, 5 :: v_dual_mov_b32 v3, v4
.LBB17_394:                             ;   in Loop: Header=BB17_6 Depth=1
	s_or_b32 exec_lo, exec_lo, s31
	s_delay_alu instid0(VALU_DEP_1)
	v_mov_b32_e32 v4, v3
	s_mov_b32 s94, exec_lo
.LBB17_395:                             ;   in Loop: Header=BB17_6 Depth=1
	s_or_b32 exec_lo, exec_lo, s44
	s_delay_alu instid0(SALU_CYCLE_1)
	s_or_not1_b32 s31, s94, exec_lo
.LBB17_396:                             ;   in Loop: Header=BB17_6 Depth=1
	s_or_b32 exec_lo, exec_lo, s20
	v_mov_b32_e32 v3, v4
	s_and_not1_b32 s17, s29, exec_lo
	s_and_b32 s18, s34, exec_lo
	s_and_not1_b32 s19, s28, exec_lo
	s_and_b32 s20, s33, exec_lo
	s_or_b32 s29, s17, s18
	s_or_b32 s28, s19, s20
	s_and_b32 s34, s31, exec_lo
.LBB17_397:                             ;   in Loop: Header=BB17_6 Depth=1
	s_or_b32 exec_lo, exec_lo, s30
	s_delay_alu instid0(SALU_CYCLE_1)
	s_or_not1_b32 s30, s34, exec_lo
.LBB17_398:                             ;   in Loop: Header=BB17_6 Depth=1
	s_or_b32 exec_lo, exec_lo, s21
	v_mov_b32_e32 v5, v3
	s_and_not1_b32 s17, s25, exec_lo
	s_and_b32 s18, s29, exec_lo
	s_and_not1_b32 s19, s22, exec_lo
	s_and_b32 s20, s28, exec_lo
	s_or_b32 s25, s17, s18
	s_or_b32 s22, s19, s20
	s_and_b32 s30, s30, exec_lo
.LBB17_399:                             ;   in Loop: Header=BB17_6 Depth=1
	s_or_b32 exec_lo, exec_lo, s27
	s_delay_alu instid0(SALU_CYCLE_1)
	s_or_not1_b32 s27, s30, exec_lo
.LBB17_400:                             ;   in Loop: Header=BB17_6 Depth=1
	s_or_b32 exec_lo, exec_lo, s14
	s_mov_b32 s14, s23
	s_mov_b32 s17, s15
	s_and_saveexec_b32 s18, s27
; %bb.401:                              ;   in Loop: Header=BB17_6 Depth=1
	v_cmp_ne_u32_e32 vcc_lo, 5, v2
	v_cmp_eq_u32_e64 s14, 5, v2
	s_and_not1_b32 s17, s15, exec_lo
	s_and_not1_b32 s19, s23, exec_lo
	s_and_b32 s20, vcc_lo, exec_lo
	s_and_b32 s14, s14, exec_lo
	s_or_b32 s17, s17, s20
	s_or_b32 s14, s19, s14
; %bb.402:                              ;   in Loop: Header=BB17_6 Depth=1
	s_or_b32 exec_lo, exec_lo, s18
	s_delay_alu instid0(SALU_CYCLE_1)
	s_and_not1_b32 s18, s26, exec_lo
	s_and_b32 s19, s25, exec_lo
	s_and_not1_b32 s16, s16, exec_lo
	s_and_b32 s20, s22, exec_lo
	s_or_b32 s26, s18, s19
	s_and_not1_b32 s15, s15, exec_lo
	s_and_b32 s17, s17, exec_lo
	s_and_not1_b32 s18, s23, exec_lo
	s_and_b32 s14, s14, exec_lo
	s_or_b32 s16, s16, s20
	s_or_b32 s15, s15, s17
	;; [unrolled: 1-line block ×3, first 2 shown]
.LBB17_403:                             ;   in Loop: Header=BB17_6 Depth=1
	s_or_b32 exec_lo, exec_lo, s24
	s_mov_b32 s24, 0
	s_mov_b32 s25, 0
	s_and_saveexec_b32 s14, s23
.LBB17_404:                             ;   in Loop: Header=BB17_6 Depth=1
	v_mov_b32_e32 v2, 0
	s_or_b32 s15, s15, exec_lo
.LBB17_405:                             ;   in Loop: Header=BB17_6 Depth=1
	s_or_b32 exec_lo, exec_lo, s14
	s_delay_alu instid0(SALU_CYCLE_1)
	s_and_not1_b32 s14, s91, exec_lo
	s_and_b32 s18, s26, exec_lo
	s_and_not1_b32 s19, s89, exec_lo
	s_and_b32 s16, s16, exec_lo
	v_mov_b32_e32 v41, v5
	s_or_b32 s91, s14, s18
	s_or_b32 s89, s19, s16
	s_and_not1_b32 s14, s93, exec_lo
	s_and_b32 s16, s25, exec_lo
	s_and_not1_b32 s18, s92, exec_lo
	s_and_b32 s19, s24, exec_lo
	s_mov_b32 s17, -1
	s_and_not1_b32 s90, s90, exec_lo
	s_or_b32 s93, s14, s16
	s_or_b32 s92, s18, s19
	s_and_saveexec_b32 s14, s15
	s_delay_alu instid0(SALU_CYCLE_1)
	s_xor_b32 s14, exec_lo, s14
	s_cbranch_execz .LBB17_5
; %bb.406:                              ;   in Loop: Header=BB17_6 Depth=1
	s_mov_b32 s15, -1
	s_mov_b32 s16, -1
	s_mov_b32 s17, exec_lo
	v_cmpx_eq_u32_e32 0, v2
	s_cbranch_execz .LBB17_4
; %bb.407:                              ;   in Loop: Header=BB17_6 Depth=1
	s_xor_b32 s84, s84, 1
	s_add_co_i32 s18, s81, -2
	s_cmp_eq_u32 s81, 0
	s_mov_b32 s81, s18
	s_cselect_b32 s15, -1, 0
	s_xor_b32 s16, exec_lo, -1
	s_or_not1_b32 s15, s15, exec_lo
	s_branch .LBB17_4
.LBB17_408:
	s_or_b32 exec_lo, exec_lo, s82
	s_xor_b32 s7, s88, -1
	s_xor_b32 s9, s86, -1
	;; [unrolled: 1-line block ×5, first 2 shown]
	s_mov_b32 s8, 0
	s_and_saveexec_b32 s12, s11
	s_delay_alu instid0(SALU_CYCLE_1)
	s_xor_b32 s12, exec_lo, s12
	s_cbranch_execnz .LBB17_413
; %bb.409:
	s_and_not1_saveexec_b32 s0, s12
	s_cbranch_execnz .LBB17_432
.LBB17_410:
	s_or_b32 exec_lo, exec_lo, s0
	s_and_saveexec_b32 s0, s8
.LBB17_411:
	; divergent unreachable
.LBB17_412:
	s_sendmsg sendmsg(MSG_DEALLOC_VGPRS)
	s_endpgm
.LBB17_413:
	s_and_saveexec_b32 s11, s10
	s_delay_alu instid0(SALU_CYCLE_1)
	s_xor_b32 s13, exec_lo, s11
	s_cbranch_execz .LBB17_430
; %bb.414:
	s_and_saveexec_b32 s10, s9
	s_delay_alu instid0(SALU_CYCLE_1)
	s_xor_b32 s14, exec_lo, s10
	s_cbranch_execz .LBB17_428
; %bb.415:
	;; [unrolled: 5-line block ×3, first 2 shown]
	s_and_saveexec_b32 s7, s6
	s_delay_alu instid0(SALU_CYCLE_1)
	s_xor_b32 s6, exec_lo, s7
; %bb.417:
	v_xor_b32_e32 v40, 0xffffff80, v32
; %bb.418:
	s_or_b32 exec_lo, exec_lo, s6
	s_and_saveexec_b32 s6, s5
; %bb.419:
	v_mov_b32_e32 v1, 0
	ds_store_b32 v1, v1 offset:4108
; %bb.420:
	s_or_b32 exec_lo, exec_lo, s6
	v_mov_b32_e32 v1, 0
	s_wait_dscnt 0x0
	s_barrier_signal -1
	s_barrier_wait -1
	s_and_saveexec_b32 s5, s3
	s_cbranch_execz .LBB17_422
; %bb.421:
	global_load_u8 v1, v[20:21], off
.LBB17_422:
	s_wait_xcnt 0x0
	s_or_b32 exec_lo, exec_lo, s5
	s_clause 0x1
	s_load_b32 s5, s[0:1], 0x1c8
	s_load_b32 s16, s[0:1], 0x2a8
	s_add_co_i32 s17, s36, 31
	s_mov_b32 s11, 0
	s_and_not1_b32 s17, s17, 31
	s_wait_xcnt 0x0
	s_mul_i32 s0, s55, s54
	s_mov_b32 s1, s11
	v_cmp_gt_u32_e32 vcc_lo, s17, v0
	s_mul_i32 s10, s56, s54
	s_lshl_b64 s[0:1], s[0:1], 3
	s_add_nc_u64 s[6:7], s[42:43], s[10:11]
	s_add_nc_u64 s[8:9], s[40:41], s[0:1]
	s_mov_b32 s0, -1
	s_mov_b32 s1, 0
	s_and_saveexec_b32 s10, vcc_lo
	s_cbranch_execnz .LBB17_433
; %bb.423:
	s_or_b32 exec_lo, exec_lo, s10
	s_and_saveexec_b32 s4, s0
	s_cbranch_execnz .LBB17_448
.LBB17_424:
	s_or_b32 exec_lo, exec_lo, s4
	s_and_saveexec_b32 s0, s1
	s_delay_alu instid0(SALU_CYCLE_1)
	s_xor_b32 s0, exec_lo, s0
	s_cbranch_execnz .LBB17_471
.LBB17_425:
	s_or_b32 exec_lo, exec_lo, s0
	s_delay_alu instid0(SALU_CYCLE_1)
	s_and_b32 s8, s11, exec_lo
.LBB17_426:
	s_and_not1_saveexec_b32 s0, s15
	s_cbranch_execnz .LBB17_473
.LBB17_427:
	s_or_b32 exec_lo, exec_lo, s0
	s_delay_alu instid0(SALU_CYCLE_1)
	s_and_b32 s8, s8, exec_lo
.LBB17_428:
	s_and_not1_saveexec_b32 s0, s14
	s_cbranch_execnz .LBB17_472
.LBB17_429:
	s_or_b32 exec_lo, exec_lo, s0
	s_delay_alu instid0(SALU_CYCLE_1)
	s_and_b32 s8, s8, exec_lo
.LBB17_430:
	s_and_not1_saveexec_b32 s0, s13
	s_cbranch_execnz .LBB17_467
.LBB17_431:
	s_or_b32 exec_lo, exec_lo, s0
	s_delay_alu instid0(SALU_CYCLE_1)
	s_and_b32 s8, s8, exec_lo
	s_and_not1_saveexec_b32 s0, s12
	s_cbranch_execz .LBB17_410
.LBB17_432:
	s_or_b32 s8, s8, exec_lo
	s_trap 2
	s_or_b32 exec_lo, exec_lo, s0
	s_and_saveexec_b32 s0, s8
	s_cbranch_execnz .LBB17_411
	s_branch .LBB17_412
.LBB17_433:
	v_add_nc_u32_e32 v2, s35, v0
	v_bfe_i32 v3, v40, 0, 8
	s_mov_b32 s18, 0
                                        ; implicit-def: $sgpr19
                                        ; implicit-def: $vgpr8
	s_delay_alu instid0(VALU_DEP_1)
	v_add_nc_u32_e32 v5, 0x80, v3
	v_mov_b32_e32 v3, 0
	v_mul_lo_u32 v4, s52, v2
	v_mov_b32_e32 v2, v0
	s_branch .LBB17_435
.LBB17_434:                             ;   in Loop: Header=BB17_435 Depth=1
	s_or_b32 exec_lo, exec_lo, s21
	s_xor_b32 s0, s20, -1
	s_and_b32 s1, exec_lo, s1
	v_dual_mov_b32 v1, v7 :: v_dual_mov_b32 v2, v6
	s_or_b32 s18, s1, s18
	s_and_not1_b32 s1, s19, exec_lo
	s_and_b32 s0, s0, exec_lo
	s_delay_alu instid0(SALU_CYCLE_1)
	s_or_b32 s19, s1, s0
	s_and_not1_b32 exec_lo, exec_lo, s18
	s_cbranch_execz .LBB17_447
.LBB17_435:                             ; =>This Inner Loop Header: Depth=1
	s_delay_alu instid0(VALU_DEP_1) | instskip(SKIP_1) | instid1(VALU_DEP_1)
	v_dual_mov_b32 v7, 0 :: v_dual_add_nc_u32 v6, s35, v2
	s_mov_b32 s1, exec_lo
	v_cmpx_gt_u32_e64 s36, v6
	s_cbranch_execz .LBB17_437
; %bb.436:                              ;   in Loop: Header=BB17_435 Depth=1
	global_load_u8 v7, v4, s[38:39]
.LBB17_437:                             ;   in Loop: Header=BB17_435 Depth=1
	s_wait_xcnt 0x0
	s_or_b32 exec_lo, exec_lo, s1
	s_wait_loadcnt 0x0
	v_bfe_i32 v9, v1, 0, 8
	s_delay_alu instid0(VALU_DEP_1) | instskip(NEXT) | instid1(VALU_DEP_1)
	v_add_nc_u32_e32 v9, 0x80, v9
	v_cmp_gt_u32_e64 s0, v9, v5
	s_delay_alu instid0(VALU_DEP_1) | instskip(SKIP_1) | instid1(VALU_DEP_1)
	v_cndmask_b32_e64 v10, 0, 1, s0
	v_cmp_lt_u32_e64 s0, v9, v5
	v_cndmask_b32_e64 v9, 0, 1, s0
	v_cmp_gt_u32_e64 s0, s36, v2
	s_delay_alu instid0(VALU_DEP_2) | instskip(NEXT) | instid1(VALU_DEP_1)
	v_cndmask_b32_e64 v9, v9, v10, s4
	v_and_b32_e32 v9, 1, v9
	s_delay_alu instid0(VALU_DEP_1) | instskip(SKIP_1) | instid1(SALU_CYCLE_1)
	v_cmp_eq_u32_e64 s1, 1, v9
	s_and_b32 s20, s0, s1
	v_cndmask_b32_e64 v9, 0, 1, s20
	s_delay_alu instid0(VALU_DEP_1) | instskip(SKIP_2) | instid1(SALU_CYCLE_1)
	v_cmp_ne_u32_e64 s0, 0, v9
	s_cmp_lg_u32 s0, 0
	s_cselect_b32 s1, -1, 0
	s_and_b32 s1, s2, s1
	s_delay_alu instid0(SALU_CYCLE_1)
	s_and_saveexec_b32 s21, s1
	s_cbranch_execz .LBB17_441
; %bb.438:                              ;   in Loop: Header=BB17_435 Depth=1
	s_mov_b32 s24, exec_lo
	s_bcnt1_i32_b32 s22, s0
	s_wait_dscnt 0x0
	v_mbcnt_lo_u32_b32 v8, s24, 0
	s_mov_b32 s23, exec_lo
                                        ; implicit-def: $vgpr9
	s_delay_alu instid0(VALU_DEP_1)
	v_cmpx_eq_u32_e32 0, v8
; %bb.439:                              ;   in Loop: Header=BB17_435 Depth=1
	s_bcnt1_i32_b32 s1, s24
	s_delay_alu instid0(SALU_CYCLE_1) | instskip(NEXT) | instid1(SALU_CYCLE_1)
	s_mul_i32 s1, s22, s1
	v_mov_b32_e32 v9, s1
	ds_add_rtn_u32 v9, v3, v9 offset:4108
; %bb.440:                              ;   in Loop: Header=BB17_435 Depth=1
	s_or_b32 exec_lo, exec_lo, s23
	s_wait_dscnt 0x0
	v_readfirstlane_b32 s1, v9
	s_delay_alu instid0(VALU_DEP_1)
	v_mad_u32_u24 v8, s22, v8, s1
.LBB17_441:                             ;   in Loop: Header=BB17_435 Depth=1
	s_or_b32 exec_lo, exec_lo, s21
	s_wait_dscnt 0x0
	ds_bpermute_b32 v8, v3, v8
	s_mov_b32 s1, -1
	s_mov_b32 s22, -1
	s_and_saveexec_b32 s21, s20
	s_cbranch_execz .LBB17_445
; %bb.442:                              ;   in Loop: Header=BB17_435 Depth=1
	v_and_b32_e32 v9, s0, v18
	s_mov_b32 s20, 0
	s_mov_b32 s22, exec_lo
	s_wait_dscnt 0x0
	s_delay_alu instid0(VALU_DEP_1) | instskip(NEXT) | instid1(VALU_DEP_1)
	v_bcnt_u32_b32 v9, v9, v8
	v_cmpx_gt_u32_e64 s37, v9
	s_cbranch_execz .LBB17_444
; %bb.443:                              ;   in Loop: Header=BB17_435 Depth=1
	s_wait_kmcnt 0x0
	v_mul_lo_u32 v10, v9, s5
	v_mul_lo_u32 v9, v9, s16
	s_mov_b32 s20, exec_lo
	global_store_b8 v10, v1, s[6:7]
	global_store_b64 v9, v[2:3], s[8:9] scale_offset
.LBB17_444:                             ;   in Loop: Header=BB17_435 Depth=1
	s_wait_xcnt 0x0
	s_or_b32 exec_lo, exec_lo, s22
	s_delay_alu instid0(SALU_CYCLE_1)
	s_or_not1_b32 s22, s20, exec_lo
.LBB17_445:                             ;   in Loop: Header=BB17_435 Depth=1
	s_or_b32 exec_lo, exec_lo, s21
	s_mov_b32 s20, -1
	s_and_saveexec_b32 s21, s22
	s_cbranch_execz .LBB17_434
; %bb.446:                              ;   in Loop: Header=BB17_435 Depth=1
	v_cmp_le_u32_e64 s0, s17, v6
	v_add_nc_u32_e32 v4, s53, v4
	s_xor_b32 s20, exec_lo, -1
	s_or_not1_b32 s1, s0, exec_lo
	s_branch .LBB17_434
.LBB17_447:
	s_or_b32 exec_lo, exec_lo, s18
	s_delay_alu instid0(SALU_CYCLE_1)
	s_mov_b32 s1, exec_lo
	s_or_not1_b32 s0, s19, exec_lo
	s_or_b32 exec_lo, exec_lo, s10
	s_and_saveexec_b32 s4, s0
	s_cbranch_execz .LBB17_424
.LBB17_448:
	v_mov_b32_e32 v7, 0
	s_wait_storecnt 0x0
	s_wait_loadcnt_dscnt 0x0
	s_barrier_signal -1
	s_barrier_wait -1
	s_and_saveexec_b32 s0, s3
	s_cbranch_execz .LBB17_450
; %bb.449:
	global_load_u8 v7, v[20:21], off
.LBB17_450:
	s_wait_xcnt 0x0
	s_or_b32 exec_lo, exec_lo, s0
	s_mov_b32 s0, 0
	s_and_saveexec_b32 s3, vcc_lo
	s_cbranch_execz .LBB17_470
; %bb.451:
	v_add_nc_u32_e32 v1, s35, v0
	v_and_b32_e32 v3, 0xff, v40
	s_mov_b32 s10, 0
                                        ; implicit-def: $sgpr11
                                        ; implicit-def: $vgpr6
	s_delay_alu instid0(VALU_DEP_2)
	v_mul_lo_u32 v2, s52, v1
	v_mov_b32_e32 v1, 0
	s_branch .LBB17_454
.LBB17_452:                             ;   in Loop: Header=BB17_454 Depth=1
	s_or_b32 exec_lo, exec_lo, s20
	s_delay_alu instid0(SALU_CYCLE_1)
	s_or_not1_b32 s20, s18, exec_lo
	s_or_not1_b32 s19, s19, exec_lo
.LBB17_453:                             ;   in Loop: Header=BB17_454 Depth=1
	s_or_b32 exec_lo, exec_lo, s0
	s_xor_b32 s0, s20, -1
	s_and_b32 s18, exec_lo, s19
	v_dual_mov_b32 v0, v4 :: v_dual_mov_b32 v7, v5
	s_or_b32 s10, s18, s10
	s_and_not1_b32 s11, s11, exec_lo
	s_and_b32 s0, s0, exec_lo
	s_delay_alu instid0(SALU_CYCLE_1)
	s_or_b32 s11, s11, s0
	s_and_not1_b32 exec_lo, exec_lo, s10
	s_cbranch_execz .LBB17_468
.LBB17_454:                             ; =>This Inner Loop Header: Depth=1
	v_dual_mov_b32 v5, 0 :: v_dual_add_nc_u32 v4, s35, v0
	s_mov_b32 s0, exec_lo
	s_delay_alu instid0(VALU_DEP_1)
	v_cmpx_gt_u32_e64 s36, v4
	s_cbranch_execz .LBB17_456
; %bb.455:                              ;   in Loop: Header=BB17_454 Depth=1
	global_load_u8 v5, v2, s[38:39]
.LBB17_456:                             ;   in Loop: Header=BB17_454 Depth=1
	s_wait_xcnt 0x0
	s_or_b32 exec_lo, exec_lo, s0
	s_wait_loadcnt 0x0
	v_and_b32_e32 v7, 0xff, v7
	v_cmp_gt_u32_e32 vcc_lo, s36, v0
	s_delay_alu instid0(VALU_DEP_2) | instskip(SKIP_1) | instid1(SALU_CYCLE_1)
	v_cmp_eq_u16_e64 s0, v7, v3
	s_and_b32 s18, vcc_lo, s0
	v_cndmask_b32_e64 v7, 0, 1, s18
	s_delay_alu instid0(VALU_DEP_1) | instskip(SKIP_2) | instid1(SALU_CYCLE_1)
	v_cmp_ne_u32_e32 vcc_lo, 0, v7
	s_cmp_lg_u32 vcc_lo, 0
	s_cselect_b32 s0, -1, 0
	s_and_b32 s0, s2, s0
	s_delay_alu instid0(SALU_CYCLE_1)
	s_and_saveexec_b32 s19, s0
	s_cbranch_execz .LBB17_460
; %bb.457:                              ;   in Loop: Header=BB17_454 Depth=1
	s_mov_b32 s22, exec_lo
	s_bcnt1_i32_b32 s20, vcc_lo
	v_mbcnt_lo_u32_b32 v6, s22, 0
	s_mov_b32 s21, exec_lo
                                        ; implicit-def: $vgpr7
	s_delay_alu instid0(VALU_DEP_1)
	v_cmpx_eq_u32_e32 0, v6
; %bb.458:                              ;   in Loop: Header=BB17_454 Depth=1
	s_bcnt1_i32_b32 s0, s22
	s_delay_alu instid0(SALU_CYCLE_1) | instskip(NEXT) | instid1(SALU_CYCLE_1)
	s_mul_i32 s0, s20, s0
	v_mov_b32_e32 v7, s0
	ds_add_rtn_u32 v7, v1, v7 offset:4108
; %bb.459:                              ;   in Loop: Header=BB17_454 Depth=1
	s_or_b32 exec_lo, exec_lo, s21
	s_wait_dscnt 0x0
	v_readfirstlane_b32 s0, v7
	s_delay_alu instid0(VALU_DEP_1)
	v_mad_u32_u24 v6, s20, v6, s0
.LBB17_460:                             ;   in Loop: Header=BB17_454 Depth=1
	s_or_b32 exec_lo, exec_lo, s19
	ds_bpermute_b32 v6, v1, v6
	s_cmp_eq_u32 vcc_lo, 0
	s_mov_b32 s19, -1
	s_cselect_b32 s20, -1, 0
	s_wait_dscnt 0x0
	v_cmp_gt_u32_e64 s0, s37, v6
	s_or_b32 s21, s20, s0
	s_mov_b32 s20, -1
	s_and_saveexec_b32 s0, s21
	s_cbranch_execz .LBB17_453
; %bb.461:                              ;   in Loop: Header=BB17_454 Depth=1
	v_and_b32_e32 v7, vcc_lo, v18
	v_sub_nc_u32_e32 v8, s37, v6
	s_mov_b32 s21, -1
	s_delay_alu instid0(VALU_DEP_2) | instskip(NEXT) | instid1(VALU_DEP_1)
	v_bcnt_u32_b32 v7, v7, 0
	v_bcnt_u32_b32 v7, 0, v7
	s_delay_alu instid0(VALU_DEP_1)
	v_cmp_gt_u32_e32 vcc_lo, v8, v7
	s_and_b32 s22, s18, vcc_lo
	s_mov_b32 s18, -1
	s_and_saveexec_b32 s20, s22
	s_cbranch_execz .LBB17_465
; %bb.462:                              ;   in Loop: Header=BB17_454 Depth=1
	v_add_nc_u32_e32 v7, v6, v7
	s_mov_b32 s21, 0
	s_mov_b32 s18, exec_lo
	s_delay_alu instid0(VALU_DEP_1)
	v_cmpx_gt_u32_e64 s37, v7
	s_cbranch_execz .LBB17_464
; %bb.463:                              ;   in Loop: Header=BB17_454 Depth=1
	s_wait_kmcnt 0x0
	v_mul_lo_u32 v8, v7, s5
	v_mul_lo_u32 v7, v7, s16
	s_mov_b32 s21, exec_lo
	global_store_b8 v8, v40, s[6:7]
	global_store_b64 v7, v[0:1], s[8:9] scale_offset
.LBB17_464:                             ;   in Loop: Header=BB17_454 Depth=1
	s_wait_xcnt 0x0
	s_or_b32 exec_lo, exec_lo, s18
	s_delay_alu instid0(SALU_CYCLE_1)
	s_xor_b32 s18, exec_lo, -1
	s_or_not1_b32 s21, s21, exec_lo
.LBB17_465:                             ;   in Loop: Header=BB17_454 Depth=1
	s_or_b32 exec_lo, exec_lo, s20
	s_and_saveexec_b32 s20, s21
	s_cbranch_execz .LBB17_452
; %bb.466:                              ;   in Loop: Header=BB17_454 Depth=1
	v_cmp_le_u32_e32 vcc_lo, s17, v4
	v_add_nc_u32_e32 v2, s53, v2
	s_or_b32 s18, s18, exec_lo
	s_or_not1_b32 s19, vcc_lo, exec_lo
	s_branch .LBB17_452
.LBB17_467:
	s_or_b32 s8, s8, exec_lo
	s_trap 2
	s_branch .LBB17_431
.LBB17_468:
	s_or_b32 exec_lo, exec_lo, s10
	s_mov_b32 s0, 0
	s_and_saveexec_b32 s2, s11
	s_delay_alu instid0(SALU_CYCLE_1)
	s_xor_b32 s2, exec_lo, s2
	s_cbranch_execnz .LBB17_474
.LBB17_469:
	s_or_b32 exec_lo, exec_lo, s2
	s_delay_alu instid0(SALU_CYCLE_1)
	s_and_b32 s0, s0, exec_lo
.LBB17_470:
	s_or_b32 exec_lo, exec_lo, s3
	s_delay_alu instid0(SALU_CYCLE_1) | instskip(SKIP_3) | instid1(SALU_CYCLE_1)
	s_and_b32 s11, s0, exec_lo
	s_and_not1_b32 s1, s1, exec_lo
	s_or_b32 exec_lo, exec_lo, s4
	s_and_saveexec_b32 s0, s1
	s_xor_b32 s0, exec_lo, s0
	s_cbranch_execz .LBB17_425
.LBB17_471:
	s_or_b32 s11, s11, exec_lo
	s_trap 2
	s_branch .LBB17_425
.LBB17_472:
	s_or_b32 s8, s8, exec_lo
	s_trap 2
	s_branch .LBB17_429
.LBB17_473:
	s_or_b32 s8, s8, exec_lo
	s_trap 2
	s_branch .LBB17_427
.LBB17_474:
	s_mov_b32 s0, exec_lo
	s_trap 2
	s_branch .LBB17_469
	.section	.rodata,"a",@progbits
	.p2align	6, 0x0
	.amdhsa_kernel _ZN2at6native6sbtopk10gatherTopKIajLi1ELb0EEEvNS_4cuda6detail10TensorInfoIKT_T0_EES8_S8_bS8_S8_NS5_IS6_S8_EES8_NS5_IlS8_EES8_PS6_
		.amdhsa_group_segment_fixed_size 4112
		.amdhsa_private_segment_fixed_size 0
		.amdhsa_kernarg_size 952
		.amdhsa_user_sgpr_count 2
		.amdhsa_user_sgpr_dispatch_ptr 0
		.amdhsa_user_sgpr_queue_ptr 0
		.amdhsa_user_sgpr_kernarg_segment_ptr 1
		.amdhsa_user_sgpr_dispatch_id 0
		.amdhsa_user_sgpr_kernarg_preload_length 0
		.amdhsa_user_sgpr_kernarg_preload_offset 0
		.amdhsa_user_sgpr_private_segment_size 0
		.amdhsa_wavefront_size32 1
		.amdhsa_uses_dynamic_stack 0
		.amdhsa_enable_private_segment 0
		.amdhsa_system_sgpr_workgroup_id_x 1
		.amdhsa_system_sgpr_workgroup_id_y 1
		.amdhsa_system_sgpr_workgroup_id_z 1
		.amdhsa_system_sgpr_workgroup_info 0
		.amdhsa_system_vgpr_workitem_id 0
		.amdhsa_next_free_vgpr 68
		.amdhsa_next_free_sgpr 105
		.amdhsa_named_barrier_count 0
		.amdhsa_reserve_vcc 1
		.amdhsa_float_round_mode_32 0
		.amdhsa_float_round_mode_16_64 0
		.amdhsa_float_denorm_mode_32 3
		.amdhsa_float_denorm_mode_16_64 3
		.amdhsa_fp16_overflow 0
		.amdhsa_memory_ordered 1
		.amdhsa_forward_progress 1
		.amdhsa_inst_pref_size 130
		.amdhsa_round_robin_scheduling 0
		.amdhsa_exception_fp_ieee_invalid_op 0
		.amdhsa_exception_fp_denorm_src 0
		.amdhsa_exception_fp_ieee_div_zero 0
		.amdhsa_exception_fp_ieee_overflow 0
		.amdhsa_exception_fp_ieee_underflow 0
		.amdhsa_exception_fp_ieee_inexact 0
		.amdhsa_exception_int_div_zero 0
	.end_amdhsa_kernel
	.section	.text._ZN2at6native6sbtopk10gatherTopKIajLi1ELb0EEEvNS_4cuda6detail10TensorInfoIKT_T0_EES8_S8_bS8_S8_NS5_IS6_S8_EES8_NS5_IlS8_EES8_PS6_,"axG",@progbits,_ZN2at6native6sbtopk10gatherTopKIajLi1ELb0EEEvNS_4cuda6detail10TensorInfoIKT_T0_EES8_S8_bS8_S8_NS5_IS6_S8_EES8_NS5_IlS8_EES8_PS6_,comdat
.Lfunc_end17:
	.size	_ZN2at6native6sbtopk10gatherTopKIajLi1ELb0EEEvNS_4cuda6detail10TensorInfoIKT_T0_EES8_S8_bS8_S8_NS5_IS6_S8_EES8_NS5_IlS8_EES8_PS6_, .Lfunc_end17-_ZN2at6native6sbtopk10gatherTopKIajLi1ELb0EEEvNS_4cuda6detail10TensorInfoIKT_T0_EES8_S8_bS8_S8_NS5_IS6_S8_EES8_NS5_IlS8_EES8_PS6_
                                        ; -- End function
	.set _ZN2at6native6sbtopk10gatherTopKIajLi1ELb0EEEvNS_4cuda6detail10TensorInfoIKT_T0_EES8_S8_bS8_S8_NS5_IS6_S8_EES8_NS5_IlS8_EES8_PS6_.num_vgpr, 68
	.set _ZN2at6native6sbtopk10gatherTopKIajLi1ELb0EEEvNS_4cuda6detail10TensorInfoIKT_T0_EES8_S8_bS8_S8_NS5_IS6_S8_EES8_NS5_IlS8_EES8_PS6_.num_agpr, 0
	.set _ZN2at6native6sbtopk10gatherTopKIajLi1ELb0EEEvNS_4cuda6detail10TensorInfoIKT_T0_EES8_S8_bS8_S8_NS5_IS6_S8_EES8_NS5_IlS8_EES8_PS6_.numbered_sgpr, 105
	.set _ZN2at6native6sbtopk10gatherTopKIajLi1ELb0EEEvNS_4cuda6detail10TensorInfoIKT_T0_EES8_S8_bS8_S8_NS5_IS6_S8_EES8_NS5_IlS8_EES8_PS6_.num_named_barrier, 0
	.set _ZN2at6native6sbtopk10gatherTopKIajLi1ELb0EEEvNS_4cuda6detail10TensorInfoIKT_T0_EES8_S8_bS8_S8_NS5_IS6_S8_EES8_NS5_IlS8_EES8_PS6_.private_seg_size, 0
	.set _ZN2at6native6sbtopk10gatherTopKIajLi1ELb0EEEvNS_4cuda6detail10TensorInfoIKT_T0_EES8_S8_bS8_S8_NS5_IS6_S8_EES8_NS5_IlS8_EES8_PS6_.uses_vcc, 1
	.set _ZN2at6native6sbtopk10gatherTopKIajLi1ELb0EEEvNS_4cuda6detail10TensorInfoIKT_T0_EES8_S8_bS8_S8_NS5_IS6_S8_EES8_NS5_IlS8_EES8_PS6_.uses_flat_scratch, 0
	.set _ZN2at6native6sbtopk10gatherTopKIajLi1ELb0EEEvNS_4cuda6detail10TensorInfoIKT_T0_EES8_S8_bS8_S8_NS5_IS6_S8_EES8_NS5_IlS8_EES8_PS6_.has_dyn_sized_stack, 0
	.set _ZN2at6native6sbtopk10gatherTopKIajLi1ELb0EEEvNS_4cuda6detail10TensorInfoIKT_T0_EES8_S8_bS8_S8_NS5_IS6_S8_EES8_NS5_IlS8_EES8_PS6_.has_recursion, 0
	.set _ZN2at6native6sbtopk10gatherTopKIajLi1ELb0EEEvNS_4cuda6detail10TensorInfoIKT_T0_EES8_S8_bS8_S8_NS5_IS6_S8_EES8_NS5_IlS8_EES8_PS6_.has_indirect_call, 0
	.section	.AMDGPU.csdata,"",@progbits
; Kernel info:
; codeLenInByte = 16636
; TotalNumSgprs: 107
; NumVgprs: 68
; ScratchSize: 0
; MemoryBound: 0
; FloatMode: 240
; IeeeMode: 1
; LDSByteSize: 4112 bytes/workgroup (compile time only)
; SGPRBlocks: 0
; VGPRBlocks: 4
; NumSGPRsForWavesPerEU: 107
; NumVGPRsForWavesPerEU: 68
; NamedBarCnt: 0
; Occupancy: 12
; WaveLimiterHint : 1
; COMPUTE_PGM_RSRC2:SCRATCH_EN: 0
; COMPUTE_PGM_RSRC2:USER_SGPR: 2
; COMPUTE_PGM_RSRC2:TRAP_HANDLER: 0
; COMPUTE_PGM_RSRC2:TGID_X_EN: 1
; COMPUTE_PGM_RSRC2:TGID_Y_EN: 1
; COMPUTE_PGM_RSRC2:TGID_Z_EN: 1
; COMPUTE_PGM_RSRC2:TIDIG_COMP_CNT: 0
	.section	.text._ZN2at6native6mbtopk23computeBlockDigitCountsIajjLi2EEEvNS_4cuda6detail10TensorInfoIKT_T0_EEjPjjS8_iijT1_PSB_Ps,"axG",@progbits,_ZN2at6native6mbtopk23computeBlockDigitCountsIajjLi2EEEvNS_4cuda6detail10TensorInfoIKT_T0_EEjPjjS8_iijT1_PSB_Ps,comdat
	.protected	_ZN2at6native6mbtopk23computeBlockDigitCountsIajjLi2EEEvNS_4cuda6detail10TensorInfoIKT_T0_EEjPjjS8_iijT1_PSB_Ps ; -- Begin function _ZN2at6native6mbtopk23computeBlockDigitCountsIajjLi2EEEvNS_4cuda6detail10TensorInfoIKT_T0_EEjPjjS8_iijT1_PSB_Ps
	.globl	_ZN2at6native6mbtopk23computeBlockDigitCountsIajjLi2EEEvNS_4cuda6detail10TensorInfoIKT_T0_EEjPjjS8_iijT1_PSB_Ps
	.p2align	8
	.type	_ZN2at6native6mbtopk23computeBlockDigitCountsIajjLi2EEEvNS_4cuda6detail10TensorInfoIKT_T0_EEjPjjS8_iijT1_PSB_Ps,@function
_ZN2at6native6mbtopk23computeBlockDigitCountsIajjLi2EEEvNS_4cuda6detail10TensorInfoIKT_T0_EEjPjjS8_iijT1_PSB_Ps: ; @_ZN2at6native6mbtopk23computeBlockDigitCountsIajjLi2EEEvNS_4cuda6detail10TensorInfoIKT_T0_EEjPjjS8_iijT1_PSB_Ps
; %bb.0:
	s_load_b64 s[2:3], s[0:1], 0xf8
	s_bfe_u32 s4, ttmp6, 0x40010
	s_and_b32 s6, ttmp7, 0xffff
	s_add_co_i32 s7, s4, 1
	s_bfe_u32 s8, ttmp6, 0x40004
	s_mul_i32 s7, s6, s7
	s_load_b64 s[4:5], s[0:1], 0x110
	s_add_co_i32 s7, s8, s7
	s_bfe_u32 s9, ttmp6, 0x4000c
	s_bfe_u32 s11, ttmp6, 0x40014
	s_add_co_i32 s9, s9, 1
	s_and_b32 s10, ttmp6, 15
	s_mul_i32 s9, ttmp9, s9
	s_add_co_i32 s11, s11, 1
	s_add_co_i32 s12, s10, s9
	s_bfe_u32 s10, ttmp6, 0x40008
	s_mov_b32 s15, 0
	s_wait_kmcnt 0x0
	s_cvt_f32_u32 s8, s2
	s_delay_alu instid0(SALU_CYCLE_3) | instskip(SKIP_1) | instid1(SALU_CYCLE_1)
	v_rcp_iflag_f32_e32 v1, s8
	s_lshr_b32 s8, ttmp7, 16
	s_mul_i32 s9, s8, s11
	s_getreg_b32 s11, hwreg(HW_REG_IB_STS2, 6, 4)
	s_add_co_i32 s10, s10, s9
	s_cmp_eq_u32 s11, 0
	v_nop
	v_readfirstlane_b32 s13, v1
	s_cselect_b32 s14, s8, s10
	s_load_b128 s[8:11], s[0:1], 0xe8
	s_mul_i32 s5, s5, s14
	s_cselect_b32 s12, ttmp9, s12
	s_mul_f32 s13, s13, 0x4f7ffffe
	s_cselect_b32 s6, s6, s7
	s_sub_co_i32 s7, 0, s2
	s_add_co_i32 s5, s5, s6
	s_cvt_u32_f32 s13, s13
	s_mul_i32 s16, s5, s4
	s_delay_alu instid0(SALU_CYCLE_1) | instskip(NEXT) | instid1(SALU_CYCLE_1)
	s_add_co_i32 s16, s16, s12
	s_mul_i32 s7, s7, s13
	s_delay_alu instid0(SALU_CYCLE_1) | instskip(NEXT) | instid1(SALU_CYCLE_1)
	s_mul_hi_u32 s4, s13, s7
	s_add_co_i32 s13, s13, s4
	s_delay_alu instid0(SALU_CYCLE_1) | instskip(NEXT) | instid1(SALU_CYCLE_1)
	s_mul_hi_u32 s4, s16, s13
	s_mul_i32 s5, s4, s2
	s_add_co_i32 s6, s4, 1
	s_sub_co_i32 s5, s16, s5
	s_delay_alu instid0(SALU_CYCLE_1)
	s_sub_co_i32 s7, s5, s2
	s_cmp_ge_u32 s5, s2
	s_cselect_b32 s4, s6, s4
	s_cselect_b32 s5, s7, s5
	s_add_co_i32 s6, s4, 1
	s_cmp_ge_u32 s5, s2
	s_cselect_b32 s14, s6, s4
	s_wait_kmcnt 0x0
	s_cmp_ge_u32 s14, s8
	s_cbranch_scc1 .LBB18_27
; %bb.1:
	s_load_b32 s18, s[0:1], 0xc
	v_cmp_gt_u32_e32 vcc_lo, 0x100, v0
	s_wait_kmcnt 0x0
	s_cvt_f32_u32 s4, s18
	s_delay_alu instid0(SALU_CYCLE_3) | instskip(SKIP_1) | instid1(TRANS32_DEP_1)
	v_rcp_iflag_f32_e32 v1, s4
	v_nop
	v_readfirstlane_b32 s19, v1
	v_lshlrev_b32_e32 v1, 2, v0
	s_and_saveexec_b32 s4, vcc_lo
; %bb.2:
	v_mov_b32_e32 v2, 0
	ds_store_b32 v1, v2
; %bb.3:
	s_or_b32 exec_lo, exec_lo, s4
	s_clause 0x1
	s_load_b32 s8, s[0:1], 0xd8
	s_load_b128 s[4:7], s[0:1], 0x100
	s_mul_i32 s12, s14, s2
	s_mov_b32 s13, 0
	s_sub_co_i32 s22, s16, s12
	s_wait_dscnt 0x0
	s_mul_i32 s12, s11, s22
	s_add_co_i32 s22, s22, 1
	s_lshl_b32 s17, s12, 8
	s_barrier_signal -1
	s_barrier_wait -1
	s_wait_kmcnt 0x0
	s_sub_co_i32 s12, s8, s17
	s_delay_alu instid0(SALU_CYCLE_1) | instskip(NEXT) | instid1(SALU_CYCLE_1)
	s_add_nc_u64 s[20:21], s[12:13], 0xff
	s_lshr_b64 s[20:21], s[20:21], 8
	s_cmp_lt_u32 s22, s2
	s_cselect_b32 s11, s11, s20
	s_delay_alu instid0(SALU_CYCLE_1)
	s_cmp_lt_i32 s11, 1
	s_cbranch_scc1 .LBB18_25
; %bb.4:
	s_mul_f32 s2, s19, 0x4f7ffffe
	s_sub_co_i32 s12, 0, s18
	s_mov_b32 s21, s15
	s_clause 0x1
	s_load_b64 s[22:23], s[0:1], 0x6c
	s_load_b64 s[24:25], s[0:1], 0x0
	s_cvt_u32_f32 s2, s2
	s_wait_xcnt 0x0
	s_load_b32 s1, s[4:5], s14 offset:0x0 scale_offset
	s_delay_alu instid0(SALU_CYCLE_1) | instskip(NEXT) | instid1(SALU_CYCLE_1)
	s_mul_i32 s12, s12, s2
	s_mul_hi_u32 s12, s2, s12
	s_delay_alu instid0(SALU_CYCLE_1) | instskip(NEXT) | instid1(SALU_CYCLE_1)
	s_add_co_i32 s20, s2, s12
	s_mul_u64 s[20:21], s[14:15], s[20:21]
	s_delay_alu instid0(SALU_CYCLE_1)
	s_mul_i32 s0, s21, s18
	s_add_co_i32 s2, s21, 1
	s_sub_co_i32 s0, s14, s0
	s_wait_xcnt 0x0
	s_sub_co_i32 s4, s0, s18
	s_cmp_ge_u32 s0, s18
	s_cselect_b32 s2, s2, s21
	s_cselect_b32 s0, s4, s0
	s_add_co_i32 s4, s2, 1
	s_cmp_ge_u32 s0, s18
	s_cselect_b32 s0, s4, s2
	s_delay_alu instid0(SALU_CYCLE_1) | instskip(SKIP_3) | instid1(SALU_CYCLE_1)
	s_mul_i32 s2, s0, s18
	s_wait_kmcnt 0x0
	s_mul_i32 s0, s0, s22
	s_sub_co_i32 s2, s14, s2
	s_mul_i32 s2, s2, s23
	s_delay_alu instid0(SALU_CYCLE_1)
	s_add_co_i32 s12, s0, s2
	s_and_b32 s2, s10, 0xff
	s_cmp_lt_u32 s11, 4
	s_add_nc_u64 s[4:5], s[24:25], s[12:13]
	s_cbranch_scc1 .LBB18_19
; %bb.5:
	v_dual_mov_b32 v7, 1 :: v_dual_add_nc_u32 v6, s17, v0
	s_and_b32 s13, s11, 0x7ffffffc
	s_lshl_b32 s10, s9, 10
	s_mov_b32 s12, 0
	s_delay_alu instid0(VALU_DEP_1)
	v_add_nc_u32_e32 v2, 0x300, v6
	v_add_nc_u32_e32 v4, 0x200, v6
	v_add_nc_u32_e32 v5, 0x100, v6
	v_mul_lo_u32 v6, s9, v6
	s_mov_b32 s14, 0
	v_mul_lo_u32 v3, s9, v2
	v_mul_lo_u32 v4, s9, v4
	;; [unrolled: 1-line block ×3, first 2 shown]
	s_branch .LBB18_7
.LBB18_6:                               ;   in Loop: Header=BB18_7 Depth=1
	s_or_b32 exec_lo, exec_lo, s15
	v_add_nc_u32_e32 v2, 0x400, v2
	s_add_co_i32 s14, s14, 4
	s_add_co_i32 s12, s12, s10
	s_cmp_eq_u32 s13, s14
	s_cbranch_scc1 .LBB18_19
.LBB18_7:                               ; =>This Inner Loop Header: Depth=1
	v_add_nc_u32_e32 v8, 0xfffffd00, v2
	s_mov_b32 s15, exec_lo
	s_delay_alu instid0(VALU_DEP_1)
	v_cmpx_gt_u32_e64 s8, v8
	s_cbranch_execz .LBB18_10
; %bb.8:                                ;   in Loop: Header=BB18_7 Depth=1
	v_add_nc_u32_e32 v8, s12, v6
	global_load_i8 v8, v8, s[4:5]
	s_wait_loadcnt 0x0
	s_wait_xcnt 0x0
	v_add_nc_u32_e32 v8, 0x80, v8
	s_delay_alu instid0(VALU_DEP_1) | instskip(NEXT) | instid1(VALU_DEP_1)
	v_bitop3_b32 v9, v8, s3, s1 bitop3:0x48
	v_cmp_eq_u32_e64 s0, 0, v9
	s_and_b32 exec_lo, exec_lo, s0
; %bb.9:                                ;   in Loop: Header=BB18_7 Depth=1
	v_lshrrev_b32_e32 v8, s2, v8
	s_delay_alu instid0(VALU_DEP_1)
	v_lshlrev_b32_e32 v8, 2, v8
	ds_add_u32 v8, v7
.LBB18_10:                              ;   in Loop: Header=BB18_7 Depth=1
	s_or_b32 exec_lo, exec_lo, s15
	v_add_nc_u32_e32 v8, 0xfffffe00, v2
	s_mov_b32 s15, exec_lo
	s_delay_alu instid0(VALU_DEP_1)
	v_cmpx_gt_u32_e64 s8, v8
	s_cbranch_execz .LBB18_13
; %bb.11:                               ;   in Loop: Header=BB18_7 Depth=1
	v_add_nc_u32_e32 v8, s12, v5
	global_load_i8 v8, v8, s[4:5]
	s_wait_loadcnt 0x0
	v_add_nc_u32_e32 v8, 0x80, v8
	s_delay_alu instid0(VALU_DEP_1) | instskip(NEXT) | instid1(VALU_DEP_1)
	v_bitop3_b32 v9, v8, s3, s1 bitop3:0x48
	v_cmp_eq_u32_e64 s0, 0, v9
	s_and_b32 exec_lo, exec_lo, s0
; %bb.12:                               ;   in Loop: Header=BB18_7 Depth=1
	v_lshrrev_b32_e32 v8, s2, v8
	s_delay_alu instid0(VALU_DEP_1)
	v_lshlrev_b32_e32 v8, 2, v8
	ds_add_u32 v8, v7
.LBB18_13:                              ;   in Loop: Header=BB18_7 Depth=1
	s_or_b32 exec_lo, exec_lo, s15
	v_add_nc_u32_e32 v8, 0xffffff00, v2
	s_mov_b32 s15, exec_lo
	s_delay_alu instid0(VALU_DEP_1)
	v_cmpx_gt_u32_e64 s8, v8
	s_cbranch_execz .LBB18_16
; %bb.14:                               ;   in Loop: Header=BB18_7 Depth=1
	v_add_nc_u32_e32 v8, s12, v4
	global_load_i8 v8, v8, s[4:5]
	s_wait_loadcnt 0x0
	v_add_nc_u32_e32 v8, 0x80, v8
	s_delay_alu instid0(VALU_DEP_1) | instskip(NEXT) | instid1(VALU_DEP_1)
	v_bitop3_b32 v9, v8, s3, s1 bitop3:0x48
	v_cmp_eq_u32_e64 s0, 0, v9
	s_and_b32 exec_lo, exec_lo, s0
; %bb.15:                               ;   in Loop: Header=BB18_7 Depth=1
	v_lshrrev_b32_e32 v8, s2, v8
	s_delay_alu instid0(VALU_DEP_1)
	v_lshlrev_b32_e32 v8, 2, v8
	ds_add_u32 v8, v7
.LBB18_16:                              ;   in Loop: Header=BB18_7 Depth=1
	s_or_b32 exec_lo, exec_lo, s15
	s_delay_alu instid0(SALU_CYCLE_1)
	s_mov_b32 s15, exec_lo
	v_cmpx_gt_u32_e64 s8, v2
	s_cbranch_execz .LBB18_6
; %bb.17:                               ;   in Loop: Header=BB18_7 Depth=1
	v_add_nc_u32_e32 v8, s12, v3
	global_load_i8 v8, v8, s[4:5]
	s_wait_loadcnt 0x0
	v_add_nc_u32_e32 v8, 0x80, v8
	s_delay_alu instid0(VALU_DEP_1) | instskip(NEXT) | instid1(VALU_DEP_1)
	v_bitop3_b32 v9, v8, s3, s1 bitop3:0x48
	v_cmp_eq_u32_e64 s0, 0, v9
	s_and_b32 exec_lo, exec_lo, s0
	s_cbranch_execz .LBB18_6
; %bb.18:                               ;   in Loop: Header=BB18_7 Depth=1
	v_lshrrev_b32_e32 v8, s2, v8
	s_delay_alu instid0(VALU_DEP_1)
	v_lshlrev_b32_e32 v8, 2, v8
	ds_add_u32 v8, v7
	s_branch .LBB18_6
.LBB18_19:
	s_and_b32 s10, s11, 3
	s_delay_alu instid0(SALU_CYCLE_1)
	s_cmp_eq_u32 s10, 0
	s_cbranch_scc1 .LBB18_25
; %bb.20:
	s_lshl_b32 s0, s13, 8
	v_mov_b32_e32 v4, 1
	v_add3_u32 v2, s0, s17, v0
	s_delay_alu instid0(VALU_DEP_1)
	v_mul_lo_u32 v3, s9, v2
	s_lshl_b32 s9, s9, 8
	s_branch .LBB18_22
.LBB18_21:                              ;   in Loop: Header=BB18_22 Depth=1
	s_or_b32 exec_lo, exec_lo, s11
	s_delay_alu instid0(VALU_DEP_2) | instskip(SKIP_2) | instid1(SALU_CYCLE_1)
	v_add_nc_u32_e32 v3, s9, v3
	v_add_nc_u32_e32 v2, 0x100, v2
	s_add_co_i32 s10, s10, -1
	s_cmp_lg_u32 s10, 0
	s_cbranch_scc0 .LBB18_25
.LBB18_22:                              ; =>This Inner Loop Header: Depth=1
	s_mov_b32 s11, exec_lo
	v_cmpx_gt_u32_e64 s8, v2
	s_cbranch_execz .LBB18_21
; %bb.23:                               ;   in Loop: Header=BB18_22 Depth=1
	global_load_i8 v5, v3, s[4:5]
	s_wait_loadcnt 0x0
	v_add_nc_u32_e32 v5, 0x80, v5
	s_delay_alu instid0(VALU_DEP_1) | instskip(NEXT) | instid1(VALU_DEP_1)
	v_bitop3_b32 v6, v5, s3, s1 bitop3:0x48
	v_cmp_eq_u32_e64 s0, 0, v6
	s_and_b32 exec_lo, exec_lo, s0
	s_cbranch_execz .LBB18_21
; %bb.24:                               ;   in Loop: Header=BB18_22 Depth=1
	v_lshrrev_b32_e32 v5, s2, v5
	s_delay_alu instid0(VALU_DEP_1)
	v_lshlrev_b32_e32 v5, 2, v5
	ds_add_u32 v5, v4
	s_branch .LBB18_21
.LBB18_25:
	s_wait_dscnt 0x0
	s_barrier_signal -1
	s_barrier_wait -1
	s_and_saveexec_b32 s0, vcc_lo
	s_cbranch_execz .LBB18_27
; %bb.26:
	ds_load_b32 v1, v1
	v_lshl_or_b32 v0, s16, 8, v0
	s_wait_dscnt 0x0
	global_store_b16 v0, v1, s[6:7] scale_offset
.LBB18_27:
	s_endpgm
	.section	.rodata,"a",@progbits
	.p2align	6, 0x0
	.amdhsa_kernel _ZN2at6native6mbtopk23computeBlockDigitCountsIajjLi2EEEvNS_4cuda6detail10TensorInfoIKT_T0_EEjPjjS8_iijT1_PSB_Ps
		.amdhsa_group_segment_fixed_size 1024
		.amdhsa_private_segment_fixed_size 0
		.amdhsa_kernarg_size 528
		.amdhsa_user_sgpr_count 2
		.amdhsa_user_sgpr_dispatch_ptr 0
		.amdhsa_user_sgpr_queue_ptr 0
		.amdhsa_user_sgpr_kernarg_segment_ptr 1
		.amdhsa_user_sgpr_dispatch_id 0
		.amdhsa_user_sgpr_kernarg_preload_length 0
		.amdhsa_user_sgpr_kernarg_preload_offset 0
		.amdhsa_user_sgpr_private_segment_size 0
		.amdhsa_wavefront_size32 1
		.amdhsa_uses_dynamic_stack 0
		.amdhsa_enable_private_segment 0
		.amdhsa_system_sgpr_workgroup_id_x 1
		.amdhsa_system_sgpr_workgroup_id_y 1
		.amdhsa_system_sgpr_workgroup_id_z 1
		.amdhsa_system_sgpr_workgroup_info 0
		.amdhsa_system_vgpr_workitem_id 0
		.amdhsa_next_free_vgpr 10
		.amdhsa_next_free_sgpr 26
		.amdhsa_named_barrier_count 0
		.amdhsa_reserve_vcc 1
		.amdhsa_float_round_mode_32 0
		.amdhsa_float_round_mode_16_64 0
		.amdhsa_float_denorm_mode_32 3
		.amdhsa_float_denorm_mode_16_64 3
		.amdhsa_fp16_overflow 0
		.amdhsa_memory_ordered 1
		.amdhsa_forward_progress 1
		.amdhsa_inst_pref_size 11
		.amdhsa_round_robin_scheduling 0
		.amdhsa_exception_fp_ieee_invalid_op 0
		.amdhsa_exception_fp_denorm_src 0
		.amdhsa_exception_fp_ieee_div_zero 0
		.amdhsa_exception_fp_ieee_overflow 0
		.amdhsa_exception_fp_ieee_underflow 0
		.amdhsa_exception_fp_ieee_inexact 0
		.amdhsa_exception_int_div_zero 0
	.end_amdhsa_kernel
	.section	.text._ZN2at6native6mbtopk23computeBlockDigitCountsIajjLi2EEEvNS_4cuda6detail10TensorInfoIKT_T0_EEjPjjS8_iijT1_PSB_Ps,"axG",@progbits,_ZN2at6native6mbtopk23computeBlockDigitCountsIajjLi2EEEvNS_4cuda6detail10TensorInfoIKT_T0_EEjPjjS8_iijT1_PSB_Ps,comdat
.Lfunc_end18:
	.size	_ZN2at6native6mbtopk23computeBlockDigitCountsIajjLi2EEEvNS_4cuda6detail10TensorInfoIKT_T0_EEjPjjS8_iijT1_PSB_Ps, .Lfunc_end18-_ZN2at6native6mbtopk23computeBlockDigitCountsIajjLi2EEEvNS_4cuda6detail10TensorInfoIKT_T0_EEjPjjS8_iijT1_PSB_Ps
                                        ; -- End function
	.set _ZN2at6native6mbtopk23computeBlockDigitCountsIajjLi2EEEvNS_4cuda6detail10TensorInfoIKT_T0_EEjPjjS8_iijT1_PSB_Ps.num_vgpr, 10
	.set _ZN2at6native6mbtopk23computeBlockDigitCountsIajjLi2EEEvNS_4cuda6detail10TensorInfoIKT_T0_EEjPjjS8_iijT1_PSB_Ps.num_agpr, 0
	.set _ZN2at6native6mbtopk23computeBlockDigitCountsIajjLi2EEEvNS_4cuda6detail10TensorInfoIKT_T0_EEjPjjS8_iijT1_PSB_Ps.numbered_sgpr, 26
	.set _ZN2at6native6mbtopk23computeBlockDigitCountsIajjLi2EEEvNS_4cuda6detail10TensorInfoIKT_T0_EEjPjjS8_iijT1_PSB_Ps.num_named_barrier, 0
	.set _ZN2at6native6mbtopk23computeBlockDigitCountsIajjLi2EEEvNS_4cuda6detail10TensorInfoIKT_T0_EEjPjjS8_iijT1_PSB_Ps.private_seg_size, 0
	.set _ZN2at6native6mbtopk23computeBlockDigitCountsIajjLi2EEEvNS_4cuda6detail10TensorInfoIKT_T0_EEjPjjS8_iijT1_PSB_Ps.uses_vcc, 1
	.set _ZN2at6native6mbtopk23computeBlockDigitCountsIajjLi2EEEvNS_4cuda6detail10TensorInfoIKT_T0_EEjPjjS8_iijT1_PSB_Ps.uses_flat_scratch, 0
	.set _ZN2at6native6mbtopk23computeBlockDigitCountsIajjLi2EEEvNS_4cuda6detail10TensorInfoIKT_T0_EEjPjjS8_iijT1_PSB_Ps.has_dyn_sized_stack, 0
	.set _ZN2at6native6mbtopk23computeBlockDigitCountsIajjLi2EEEvNS_4cuda6detail10TensorInfoIKT_T0_EEjPjjS8_iijT1_PSB_Ps.has_recursion, 0
	.set _ZN2at6native6mbtopk23computeBlockDigitCountsIajjLi2EEEvNS_4cuda6detail10TensorInfoIKT_T0_EEjPjjS8_iijT1_PSB_Ps.has_indirect_call, 0
	.section	.AMDGPU.csdata,"",@progbits
; Kernel info:
; codeLenInByte = 1388
; TotalNumSgprs: 28
; NumVgprs: 10
; ScratchSize: 0
; MemoryBound: 0
; FloatMode: 240
; IeeeMode: 1
; LDSByteSize: 1024 bytes/workgroup (compile time only)
; SGPRBlocks: 0
; VGPRBlocks: 0
; NumSGPRsForWavesPerEU: 28
; NumVGPRsForWavesPerEU: 10
; NamedBarCnt: 0
; Occupancy: 16
; WaveLimiterHint : 1
; COMPUTE_PGM_RSRC2:SCRATCH_EN: 0
; COMPUTE_PGM_RSRC2:USER_SGPR: 2
; COMPUTE_PGM_RSRC2:TRAP_HANDLER: 0
; COMPUTE_PGM_RSRC2:TGID_X_EN: 1
; COMPUTE_PGM_RSRC2:TGID_Y_EN: 1
; COMPUTE_PGM_RSRC2:TGID_Z_EN: 1
; COMPUTE_PGM_RSRC2:TIDIG_COMP_CNT: 0
	.section	.text._ZN2at6native6mbtopk10gatherTopKIajLi2EEEvNS_4cuda6detail10TensorInfoIKT_T0_EES8_S8_bjS8_NS5_IS6_S8_EES8_NS5_IlS8_EES8_jjPS6_PjSD_j,"axG",@progbits,_ZN2at6native6mbtopk10gatherTopKIajLi2EEEvNS_4cuda6detail10TensorInfoIKT_T0_EES8_S8_bjS8_NS5_IS6_S8_EES8_NS5_IlS8_EES8_jjPS6_PjSD_j,comdat
	.protected	_ZN2at6native6mbtopk10gatherTopKIajLi2EEEvNS_4cuda6detail10TensorInfoIKT_T0_EES8_S8_bjS8_NS5_IS6_S8_EES8_NS5_IlS8_EES8_jjPS6_PjSD_j ; -- Begin function _ZN2at6native6mbtopk10gatherTopKIajLi2EEEvNS_4cuda6detail10TensorInfoIKT_T0_EES8_S8_bjS8_NS5_IS6_S8_EES8_NS5_IlS8_EES8_jjPS6_PjSD_j
	.globl	_ZN2at6native6mbtopk10gatherTopKIajLi2EEEvNS_4cuda6detail10TensorInfoIKT_T0_EES8_S8_bjS8_NS5_IS6_S8_EES8_NS5_IlS8_EES8_jjPS6_PjSD_j
	.p2align	8
	.type	_ZN2at6native6mbtopk10gatherTopKIajLi2EEEvNS_4cuda6detail10TensorInfoIKT_T0_EES8_S8_bjS8_NS5_IS6_S8_EES8_NS5_IlS8_EES8_jjPS6_PjSD_j,@function
_ZN2at6native6mbtopk10gatherTopKIajLi2EEEvNS_4cuda6detail10TensorInfoIKT_T0_EES8_S8_bjS8_NS5_IS6_S8_EES8_NS5_IlS8_EES8_jjPS6_PjSD_j: ; @_ZN2at6native6mbtopk10gatherTopKIajLi2EEEvNS_4cuda6detail10TensorInfoIKT_T0_EES8_S8_bjS8_NS5_IS6_S8_EES8_NS5_IlS8_EES8_jjPS6_PjSD_j
; %bb.0:
	s_bfe_u32 s2, ttmp6, 0x40010
	s_and_b32 s4, ttmp7, 0xffff
	s_add_co_i32 s5, s2, 1
	s_clause 0x1
	s_load_b32 s6, s[0:1], 0x2d0
	s_load_b64 s[2:3], s[0:1], 0x2d8
	s_bfe_u32 s8, ttmp6, 0x4000c
	s_mul_i32 s5, s4, s5
	s_bfe_u32 s7, ttmp6, 0x40004
	s_add_co_i32 s8, s8, 1
	s_bfe_u32 s9, ttmp6, 0x40014
	s_add_co_i32 s7, s7, s5
	s_and_b32 s5, ttmp6, 15
	s_mul_i32 s8, ttmp9, s8
	s_lshr_b32 s10, ttmp7, 16
	s_add_co_i32 s9, s9, 1
	s_add_co_i32 s5, s5, s8
	s_mul_i32 s8, s10, s9
	s_bfe_u32 s9, ttmp6, 0x40008
	s_getreg_b32 s11, hwreg(HW_REG_IB_STS2, 6, 4)
	s_add_co_i32 s9, s9, s8
	s_cmp_eq_u32 s11, 0
	s_mov_b32 s17, 0
	s_cselect_b32 s8, s10, s9
	s_cselect_b32 s4, s4, s7
	s_wait_kmcnt 0x0
	s_mul_i32 s3, s3, s8
	s_cselect_b32 s5, ttmp9, s5
	s_add_co_i32 s3, s3, s4
	s_delay_alu instid0(SALU_CYCLE_1) | instskip(NEXT) | instid1(SALU_CYCLE_1)
	s_mul_i32 s2, s3, s2
	s_add_co_i32 s2, s2, s5
	s_delay_alu instid0(SALU_CYCLE_1)
	s_cmp_ge_u32 s2, s6
	s_cbranch_scc1 .LBB19_40
; %bb.1:
	s_clause 0x3
	s_load_b96 s[12:14], s[0:1], 0x2a8
	s_load_b64 s[18:19], s[0:1], 0x23c
	s_load_b64 s[22:23], s[0:1], 0x6c
	;; [unrolled: 1-line block ×3, first 2 shown]
	s_mov_b32 s25, s17
	s_mov_b32 s27, s17
	s_wait_kmcnt 0x0
	s_cvt_f32_u32 s3, s14
	s_sub_co_i32 s4, 0, s14
	s_delay_alu instid0(SALU_CYCLE_2) | instskip(SKIP_1) | instid1(TRANS32_DEP_1)
	v_rcp_iflag_f32_e32 v1, s3
	v_nop
	v_readfirstlane_b32 s3, v1
	s_mul_f32 s3, s3, 0x4f7ffffe
	s_delay_alu instid0(SALU_CYCLE_3) | instskip(NEXT) | instid1(SALU_CYCLE_3)
	s_cvt_u32_f32 s3, s3
	s_mul_i32 s4, s4, s3
	s_delay_alu instid0(SALU_CYCLE_1) | instskip(NEXT) | instid1(SALU_CYCLE_1)
	s_mul_hi_u32 s4, s3, s4
	s_add_co_i32 s3, s3, s4
	s_load_b128 s[4:7], s[0:1], 0x2b8
	s_mul_hi_u32 s3, s2, s3
	s_delay_alu instid0(SALU_CYCLE_1) | instskip(SKIP_2) | instid1(SALU_CYCLE_1)
	s_mul_i32 s8, s3, s14
	s_add_co_i32 s9, s3, 1
	s_sub_co_i32 s8, s2, s8
	s_sub_co_i32 s10, s8, s14
	s_cmp_ge_u32 s8, s14
	s_cselect_b32 s3, s9, s3
	s_cselect_b32 s8, s10, s8
	s_add_co_i32 s9, s3, 1
	s_cmp_ge_u32 s8, s14
	s_cselect_b32 s16, s9, s3
	s_delay_alu instid0(SALU_CYCLE_1) | instskip(SKIP_1) | instid1(SALU_CYCLE_1)
	v_mov_b32_e32 v1, s16
	s_mul_i32 s28, s16, s14
	s_sub_co_i32 s41, s2, s28
	s_wait_kmcnt 0x0
	global_load_u8 v1, v1, s[4:5]
	s_clause 0x2
	s_load_b32 s40, s[0:1], 0xc
	s_load_b32 s33, s[0:1], 0xfc
	;; [unrolled: 1-line block ×3, first 2 shown]
	s_wait_kmcnt 0x0
	s_cvt_f32_u32 s3, s40
	s_cvt_f32_u32 s4, s33
	;; [unrolled: 1-line block ×3, first 2 shown]
	s_delay_alu instid0(SALU_CYCLE_1) | instskip(NEXT) | instid1(SALU_CYCLE_2)
	v_rcp_iflag_f32_e32 v2, s3
	v_rcp_iflag_f32_e32 v3, s5
	s_delay_alu instid0(TRANS32_DEP_2) | instskip(SKIP_1) | instid1(TRANS32_DEP_2)
	v_readfirstlane_b32 s3, v2
	v_rcp_iflag_f32_e32 v2, s4
	v_readfirstlane_b32 s8, v3
	s_sub_co_i32 s4, 0, s40
	s_mul_f32 s3, s3, 0x4f7ffffe
	s_mul_f32 s2, s8, 0x4f7ffffe
	s_delay_alu instid0(TRANS32_DEP_1) | instskip(NEXT) | instid1(SALU_CYCLE_1)
	v_readfirstlane_b32 s5, v2
	s_cvt_u32_f32 s3, s3
	s_sub_co_i32 s8, 0, s33
	s_cvt_u32_f32 s9, s2
	s_sub_co_i32 s2, 0, s15
	s_mul_i32 s4, s4, s3
	s_mul_f32 s5, s5, 0x4f7ffffe
	s_mul_hi_u32 s4, s3, s4
	s_mul_i32 s2, s2, s9
	s_add_co_i32 s4, s3, s4
	s_cvt_u32_f32 s3, s5
	s_mov_b32 s5, s17
	s_delay_alu instid0(SALU_CYCLE_2) | instskip(NEXT) | instid1(SALU_CYCLE_1)
	s_mul_i32 s8, s8, s3
	s_mul_hi_u32 s8, s3, s8
	s_delay_alu instid0(SALU_CYCLE_1)
	s_add_co_i32 s24, s3, s8
	s_mul_hi_u32 s8, s9, s2
	v_cmp_ne_u32_e64 s2, 0, v0
	v_cmp_eq_u32_e64 s3, 0, v0
	s_add_co_i32 s26, s9, s8
	s_and_saveexec_b32 s42, s3
	s_cbranch_execz .LBB19_17
; %bb.2:
	s_load_b64 s[34:35], s[0:1], 0x2c8
	s_mov_b32 s29, 0
	s_delay_alu instid0(SALU_CYCLE_1)
	s_lshl_b64 s[36:37], s[28:29], 2
	s_cmp_lt_u32 s14, 4
	s_cbranch_scc1 .LBB19_14
; %bb.3:
	s_mov_b64 s[30:31], 0
	s_mov_b32 s28, 0
.LBB19_4:                               ; =>This Inner Loop Header: Depth=1
	s_add_nc_u64 s[38:39], s[6:7], s[36:37]
	s_cmp_ge_u32 s28, s41
	s_load_b128 s[8:11], s[38:39], 0x0
	s_wait_kmcnt 0x0
	s_add_nc_u64 s[38:39], s[34:35], s[36:37]
	s_cbranch_scc0 .LBB19_11
; %bb.5:                                ;   in Loop: Header=BB19_4 Depth=1
	s_add_co_i32 s43, s28, 1
	s_delay_alu instid0(SALU_CYCLE_1)
	s_cmp_ge_u32 s43, s41
	s_cbranch_scc0 .LBB19_12
.LBB19_6:                               ;   in Loop: Header=BB19_4 Depth=1
	s_add_co_i32 s43, s43, 1
	s_delay_alu instid0(SALU_CYCLE_1)
	s_cmp_ge_u32 s43, s41
	s_cbranch_scc0 .LBB19_13
.LBB19_7:                               ;   in Loop: Header=BB19_4 Depth=1
	s_add_co_i32 s43, s43, 1
	s_delay_alu instid0(SALU_CYCLE_1)
	s_cmp_ge_u32 s43, s41
	s_cbranch_scc1 .LBB19_9
.LBB19_8:                               ;   in Loop: Header=BB19_4 Depth=1
	s_load_b32 s38, s[38:39], 0xc
	s_add_co_i32 s31, s11, s31
	s_wait_kmcnt 0x0
	s_add_co_i32 s30, s38, s30
.LBB19_9:                               ;   in Loop: Header=BB19_4 Depth=1
	s_add_co_i32 s8, s8, s29
	s_add_nc_u64 s[6:7], s[6:7], 16
	s_add_co_i32 s8, s8, s9
	s_add_co_i32 s9, s43, 4
	s_add_co_i32 s8, s8, s10
	s_add_nc_u64 s[34:35], s[34:35], 16
	s_add_co_i32 s29, s8, s11
	s_add_co_i32 s8, s43, 1
	s_cmp_ge_u32 s9, s14
	s_cbranch_scc1 .LBB19_15
; %bb.10:                               ;   in Loop: Header=BB19_4 Depth=1
	s_mov_b32 s28, s8
	s_branch .LBB19_4
.LBB19_11:                              ;   in Loop: Header=BB19_4 Depth=1
	s_load_b32 s43, s[38:39], 0x0
	s_add_co_i32 s31, s8, s31
	s_wait_kmcnt 0x0
	s_add_co_i32 s30, s43, s30
	s_add_co_i32 s43, s28, 1
	s_delay_alu instid0(SALU_CYCLE_1)
	s_cmp_ge_u32 s43, s41
	s_cbranch_scc1 .LBB19_6
.LBB19_12:                              ;   in Loop: Header=BB19_4 Depth=1
	s_load_b32 s44, s[38:39], 0x4
	s_add_co_i32 s31, s9, s31
	s_wait_kmcnt 0x0
	s_add_co_i32 s30, s44, s30
	s_add_co_i32 s43, s43, 1
	s_delay_alu instid0(SALU_CYCLE_1)
	s_cmp_ge_u32 s43, s41
	s_cbranch_scc1 .LBB19_7
.LBB19_13:                              ;   in Loop: Header=BB19_4 Depth=1
	s_load_b32 s44, s[38:39], 0x8
	s_add_co_i32 s31, s10, s31
	s_wait_kmcnt 0x0
	s_add_co_i32 s30, s44, s30
	s_add_co_i32 s43, s43, 1
	s_delay_alu instid0(SALU_CYCLE_1)
	s_cmp_ge_u32 s43, s41
	s_cbranch_scc0 .LBB19_8
	s_branch .LBB19_9
.LBB19_14:
	s_mov_b64 s[30:31], 0
	s_add_nc_u64 s[6:7], s[6:7], s[36:37]
	s_wait_kmcnt 0x0
	s_add_nc_u64 s[8:9], s[34:35], s[36:37]
	s_mov_b32 s10, 0
	s_delay_alu instid0(SALU_CYCLE_1)
	s_cmp_ge_u32 s10, s14
	s_cbranch_scc0 .LBB19_38
	s_branch .LBB19_16
.LBB19_15:
	s_add_co_i32 s10, s28, 4
	s_add_nc_u64 s[8:9], s[34:35], s[36:37]
	s_add_nc_u64 s[6:7], s[6:7], s[36:37]
	s_cmp_ge_u32 s10, s14
	s_cbranch_scc0 .LBB19_38
.LBB19_16:
	v_dual_mov_b32 v2, s30 :: v_dual_mov_b32 v3, s29
	v_dual_mov_b32 v4, s31 :: v_dual_mov_b32 v5, 0
	ds_store_b96 v5, v[2:4] offset:1056
.LBB19_17:
	s_or_b32 exec_lo, exec_lo, s42
	s_mul_u64 s[6:7], s[16:17], s[26:27]
	s_mul_u64 s[34:35], s[16:17], s[4:5]
	s_clause 0x3
	s_load_b96 s[4:6], s[0:1], 0xd8
	s_load_b64 s[28:29], s[0:1], 0x1d0
	s_load_b64 s[10:11], s[0:1], 0xf0
	;; [unrolled: 1-line block ×3, first 2 shown]
	s_mul_u64 s[30:31], s[16:17], s[24:25]
	s_mul_i32 s17, s13, s41
	s_mov_b32 s25, 0
	s_lshl_b32 s17, s17, 8
	s_add_co_i32 s41, s41, 1
	s_wait_loadcnt_dscnt 0x0
	s_barrier_signal -1
	s_barrier_wait -1
	s_wait_kmcnt 0x0
	s_sub_co_i32 s24, s4, s17
	s_delay_alu instid0(SALU_CYCLE_1) | instskip(NEXT) | instid1(SALU_CYCLE_1)
	s_add_nc_u64 s[26:27], s[24:25], 0xff
	s_lshr_b64 s[26:27], s[26:27], 8
	s_cmp_lt_u32 s41, s14
	s_cselect_b32 s13, s13, s26
	s_delay_alu instid0(SALU_CYCLE_1)
	s_cmp_eq_u32 s13, 0
	s_cbranch_scc1 .LBB19_40
; %bb.18:
	s_mul_i32 s14, s35, s40
	s_add_co_i32 s24, s35, 1
	s_sub_co_i32 s14, s16, s14
	s_mul_i32 s26, s31, s33
	s_sub_co_i32 s27, s14, s40
	s_cmp_ge_u32 s14, s40
	s_mul_i32 s30, s7, s15
	s_cselect_b32 s24, s24, s35
	s_cselect_b32 s14, s27, s14
	s_add_co_i32 s34, s24, 1
	s_cmp_ge_u32 s14, s40
	v_dual_mov_b32 v7, 0 :: v_dual_lshrrev_b32 v6, 3, v0
	s_cselect_b32 s14, s34, s24
	s_sub_co_i32 s26, s16, s26
	s_mul_i32 s24, s14, s40
	s_mul_i32 s14, s14, s22
	s_sub_co_i32 s24, s16, s24
	s_add_co_i32 s34, s31, 1
	s_mul_i32 s24, s24, s23
	s_sub_co_i32 s22, s26, s33
	s_add_co_i32 s24, s14, s24
	s_cmp_ge_u32 s26, s33
	ds_load_b96 v[2:4], v7 offset:1056
	s_cselect_b32 s14, s34, s31
	s_cselect_b32 s22, s22, s26
	s_add_co_i32 s26, s14, 1
	s_cmp_ge_u32 s22, s33
	v_dual_add_nc_u32 v9, -1, v0 :: v_dual_bitop2_b32 v6, 28, v6 bitop3:0x40
	s_cselect_b32 s14, s26, s14
	s_sub_co_i32 s22, s16, s30
	s_mul_i32 s26, s14, s33
	s_mul_i32 s14, s14, s20
	s_sub_co_i32 s26, s16, s26
	s_add_co_i32 s30, s7, 1
	s_mul_i32 s26, s26, s21
	s_sub_co_i32 s20, s22, s15
	s_add_co_i32 s26, s14, s26
	s_cmp_ge_u32 s22, s15
	v_lshrrev_b32_e32 v8, 3, v9
	s_cselect_b32 s7, s30, s7
	s_cselect_b32 s14, s20, s22
	s_add_co_i32 s20, s7, 1
	s_cmp_ge_u32 s14, s15
	s_wait_dscnt 0x0
	v_add_nc_u32_e32 v2, v2, v3
	s_cselect_b32 s7, s20, s7
	s_load_b32 s20, s[0:1], 0xe8
	s_mul_i32 s14, s7, s15
	s_mul_i32 s7, s7, s18
	s_sub_co_i32 s14, s16, s14
	v_lshl_add_u32 v3, v0, 2, v6
	s_mul_i32 s14, s14, s19
	v_dual_add_nc_u32 v6, s17, v0 :: v_dual_lshlrev_b32 v12, 5, v0
	s_add_co_i32 s22, s7, s14
	s_load_b32 s14, s[0:1], 0x1c8
	v_and_b32_e32 v10, 0x1ffffffc, v8
	v_bfe_i32 v5, v1, 0, 8
	s_wait_xcnt 0x0
	v_cmp_gt_u32_e64 s0, 32, v0
	v_and_b32_e32 v11, 0xfc, v0
	v_mbcnt_lo_u32_b32 v0, -1, 0
	s_mov_b32 s23, s25
	v_add_nc_u32_e32 v5, 0x80, v5
	s_lshl_b64 s[18:19], s[22:23], 3
	v_lshl_add_u32 v9, v9, 2, v10
	v_and_b32_e32 v1, 0xff, v1
	s_wait_kmcnt 0x0
	v_mul_lo_u32 v8, s20, v6
	v_add_nc_u32_e32 v10, v11, v12
	v_dual_add_nc_u32 v13, -1, v0 :: v_dual_bitop2_b32 v11, 15, v0 bitop3:0x40
	v_bfe_i32 v12, v0, 4, 1
	s_mov_b32 s27, s25
	s_bitcmp1_b32 s6, 0
	s_add_nc_u64 s[8:9], s[8:9], s[24:25]
	s_add_nc_u64 s[10:11], s[10:11], s[26:27]
	;; [unrolled: 1-line block ×3, first 2 shown]
	s_cselect_b32 s1, -1, 0
	s_lshl_b32 s15, s20, 8
                                        ; implicit-def: $vgpr14
	s_branch .LBB19_21
.LBB19_19:                              ;   in Loop: Header=BB19_21 Depth=1
	s_wait_xcnt 0x0
	s_or_b32 exec_lo, exec_lo, s16
	v_add_nc_u32_e32 v2, v17, v2
.LBB19_20:                              ;   in Loop: Header=BB19_21 Depth=1
	v_add_nc_u32_e32 v4, v16, v4
	v_add_nc_u32_e32 v8, s15, v8
	;; [unrolled: 1-line block ×3, first 2 shown]
	s_add_co_i32 s13, s13, -1
	s_delay_alu instid0(SALU_CYCLE_1)
	s_cmp_lg_u32 s13, 0
	s_cbranch_scc0 .LBB19_40
.LBB19_21:                              ; =>This Inner Loop Header: Depth=1
	v_dual_mov_b32 v17, 0 :: v_dual_mov_b32 v15, 0
	s_mov_b32 s16, exec_lo
	v_cmpx_gt_u32_e64 s4, v6
	s_cbranch_execz .LBB19_23
; %bb.22:                               ;   in Loop: Header=BB19_21 Depth=1
	global_load_u8 v14, v8, s[8:9]
	s_wait_loadcnt 0x0
	v_bfe_i32 v15, v14, 0, 8
	s_delay_alu instid0(VALU_DEP_1) | instskip(NEXT) | instid1(VALU_DEP_1)
	v_add_nc_u32_e32 v15, 0x80, v15
	v_cmp_gt_u32_e32 vcc_lo, v15, v5
	v_cndmask_b32_e64 v16, 0, 1, vcc_lo
	v_cmp_lt_u32_e32 vcc_lo, v15, v5
	v_cndmask_b32_e64 v15, 0, 1, vcc_lo
	v_cmp_eq_u16_e32 vcc_lo, v14, v1
	s_delay_alu instid0(VALU_DEP_2) | instskip(NEXT) | instid1(VALU_DEP_1)
	v_cndmask_b32_e64 v15, v15, v16, s1
	v_and_b32_e32 v17, 1, v15
	v_cndmask_b32_e64 v15, 0, 1, vcc_lo
.LBB19_23:                              ;   in Loop: Header=BB19_21 Depth=1
	s_wait_xcnt 0x0
	s_or_b32 exec_lo, exec_lo, s16
	ds_store_b32 v3, v17
	s_wait_dscnt 0x0
	s_barrier_signal -1
	s_barrier_wait -1
	s_and_saveexec_b32 s16, s0
	s_cbranch_execz .LBB19_25
; %bb.24:                               ;   in Loop: Header=BB19_21 Depth=1
	ds_load_2addr_b32 v[18:19], v10 offset1:1
	ds_load_2addr_b32 v[20:21], v10 offset0:2 offset1:3
	ds_load_2addr_b32 v[22:23], v10 offset0:4 offset1:5
	;; [unrolled: 1-line block ×3, first 2 shown]
	v_cmp_ne_u32_e32 vcc_lo, 0, v11
	; wave barrier
	s_wait_dscnt 0x3
	v_add_nc_u32_e32 v16, v19, v18
	s_wait_dscnt 0x2
	s_delay_alu instid0(VALU_DEP_1) | instskip(SKIP_1) | instid1(VALU_DEP_1)
	v_add3_u32 v16, v16, v20, v21
	s_wait_dscnt 0x1
	v_add3_u32 v16, v16, v22, v23
	s_wait_dscnt 0x0
	s_delay_alu instid0(VALU_DEP_1) | instskip(NEXT) | instid1(VALU_DEP_1)
	v_add3_u32 v16, v16, v24, v25
	v_mov_b32_dpp v19, v16 row_shr:1 row_mask:0xf bank_mask:0xf
	s_delay_alu instid0(VALU_DEP_1) | instskip(SKIP_1) | instid1(VALU_DEP_2)
	v_cndmask_b32_e32 v19, 0, v19, vcc_lo
	v_cmp_lt_u32_e32 vcc_lo, 1, v11
	v_add_nc_u32_e32 v16, v19, v16
	s_delay_alu instid0(VALU_DEP_1) | instskip(NEXT) | instid1(VALU_DEP_1)
	v_mov_b32_dpp v19, v16 row_shr:2 row_mask:0xf bank_mask:0xf
	v_cndmask_b32_e32 v19, 0, v19, vcc_lo
	v_cmp_lt_u32_e32 vcc_lo, 3, v11
	s_delay_alu instid0(VALU_DEP_2) | instskip(NEXT) | instid1(VALU_DEP_1)
	v_add_nc_u32_e32 v16, v16, v19
	v_mov_b32_dpp v19, v16 row_shr:4 row_mask:0xf bank_mask:0xf
	s_delay_alu instid0(VALU_DEP_1) | instskip(SKIP_1) | instid1(VALU_DEP_2)
	v_cndmask_b32_e32 v19, 0, v19, vcc_lo
	v_cmp_lt_u32_e32 vcc_lo, 7, v11
	v_add_nc_u32_e32 v16, v16, v19
	s_delay_alu instid0(VALU_DEP_1) | instskip(NEXT) | instid1(VALU_DEP_1)
	v_mov_b32_dpp v19, v16 row_shr:8 row_mask:0xf bank_mask:0xf
	v_cndmask_b32_e32 v19, 0, v19, vcc_lo
	v_cmp_gt_i32_e32 vcc_lo, 0, v13
	s_delay_alu instid0(VALU_DEP_2) | instskip(SKIP_3) | instid1(VALU_DEP_1)
	v_dual_add_nc_u32 v16, v16, v19 :: v_dual_cndmask_b32 v20, v13, v0, vcc_lo
	ds_swizzle_b32 v19, v16 offset:swizzle(BROADCAST,32,15)
	s_wait_dscnt 0x0
	v_dual_lshlrev_b32 v20, 2, v20 :: v_dual_bitop2_b32 v19, v12, v19 bitop3:0x40
	v_add_nc_u32_e32 v16, v16, v19
	ds_bpermute_b32 v16, v20, v16
	s_wait_dscnt 0x0
	v_add_nc_u32_e32 v16, v16, v18
	s_delay_alu instid0(VALU_DEP_1)
	v_cndmask_b32_e64 v16, v16, v17, s3
	ds_store_b32 v10, v16
	; wave barrier
	ds_load_2addr_b32 v[18:19], v10 offset0:1 offset1:2
	ds_load_2addr_b32 v[20:21], v10 offset0:3 offset1:4
	;; [unrolled: 1-line block ×3, first 2 shown]
	ds_load_b32 v24, v10 offset:28
	s_wait_dscnt 0x3
	v_add_nc_u32_e32 v16, v18, v16
	s_delay_alu instid0(VALU_DEP_1) | instskip(SKIP_1) | instid1(VALU_DEP_1)
	v_add_nc_u32_e32 v18, v19, v16
	s_wait_dscnt 0x2
	v_add_nc_u32_e32 v19, v20, v18
	s_delay_alu instid0(VALU_DEP_1) | instskip(SKIP_1) | instid1(VALU_DEP_1)
	v_add_nc_u32_e32 v20, v21, v19
	;; [unrolled: 4-line block ×3, first 2 shown]
	s_wait_dscnt 0x0
	v_add_nc_u32_e32 v23, v24, v22
	ds_store_2addr_b32 v10, v16, v18 offset0:1 offset1:2
	ds_store_2addr_b32 v10, v19, v20 offset0:3 offset1:4
	;; [unrolled: 1-line block ×3, first 2 shown]
	ds_store_b32 v10, v23 offset:28
.LBB19_25:                              ;   in Loop: Header=BB19_21 Depth=1
	s_or_b32 exec_lo, exec_lo, s16
	v_mov_b32_e32 v18, 0
	s_wait_dscnt 0x0
	s_barrier_signal -1
	s_barrier_wait -1
	s_and_saveexec_b32 s16, s2
; %bb.26:                               ;   in Loop: Header=BB19_21 Depth=1
	ds_load_b32 v18, v9
; %bb.27:                               ;   in Loop: Header=BB19_21 Depth=1
	s_or_b32 exec_lo, exec_lo, s16
	ds_load_b32 v16, v7 offset:1048
	s_mov_b32 s16, exec_lo
	s_wait_dscnt 0x0
	s_barrier_signal -1
	s_barrier_wait -1
	v_cmpx_ne_u32_e32 0, v17
	s_cbranch_execz .LBB19_29
; %bb.28:                               ;   in Loop: Header=BB19_21 Depth=1
	v_add_nc_u32_e32 v17, v18, v4
	s_delay_alu instid0(VALU_DEP_1)
	v_mul_lo_u32 v18, v17, s14
	v_mul_lo_u32 v17, v17, s12
	global_store_b8 v18, v14, s[10:11]
	global_store_b64 v17, v[6:7], s[6:7] scale_offset
.LBB19_29:                              ;   in Loop: Header=BB19_21 Depth=1
	s_wait_xcnt 0x0
	s_or_b32 exec_lo, exec_lo, s16
	v_cmp_le_u32_e32 vcc_lo, s5, v2
	s_cbranch_vccnz .LBB19_20
; %bb.30:                               ;   in Loop: Header=BB19_21 Depth=1
	ds_store_b32 v3, v15
	s_wait_storecnt_dscnt 0x0
	s_barrier_signal -1
	s_barrier_wait -1
	s_and_saveexec_b32 s16, s0
	s_cbranch_execz .LBB19_32
; %bb.31:                               ;   in Loop: Header=BB19_21 Depth=1
	ds_load_2addr_b32 v[18:19], v10 offset1:1
	ds_load_2addr_b32 v[20:21], v10 offset0:2 offset1:3
	ds_load_2addr_b32 v[22:23], v10 offset0:4 offset1:5
	ds_load_2addr_b32 v[24:25], v10 offset0:6 offset1:7
	v_cmp_ne_u32_e32 vcc_lo, 0, v11
	; wave barrier
	s_wait_dscnt 0x3
	v_add_nc_u32_e32 v17, v19, v18
	s_wait_dscnt 0x2
	s_delay_alu instid0(VALU_DEP_1) | instskip(SKIP_1) | instid1(VALU_DEP_1)
	v_add3_u32 v17, v17, v20, v21
	s_wait_dscnt 0x1
	v_add3_u32 v17, v17, v22, v23
	s_wait_dscnt 0x0
	s_delay_alu instid0(VALU_DEP_1) | instskip(NEXT) | instid1(VALU_DEP_1)
	v_add3_u32 v17, v17, v24, v25
	v_mov_b32_dpp v19, v17 row_shr:1 row_mask:0xf bank_mask:0xf
	s_delay_alu instid0(VALU_DEP_1) | instskip(SKIP_1) | instid1(VALU_DEP_2)
	v_cndmask_b32_e32 v19, 0, v19, vcc_lo
	v_cmp_lt_u32_e32 vcc_lo, 1, v11
	v_add_nc_u32_e32 v17, v19, v17
	s_delay_alu instid0(VALU_DEP_1) | instskip(NEXT) | instid1(VALU_DEP_1)
	v_mov_b32_dpp v19, v17 row_shr:2 row_mask:0xf bank_mask:0xf
	v_cndmask_b32_e32 v19, 0, v19, vcc_lo
	v_cmp_lt_u32_e32 vcc_lo, 3, v11
	s_delay_alu instid0(VALU_DEP_2) | instskip(NEXT) | instid1(VALU_DEP_1)
	v_add_nc_u32_e32 v17, v17, v19
	v_mov_b32_dpp v19, v17 row_shr:4 row_mask:0xf bank_mask:0xf
	s_delay_alu instid0(VALU_DEP_1) | instskip(SKIP_1) | instid1(VALU_DEP_2)
	v_cndmask_b32_e32 v19, 0, v19, vcc_lo
	v_cmp_lt_u32_e32 vcc_lo, 7, v11
	v_add_nc_u32_e32 v17, v17, v19
	s_delay_alu instid0(VALU_DEP_1) | instskip(NEXT) | instid1(VALU_DEP_1)
	v_mov_b32_dpp v19, v17 row_shr:8 row_mask:0xf bank_mask:0xf
	v_cndmask_b32_e32 v19, 0, v19, vcc_lo
	v_cmp_gt_i32_e32 vcc_lo, 0, v13
	s_delay_alu instid0(VALU_DEP_2) | instskip(SKIP_4) | instid1(VALU_DEP_1)
	v_add_nc_u32_e32 v17, v17, v19
	v_cndmask_b32_e32 v20, v13, v0, vcc_lo
	ds_swizzle_b32 v19, v17 offset:swizzle(BROADCAST,32,15)
	s_wait_dscnt 0x0
	v_dual_lshlrev_b32 v20, 2, v20 :: v_dual_bitop2_b32 v19, v12, v19 bitop3:0x40
	v_add_nc_u32_e32 v17, v17, v19
	ds_bpermute_b32 v17, v20, v17
	s_wait_dscnt 0x0
	v_add_nc_u32_e32 v17, v17, v18
	s_delay_alu instid0(VALU_DEP_1)
	v_cndmask_b32_e64 v17, v17, v15, s3
	ds_store_b32 v10, v17
	; wave barrier
	ds_load_2addr_b32 v[18:19], v10 offset0:1 offset1:2
	ds_load_2addr_b32 v[20:21], v10 offset0:3 offset1:4
	;; [unrolled: 1-line block ×3, first 2 shown]
	ds_load_b32 v24, v10 offset:28
	s_wait_dscnt 0x3
	v_add_nc_u32_e32 v17, v18, v17
	s_delay_alu instid0(VALU_DEP_1) | instskip(SKIP_1) | instid1(VALU_DEP_1)
	v_add_nc_u32_e32 v18, v19, v17
	s_wait_dscnt 0x2
	v_add_nc_u32_e32 v19, v20, v18
	s_delay_alu instid0(VALU_DEP_1) | instskip(SKIP_1) | instid1(VALU_DEP_1)
	v_add_nc_u32_e32 v20, v21, v19
	;; [unrolled: 4-line block ×3, first 2 shown]
	s_wait_dscnt 0x0
	v_add_nc_u32_e32 v23, v24, v22
	ds_store_2addr_b32 v10, v17, v18 offset0:1 offset1:2
	ds_store_2addr_b32 v10, v19, v20 offset0:3 offset1:4
	;; [unrolled: 1-line block ×3, first 2 shown]
	ds_store_b32 v10, v23 offset:28
.LBB19_32:                              ;   in Loop: Header=BB19_21 Depth=1
	s_or_b32 exec_lo, exec_lo, s16
	v_mov_b32_e32 v18, 0
	s_wait_dscnt 0x0
	s_barrier_signal -1
	s_barrier_wait -1
	s_and_saveexec_b32 s16, s2
; %bb.33:                               ;   in Loop: Header=BB19_21 Depth=1
	ds_load_b32 v18, v9
; %bb.34:                               ;   in Loop: Header=BB19_21 Depth=1
	s_or_b32 exec_lo, exec_lo, s16
	ds_load_b32 v17, v7 offset:1048
	s_mov_b32 s16, exec_lo
	s_wait_dscnt 0x0
	s_barrier_signal -1
	s_barrier_wait -1
	v_cmpx_ne_u32_e32 0, v15
	s_cbranch_execz .LBB19_19
; %bb.35:                               ;   in Loop: Header=BB19_21 Depth=1
	v_add_nc_u32_e32 v15, v18, v2
	s_delay_alu instid0(VALU_DEP_1)
	v_cmp_gt_u32_e32 vcc_lo, s5, v15
	s_and_b32 exec_lo, exec_lo, vcc_lo
	s_cbranch_execz .LBB19_19
; %bb.36:                               ;   in Loop: Header=BB19_21 Depth=1
	v_mul_lo_u32 v18, v15, s14
	v_mul_lo_u32 v15, v15, s12
	global_store_b8 v18, v14, s[10:11]
	global_store_b64 v15, v[6:7], s[6:7] scale_offset
	s_branch .LBB19_19
.LBB19_37:                              ;   in Loop: Header=BB19_38 Depth=1
	s_add_co_i32 s10, s10, 1
	s_wait_kmcnt 0x0
	s_add_co_i32 s29, s11, s29
	s_add_nc_u64 s[6:7], s[6:7], 4
	s_cmp_lt_u32 s10, s14
	s_add_nc_u64 s[8:9], s[8:9], 4
	s_cbranch_scc0 .LBB19_16
.LBB19_38:                              ; =>This Inner Loop Header: Depth=1
	s_load_b32 s11, s[6:7], 0x0
	s_cmp_ge_u32 s10, s41
	s_cbranch_scc1 .LBB19_37
; %bb.39:                               ;   in Loop: Header=BB19_38 Depth=1
	s_load_b32 s28, s[8:9], 0x0
	s_wait_kmcnt 0x0
	s_add_co_i32 s31, s11, s31
	s_add_co_i32 s30, s28, s30
	s_branch .LBB19_37
.LBB19_40:
	s_endpgm
	.section	.rodata,"a",@progbits
	.p2align	6, 0x0
	.amdhsa_kernel _ZN2at6native6mbtopk10gatherTopKIajLi2EEEvNS_4cuda6detail10TensorInfoIKT_T0_EES8_S8_bjS8_NS5_IS6_S8_EES8_NS5_IlS8_EES8_jjPS6_PjSD_j
		.amdhsa_group_segment_fixed_size 1068
		.amdhsa_private_segment_fixed_size 0
		.amdhsa_kernarg_size 984
		.amdhsa_user_sgpr_count 2
		.amdhsa_user_sgpr_dispatch_ptr 0
		.amdhsa_user_sgpr_queue_ptr 0
		.amdhsa_user_sgpr_kernarg_segment_ptr 1
		.amdhsa_user_sgpr_dispatch_id 0
		.amdhsa_user_sgpr_kernarg_preload_length 0
		.amdhsa_user_sgpr_kernarg_preload_offset 0
		.amdhsa_user_sgpr_private_segment_size 0
		.amdhsa_wavefront_size32 1
		.amdhsa_uses_dynamic_stack 0
		.amdhsa_enable_private_segment 0
		.amdhsa_system_sgpr_workgroup_id_x 1
		.amdhsa_system_sgpr_workgroup_id_y 1
		.amdhsa_system_sgpr_workgroup_id_z 1
		.amdhsa_system_sgpr_workgroup_info 0
		.amdhsa_system_vgpr_workitem_id 0
		.amdhsa_next_free_vgpr 26
		.amdhsa_next_free_sgpr 45
		.amdhsa_named_barrier_count 0
		.amdhsa_reserve_vcc 1
		.amdhsa_float_round_mode_32 0
		.amdhsa_float_round_mode_16_64 0
		.amdhsa_float_denorm_mode_32 3
		.amdhsa_float_denorm_mode_16_64 3
		.amdhsa_fp16_overflow 0
		.amdhsa_memory_ordered 1
		.amdhsa_forward_progress 1
		.amdhsa_inst_pref_size 22
		.amdhsa_round_robin_scheduling 0
		.amdhsa_exception_fp_ieee_invalid_op 0
		.amdhsa_exception_fp_denorm_src 0
		.amdhsa_exception_fp_ieee_div_zero 0
		.amdhsa_exception_fp_ieee_overflow 0
		.amdhsa_exception_fp_ieee_underflow 0
		.amdhsa_exception_fp_ieee_inexact 0
		.amdhsa_exception_int_div_zero 0
	.end_amdhsa_kernel
	.section	.text._ZN2at6native6mbtopk10gatherTopKIajLi2EEEvNS_4cuda6detail10TensorInfoIKT_T0_EES8_S8_bjS8_NS5_IS6_S8_EES8_NS5_IlS8_EES8_jjPS6_PjSD_j,"axG",@progbits,_ZN2at6native6mbtopk10gatherTopKIajLi2EEEvNS_4cuda6detail10TensorInfoIKT_T0_EES8_S8_bjS8_NS5_IS6_S8_EES8_NS5_IlS8_EES8_jjPS6_PjSD_j,comdat
.Lfunc_end19:
	.size	_ZN2at6native6mbtopk10gatherTopKIajLi2EEEvNS_4cuda6detail10TensorInfoIKT_T0_EES8_S8_bjS8_NS5_IS6_S8_EES8_NS5_IlS8_EES8_jjPS6_PjSD_j, .Lfunc_end19-_ZN2at6native6mbtopk10gatherTopKIajLi2EEEvNS_4cuda6detail10TensorInfoIKT_T0_EES8_S8_bjS8_NS5_IS6_S8_EES8_NS5_IlS8_EES8_jjPS6_PjSD_j
                                        ; -- End function
	.set _ZN2at6native6mbtopk10gatherTopKIajLi2EEEvNS_4cuda6detail10TensorInfoIKT_T0_EES8_S8_bjS8_NS5_IS6_S8_EES8_NS5_IlS8_EES8_jjPS6_PjSD_j.num_vgpr, 26
	.set _ZN2at6native6mbtopk10gatherTopKIajLi2EEEvNS_4cuda6detail10TensorInfoIKT_T0_EES8_S8_bjS8_NS5_IS6_S8_EES8_NS5_IlS8_EES8_jjPS6_PjSD_j.num_agpr, 0
	.set _ZN2at6native6mbtopk10gatherTopKIajLi2EEEvNS_4cuda6detail10TensorInfoIKT_T0_EES8_S8_bjS8_NS5_IS6_S8_EES8_NS5_IlS8_EES8_jjPS6_PjSD_j.numbered_sgpr, 45
	.set _ZN2at6native6mbtopk10gatherTopKIajLi2EEEvNS_4cuda6detail10TensorInfoIKT_T0_EES8_S8_bjS8_NS5_IS6_S8_EES8_NS5_IlS8_EES8_jjPS6_PjSD_j.num_named_barrier, 0
	.set _ZN2at6native6mbtopk10gatherTopKIajLi2EEEvNS_4cuda6detail10TensorInfoIKT_T0_EES8_S8_bjS8_NS5_IS6_S8_EES8_NS5_IlS8_EES8_jjPS6_PjSD_j.private_seg_size, 0
	.set _ZN2at6native6mbtopk10gatherTopKIajLi2EEEvNS_4cuda6detail10TensorInfoIKT_T0_EES8_S8_bjS8_NS5_IS6_S8_EES8_NS5_IlS8_EES8_jjPS6_PjSD_j.uses_vcc, 1
	.set _ZN2at6native6mbtopk10gatherTopKIajLi2EEEvNS_4cuda6detail10TensorInfoIKT_T0_EES8_S8_bjS8_NS5_IS6_S8_EES8_NS5_IlS8_EES8_jjPS6_PjSD_j.uses_flat_scratch, 0
	.set _ZN2at6native6mbtopk10gatherTopKIajLi2EEEvNS_4cuda6detail10TensorInfoIKT_T0_EES8_S8_bjS8_NS5_IS6_S8_EES8_NS5_IlS8_EES8_jjPS6_PjSD_j.has_dyn_sized_stack, 0
	.set _ZN2at6native6mbtopk10gatherTopKIajLi2EEEvNS_4cuda6detail10TensorInfoIKT_T0_EES8_S8_bjS8_NS5_IS6_S8_EES8_NS5_IlS8_EES8_jjPS6_PjSD_j.has_recursion, 0
	.set _ZN2at6native6mbtopk10gatherTopKIajLi2EEEvNS_4cuda6detail10TensorInfoIKT_T0_EES8_S8_bjS8_NS5_IS6_S8_EES8_NS5_IlS8_EES8_jjPS6_PjSD_j.has_indirect_call, 0
	.section	.AMDGPU.csdata,"",@progbits
; Kernel info:
; codeLenInByte = 2784
; TotalNumSgprs: 47
; NumVgprs: 26
; ScratchSize: 0
; MemoryBound: 0
; FloatMode: 240
; IeeeMode: 1
; LDSByteSize: 1068 bytes/workgroup (compile time only)
; SGPRBlocks: 0
; VGPRBlocks: 1
; NumSGPRsForWavesPerEU: 47
; NumVGPRsForWavesPerEU: 26
; NamedBarCnt: 0
; Occupancy: 16
; WaveLimiterHint : 1
; COMPUTE_PGM_RSRC2:SCRATCH_EN: 0
; COMPUTE_PGM_RSRC2:USER_SGPR: 2
; COMPUTE_PGM_RSRC2:TRAP_HANDLER: 0
; COMPUTE_PGM_RSRC2:TGID_X_EN: 1
; COMPUTE_PGM_RSRC2:TGID_Y_EN: 1
; COMPUTE_PGM_RSRC2:TGID_Z_EN: 1
; COMPUTE_PGM_RSRC2:TIDIG_COMP_CNT: 0
	.section	.text._ZN2at6native6sbtopk10gatherTopKIajLi2ELb0EEEvNS_4cuda6detail10TensorInfoIKT_T0_EES8_S8_bS8_S8_NS5_IS6_S8_EES8_NS5_IlS8_EES8_PS6_,"axG",@progbits,_ZN2at6native6sbtopk10gatherTopKIajLi2ELb0EEEvNS_4cuda6detail10TensorInfoIKT_T0_EES8_S8_bS8_S8_NS5_IS6_S8_EES8_NS5_IlS8_EES8_PS6_,comdat
	.protected	_ZN2at6native6sbtopk10gatherTopKIajLi2ELb0EEEvNS_4cuda6detail10TensorInfoIKT_T0_EES8_S8_bS8_S8_NS5_IS6_S8_EES8_NS5_IlS8_EES8_PS6_ ; -- Begin function _ZN2at6native6sbtopk10gatherTopKIajLi2ELb0EEEvNS_4cuda6detail10TensorInfoIKT_T0_EES8_S8_bS8_S8_NS5_IS6_S8_EES8_NS5_IlS8_EES8_PS6_
	.globl	_ZN2at6native6sbtopk10gatherTopKIajLi2ELb0EEEvNS_4cuda6detail10TensorInfoIKT_T0_EES8_S8_bS8_S8_NS5_IS6_S8_EES8_NS5_IlS8_EES8_PS6_
	.p2align	8
	.type	_ZN2at6native6sbtopk10gatherTopKIajLi2ELb0EEEvNS_4cuda6detail10TensorInfoIKT_T0_EES8_S8_bS8_S8_NS5_IS6_S8_EES8_NS5_IlS8_EES8_PS6_,@function
_ZN2at6native6sbtopk10gatherTopKIajLi2ELb0EEEvNS_4cuda6detail10TensorInfoIKT_T0_EES8_S8_bS8_S8_NS5_IS6_S8_EES8_NS5_IlS8_EES8_PS6_: ; @_ZN2at6native6sbtopk10gatherTopKIajLi2ELb0EEEvNS_4cuda6detail10TensorInfoIKT_T0_EES8_S8_bS8_S8_NS5_IS6_S8_EES8_NS5_IlS8_EES8_PS6_
; %bb.0:
	s_clause 0x1
	s_load_b128 s[36:39], s[0:1], 0xd8
	s_load_b64 s[8:9], s[0:1], 0x2b8
	s_bfe_u32 s2, ttmp6, 0x40010
	s_and_b32 s3, ttmp7, 0xffff
	s_add_co_i32 s2, s2, 1
	s_bfe_u32 s5, ttmp6, 0x4000c
	s_mul_i32 s2, s3, s2
	s_bfe_u32 s4, ttmp6, 0x40004
	s_add_co_i32 s5, s5, 1
	s_bfe_u32 s6, ttmp6, 0x40014
	s_add_co_i32 s4, s4, s2
	s_and_b32 s2, ttmp6, 15
	s_mul_i32 s5, ttmp9, s5
	s_lshr_b32 s7, ttmp7, 16
	s_add_co_i32 s6, s6, 1
	s_add_co_i32 s2, s2, s5
	s_mul_i32 s5, s7, s6
	s_bfe_u32 s6, ttmp6, 0x40008
	s_getreg_b32 s10, hwreg(HW_REG_IB_STS2, 6, 4)
	s_add_co_i32 s6, s6, s5
	s_cmp_eq_u32 s10, 0
	s_mov_b32 s41, 0
	s_cselect_b32 s5, s7, s6
	s_cselect_b32 s3, s3, s4
	s_wait_kmcnt 0x0
	s_mul_i32 s5, s9, s5
	s_cselect_b32 s9, ttmp9, s2
	s_add_co_i32 s2, s5, s3
	s_delay_alu instid0(SALU_CYCLE_1) | instskip(NEXT) | instid1(SALU_CYCLE_1)
	s_mul_i32 s2, s2, s8
	s_add_co_i32 s40, s2, s9
	s_delay_alu instid0(SALU_CYCLE_1)
	s_cmp_ge_u32 s40, s39
	s_cbranch_scc1 .LBB20_412
; %bb.1:
	s_clause 0x5
	s_load_b32 s4, s[0:1], 0xc
	s_load_b32 s64, s[0:1], 0xfc
	;; [unrolled: 1-line block ×3, first 2 shown]
	; meta instruction
	s_load_b32 s62, s[0:1], 0xe8
	s_load_b64 s[6:7], s[0:1], 0x6c
	s_load_b64 s[2:3], s[0:1], 0x0
	s_mov_b32 s15, s41
	s_add_nc_u64 s[52:53], s[0:1], 0x2b8
	s_wait_kmcnt 0x0
	s_cvt_f32_u32 s5, s4
	s_cvt_f32_u32 s10, s64
	;; [unrolled: 1-line block ×3, first 2 shown]
	s_sub_co_i32 s14, 0, s4
	v_rcp_iflag_f32_e32 v1, s5
	v_rcp_iflag_f32_e32 v2, s10
	;; [unrolled: 1-line block ×3, first 2 shown]
	s_load_b64 s[10:11], s[0:1], 0x23c
	s_sub_co_i32 s16, 0, s64
	s_sub_co_i32 s17, 0, s63
	v_cmp_eq_u32_e64 s5, 0, v0
	s_delay_alu instid0(TRANS32_DEP_2) | instskip(NEXT) | instid1(TRANS32_DEP_1)
	v_readfirstlane_b32 s12, v2
	v_readfirstlane_b32 s13, v3
	s_mul_f32 s12, s12, 0x4f7ffffe
	s_mul_f32 s13, s13, 0x4f7ffffe
	s_delay_alu instid0(SALU_CYCLE_2) | instskip(NEXT) | instid1(SALU_CYCLE_2)
	s_cvt_u32_f32 s12, s12
	s_cvt_u32_f32 s13, s13
	s_delay_alu instid0(SALU_CYCLE_2) | instskip(NEXT) | instid1(SALU_CYCLE_2)
	s_mul_i32 s16, s16, s12
	s_mul_i32 s17, s17, s13
	s_wait_kmcnt 0x0
	v_writelane_b32 v68, s10, 0
	s_mul_hi_u32 s16, s12, s16
	s_mul_hi_u32 s17, s13, s17
	v_writelane_b32 v68, s11, 1
	v_readfirstlane_b32 s10, v1
	s_mov_b32 s11, s41
	s_mul_f32 s10, s10, 0x4f7ffffe
	s_delay_alu instid0(SALU_CYCLE_3) | instskip(NEXT) | instid1(SALU_CYCLE_3)
	s_cvt_u32_f32 s10, s10
	s_mul_i32 s14, s14, s10
	s_delay_alu instid0(SALU_CYCLE_1) | instskip(NEXT) | instid1(SALU_CYCLE_1)
	s_mul_hi_u32 s14, s10, s14
	s_add_co_i32 s14, s10, s14
	s_add_co_i32 s10, s12, s16
	;; [unrolled: 1-line block ×3, first 2 shown]
	s_mul_u64 s[14:15], s[40:41], s[14:15]
	s_mov_b32 s13, s41
	s_and_saveexec_b32 s14, s5
; %bb.2:
	v_dual_mov_b32 v2, 0 :: v_dual_mov_b32 v3, s36
	s_delay_alu instid0(VALU_DEP_1)
	v_mov_b32_e32 v4, v2
	ds_store_b96 v2, v[2:4] offset:4096
; %bb.3:
	s_or_b32 exec_lo, exec_lo, s14
	s_mul_i32 s14, s15, s4
	s_add_co_i32 s16, s15, 1
	s_sub_co_i32 s14, s40, s14
	s_wait_dscnt 0x0
	s_sub_co_i32 s17, s14, s4
	s_cmp_ge_u32 s14, s4
	s_barrier_signal -1
	s_cselect_b32 s15, s16, s15
	s_barrier_wait -1
	s_load_b32 s16, s[52:53], 0xc
	s_cselect_b32 s14, s17, s14
	s_add_co_i32 s17, s15, 1
	s_cmp_ge_u32 s14, s4
	v_mbcnt_lo_u32_b32 v1, -1, 0
	s_cselect_b32 s14, s17, s15
	s_mov_b32 s55, 0
	s_mul_i32 s4, s14, s4
	s_mul_i32 s6, s14, s6
	s_sub_co_i32 s4, s40, s4
	v_cmp_gt_u32_e32 vcc_lo, 32, v0
	s_mul_i32 s4, s4, s7
	s_mul_u64 s[50:51], s[40:41], s[10:11]
	s_add_co_i32 s54, s6, s4
	s_bitcmp1_b32 s38, 0
	s_add_nc_u64 s[38:39], s[2:3], s[54:55]
	v_cmp_gt_i32_e64 s2, 4, v1
	s_mul_u64 s[34:35], s[40:41], s[12:13]
	s_cselect_b32 s3, -1, 0
	v_mul_lo_u32 v22, s62, v0
	s_wait_kmcnt 0x0
	s_and_b32 s41, s16, 0xffff
	s_xor_b32 s65, s3, -1
	s_lshl_b32 s66, s41, 2
	s_and_b32 s67, vcc_lo, s2
	s_cmp_gt_u32 s36, 0xc00
	v_dual_mov_b32 v25, 0 :: v_dual_lshlrev_b32 v19, 2, v0
	s_cselect_b32 s68, -1, 0
	v_add_max_u32_e64 v4, v0, 2, s36
	s_cmp_gt_u32 s41, 31
	v_lshlrev_b64_e64 v[2:3], v1, -1
	s_cselect_b32 s69, -1, 0
	s_add_co_i32 s70, s41, -1
	v_mov_b32_e32 v23, v25
	s_add_co_i32 s13, s70, s36
	v_xad_u32 v3, v0, -1, v4
	v_lshrrev_b32_e32 v4, 1, v0
	s_cmp_lt_u32 s9, s8
	s_cvt_f32_u32 s9, s66
	s_cselect_b32 s56, 12, 18
	s_bfe_u32 s71, s16, 0xb0005
	s_movk_i32 s7, 0x1f0
	s_add_co_i32 s8, s71, -2
	v_add_nc_u64_e32 v[20:21], s[38:39], v[22:23]
	v_and_or_b32 v23, v4, s7, 0xc00
	v_rcp_iflag_f32_e32 v4, s9
	s_lshr_b32 s7, s8, 1
	s_load_b64 s[18:19], s[0:1], 0x1d0
	s_add_co_i32 s10, s7, 1
	s_cmp_gt_u32 s41, 63
	v_add_nc_u32_e32 v5, -8, v3
	s_cselect_b32 s72, -1, 0
	s_and_b32 s73, s71, 0x7fe
	s_and_b32 s74, s10, 7
	s_cmp_gt_u32 s8, 13
	v_readfirstlane_b32 s8, v4
	s_cselect_b32 s76, -1, 0
	s_and_b32 s77, s10, -8
	s_cmp_lg_u32 s74, 0
	s_cvt_f32_u32 s10, s41
	s_mul_f32 s8, s8, 0x4f7ffffe
	s_cselect_b32 s79, -1, 0
	s_cmp_lg_u32 s73, s71
	v_rcp_iflag_f32_e32 v4, s10
	s_cvt_u32_f32 s8, s8
	s_cselect_b32 s80, -1, 0
	s_sub_co_i32 s9, 0, s66
	v_not_b32_e32 v18, v2
	s_mul_i32 s9, s9, s8
	v_dual_lshrrev_b32 v2, 3, v5 :: v_dual_bitop2_b32 v28, -8, v3 bitop3:0x40
	s_mul_hi_u32 s9, s8, s9
	v_readfirstlane_b32 s10, v4
	s_add_co_i32 s58, s8, s9
	s_wait_kmcnt 0x0
	v_writelane_b32 v68, s18, 2
	s_mul_hi_u32 s8, s36, s58
	v_add_nc_u32_e32 v2, 1, v2
	s_mul_i32 s8, s8, s66
	s_mul_f32 s10, s10, 0x4f7ffffe
	s_sub_co_i32 s9, s36, s8
	v_writelane_b32 v68, s19, 3
	s_sub_co_i32 s11, s9, s66
	s_cmp_ge_u32 s9, s66
	s_cvt_u32_f32 s10, s10
	s_cselect_b32 s9, s11, s9
	s_load_b64 s[18:19], s[0:1], 0xf0
	s_sub_co_i32 s11, s9, s66
	s_cmp_ge_u32 s9, s66
	v_dual_add_nc_u32 v29, v0, v28 :: v_dual_bitop2_b32 v4, 8, v5 bitop3:0x40
	s_cselect_b32 s14, s11, s9
	s_sub_co_i32 s9, 0, s41
	s_sub_co_i32 s86, s36, s14
	s_mul_i32 s9, s9, s10
	v_add_nc_u32_e32 v30, s86, v0
	s_mul_hi_u32 s9, s10, s9
	v_and_b32_e32 v31, 0x3ffffffe, v2
	s_add_co_i32 s60, s10, s9
	v_add3_u32 v2, s41, s36, v0
	s_mul_hi_u32 s10, s13, s60
	v_cmp_lt_u32_e64 s7, 31, v3
	s_mul_i32 s11, s10, s41
	v_cmp_ne_u32_e64 s10, v3, v28
	s_sub_co_i32 s12, s13, s11
	v_or_b32_e32 v3, 2, v19
	v_mul_lo_u32 v24, v30, s62
	s_sub_co_i32 s15, s12, s41
	v_cmp_eq_u32_e64 s9, 0, v4
	s_cmp_ge_u32 s12, s41
	v_dual_lshlrev_b32 v37, 2, v22 :: v_dual_bitop2_b32 v4, 3, v19 bitop3:0x54
	v_subrev_nc_u32_e32 v2, s14, v2
	s_cselect_b32 s15, s15, s12
	v_mad_u32 v33, s62, v19, s62
	s_sub_co_i32 s16, s15, s41
	s_cmp_ge_u32 s15, s41
	v_mul_lo_u32 v34, s62, v3
	v_mul_lo_u32 v35, s62, v4
	;; [unrolled: 1-line block ×3, first 2 shown]
	s_cselect_b32 s15, s16, s15
	v_add_nc_u64_e32 v[26:27], s[38:39], v[24:25]
	s_sub_co_i32 s87, s13, s15
	s_wait_kmcnt 0x0
	v_writelane_b32 v68, s18, 4
	v_cmp_eq_u32_e64 s2, 0, v1
	v_cmp_gt_u32_e64 s4, s36, v0
	v_cmp_gt_u32_e64 s6, 2, v0
	v_cmp_lt_u32_e64 s8, 7, v5
	v_cmp_gt_u32_e64 s11, s86, v19
	v_cmp_gt_u32_e64 s12, s36, v30
	;; [unrolled: 1-line block ×3, first 2 shown]
	v_lshl_or_b32 v38, v1, 2, 0xc00
	v_dual_mov_b32 v41, s37 :: v_dual_mov_b32 v40, 0
	v_dual_mov_b32 v32, 0 :: v_dual_mov_b32 v39, 0
	s_mul_i32 s50, s62, s41
	s_mov_b32 s57, s55
	s_mov_b32 s75, s62
	;; [unrolled: 1-line block ×10, first 2 shown]
	s_lshl_b32 s88, s50, 2
	s_mov_b32 s95, 6
	s_mov_b32 s89, 0
	;; [unrolled: 1-line block ×3, first 2 shown]
	v_writelane_b32 v68, s19, 5
                                        ; implicit-def: $sgpr90
                                        ; implicit-def: $sgpr94
                                        ; implicit-def: $sgpr93
                                        ; implicit-def: $sgpr96
                                        ; implicit-def: $sgpr92
                                        ; implicit-def: $sgpr100
                                        ; implicit-def: $sgpr101
                                        ; implicit-def: $sgpr97
                                        ; implicit-def: $sgpr99
                                        ; implicit-def: $sgpr98
	s_branch .LBB20_6
.LBB20_4:                               ;   in Loop: Header=BB20_6 Depth=1
	s_or_b32 exec_lo, exec_lo, s17
	v_mov_b32_e32 v41, v5
	s_and_not1_b32 s17, s98, exec_lo
	s_and_b32 s16, s16, exec_lo
	s_and_not1_b32 s99, s99, exec_lo
	s_or_b32 s98, s17, s16
	s_and_not1_b32 s97, s97, exec_lo
	s_and_not1_b32 s101, s101, exec_lo
	;; [unrolled: 1-line block ×3, first 2 shown]
	s_or_not1_b32 s17, s15, exec_lo
.LBB20_5:                               ;   in Loop: Header=BB20_6 Depth=1
	s_or_b32 exec_lo, exec_lo, s14
	s_delay_alu instid0(SALU_CYCLE_1) | instskip(NEXT) | instid1(SALU_CYCLE_1)
	s_and_b32 s14, exec_lo, s17
	s_or_b32 s89, s14, s89
	s_and_not1_b32 s14, s92, exec_lo
	s_and_b32 s15, s98, exec_lo
	s_and_not1_b32 s16, s96, exec_lo
	s_or_b32 s92, s14, s15
	s_and_b32 s14, s99, exec_lo
	s_and_not1_b32 s15, s93, exec_lo
	s_and_b32 s17, s97, exec_lo
	s_or_b32 s96, s16, s14
	s_or_b32 s93, s15, s17
	s_and_not1_b32 s14, s94, exec_lo
	s_and_b32 s15, s101, exec_lo
	s_and_not1_b32 s16, s90, exec_lo
	s_and_b32 s17, s100, exec_lo
	s_or_b32 s94, s14, s15
	s_or_b32 s90, s16, s17
	s_and_not1_b32 exec_lo, exec_lo, s89
	s_cbranch_execz .LBB20_408
.LBB20_6:                               ; =>This Loop Header: Depth=1
                                        ;     Child Loop BB20_11 Depth 2
                                        ;     Child Loop BB20_32 Depth 2
	;; [unrolled: 1-line block ×26, first 2 shown]
	ds_load_b64 v[2:3], v25 offset:4096
	s_wait_dscnt 0x0
	v_readfirstlane_b32 s54, v2
	s_cmp_lg_u32 s54, 0
	s_cbranch_scc1 .LBB20_49
; %bb.7:                                ;   in Loop: Header=BB20_6 Depth=1
	s_and_b32 vcc_lo, exec_lo, s68
	s_cbranch_vccz .LBB20_19
; %bb.8:                                ;   in Loop: Header=BB20_6 Depth=1
	v_cmp_gt_u32_e32 vcc_lo, 0xc01, v3
	s_mov_b32 s16, 0
	s_mov_b32 s14, 0
	s_cbranch_vccz .LBB20_20
; %bb.9:                                ;   in Loop: Header=BB20_6 Depth=1
	global_load_u8 v3, v[20:21], off
	s_add_nc_u64 s[14:15], s[52:53], s[56:57]
	s_mov_b32 s18, 0
	s_load_u16 s17, s[14:15], 0x0
	s_wait_kmcnt 0x0
	v_dual_mov_b32 v4, v0 :: v_dual_add_nc_u32 v2, s17, v0
	s_mul_i32 s19, s62, s17
	s_delay_alu instid0(VALU_DEP_1)
	v_mul_lo_u32 v2, s62, v2
	s_branch .LBB20_11
.LBB20_10:                              ;   in Loop: Header=BB20_11 Depth=2
	s_or_b32 exec_lo, exec_lo, s15
	v_dual_mov_b32 v3, v5 :: v_dual_add_nc_u32 v2, s19, v2
	s_and_not1_b32 exec_lo, exec_lo, s18
	s_cbranch_execz .LBB20_26
.LBB20_11:                              ;   Parent Loop BB20_6 Depth=1
                                        ; =>  This Inner Loop Header: Depth=2
	s_wait_dscnt 0x0
	v_dual_add_nc_u32 v4, s17, v4 :: v_dual_mov_b32 v6, 0
	v_mov_b32_e32 v5, 0
	s_mov_b32 s15, exec_lo
	s_delay_alu instid0(VALU_DEP_2)
	v_cmp_le_u32_e32 vcc_lo, s36, v4
	v_cmpx_gt_u32_e64 s36, v4
	s_cbranch_execz .LBB20_13
; %bb.12:                               ;   in Loop: Header=BB20_11 Depth=2
	global_load_u8 v5, v2, s[38:39]
.LBB20_13:                              ;   in Loop: Header=BB20_11 Depth=2
	s_wait_xcnt 0x0
	s_or_b32 exec_lo, exec_lo, s15
	s_wait_loadcnt 0x0
	v_bfe_i32 v7, v3, 0, 8
	s_delay_alu instid0(VALU_DEP_1) | instskip(NEXT) | instid1(VALU_DEP_1)
	v_add_nc_u32_e32 v7, 0x80, v7
	v_and_b32_e32 v7, v7, v39
	s_delay_alu instid0(VALU_DEP_1) | instskip(SKIP_2) | instid1(SALU_CYCLE_1)
	v_cmp_eq_u32_e64 s14, v7, v32
	s_cmp_lg_u32 s14, 0
	s_cselect_b32 s15, -1, 0
	s_and_b32 s15, s2, s15
	s_delay_alu instid0(SALU_CYCLE_1)
	s_and_saveexec_b32 s20, s15
	s_cbranch_execz .LBB20_17
; %bb.14:                               ;   in Loop: Header=BB20_11 Depth=2
	s_mov_b32 s23, exec_lo
	s_bcnt1_i32_b32 s21, s14
	v_mbcnt_lo_u32_b32 v6, s23, 0
	s_mov_b32 s22, exec_lo
                                        ; implicit-def: $vgpr7
	s_delay_alu instid0(VALU_DEP_1)
	v_cmpx_eq_u32_e32 0, v6
; %bb.15:                               ;   in Loop: Header=BB20_11 Depth=2
	s_bcnt1_i32_b32 s15, s23
	s_delay_alu instid0(SALU_CYCLE_1) | instskip(NEXT) | instid1(SALU_CYCLE_1)
	s_mul_i32 s15, s21, s15
	v_mov_b32_e32 v7, s15
	ds_add_rtn_u32 v7, v25, v7 offset:4104
; %bb.16:                               ;   in Loop: Header=BB20_11 Depth=2
	s_or_b32 exec_lo, exec_lo, s22
	s_wait_dscnt 0x0
	v_readfirstlane_b32 s15, v7
	s_delay_alu instid0(VALU_DEP_1)
	v_mad_u32_u24 v6, s21, v6, s15
.LBB20_17:                              ;   in Loop: Header=BB20_11 Depth=2
	s_or_b32 exec_lo, exec_lo, s20
	ds_bpermute_b32 v6, v25, v6
	s_and_b32 s15, exec_lo, vcc_lo
	s_delay_alu instid0(SALU_CYCLE_1)
	s_or_b32 s18, s15, s18
	s_and_saveexec_b32 s15, s14
	s_cbranch_execz .LBB20_10
; %bb.18:                               ;   in Loop: Header=BB20_11 Depth=2
	v_and_b32_e32 v7, s14, v18
	s_wait_dscnt 0x0
	s_delay_alu instid0(VALU_DEP_1)
	v_bcnt_u32_b32 v6, v7, v6
	ds_store_b8 v6, v3
	s_branch .LBB20_10
.LBB20_19:                              ;   in Loop: Header=BB20_6 Depth=1
	s_mov_b32 s16, -1
	s_mov_b32 s14, 0
.LBB20_20:                              ;   in Loop: Header=BB20_6 Depth=1
	s_and_b32 vcc_lo, exec_lo, s16
	s_cbranch_vccz .LBB20_47
.LBB20_21:                              ;   in Loop: Header=BB20_6 Depth=1
	s_and_saveexec_b32 s15, s4
	s_cbranch_execz .LBB20_44
; %bb.22:                               ;   in Loop: Header=BB20_6 Depth=1
	global_load_u8 v24, v[20:21], off
	s_add_nc_u64 s[16:17], s[52:53], s[56:57]
	v_mov_b32_e32 v3, v0
	s_load_u16 s17, s[16:17], 0x0
	s_wait_xcnt 0x0
	s_mov_b32 s16, exec_lo
	s_wait_kmcnt 0x0
	v_add_nc_u32_e32 v2, s17, v0
	s_delay_alu instid0(VALU_DEP_1)
	v_cmpx_gt_u32_e64 s36, v2
	s_cbranch_execz .LBB20_43
; %bb.23:                               ;   in Loop: Header=BB20_6 Depth=1
	s_mov_b32 s14, 0
	s_mul_i32 s18, s62, s17
                                        ; implicit-def: $vgpr3
                                        ; implicit-def: $vgpr4
                                        ; implicit-def: $vgpr5
	s_and_saveexec_b32 s19, s7
	s_delay_alu instid0(SALU_CYCLE_1)
	s_xor_b32 s19, exec_lo, s19
	s_cbranch_execnz .LBB20_29
; %bb.24:                               ;   in Loop: Header=BB20_6 Depth=1
	s_and_not1_saveexec_b32 s19, s19
	s_cbranch_execnz .LBB20_38
.LBB20_25:                              ;   in Loop: Header=BB20_6 Depth=1
	s_or_b32 exec_lo, exec_lo, s19
	s_and_saveexec_b32 s18, s14
	s_cbranch_execnz .LBB20_39
	s_branch .LBB20_42
.LBB20_26:                              ;   in Loop: Header=BB20_6 Depth=1
	s_or_b32 exec_lo, exec_lo, s18
	s_wait_dscnt 0x0
	s_barrier_signal -1
	s_barrier_wait -1
	s_and_saveexec_b32 s14, s5
	s_cbranch_execz .LBB20_28
; %bb.27:                               ;   in Loop: Header=BB20_6 Depth=1
	ds_load_b32 v2, v25 offset:4104
	s_wait_dscnt 0x0
	ds_store_b32 v25, v2 offset:4096
.LBB20_28:                              ;   in Loop: Header=BB20_6 Depth=1
	s_or_b32 exec_lo, exec_lo, s14
	s_wait_dscnt 0x0
	s_barrier_signal -1
	s_mov_b32 s14, -1
	s_barrier_wait -1
	s_and_b32 vcc_lo, exec_lo, s16
	s_cbranch_vccnz .LBB20_21
	s_branch .LBB20_47
.LBB20_29:                              ;   in Loop: Header=BB20_6 Depth=1
	s_cvt_f32_u32 s14, s17
	v_add_max_u32_e64 v3, v2, s17, s36
	s_delay_alu instid0(SALU_CYCLE_2) | instskip(SKIP_1) | instid1(VALU_DEP_1)
	v_rcp_iflag_f32_e32 v4, s14
	s_lshl_b32 s14, s17, 1
	v_sub_nc_u32_e32 v3, v3, v0
	s_delay_alu instid0(VALU_DEP_1) | instskip(NEXT) | instid1(TRANS32_DEP_1)
	v_cmp_ne_u32_e32 vcc_lo, s14, v3
	v_readfirstlane_b32 s20, v4
	v_cndmask_b32_e64 v4, 0, 1, vcc_lo
	s_mul_f32 s20, s20, 0x4f7ffffe
	s_delay_alu instid0(VALU_DEP_1) | instskip(NEXT) | instid1(SALU_CYCLE_2)
	v_or_b32_e32 v4, s14, v4
	s_cvt_u32_f32 s14, s20
	s_sub_co_i32 s20, 0, s17
	s_delay_alu instid0(SALU_CYCLE_2) | instskip(NEXT) | instid1(VALU_DEP_1)
	s_mul_i32 s20, s20, s14
	v_sub_nc_u32_e32 v3, v3, v4
	s_mul_hi_u32 s20, s14, s20
	s_delay_alu instid0(SALU_CYCLE_1)
	s_add_co_i32 s14, s14, s20
	s_delay_alu instid0(VALU_DEP_1) | instid1(SALU_CYCLE_1)
	v_mul_hi_u32 v4, v3, s14
	s_delay_alu instid0(VALU_DEP_1) | instskip(NEXT) | instid1(VALU_DEP_1)
	v_mul_lo_u32 v5, v4, s17
	v_dual_sub_nc_u32 v3, v3, v5 :: v_dual_add_nc_u32 v5, 1, v4
	s_delay_alu instid0(VALU_DEP_1) | instskip(SKIP_1) | instid1(VALU_DEP_1)
	v_subrev_nc_u32_e32 v6, s17, v3
	v_cmp_le_u32_e64 s14, s17, v3
	v_dual_cndmask_b32 v4, v4, v5, s14 :: v_dual_cndmask_b32 v3, v3, v6, s14
	s_delay_alu instid0(VALU_DEP_1) | instskip(NEXT) | instid1(VALU_DEP_2)
	v_add_nc_u32_e32 v5, 1, v4
	v_cmp_le_u32_e64 s14, s17, v3
	s_delay_alu instid0(VALU_DEP_1) | instskip(SKIP_2) | instid1(VALU_DEP_2)
	v_cndmask_b32_e64 v3, v4, v5, s14
	v_mul_lo_u32 v4, s62, v2
	s_abs_i32 s14, s18
	v_add_co_ci_u32_e64 v3, null, 0, v3, vcc_lo
	s_delay_alu instid0(VALU_DEP_1) | instskip(SKIP_2) | instid1(SALU_CYCLE_1)
	v_mul_hi_u32 v5, s14, v3
	v_mul_lo_u32 v3, s14, v3
	s_not_b32 s14, s18
	s_ashr_i32 s14, s14, 31
	s_cmp_eq_u32 s17, 1
	s_delay_alu instid0(VALU_DEP_4) | instskip(SKIP_1) | instid1(VALU_DEP_3)
	v_xor_b32_e32 v4, s14, v4
	s_cselect_b32 s20, -1, 0
	v_cmp_eq_u32_e32 vcc_lo, 0, v5
	s_delay_alu instid0(VALU_DEP_2) | instskip(SKIP_2) | instid1(SALU_CYCLE_1)
	v_cmp_le_u32_e64 s14, v3, v4
	v_mov_b32_e32 v4, v0
                                        ; implicit-def: $vgpr3
	s_and_b32 s20, vcc_lo, s20
	s_and_b32 s21, s20, s14
	s_mov_b32 s20, -1
	s_and_saveexec_b32 s14, s21
	s_cbranch_execz .LBB20_37
; %bb.30:                               ;   in Loop: Header=BB20_6 Depth=1
	v_dual_add_nc_u32 v9, 7, v2 :: v_dual_add_nc_u32 v8, 6, v2
	v_dual_add_nc_u32 v7, 5, v2 :: v_dual_add_nc_u32 v6, 4, v2
	v_dual_add_nc_u32 v5, 3, v2 :: v_dual_add_nc_u32 v4, 2, v2
	s_wait_loadcnt 0x0
	v_dual_add_nc_u32 v3, 1, v2 :: v_dual_lshlrev_b32 v42, 24, v24
	v_mov_b64_e32 v[16:17], v[8:9]
	v_mov_b64_e32 v[14:15], v[6:7]
	;; [unrolled: 1-line block ×3, first 2 shown]
	s_delay_alu instid0(VALU_DEP_4)
	v_mov_b64_e32 v[10:11], v[2:3]
	v_mov_b32_e32 v44, 0
                                        ; implicit-def: $vgpr24
	s_and_saveexec_b32 s20, s8
	s_cbranch_execz .LBB20_34
; %bb.31:                               ;   in Loop: Header=BB20_6 Depth=1
	v_mov_b64_e32 v[16:17], v[8:9]
	v_mov_b64_e32 v[14:15], v[6:7]
	;; [unrolled: 1-line block ×4, first 2 shown]
	v_mov_b32_e32 v43, v31
	s_mov_b32 s21, 0
	s_mov_b32 s22, 0
.LBB20_32:                              ;   Parent Loop BB20_6 Depth=1
                                        ; =>  This Inner Loop Header: Depth=2
	s_delay_alu instid0(VALU_DEP_2) | instskip(NEXT) | instid1(VALU_DEP_4)
	v_mul_lo_u32 v24, v10, s62
	v_dual_add_nc_u32 v56, 8, v13 :: v_dual_add_nc_u32 v58, 8, v14
	v_dual_add_nc_u32 v60, 8, v15 :: v_dual_add_nc_u32 v62, 8, v16
	v_mul_lo_u32 v44, v14, s82
	v_dual_add_nc_u32 v52, 8, v11 :: v_dual_add_nc_u32 v54, 8, v12
	v_mul_lo_u32 v6, v16, s84
	v_mul_lo_u32 v56, v56, s81
	;; [unrolled: 1-line block ×3, first 2 shown]
	v_dual_mov_b32 v5, v25 :: v_dual_add_nc_u32 v3, 8, v10
	v_mul_lo_u32 v58, v58, s82
	v_mul_lo_u32 v8, v15, s83
	v_dual_mov_b32 v53, v25 :: v_dual_add_nc_u32 v64, 8, v17
	v_mul_lo_u32 v62, v62, s84
	v_mul_lo_u32 v46, v13, s81
	;; [unrolled: 1-line block ×6, first 2 shown]
	v_dual_mov_b32 v47, v25 :: v_dual_mov_b32 v45, v25
	v_mul_lo_u32 v52, v52, s75
	v_dual_mov_b32 v9, v25 :: v_dual_mov_b32 v7, v25
	v_dual_mov_b32 v55, v25 :: v_dual_mov_b32 v57, v25
	v_add_nc_u64_e32 v[66:67], s[38:39], v[24:25]
	v_mul_lo_u32 v24, v3, s62
	v_dual_mov_b32 v59, v25 :: v_dual_mov_b32 v61, v25
	v_mul_lo_u32 v64, v64, s85
	v_dual_mov_b32 v63, v25 :: v_dual_mov_b32 v65, v25
	v_dual_mov_b32 v51, v25 :: v_dual_mov_b32 v49, v25
	v_add_nc_u64_e32 v[44:45], s[38:39], v[44:45]
	v_add_nc_u64_e32 v[6:7], s[38:39], v[6:7]
	;; [unrolled: 1-line block ×13, first 2 shown]
	s_clause 0x7
	global_load_u8 v3, v[44:45], off
	global_load_u8 v6, v[6:7], off
	;; [unrolled: 1-line block ×8, first 2 shown]
	v_add_nc_u64_e32 v[4:5], s[38:39], v[24:25]
	v_add_nc_u64_e32 v[64:65], s[38:39], v[64:65]
	s_clause 0x7
	global_load_u8 v48, v[56:57], off
	global_load_u8 v49, v[58:59], off
	;; [unrolled: 1-line block ×8, first 2 shown]
	v_dual_add_nc_u32 v43, -2, v43 :: v_dual_add_nc_u32 v12, 16, v12
	s_wait_xcnt 0x2
	v_dual_add_nc_u32 v53, s22, v0 :: v_dual_add_nc_u32 v17, 16, v17
	s_add_co_i32 s22, s22, 16
	s_delay_alu instid0(VALU_DEP_2)
	v_cmp_eq_u32_e32 vcc_lo, 0, v43
	v_dual_add_nc_u32 v16, 16, v16 :: v_dual_add_nc_u32 v15, 16, v15
	v_dual_add_nc_u32 v14, 16, v14 :: v_dual_add_nc_u32 v13, 16, v13
	;; [unrolled: 1-line block ×3, first 2 shown]
	v_mov_b32_e32 v44, s22
	s_or_b32 s21, vcc_lo, s21
	s_wait_loadcnt 0xc
	s_wait_xcnt 0x1
	v_perm_b32 v5, v8, v6, 0xc0c0004
	s_wait_loadcnt 0xb
	v_perm_b32 v3, v9, v3, 0xc0c0004
	s_wait_loadcnt 0x6
	v_perm_b32 v9, v48, v49, 0xc0c0004
	v_perm_b32 v6, v46, v45, 0xc0c0004
	;; [unrolled: 1-line block ×3, first 2 shown]
	s_wait_loadcnt 0x4
	v_perm_b32 v42, v51, v50, 0xc0c0004
	v_perm_b32 v45, v49, v51, 0xc0c0004
	s_wait_loadcnt 0x2
	v_perm_b32 v46, v52, v54, 0xc0c0004
	s_wait_loadcnt 0x1
	;; [unrolled: 2-line block ×3, first 2 shown]
	v_perm_b32 v48, v50, v24, 0xc0c0004
	v_lshl_or_b32 v5, v5, 16, v3
	v_lshl_or_b32 v4, v6, 16, v8
	;; [unrolled: 1-line block ×5, first 2 shown]
	ds_store_b128 v53, v[4:7]
	s_wait_xcnt 0x0
	s_and_not1_b32 exec_lo, exec_lo, s21
	s_cbranch_execnz .LBB20_32
; %bb.33:                               ;   in Loop: Header=BB20_6 Depth=1
	s_or_b32 exec_lo, exec_lo, s21
.LBB20_34:                              ;   in Loop: Header=BB20_6 Depth=1
	s_delay_alu instid0(SALU_CYCLE_1)
	s_or_b32 exec_lo, exec_lo, s20
	s_and_saveexec_b32 s20, s9
	s_cbranch_execz .LBB20_36
; %bb.35:                               ;   in Loop: Header=BB20_6 Depth=1
	v_mul_lo_u32 v24, v10, s62
	v_mul_lo_u32 v10, v14, s82
	;; [unrolled: 1-line block ×8, first 2 shown]
	v_dual_mov_b32 v17, v25 :: v_dual_mov_b32 v11, v25
	v_dual_mov_b32 v7, v25 :: v_dual_mov_b32 v9, v25
	v_dual_mov_b32 v15, v25 :: v_dual_mov_b32 v13, v25
	s_delay_alu instid0(VALU_DEP_3) | instskip(NEXT) | instid1(VALU_DEP_3)
	v_add_nc_u64_e32 v[10:11], s[38:39], v[10:11]
	v_add_nc_u64_e32 v[6:7], s[38:39], v[6:7]
	s_delay_alu instid0(VALU_DEP_4) | instskip(NEXT) | instid1(VALU_DEP_4)
	v_add_nc_u64_e32 v[8:9], s[38:39], v[8:9]
	v_add_nc_u64_e32 v[14:15], s[38:39], v[14:15]
	v_add_nc_u64_e32 v[12:13], s[38:39], v[12:13]
	v_add_nc_u64_e32 v[16:17], s[38:39], v[16:17]
	v_mov_b32_e32 v5, v25
	v_add_nc_u64_e32 v[46:47], s[38:39], v[24:25]
	s_clause 0x6
	global_load_u8 v3, v[10:11], off
	global_load_u8 v6, v[6:7], off
	;; [unrolled: 1-line block ×7, first 2 shown]
	v_add_nc_u64_e32 v[4:5], s[38:39], v[4:5]
	global_load_u8 v24, v[4:5], off
	s_wait_loadcnt 0x5
	s_wait_xcnt 0x0
	v_perm_b32 v4, v7, v6, 0xc0c0004
	s_wait_loadcnt 0x4
	v_perm_b32 v3, v8, v3, 0xc0c0004
	s_wait_loadcnt 0x2
	;; [unrolled: 2-line block ×3, first 2 shown]
	v_perm_b32 v7, v42, v11, 0xc0c0007
	v_lshl_or_b32 v5, v4, 16, v3
	v_add_nc_u32_e32 v3, v0, v44
	s_delay_alu instid0(VALU_DEP_3)
	v_lshl_or_b32 v4, v6, 16, v7
	ds_store_b64 v3, v[4:5]
.LBB20_36:                              ;   in Loop: Header=BB20_6 Depth=1
	s_or_b32 exec_lo, exec_lo, s20
	v_dual_add_nc_u32 v2, v2, v28 :: v_dual_mov_b32 v4, v29
	s_or_not1_b32 s20, s10, exec_lo
	s_delay_alu instid0(VALU_DEP_1)
	v_add_nc_u32_e32 v3, -1, v2
.LBB20_37:                              ;   in Loop: Header=BB20_6 Depth=1
	s_or_b32 exec_lo, exec_lo, s14
	v_mov_b32_e32 v5, s18
	s_and_b32 s14, s20, exec_lo
	s_and_not1_saveexec_b32 s19, s19
	s_cbranch_execz .LBB20_25
.LBB20_38:                              ;   in Loop: Header=BB20_6 Depth=1
	v_dual_mov_b32 v5, s18 :: v_dual_mov_b32 v4, v0
	s_or_b32 s14, s14, exec_lo
	s_or_b32 exec_lo, exec_lo, s19
	s_and_saveexec_b32 s18, s14
	s_cbranch_execz .LBB20_42
.LBB20_39:                              ;   in Loop: Header=BB20_6 Depth=1
	v_mul_lo_u32 v3, s62, v2
	s_mov_b32 s19, 0
	s_sub_co_i32 s14, 0, s17
.LBB20_40:                              ;   Parent Loop BB20_6 Depth=1
                                        ; =>  This Inner Loop Header: Depth=2
	global_load_u8 v6, v3, s[38:39]
	s_wait_xcnt 0x0
	v_dual_mov_b32 v7, v2 :: v_dual_add_nc_u32 v3, v3, v5
	s_wait_loadcnt 0x1
	ds_store_b8 v4, v24
	v_dual_add_nc_u32 v2, s17, v7 :: v_dual_mov_b32 v4, v7
	s_delay_alu instid0(VALU_DEP_1)
	v_cmp_le_u32_e32 vcc_lo, s36, v2
	s_or_b32 s19, vcc_lo, s19
	s_wait_loadcnt 0x0
	v_mov_b32_e32 v24, v6
	s_and_not1_b32 exec_lo, exec_lo, s19
	s_cbranch_execnz .LBB20_40
; %bb.41:                               ;   in Loop: Header=BB20_6 Depth=1
	s_or_b32 exec_lo, exec_lo, s19
	v_dual_mov_b32 v24, v6 :: v_dual_add_nc_u32 v3, s14, v2
.LBB20_42:                              ;   in Loop: Header=BB20_6 Depth=1
	s_or_b32 exec_lo, exec_lo, s18
.LBB20_43:                              ;   in Loop: Header=BB20_6 Depth=1
	s_delay_alu instid0(SALU_CYCLE_1)
	s_or_b32 exec_lo, exec_lo, s16
	s_wait_loadcnt 0x0
	ds_store_b8 v3, v24
.LBB20_44:                              ;   in Loop: Header=BB20_6 Depth=1
	s_or_b32 exec_lo, exec_lo, s15
	s_wait_dscnt 0x0
	s_barrier_signal -1
	s_barrier_wait -1
	s_and_saveexec_b32 s14, s5
; %bb.45:                               ;   in Loop: Header=BB20_6 Depth=1
	v_mov_b32_e32 v2, s36
	ds_store_b32 v25, v2 offset:4096
; %bb.46:                               ;   in Loop: Header=BB20_6 Depth=1
	s_or_b32 exec_lo, exec_lo, s14
	s_mov_b32 s14, -1
	s_wait_dscnt 0x0
	s_barrier_signal -1
	s_barrier_wait -1
.LBB20_47:                              ;   in Loop: Header=BB20_6 Depth=1
	s_and_b32 vcc_lo, exec_lo, s14
	s_mov_b32 s54, 0
	s_cbranch_vccz .LBB20_49
; %bb.48:                               ;   in Loop: Header=BB20_6 Depth=1
	ds_load_b32 v2, v25 offset:4096
	s_wait_dscnt 0x0
	v_readfirstlane_b32 s54, v2
.LBB20_49:                              ;   in Loop: Header=BB20_6 Depth=1
	s_delay_alu instid0(VALU_DEP_1)
	s_cmp_lt_i32 s54, 1
	s_mov_b32 s14, -1
                                        ; implicit-def: $vgpr5
	s_cbranch_scc1 .LBB20_62
; %bb.50:                               ;   in Loop: Header=BB20_6 Depth=1
	s_and_b32 vcc_lo, exec_lo, s14
	s_cbranch_vccnz .LBB20_73
.LBB20_51:                              ;   in Loop: Header=BB20_6 Depth=1
	s_lshl_b32 s16, s91, 7
	s_and_saveexec_b32 s14, s2
.LBB20_52:                              ;   in Loop: Header=BB20_6 Depth=1
	v_lshl_add_u32 v6, s16, 2, v23
	ds_store_b128 v6, v[2:5]
.LBB20_53:                              ;   in Loop: Header=BB20_6 Depth=1
	s_or_b32 exec_lo, exec_lo, s14
	s_wait_dscnt 0x0
	s_barrier_signal -1
	s_barrier_wait -1
	s_and_saveexec_b32 s17, s67
	s_cbranch_execz .LBB20_86
; %bb.54:                               ;   in Loop: Header=BB20_6 Depth=1
	v_dual_add_nc_u32 v4, s16, v1 :: v_dual_mov_b32 v2, 0
	s_and_not1_b32 vcc_lo, exec_lo, s69
	s_cbranch_vccnz .LBB20_85
; %bb.55:                               ;   in Loop: Header=BB20_6 Depth=1
	s_and_not1_b32 vcc_lo, exec_lo, s72
	s_cbranch_vccnz .LBB20_82
; %bb.56:                               ;   in Loop: Header=BB20_6 Depth=1
	v_lshl_add_u32 v5, v4, 2, 0xc00
	s_and_not1_b32 vcc_lo, exec_lo, s76
	s_cbranch_vccnz .LBB20_110
; %bb.57:                               ;   in Loop: Header=BB20_6 Depth=1
	v_dual_mov_b32 v2, 0 :: v_dual_mov_b32 v3, 0
	s_mov_b32 s15, 1
	s_mov_b32 s14, 0
	;; [unrolled: 1-line block ×3, first 2 shown]
.LBB20_58:                              ;   Parent Loop BB20_6 Depth=1
                                        ; =>  This Inner Loop Header: Depth=2
	v_lshl_add_u32 v24, s15, 4, v5
	v_lshl_add_u32 v44, s14, 4, v5
	s_add_co_i32 s18, s18, -8
	s_add_co_i32 s15, s15, 16
	s_add_co_i32 s14, s14, 16
	ds_load_2addr_b32 v[6:7], v24 offset1:8
	ds_load_2addr_b32 v[8:9], v44 offset1:8
	ds_load_2addr_b32 v[10:11], v24 offset0:16 offset1:24
	ds_load_2addr_b32 v[12:13], v44 offset0:16 offset1:24
	;; [unrolled: 1-line block ×6, first 2 shown]
	s_cmp_lg_u32 s18, 0
	s_wait_dscnt 0x7
	v_add3_u32 v3, v6, v3, v7
	s_wait_dscnt 0x6
	v_add3_u32 v2, v8, v2, v9
	s_wait_dscnt 0x5
	s_delay_alu instid0(VALU_DEP_2) | instskip(SKIP_1) | instid1(VALU_DEP_2)
	v_add3_u32 v3, v10, v3, v11
	s_wait_dscnt 0x4
	v_add3_u32 v2, v12, v2, v13
	s_wait_dscnt 0x3
	s_delay_alu instid0(VALU_DEP_2) | instskip(SKIP_1) | instid1(VALU_DEP_2)
	;; [unrolled: 5-line block ×3, first 2 shown]
	v_add3_u32 v3, v42, v3, v43
	s_wait_dscnt 0x0
	v_add3_u32 v2, v44, v2, v45
	s_cbranch_scc1 .LBB20_58
; %bb.59:                               ;   in Loop: Header=BB20_6 Depth=1
	s_and_not1_b32 vcc_lo, exec_lo, s79
	s_mov_b32 s18, s74
	s_cbranch_vccnz .LBB20_61
.LBB20_60:                              ;   Parent Loop BB20_6 Depth=1
                                        ; =>  This Inner Loop Header: Depth=2
	v_lshl_add_u32 v6, s15, 4, v5
	v_lshl_add_u32 v7, s14, 4, v5
	s_add_co_i32 s18, s18, -1
	s_add_co_i32 s15, s15, 2
	s_add_co_i32 s14, s14, 2
	ds_load_b32 v6, v6
	ds_load_b32 v7, v7
	s_cmp_lg_u32 s18, 0
	s_wait_dscnt 0x0
	v_dual_add_nc_u32 v3, v6, v3 :: v_dual_add_nc_u32 v2, v7, v2
	s_cbranch_scc1 .LBB20_60
.LBB20_61:                              ;   in Loop: Header=BB20_6 Depth=1
	s_delay_alu instid0(VALU_DEP_1) | instskip(SKIP_2) | instid1(SALU_CYCLE_1)
	v_add_nc_u32_e32 v2, v2, v3
	s_mov_b32 s14, s73
	s_mov_b32 s15, s80
	s_and_b32 vcc_lo, exec_lo, s15
	s_cbranch_vccnz .LBB20_83
	s_branch .LBB20_85
.LBB20_62:                              ;   in Loop: Header=BB20_6 Depth=1
	v_dual_mov_b32 v2, 0 :: v_dual_mov_b32 v3, 0
	v_dual_mov_b32 v4, 0 :: v_dual_mov_b32 v5, 0
	s_and_saveexec_b32 s102, s11
	s_cbranch_execz .LBB20_66
; %bb.63:                               ;   in Loop: Header=BB20_6 Depth=1
	v_mov_b32_e32 v6, v19
	s_mov_b32 s44, 0
	s_mov_b32 s45, 0
	;; [unrolled: 1-line block ×4, first 2 shown]
	s_mov_b32 vcc_hi, 0
	s_mov_b32 s46, 0
.LBB20_64:                              ;   Parent Loop BB20_6 Depth=1
                                        ; =>  This Inner Loop Header: Depth=2
	v_dual_add_nc_u32 v2, s45, v37 :: v_dual_add_nc_u32 v4, s45, v34
	v_dual_add_nc_u32 v3, s45, v33 :: v_dual_add_nc_u32 v5, s45, v35
	s_add_co_i32 s45, s45, s88
	s_clause 0x3
	global_load_i8 v2, v2, s[38:39]
	global_load_i8 v3, v3, s[38:39]
	;; [unrolled: 1-line block ×4, first 2 shown]
	s_wait_loadcnt 0x3
	s_wait_xcnt 0x3
	v_add_nc_u32_e32 v2, 0x80, v2
	s_wait_loadcnt 0x2
	s_wait_xcnt 0x2
	v_add_nc_u32_e32 v3, 0x80, v3
	;; [unrolled: 3-line block ×3, first 2 shown]
	v_add_nc_u32_e32 v6, s66, v6
	s_wait_loadcnt 0x0
	v_add_nc_u32_e32 v5, 0x80, v5
	v_and_b32_e32 v7, v2, v39
	v_bfe_u32 v2, v2, s95, 2
	v_and_b32_e32 v8, v3, v39
	v_bfe_u32 v3, v3, s95, 2
	;; [unrolled: 2-line block ×3, first 2 shown]
	v_cmp_eq_u32_e64 s14, v7, v32
	v_cmp_eq_u32_e64 s18, 0, v2
	v_and_b32_e32 v10, v5, v39
	v_bfe_u32 v5, v5, s95, 2
	v_cmp_eq_u32_e64 s15, v8, v32
	v_cmp_eq_u32_e64 s19, 0, v3
	;; [unrolled: 1-line block ×4, first 2 shown]
	s_and_b32 s18, s14, s18
	v_cmp_eq_u32_e64 s17, v10, v32
	v_cmp_eq_u32_e64 s21, 0, v5
	v_cmp_eq_u32_e64 s22, 1, v2
	v_cmp_eq_u32_e64 s26, 2, v2
	v_cmp_eq_u32_e64 s30, 3, v2
	v_cndmask_b32_e64 v2, 0, 1, s18
	s_and_b32 s18, s15, s19
	v_cmp_eq_u32_e64 s23, 1, v3
	v_cmp_eq_u32_e64 s27, 2, v3
	v_cmp_eq_u32_e64 s31, 3, v3
	v_cndmask_b32_e64 v3, 0, 1, s18
	s_and_b32 s18, s16, s20
	v_cmp_eq_u32_e64 s24, 1, v4
	v_cmp_eq_u32_e64 s28, 2, v4
	v_cmp_eq_u32_e64 s33, 3, v4
	;; [unrolled: 5-line block ×3, first 2 shown]
	v_cndmask_b32_e64 v5, 0, 1, s18
	s_and_b32 s18, s14, s22
	v_cmp_le_u32_e32 vcc_lo, s86, v6
	v_cndmask_b32_e64 v7, 0, 1, s18
	s_and_b32 s18, s15, s23
	s_delay_alu instid0(SALU_CYCLE_1) | instskip(SKIP_1) | instid1(SALU_CYCLE_1)
	v_cndmask_b32_e64 v8, 0, 1, s18
	s_and_b32 s18, s16, s24
	v_cndmask_b32_e64 v9, 0, 1, s18
	s_and_b32 s18, s17, s25
	s_delay_alu instid0(VALU_DEP_2)
	v_cmp_ne_u32_e64 s19, 0, v8
	v_cndmask_b32_e64 v10, 0, 1, s18
	s_and_b32 s18, s14, s26
	s_and_b32 s14, s14, s30
	v_cndmask_b32_e64 v11, 0, 1, s18
	s_and_b32 s18, s15, s27
	v_cndmask_b32_e64 v15, 0, 1, s14
	;; [unrolled: 2-line block ×7, first 2 shown]
	v_cndmask_b32_e64 v24, 0, 1, s14
	v_cmp_ne_u32_e64 s14, 0, v2
	v_cmp_ne_u32_e64 s18, 0, v7
	;; [unrolled: 1-line block ×11, first 2 shown]
	s_bcnt1_i32_b32 s14, s14
	s_bcnt1_i32_b32 s18, s18
	;; [unrolled: 1-line block ×4, first 2 shown]
	v_cmp_ne_u32_e64 s17, 0, v5
	v_cmp_ne_u32_e64 s21, 0, v10
	;; [unrolled: 1-line block ×4, first 2 shown]
	s_bcnt1_i32_b32 s15, s15
	s_bcnt1_i32_b32 s19, s19
	;; [unrolled: 1-line block ×4, first 2 shown]
	s_add_co_i32 s14, s14, s46
	s_add_co_i32 s18, s18, vcc_hi
	s_add_co_i32 s22, s22, s104
	s_add_co_i32 s26, s26, s103
	s_bcnt1_i32_b32 s16, s16
	s_bcnt1_i32_b32 s20, s20
	;; [unrolled: 1-line block ×4, first 2 shown]
	s_add_co_i32 s14, s14, s15
	s_add_co_i32 s15, s18, s19
	;; [unrolled: 1-line block ×4, first 2 shown]
	s_bcnt1_i32_b32 s17, s17
	s_bcnt1_i32_b32 s21, s21
	;; [unrolled: 1-line block ×4, first 2 shown]
	s_add_co_i32 s14, s14, s16
	s_add_co_i32 s15, s15, s20
	;; [unrolled: 1-line block ×5, first 2 shown]
	s_add_co_i32 vcc_hi, s15, s21
	s_add_co_i32 s104, s16, s25
	s_add_co_i32 s103, s18, s29
	v_dual_mov_b32 v2, s46 :: v_dual_mov_b32 v3, vcc_hi
	v_dual_mov_b32 v4, s104 :: v_dual_mov_b32 v5, s103
	s_or_b32 s44, vcc_lo, s44
	s_delay_alu instid0(SALU_CYCLE_1)
	s_and_not1_b32 exec_lo, exec_lo, s44
	s_cbranch_execnz .LBB20_64
; %bb.65:                               ;   in Loop: Header=BB20_6 Depth=1
	s_or_b32 exec_lo, exec_lo, s44
.LBB20_66:                              ;   in Loop: Header=BB20_6 Depth=1
	s_delay_alu instid0(SALU_CYCLE_1)
	s_or_b32 exec_lo, exec_lo, s102
	s_and_saveexec_b32 s18, s12
	s_cbranch_execz .LBB20_72
; %bb.67:                               ;   in Loop: Header=BB20_6 Depth=1
	global_load_u8 v9, v[26:27], off
	v_dual_mov_b32 v6, v36 :: v_dual_mov_b32 v7, v30
	s_mov_b32 s19, 0
	s_branch .LBB20_69
.LBB20_68:                              ;   in Loop: Header=BB20_69 Depth=2
	s_wait_xcnt 0x0
	s_or_b32 exec_lo, exec_lo, s15
	s_wait_loadcnt 0x0
	v_bfe_i32 v9, v9, 0, 8
	s_and_b32 s15, exec_lo, vcc_lo
	v_add_nc_u32_e32 v6, s50, v6
	s_or_b32 s19, s15, s19
	s_delay_alu instid0(VALU_DEP_2) | instskip(NEXT) | instid1(VALU_DEP_1)
	v_add_nc_u32_e32 v9, 0x80, v9
	v_and_b32_e32 v10, v9, v39
	v_bfe_u32 v9, v9, s95, 2
	s_delay_alu instid0(VALU_DEP_2) | instskip(NEXT) | instid1(VALU_DEP_2)
	v_cmp_eq_u32_e32 vcc_lo, v10, v32
	v_cmp_eq_u32_e64 s14, 0, v9
	v_cmp_eq_u32_e64 s15, 1, v9
	;; [unrolled: 1-line block ×4, first 2 shown]
	s_and_b32 s14, vcc_lo, s14
	s_delay_alu instid0(SALU_CYCLE_1) | instskip(SKIP_1) | instid1(SALU_CYCLE_1)
	v_cndmask_b32_e64 v9, 0, 1, s14
	s_and_b32 s14, vcc_lo, s15
	v_cndmask_b32_e64 v10, 0, 1, s14
	s_and_b32 s14, vcc_lo, s16
	s_delay_alu instid0(SALU_CYCLE_1)
	v_cndmask_b32_e64 v11, 0, 1, s14
	s_and_b32 s14, vcc_lo, s17
	v_cmp_ne_u32_e32 vcc_lo, 0, v9
	v_cndmask_b32_e64 v12, 0, 1, s14
	v_cmp_ne_u32_e64 s14, 0, v10
	v_cmp_ne_u32_e64 s15, 0, v11
	v_mov_b32_e32 v9, v8
	s_bcnt1_i32_b32 s17, vcc_lo
	v_cmp_ne_u32_e64 s16, 0, v12
	s_bcnt1_i32_b32 s14, s14
	s_bcnt1_i32_b32 s15, s15
	v_dual_add_nc_u32 v2, s17, v2 :: v_dual_add_nc_u32 v3, s14, v3
	s_bcnt1_i32_b32 s16, s16
	s_delay_alu instid0(SALU_CYCLE_1)
	v_dual_add_nc_u32 v4, s15, v4 :: v_dual_add_nc_u32 v5, s16, v5
	s_and_not1_b32 exec_lo, exec_lo, s19
	s_cbranch_execz .LBB20_71
.LBB20_69:                              ;   Parent Loop BB20_6 Depth=1
                                        ; =>  This Inner Loop Header: Depth=2
	s_delay_alu instid0(VALU_DEP_1) | instskip(SKIP_1) | instid1(VALU_DEP_1)
	v_dual_mov_b32 v8, 0 :: v_dual_add_nc_u32 v7, s41, v7
	s_mov_b32 s15, exec_lo
	v_cmp_le_u32_e32 vcc_lo, s36, v7
	s_wait_xcnt 0x0
	v_cmpx_gt_u32_e64 s36, v7
	s_cbranch_execz .LBB20_68
; %bb.70:                               ;   in Loop: Header=BB20_69 Depth=2
	global_load_u8 v8, v6, s[38:39]
	s_branch .LBB20_68
.LBB20_71:                              ;   in Loop: Header=BB20_6 Depth=1
	s_or_b32 exec_lo, exec_lo, s19
.LBB20_72:                              ;   in Loop: Header=BB20_6 Depth=1
	s_delay_alu instid0(SALU_CYCLE_1)
	s_or_b32 exec_lo, exec_lo, s18
	s_branch .LBB20_51
.LBB20_73:                              ;   in Loop: Header=BB20_6 Depth=1
	s_mul_u64 s[14:15], s[54:55], s[58:59]
	v_dual_mov_b32 v2, 0 :: v_dual_mov_b32 v3, 0
	s_mul_i32 s14, s15, s66
	v_dual_mov_b32 v4, 0 :: v_dual_mov_b32 v5, 0
	s_sub_co_i32 s14, s54, s14
	s_mov_b32 s103, exec_lo
	s_sub_co_i32 s15, s14, s66
	s_cmp_ge_u32 s14, s66
	s_cselect_b32 s14, s15, s14
	s_delay_alu instid0(SALU_CYCLE_1) | instskip(SKIP_2) | instid1(SALU_CYCLE_1)
	s_sub_co_i32 s15, s14, s66
	s_cmp_ge_u32 s14, s66
	s_cselect_b32 s14, s15, s14
	s_sub_co_i32 s102, s54, s14
	s_delay_alu instid0(SALU_CYCLE_1)
	v_cmpx_gt_u32_e64 s102, v19
	s_cbranch_execz .LBB20_77
; %bb.74:                               ;   in Loop: Header=BB20_6 Depth=1
	v_mov_b32_e32 v6, v19
	s_mov_b32 s44, 0
	s_mov_b32 s45, 0
	;; [unrolled: 1-line block ×5, first 2 shown]
.LBB20_75:                              ;   Parent Loop BB20_6 Depth=1
                                        ; =>  This Inner Loop Header: Depth=2
	ds_load_b32 v2, v6
	s_wait_dscnt 0x0
	v_bfe_i32 v3, v2, 0, 8
	v_bfe_i32 v4, v2, 8, 8
	;; [unrolled: 1-line block ×3, first 2 shown]
	s_delay_alu instid0(VALU_DEP_3) | instskip(NEXT) | instid1(VALU_DEP_3)
	v_add_nc_u32_e32 v3, 0x80, v3
	v_add_nc_u32_e32 v4, 0x80, v4
	v_ashrrev_i32_e32 v2, 24, v2
	s_delay_alu instid0(VALU_DEP_4) | instskip(NEXT) | instid1(VALU_DEP_4)
	v_add_nc_u32_e32 v5, 0x80, v5
	v_dual_add_nc_u32 v6, s66, v6 :: v_dual_bitop2_b32 v7, v3, v39 bitop3:0x40
	v_bfe_u32 v3, v3, s95, 2
	v_and_b32_e32 v8, v4, v39
	v_add_nc_u32_e32 v2, 0x80, v2
	v_bfe_u32 v4, v4, s95, 2
	v_and_b32_e32 v9, v5, v39
	v_bfe_u32 v5, v5, s95, 2
	v_cmp_eq_u32_e64 s14, v7, v32
	v_cmp_eq_u32_e64 s18, 0, v3
	v_and_b32_e32 v10, v2, v39
	v_bfe_u32 v2, v2, s95, 2
	v_cmp_eq_u32_e64 s15, v8, v32
	v_cmp_eq_u32_e64 s19, 0, v4
	;; [unrolled: 1-line block ×4, first 2 shown]
	s_and_b32 s18, s14, s18
	v_cmp_eq_u32_e64 s17, v10, v32
	v_cmp_eq_u32_e64 s21, 0, v2
	;; [unrolled: 1-line block ×5, first 2 shown]
	v_cndmask_b32_e64 v2, 0, 1, s18
	s_and_b32 s18, s15, s19
	v_cmp_eq_u32_e64 s22, 1, v3
	v_cmp_eq_u32_e64 s26, 2, v3
	v_cmp_eq_u32_e64 s30, 3, v3
	v_cndmask_b32_e64 v3, 0, 1, s18
	s_and_b32 s18, s16, s20
	v_cmp_eq_u32_e64 s23, 1, v4
	v_cmp_eq_u32_e64 s27, 2, v4
	v_cmp_eq_u32_e64 s31, 3, v4
	;; [unrolled: 5-line block ×3, first 2 shown]
	v_cndmask_b32_e64 v5, 0, 1, s18
	s_and_b32 s18, s14, s22
	v_cmp_le_u32_e32 vcc_lo, s102, v6
	v_cndmask_b32_e64 v7, 0, 1, s18
	s_and_b32 s18, s15, s23
	s_delay_alu instid0(SALU_CYCLE_1) | instskip(SKIP_1) | instid1(SALU_CYCLE_1)
	v_cndmask_b32_e64 v8, 0, 1, s18
	s_and_b32 s18, s16, s24
	v_cndmask_b32_e64 v9, 0, 1, s18
	s_and_b32 s18, s17, s25
	s_delay_alu instid0(VALU_DEP_2)
	v_cmp_ne_u32_e64 s19, 0, v8
	v_cndmask_b32_e64 v10, 0, 1, s18
	s_and_b32 s18, s14, s26
	s_and_b32 s14, s14, s30
	v_cndmask_b32_e64 v11, 0, 1, s18
	s_and_b32 s18, s15, s27
	v_cndmask_b32_e64 v15, 0, 1, s14
	;; [unrolled: 2-line block ×7, first 2 shown]
	v_cndmask_b32_e64 v24, 0, 1, s14
	v_cmp_ne_u32_e64 s14, 0, v2
	v_cmp_ne_u32_e64 s18, 0, v7
	;; [unrolled: 1-line block ×11, first 2 shown]
	s_bcnt1_i32_b32 s14, s14
	s_bcnt1_i32_b32 s18, s18
	;; [unrolled: 1-line block ×4, first 2 shown]
	v_cmp_ne_u32_e64 s17, 0, v5
	v_cmp_ne_u32_e64 s21, 0, v10
	;; [unrolled: 1-line block ×4, first 2 shown]
	s_bcnt1_i32_b32 s15, s15
	s_bcnt1_i32_b32 s19, s19
	s_bcnt1_i32_b32 s23, s23
	s_bcnt1_i32_b32 s27, s27
	s_add_co_i32 s14, s14, s104
	s_add_co_i32 s18, s18, s47
	s_add_co_i32 s22, s22, s46
	s_add_co_i32 s26, s26, s45
	s_bcnt1_i32_b32 s16, s16
	s_bcnt1_i32_b32 s20, s20
	s_bcnt1_i32_b32 s24, s24
	s_bcnt1_i32_b32 s28, s28
	s_add_co_i32 s14, s14, s15
	s_add_co_i32 s15, s18, s19
	s_add_co_i32 s18, s22, s23
	s_add_co_i32 s19, s26, s27
	;; [unrolled: 8-line block ×3, first 2 shown]
	s_add_co_i32 s104, s14, s17
	s_add_co_i32 s47, s15, s21
	;; [unrolled: 1-line block ×4, first 2 shown]
	v_dual_mov_b32 v2, s104 :: v_dual_mov_b32 v3, s47
	v_dual_mov_b32 v4, s46 :: v_dual_mov_b32 v5, s45
	s_or_b32 s44, vcc_lo, s44
	s_delay_alu instid0(SALU_CYCLE_1)
	s_and_not1_b32 exec_lo, exec_lo, s44
	s_cbranch_execnz .LBB20_75
; %bb.76:                               ;   in Loop: Header=BB20_6 Depth=1
	s_or_b32 exec_lo, exec_lo, s44
.LBB20_77:                              ;   in Loop: Header=BB20_6 Depth=1
	s_delay_alu instid0(SALU_CYCLE_1) | instskip(SKIP_2) | instid1(VALU_DEP_1)
	s_or_b32 exec_lo, exec_lo, s103
	v_add_nc_u32_e32 v6, s102, v0
	s_mov_b32 s19, exec_lo
	v_cmpx_gt_u32_e64 s54, v6
	s_cbranch_execz .LBB20_81
; %bb.78:                               ;   in Loop: Header=BB20_6 Depth=1
	s_mov_b32 s20, 0
.LBB20_79:                              ;   Parent Loop BB20_6 Depth=1
                                        ; =>  This Inner Loop Header: Depth=2
	ds_load_i8 v7, v6
	s_wait_dscnt 0x0
	v_add_nc_u32_e32 v7, 0x80, v7
	s_delay_alu instid0(VALU_DEP_1) | instskip(SKIP_1) | instid1(VALU_DEP_2)
	v_dual_add_nc_u32 v6, s41, v6 :: v_dual_bitop2_b32 v8, v7, v39 bitop3:0x40
	v_bfe_u32 v7, v7, s95, 2
	v_cmp_le_u32_e32 vcc_lo, s54, v6
	s_delay_alu instid0(VALU_DEP_3) | instskip(NEXT) | instid1(VALU_DEP_3)
	v_cmp_eq_u32_e64 s14, v8, v32
	v_cmp_eq_u32_e64 s15, 0, v7
	;; [unrolled: 1-line block ×5, first 2 shown]
	s_and_b32 s15, s14, s15
	s_delay_alu instid0(SALU_CYCLE_1) | instskip(SKIP_1) | instid1(SALU_CYCLE_1)
	v_cndmask_b32_e64 v7, 0, 1, s15
	s_and_b32 s15, s14, s16
	v_cndmask_b32_e64 v8, 0, 1, s15
	s_and_b32 s15, s14, s17
	s_and_b32 s14, s14, s18
	v_cndmask_b32_e64 v9, 0, 1, s15
	v_cndmask_b32_e64 v10, 0, 1, s14
	v_cmp_ne_u32_e64 s14, 0, v7
	v_cmp_ne_u32_e64 s15, 0, v8
	s_delay_alu instid0(VALU_DEP_4) | instskip(NEXT) | instid1(VALU_DEP_4)
	v_cmp_ne_u32_e64 s16, 0, v9
	v_cmp_ne_u32_e64 s17, 0, v10
	s_bcnt1_i32_b32 s14, s14
	s_bcnt1_i32_b32 s15, s15
	s_delay_alu instid0(SALU_CYCLE_1) | instskip(SKIP_2) | instid1(SALU_CYCLE_1)
	v_dual_add_nc_u32 v2, s14, v2 :: v_dual_add_nc_u32 v3, s15, v3
	s_bcnt1_i32_b32 s16, s16
	s_bcnt1_i32_b32 s17, s17
	v_dual_add_nc_u32 v4, s16, v4 :: v_dual_add_nc_u32 v5, s17, v5
	s_or_b32 s20, vcc_lo, s20
	s_delay_alu instid0(SALU_CYCLE_1)
	s_and_not1_b32 exec_lo, exec_lo, s20
	s_cbranch_execnz .LBB20_79
; %bb.80:                               ;   in Loop: Header=BB20_6 Depth=1
	s_or_b32 exec_lo, exec_lo, s20
.LBB20_81:                              ;   in Loop: Header=BB20_6 Depth=1
	s_delay_alu instid0(SALU_CYCLE_1)
	s_or_b32 exec_lo, exec_lo, s19
	s_lshl_b32 s16, s91, 7
	s_and_saveexec_b32 s14, s2
	s_cbranch_execnz .LBB20_52
	s_branch .LBB20_53
.LBB20_82:                              ;   in Loop: Header=BB20_6 Depth=1
	v_mov_b32_e32 v2, 0
	s_mov_b32 s14, 0
	s_cbranch_execz .LBB20_85
.LBB20_83:                              ;   in Loop: Header=BB20_6 Depth=1
	s_lshl_b32 s15, s91, 9
	s_lshl_b32 s18, s14, 4
	s_sub_co_i32 s14, s71, s14
	v_add3_u32 v3, s15, s18, v38
.LBB20_84:                              ;   Parent Loop BB20_6 Depth=1
                                        ; =>  This Inner Loop Header: Depth=2
	ds_load_b32 v5, v3
	v_add_nc_u32_e32 v3, 16, v3
	s_add_co_i32 s14, s14, -1
	s_delay_alu instid0(SALU_CYCLE_1)
	s_cmp_eq_u32 s14, 0
	s_wait_dscnt 0x0
	v_add_nc_u32_e32 v2, v5, v2
	s_cbranch_scc0 .LBB20_84
.LBB20_85:                              ;   in Loop: Header=BB20_6 Depth=1
	s_delay_alu instid0(VALU_DEP_1)
	v_lshlrev_b32_e32 v3, 2, v4
	ds_store_b32 v3, v2 offset:3072
.LBB20_86:                              ;   in Loop: Header=BB20_6 Depth=1
	s_or_b32 exec_lo, exec_lo, s17
	s_lshl_b32 s14, s16, 2
	s_wait_dscnt 0x0
	v_mov_b32_e32 v2, s14
	s_barrier_signal -1
	s_barrier_wait -1
	v_cmp_eq_u32_e64 s14, 1, v41
	ds_load_b128 v[2:5], v2 offset:3072
	s_lshl_b32 s18, 3, s95
	s_mov_b32 s26, -1
	s_not_b32 s19, s18
	s_mov_b32 s16, 0
	s_and_not1_b32 vcc_lo, exec_lo, s65
	s_mov_b32 s23, 0
	s_mov_b32 s15, 0
                                        ; implicit-def: $sgpr24
                                        ; implicit-def: $sgpr25
                                        ; implicit-def: $vgpr6
	s_wait_dscnt 0x0
	v_readfirstlane_b32 s17, v2
	v_readfirstlane_b32 s20, v3
	;; [unrolled: 1-line block ×4, first 2 shown]
                                        ; implicit-def: $vgpr5
                                        ; implicit-def: $vgpr2
                                        ; implicit-def: $vgpr3
                                        ; implicit-def: $vgpr4
	s_cbranch_vccnz .LBB20_245
; %bb.87:                               ;   in Loop: Header=BB20_6 Depth=1
	s_cmp_eq_u32 s17, 1
	v_dual_mov_b32 v3, v32 :: v_dual_mov_b32 v4, v39
	v_mov_b32_e32 v6, v40
	s_cselect_b32 s15, -1, 0
	s_mov_b32 s29, -1
	s_and_b32 s28, s15, s14
                                        ; implicit-def: $sgpr25
                                        ; implicit-def: $sgpr24
	s_delay_alu instid0(SALU_CYCLE_1)
	s_and_saveexec_b32 s15, s28
	s_cbranch_execz .LBB20_114
; %bb.88:                               ;   in Loop: Header=BB20_6 Depth=1
	ds_load_b32 v2, v25 offset:4096
	s_wait_dscnt 0x0
	s_barrier_signal -1
	s_barrier_wait -1
	v_readfirstlane_b32 s26, v2
	s_and_saveexec_b32 s23, s6
; %bb.89:                               ;   in Loop: Header=BB20_6 Depth=1
	ds_store_b8 v0, v25 offset:3072
; %bb.90:                               ;   in Loop: Header=BB20_6 Depth=1
	s_or_b32 exec_lo, exec_lo, s23
	v_and_b32_e32 v3, s19, v32
	v_or_b32_e32 v4, s18, v39
	s_mov_b32 s24, -1
	s_mov_b32 s25, 0
	s_cmp_eq_u32 s26, 0
	s_mov_b32 s23, 0
	s_mov_b32 s27, -1
	s_wait_dscnt 0x0
	s_barrier_signal -1
	s_barrier_wait -1
                                        ; implicit-def: $vgpr6
	s_cbranch_scc1 .LBB20_101
; %bb.91:                               ;   in Loop: Header=BB20_6 Depth=1
	s_add_co_i32 s54, s26, s70
	s_mov_b32 s29, exec_lo
	s_mul_u64 s[30:31], s[54:55], s[60:61]
                                        ; implicit-def: $vgpr6
	s_delay_alu instid0(SALU_CYCLE_1) | instskip(NEXT) | instid1(SALU_CYCLE_1)
	s_mul_i32 s23, s31, s41
	s_sub_co_i32 s23, s54, s23
	s_delay_alu instid0(SALU_CYCLE_1) | instskip(SKIP_2) | instid1(SALU_CYCLE_1)
	s_sub_co_i32 s27, s23, s41
	s_cmp_ge_u32 s23, s41
	s_cselect_b32 s23, s27, s23
	s_sub_co_i32 s27, s23, s41
	s_cmp_ge_u32 s23, s41
	s_cselect_b32 s23, s27, s23
	s_mov_b32 s27, 0
	s_sub_co_i32 s30, s54, s23
	s_mov_b32 s23, 0
	v_cmpx_gt_u32_e64 s30, v0
	s_cbranch_execz .LBB20_100
; %bb.92:                               ;   in Loop: Header=BB20_6 Depth=1
	v_mov_b32_e32 v2, v0
                                        ; implicit-def: $sgpr31
	s_branch .LBB20_95
.LBB20_93:                              ;   in Loop: Header=BB20_95 Depth=2
	s_or_b32 exec_lo, exec_lo, s33
	s_wait_dscnt 0x0
	s_barrier_signal -1
	s_barrier_wait -1
	ds_load_u16 v5, v25 offset:3072
	s_mov_b32 s34, -1
	s_mov_b32 s33, -1
	s_wait_dscnt 0x0
	s_barrier_signal -1
	s_barrier_wait -1
	v_and_b32_e32 v6, 0xff, v5
	s_delay_alu instid0(VALU_DEP_1)
	v_cmp_ne_u32_e32 vcc_lo, 0, v6
	s_cbranch_vccz .LBB20_98
.LBB20_94:                              ;   in Loop: Header=BB20_95 Depth=2
	s_and_b32 s34, exec_lo, s34
	s_delay_alu instid0(SALU_CYCLE_1) | instskip(SKIP_2) | instid1(SALU_CYCLE_1)
	s_or_b32 s23, s34, s23
	s_and_not1_b32 s31, s31, exec_lo
	s_and_b32 s33, s33, exec_lo
	s_or_b32 s31, s31, s33
	s_and_not1_b32 exec_lo, exec_lo, s23
	s_cbranch_execz .LBB20_99
.LBB20_95:                              ;   Parent Loop BB20_6 Depth=1
                                        ; =>  This Inner Loop Header: Depth=2
	s_mov_b32 s33, exec_lo
	s_delay_alu instid0(VALU_DEP_1)
	v_cmpx_gt_u32_e64 s26, v2
	s_cbranch_execz .LBB20_93
; %bb.96:                               ;   in Loop: Header=BB20_95 Depth=2
	ds_load_u8 v5, v2
	s_wait_dscnt 0x0
	v_bfe_i32 v6, v5, 0, 8
	s_delay_alu instid0(VALU_DEP_1) | instskip(NEXT) | instid1(VALU_DEP_1)
	v_add_nc_u32_e32 v6, 0x80, v6
	v_and_b32_e32 v6, v6, v4
	s_delay_alu instid0(VALU_DEP_1)
	v_cmp_eq_u32_e32 vcc_lo, v6, v3
	s_and_b32 exec_lo, exec_lo, vcc_lo
	s_cbranch_execz .LBB20_93
; %bb.97:                               ;   in Loop: Header=BB20_95 Depth=2
	v_lshlrev_b16 v5, 8, v5
	s_delay_alu instid0(VALU_DEP_1)
	v_or_b32_e32 v5, 1, v5
	ds_store_b16 v25, v5 offset:3072
	s_branch .LBB20_93
.LBB20_98:                              ;   in Loop: Header=BB20_95 Depth=2
	v_add_nc_u32_e32 v2, s41, v2
	s_mov_b32 s33, 0
	s_delay_alu instid0(VALU_DEP_1)
	v_cmp_le_u32_e32 vcc_lo, s30, v2
	s_or_not1_b32 s34, vcc_lo, exec_lo
	s_branch .LBB20_94
.LBB20_99:                              ;   in Loop: Header=BB20_6 Depth=1
	s_or_b32 exec_lo, exec_lo, s23
	v_and_b32_e32 v2, 0xffff, v5
	s_and_b32 s23, s31, exec_lo
	s_delay_alu instid0(VALU_DEP_1)
	v_lshrrev_b32_e32 v6, 8, v2
.LBB20_100:                             ;   in Loop: Header=BB20_6 Depth=1
	s_or_b32 exec_lo, exec_lo, s29
.LBB20_101:                             ;   in Loop: Header=BB20_6 Depth=1
	s_delay_alu instid0(SALU_CYCLE_1)
	s_and_b32 vcc_lo, exec_lo, s27
	s_cbranch_vccz .LBB20_113
; %bb.102:                              ;   in Loop: Header=BB20_6 Depth=1
                                        ; implicit-def: $vgpr6
	s_and_saveexec_b32 s24, s13
	s_cbranch_execz .LBB20_112
; %bb.103:                              ;   in Loop: Header=BB20_6 Depth=1
	v_dual_mov_b32 v2, v22 :: v_dual_mov_b32 v5, v0
	s_mov_b32 s26, 0
                                        ; implicit-def: $sgpr25
	s_branch .LBB20_106
.LBB20_104:                             ;   in Loop: Header=BB20_106 Depth=2
	s_or_b32 exec_lo, exec_lo, s27
	s_wait_dscnt 0x0
	s_barrier_signal -1
	s_barrier_wait -1
	ds_load_u16 v6, v25 offset:3072
	s_mov_b32 s27, -1
	s_mov_b32 s29, -1
	s_wait_dscnt 0x0
	s_barrier_signal -1
	s_barrier_wait -1
	v_and_b32_e32 v7, 0xff, v6
	s_delay_alu instid0(VALU_DEP_1)
	v_cmp_ne_u32_e32 vcc_lo, 0, v7
	s_cbranch_vccz .LBB20_109
.LBB20_105:                             ;   in Loop: Header=BB20_106 Depth=2
	s_and_b32 s27, exec_lo, s27
	s_delay_alu instid0(SALU_CYCLE_1) | instskip(SKIP_2) | instid1(SALU_CYCLE_1)
	s_or_b32 s26, s27, s26
	s_and_not1_b32 s25, s25, exec_lo
	s_and_b32 s27, s29, exec_lo
	s_or_b32 s25, s25, s27
	s_and_not1_b32 exec_lo, exec_lo, s26
	s_cbranch_execz .LBB20_111
.LBB20_106:                             ;   Parent Loop BB20_6 Depth=1
                                        ; =>  This Inner Loop Header: Depth=2
	s_mov_b32 s27, exec_lo
	s_delay_alu instid0(VALU_DEP_1)
	v_cmpx_gt_u32_e64 s36, v5
	s_cbranch_execz .LBB20_104
; %bb.107:                              ;   in Loop: Header=BB20_106 Depth=2
	global_load_u8 v6, v2, s[38:39]
	s_wait_loadcnt 0x0
	v_bfe_i32 v7, v6, 0, 8
	s_delay_alu instid0(VALU_DEP_1) | instskip(NEXT) | instid1(VALU_DEP_1)
	v_add_nc_u32_e32 v7, 0x80, v7
	v_and_b32_e32 v7, v7, v4
	s_delay_alu instid0(VALU_DEP_1)
	v_cmp_eq_u32_e32 vcc_lo, v7, v3
	s_and_b32 exec_lo, exec_lo, vcc_lo
	s_cbranch_execz .LBB20_104
; %bb.108:                              ;   in Loop: Header=BB20_106 Depth=2
	v_lshlrev_b16 v6, 8, v6
	s_delay_alu instid0(VALU_DEP_1)
	v_or_b32_e32 v6, 1, v6
	ds_store_b16 v25, v6 offset:3072
	s_branch .LBB20_104
.LBB20_109:                             ;   in Loop: Header=BB20_106 Depth=2
	v_dual_add_nc_u32 v5, s41, v5 :: v_dual_add_nc_u32 v2, s50, v2
	s_mov_b32 s29, 0
	s_delay_alu instid0(VALU_DEP_1)
	v_cmp_le_u32_e32 vcc_lo, s87, v5
	s_or_not1_b32 s27, vcc_lo, exec_lo
	s_branch .LBB20_105
.LBB20_110:                             ;   in Loop: Header=BB20_6 Depth=1
	s_mov_b64 s[14:15], 0x100000000
	v_mov_b64_e32 v[2:3], 0
	s_and_not1_b32 vcc_lo, exec_lo, s79
	s_mov_b32 s18, s74
	s_cbranch_vccz .LBB20_60
	s_branch .LBB20_61
.LBB20_111:                             ;   in Loop: Header=BB20_6 Depth=1
	s_or_b32 exec_lo, exec_lo, s26
	v_and_b32_e32 v2, 0xffff, v6
	s_and_not1_b32 s23, s23, exec_lo
	s_and_b32 s25, s25, exec_lo
	s_delay_alu instid0(SALU_CYCLE_1) | instskip(NEXT) | instid1(VALU_DEP_1)
	s_or_b32 s23, s23, s25
	v_lshrrev_b32_e32 v6, 8, v2
.LBB20_112:                             ;   in Loop: Header=BB20_6 Depth=1
	s_or_b32 exec_lo, exec_lo, s24
	s_mov_b32 s24, 0
	s_mov_b32 s25, -1
.LBB20_113:                             ;   in Loop: Header=BB20_6 Depth=1
	s_or_not1_b32 s29, s23, exec_lo
.LBB20_114:                             ;   in Loop: Header=BB20_6 Depth=1
	s_or_b32 exec_lo, exec_lo, s15
	s_mov_b32 s26, 0
	s_mov_b32 s23, 0
	;; [unrolled: 1-line block ×3, first 2 shown]
                                        ; implicit-def: $vgpr5
                                        ; implicit-def: $vgpr2
	s_and_saveexec_b32 s27, s29
	s_cbranch_execz .LBB20_244
; %bb.115:                              ;   in Loop: Header=BB20_6 Depth=1
	v_dual_mov_b32 v5, 1 :: v_dual_mov_b32 v2, 1
	s_xor_b32 s23, s28, -1
	s_mov_b32 s30, 0
	s_and_saveexec_b32 s15, s23
	s_cbranch_execz .LBB20_124
; %bb.116:                              ;   in Loop: Header=BB20_6 Depth=1
	s_mov_b32 s23, exec_lo
	v_cmpx_ge_u32_e64 s17, v41
	s_xor_b32 s23, exec_lo, s23
	s_cbranch_execz .LBB20_121
; %bb.117:                              ;   in Loop: Header=BB20_6 Depth=1
	ds_load_b32 v2, v25 offset:4096
	v_and_b32_e32 v3, s19, v3
	v_or_b32_e32 v4, s18, v4
	s_wait_dscnt 0x0
	v_cmp_ne_u32_e32 vcc_lo, 0, v2
	s_cbranch_vccnz .LBB20_121
; %bb.118:                              ;   in Loop: Header=BB20_6 Depth=1
	s_and_saveexec_b32 s28, s5
; %bb.119:                              ;   in Loop: Header=BB20_6 Depth=1
	v_mov_b32_e32 v2, s17
	ds_store_b32 v25, v2 offset:4100
; %bb.120:                              ;   in Loop: Header=BB20_6 Depth=1
	s_or_b32 exec_lo, exec_lo, s28
	s_wait_dscnt 0x0
	s_barrier_signal -1
	s_barrier_wait -1
.LBB20_121:                             ;   in Loop: Header=BB20_6 Depth=1
	s_or_saveexec_b32 s23, s23
	v_dual_mov_b32 v2, 8 :: v_dual_mov_b32 v5, v41
	s_mov_b32 s28, 0
	s_xor_b32 exec_lo, exec_lo, s23
; %bb.122:                              ;   in Loop: Header=BB20_6 Depth=1
	v_subrev_nc_u32_e32 v5, s17, v41
	v_mov_b32_e32 v2, 0
	s_mov_b32 s28, exec_lo
; %bb.123:                              ;   in Loop: Header=BB20_6 Depth=1
	s_or_b32 exec_lo, exec_lo, s23
	s_delay_alu instid0(SALU_CYCLE_1)
	s_and_b32 s30, s28, exec_lo
.LBB20_124:                             ;   in Loop: Header=BB20_6 Depth=1
	s_or_b32 exec_lo, exec_lo, s15
	s_mov_b32 s29, -1
                                        ; implicit-def: $sgpr23
                                        ; implicit-def: $sgpr28
	s_and_saveexec_b32 s15, s30
	s_delay_alu instid0(SALU_CYCLE_1)
	s_xor_b32 s15, exec_lo, s15
	s_cbranch_execz .LBB20_241
; %bb.125:                              ;   in Loop: Header=BB20_6 Depth=1
	v_cmp_eq_u32_e32 vcc_lo, 1, v5
	s_cmp_eq_u32 s20, 1
	s_mov_b32 s31, -1
	s_cselect_b32 s23, -1, 0
                                        ; implicit-def: $sgpr28
	s_delay_alu instid0(SALU_CYCLE_1) | instskip(NEXT) | instid1(SALU_CYCLE_1)
	s_and_b32 s30, s23, vcc_lo
                                        ; implicit-def: $sgpr23
	s_and_saveexec_b32 s29, s30
	s_cbranch_execz .LBB20_151
; %bb.126:                              ;   in Loop: Header=BB20_6 Depth=1
	ds_load_b32 v6, v25 offset:4096
	s_wait_dscnt 0x0
	s_barrier_signal -1
	s_barrier_wait -1
	v_readfirstlane_b32 s33, v6
	s_and_saveexec_b32 s23, s6
; %bb.127:                              ;   in Loop: Header=BB20_6 Depth=1
	ds_store_b8 v0, v25 offset:3072
; %bb.128:                              ;   in Loop: Header=BB20_6 Depth=1
	s_or_b32 exec_lo, exec_lo, s23
	s_lshl_b32 s23, 1, s95
	v_or_b32_e32 v4, s18, v4
	v_and_or_b32 v3, v3, s19, s23
	s_mov_b32 s23, -1
	s_mov_b32 s28, 0
	s_cmp_eq_u32 s33, 0
	s_mov_b32 s31, 0
	s_mov_b32 s34, -1
	s_wait_dscnt 0x0
	s_barrier_signal -1
	s_barrier_wait -1
                                        ; implicit-def: $vgpr6
	s_cbranch_scc1 .LBB20_139
; %bb.129:                              ;   in Loop: Header=BB20_6 Depth=1
	s_add_co_i32 s54, s33, s70
	s_mov_b32 s44, exec_lo
	s_mul_u64 s[42:43], s[54:55], s[60:61]
                                        ; implicit-def: $vgpr6
	s_delay_alu instid0(SALU_CYCLE_1) | instskip(NEXT) | instid1(SALU_CYCLE_1)
	s_mul_i32 s31, s43, s41
	s_sub_co_i32 s31, s54, s31
	s_delay_alu instid0(SALU_CYCLE_1) | instskip(SKIP_2) | instid1(SALU_CYCLE_1)
	s_sub_co_i32 s34, s31, s41
	s_cmp_ge_u32 s31, s41
	s_cselect_b32 s31, s34, s31
	s_sub_co_i32 s34, s31, s41
	s_cmp_ge_u32 s31, s41
	s_cselect_b32 s31, s34, s31
	s_mov_b32 s34, 0
	s_sub_co_i32 s45, s54, s31
	s_mov_b32 s31, 0
	v_cmpx_gt_u32_e64 s45, v0
	s_cbranch_execz .LBB20_138
; %bb.130:                              ;   in Loop: Header=BB20_6 Depth=1
	v_mov_b32_e32 v6, v0
                                        ; implicit-def: $sgpr46
	s_branch .LBB20_133
.LBB20_131:                             ;   in Loop: Header=BB20_133 Depth=2
	s_or_b32 exec_lo, exec_lo, s47
	s_wait_dscnt 0x0
	s_barrier_signal -1
	s_barrier_wait -1
	ds_load_u16 v7, v25 offset:3072
	s_mov_b32 s43, -1
	s_mov_b32 s42, -1
	s_wait_dscnt 0x0
	s_barrier_signal -1
	s_barrier_wait -1
	v_and_b32_e32 v8, 0xff, v7
	s_delay_alu instid0(VALU_DEP_1)
	v_cmp_ne_u32_e32 vcc_lo, 0, v8
	s_cbranch_vccz .LBB20_136
.LBB20_132:                             ;   in Loop: Header=BB20_133 Depth=2
	s_and_b32 s43, exec_lo, s43
	s_delay_alu instid0(SALU_CYCLE_1) | instskip(SKIP_2) | instid1(SALU_CYCLE_1)
	s_or_b32 s31, s43, s31
	s_and_not1_b32 s43, s46, exec_lo
	s_and_b32 s42, s42, exec_lo
	s_or_b32 s46, s43, s42
	s_and_not1_b32 exec_lo, exec_lo, s31
	s_cbranch_execz .LBB20_137
.LBB20_133:                             ;   Parent Loop BB20_6 Depth=1
                                        ; =>  This Inner Loop Header: Depth=2
	s_mov_b32 s47, exec_lo
	s_delay_alu instid0(VALU_DEP_1)
	v_cmpx_gt_u32_e64 s33, v6
	s_cbranch_execz .LBB20_131
; %bb.134:                              ;   in Loop: Header=BB20_133 Depth=2
	ds_load_u8 v7, v6
	s_wait_dscnt 0x0
	v_bfe_i32 v8, v7, 0, 8
	s_delay_alu instid0(VALU_DEP_1) | instskip(NEXT) | instid1(VALU_DEP_1)
	v_add_nc_u32_e32 v8, 0x80, v8
	v_and_b32_e32 v8, v8, v4
	s_delay_alu instid0(VALU_DEP_1)
	v_cmp_eq_u32_e32 vcc_lo, v8, v3
	s_and_b32 exec_lo, exec_lo, vcc_lo
	s_cbranch_execz .LBB20_131
; %bb.135:                              ;   in Loop: Header=BB20_133 Depth=2
	v_lshlrev_b16 v7, 8, v7
	s_delay_alu instid0(VALU_DEP_1)
	v_or_b32_e32 v7, 1, v7
	ds_store_b16 v25, v7 offset:3072
	s_branch .LBB20_131
.LBB20_136:                             ;   in Loop: Header=BB20_133 Depth=2
	v_add_nc_u32_e32 v6, s41, v6
	s_mov_b32 s42, 0
	s_delay_alu instid0(VALU_DEP_1)
	v_cmp_le_u32_e32 vcc_lo, s45, v6
	s_or_not1_b32 s43, vcc_lo, exec_lo
	s_branch .LBB20_132
.LBB20_137:                             ;   in Loop: Header=BB20_6 Depth=1
	s_or_b32 exec_lo, exec_lo, s31
	v_and_b32_e32 v6, 0xffff, v7
	s_and_b32 s31, s46, exec_lo
	s_delay_alu instid0(VALU_DEP_1)
	v_lshrrev_b32_e32 v6, 8, v6
.LBB20_138:                             ;   in Loop: Header=BB20_6 Depth=1
	s_or_b32 exec_lo, exec_lo, s44
.LBB20_139:                             ;   in Loop: Header=BB20_6 Depth=1
	s_delay_alu instid0(SALU_CYCLE_1)
	s_and_b32 vcc_lo, exec_lo, s34
	s_cbranch_vccz .LBB20_150
; %bb.140:                              ;   in Loop: Header=BB20_6 Depth=1
                                        ; implicit-def: $vgpr6
	s_and_saveexec_b32 s23, s13
	s_cbranch_execz .LBB20_149
; %bb.141:                              ;   in Loop: Header=BB20_6 Depth=1
	v_dual_mov_b32 v6, v22 :: v_dual_mov_b32 v7, v0
	s_mov_b32 s28, 0
                                        ; implicit-def: $sgpr33
	s_branch .LBB20_144
.LBB20_142:                             ;   in Loop: Header=BB20_144 Depth=2
	s_or_b32 exec_lo, exec_lo, s34
	s_wait_dscnt 0x0
	s_barrier_signal -1
	s_barrier_wait -1
	ds_load_u16 v8, v25 offset:3072
	s_mov_b32 s34, -1
	s_mov_b32 s42, -1
	s_wait_dscnt 0x0
	s_barrier_signal -1
	s_barrier_wait -1
	v_and_b32_e32 v9, 0xff, v8
	s_delay_alu instid0(VALU_DEP_1)
	v_cmp_eq_u32_e32 vcc_lo, 0, v9
	s_cbranch_vccnz .LBB20_147
.LBB20_143:                             ;   in Loop: Header=BB20_144 Depth=2
	s_and_b32 s34, exec_lo, s34
	s_delay_alu instid0(SALU_CYCLE_1) | instskip(SKIP_2) | instid1(SALU_CYCLE_1)
	s_or_b32 s28, s34, s28
	s_and_not1_b32 s33, s33, exec_lo
	s_and_b32 s34, s42, exec_lo
	s_or_b32 s33, s33, s34
	s_and_not1_b32 exec_lo, exec_lo, s28
	s_cbranch_execz .LBB20_148
.LBB20_144:                             ;   Parent Loop BB20_6 Depth=1
                                        ; =>  This Inner Loop Header: Depth=2
	s_mov_b32 s34, exec_lo
	s_delay_alu instid0(VALU_DEP_1)
	v_cmpx_gt_u32_e64 s36, v7
	s_cbranch_execz .LBB20_142
; %bb.145:                              ;   in Loop: Header=BB20_144 Depth=2
	global_load_u8 v8, v6, s[38:39]
	s_wait_loadcnt 0x0
	v_bfe_i32 v9, v8, 0, 8
	s_delay_alu instid0(VALU_DEP_1) | instskip(NEXT) | instid1(VALU_DEP_1)
	v_add_nc_u32_e32 v9, 0x80, v9
	v_and_b32_e32 v9, v9, v4
	s_delay_alu instid0(VALU_DEP_1)
	v_cmp_eq_u32_e32 vcc_lo, v9, v3
	s_and_b32 exec_lo, exec_lo, vcc_lo
	s_cbranch_execz .LBB20_142
; %bb.146:                              ;   in Loop: Header=BB20_144 Depth=2
	v_lshlrev_b16 v8, 8, v8
	s_delay_alu instid0(VALU_DEP_1)
	v_or_b32_e32 v8, 1, v8
	ds_store_b16 v25, v8 offset:3072
	s_branch .LBB20_142
.LBB20_147:                             ;   in Loop: Header=BB20_144 Depth=2
	v_dual_add_nc_u32 v7, s41, v7 :: v_dual_add_nc_u32 v6, s50, v6
	s_mov_b32 s42, 0
	s_delay_alu instid0(VALU_DEP_1)
	v_cmp_le_u32_e32 vcc_lo, s87, v7
	s_or_not1_b32 s34, vcc_lo, exec_lo
	s_branch .LBB20_143
.LBB20_148:                             ;   in Loop: Header=BB20_6 Depth=1
	s_or_b32 exec_lo, exec_lo, s28
	v_and_b32_e32 v6, 0xffff, v8
	s_and_not1_b32 s28, s31, exec_lo
	s_and_b32 s31, s33, exec_lo
	s_delay_alu instid0(SALU_CYCLE_1) | instskip(NEXT) | instid1(VALU_DEP_1)
	s_or_b32 s31, s28, s31
	v_lshrrev_b32_e32 v6, 8, v6
.LBB20_149:                             ;   in Loop: Header=BB20_6 Depth=1
	s_or_b32 exec_lo, exec_lo, s23
	s_mov_b32 s23, 0
	s_mov_b32 s28, -1
.LBB20_150:                             ;   in Loop: Header=BB20_6 Depth=1
	s_or_not1_b32 s31, s31, exec_lo
.LBB20_151:                             ;   in Loop: Header=BB20_6 Depth=1
	s_or_b32 exec_lo, exec_lo, s29
	s_mov_b32 s33, 0
	s_and_saveexec_b32 s29, s31
	s_cbranch_execz .LBB20_240
; %bb.152:                              ;   in Loop: Header=BB20_6 Depth=1
	v_dual_mov_b32 v7, 1 :: v_dual_mov_b32 v2, 1
	s_xor_b32 s31, s30, -1
	s_mov_b32 s44, 0
	s_and_saveexec_b32 s30, s31
	s_cbranch_execz .LBB20_161
; %bb.153:                              ;   in Loop: Header=BB20_6 Depth=1
	s_mov_b32 s31, exec_lo
	v_cmpx_ge_u32_e64 s20, v5
	s_xor_b32 s31, exec_lo, s31
	s_cbranch_execz .LBB20_158
; %bb.154:                              ;   in Loop: Header=BB20_6 Depth=1
	ds_load_b32 v2, v25 offset:4096
	s_lshl_b32 s33, 1, s95
	v_or_b32_e32 v4, s18, v4
	v_and_or_b32 v3, v3, s19, s33
	s_wait_dscnt 0x0
	v_cmp_ne_u32_e32 vcc_lo, 0, v2
	s_cbranch_vccnz .LBB20_158
; %bb.155:                              ;   in Loop: Header=BB20_6 Depth=1
	s_and_saveexec_b32 s33, s5
; %bb.156:                              ;   in Loop: Header=BB20_6 Depth=1
	v_mov_b32_e32 v2, s20
	ds_store_b32 v25, v2 offset:4100
; %bb.157:                              ;   in Loop: Header=BB20_6 Depth=1
	s_or_b32 exec_lo, exec_lo, s33
	s_wait_dscnt 0x0
	s_barrier_signal -1
	s_barrier_wait -1
.LBB20_158:                             ;   in Loop: Header=BB20_6 Depth=1
	s_or_saveexec_b32 s31, s31
	v_mov_b32_e32 v2, 8
	s_mov_b32 s33, 0
	s_xor_b32 exec_lo, exec_lo, s31
; %bb.159:                              ;   in Loop: Header=BB20_6 Depth=1
	v_subrev_nc_u32_e32 v5, s20, v5
	v_mov_b32_e32 v2, 0
	s_mov_b32 s33, exec_lo
; %bb.160:                              ;   in Loop: Header=BB20_6 Depth=1
	s_or_b32 exec_lo, exec_lo, s31
	s_delay_alu instid0(VALU_DEP_2)
	v_mov_b32_e32 v7, v5
	s_and_b32 s44, s33, exec_lo
.LBB20_161:                             ;   in Loop: Header=BB20_6 Depth=1
	s_or_b32 exec_lo, exec_lo, s30
	s_mov_b32 s34, -1
                                        ; implicit-def: $sgpr31
                                        ; implicit-def: $sgpr33
	s_and_saveexec_b32 s30, s44
	s_cbranch_execz .LBB20_239
; %bb.162:                              ;   in Loop: Header=BB20_6 Depth=1
	v_cmp_eq_u32_e32 vcc_lo, 1, v7
	s_cmp_eq_u32 s21, 1
	s_mov_b32 s44, -1
	s_cselect_b32 s31, -1, 0
                                        ; implicit-def: $sgpr33
	s_delay_alu instid0(SALU_CYCLE_1) | instskip(NEXT) | instid1(SALU_CYCLE_1)
	s_and_b32 s102, s31, vcc_lo
                                        ; implicit-def: $sgpr31
	s_and_saveexec_b32 s34, s102
	s_cbranch_execz .LBB20_188
; %bb.163:                              ;   in Loop: Header=BB20_6 Depth=1
	ds_load_b32 v5, v25 offset:4096
	s_wait_dscnt 0x0
	s_barrier_signal -1
	s_barrier_wait -1
	v_readfirstlane_b32 s45, v5
	s_and_saveexec_b32 s31, s6
; %bb.164:                              ;   in Loop: Header=BB20_6 Depth=1
	ds_store_b8 v0, v25 offset:3072
; %bb.165:                              ;   in Loop: Header=BB20_6 Depth=1
	s_or_b32 exec_lo, exec_lo, s31
	s_lshl_b32 s31, 2, s95
	v_or_b32_e32 v4, s18, v4
	v_and_or_b32 v3, v3, s19, s31
	s_mov_b32 s31, -1
	s_mov_b32 s33, 0
	s_cmp_eq_u32 s45, 0
	s_mov_b32 s44, 0
	s_mov_b32 s46, -1
	s_wait_dscnt 0x0
	s_barrier_signal -1
	s_barrier_wait -1
                                        ; implicit-def: $vgpr6
	s_cbranch_scc1 .LBB20_176
; %bb.166:                              ;   in Loop: Header=BB20_6 Depth=1
	s_add_co_i32 s54, s45, s70
	s_mov_b32 s46, 0
	s_mul_u64 s[42:43], s[54:55], s[60:61]
	s_mov_b32 s47, exec_lo
	s_mul_i32 s42, s43, s41
                                        ; implicit-def: $vgpr6
	s_delay_alu instid0(SALU_CYCLE_1) | instskip(NEXT) | instid1(SALU_CYCLE_1)
	s_sub_co_i32 s42, s54, s42
	s_sub_co_i32 s43, s42, s41
	s_cmp_ge_u32 s42, s41
	s_cselect_b32 s42, s43, s42
	s_delay_alu instid0(SALU_CYCLE_1) | instskip(SKIP_2) | instid1(SALU_CYCLE_1)
	s_sub_co_i32 s43, s42, s41
	s_cmp_ge_u32 s42, s41
	s_cselect_b32 s42, s43, s42
	s_sub_co_i32 s54, s54, s42
	s_delay_alu instid0(SALU_CYCLE_1)
	v_cmpx_gt_u32_e64 s54, v0
	s_cbranch_execz .LBB20_175
; %bb.167:                              ;   in Loop: Header=BB20_6 Depth=1
	v_mov_b32_e32 v5, v0
                                        ; implicit-def: $sgpr48
	s_branch .LBB20_170
.LBB20_168:                             ;   in Loop: Header=BB20_170 Depth=2
	s_or_b32 exec_lo, exec_lo, s49
	s_wait_dscnt 0x0
	s_barrier_signal -1
	s_barrier_wait -1
	ds_load_u16 v6, v25 offset:3072
	s_mov_b32 s43, -1
	s_mov_b32 s42, -1
	s_wait_dscnt 0x0
	s_barrier_signal -1
	s_barrier_wait -1
	v_and_b32_e32 v8, 0xff, v6
	s_delay_alu instid0(VALU_DEP_1)
	v_cmp_ne_u32_e32 vcc_lo, 0, v8
	s_cbranch_vccz .LBB20_173
.LBB20_169:                             ;   in Loop: Header=BB20_170 Depth=2
	s_and_b32 s43, exec_lo, s43
	s_delay_alu instid0(SALU_CYCLE_1) | instskip(SKIP_2) | instid1(SALU_CYCLE_1)
	s_or_b32 s44, s43, s44
	s_and_not1_b32 s43, s48, exec_lo
	s_and_b32 s42, s42, exec_lo
	s_or_b32 s48, s43, s42
	s_and_not1_b32 exec_lo, exec_lo, s44
	s_cbranch_execz .LBB20_174
.LBB20_170:                             ;   Parent Loop BB20_6 Depth=1
                                        ; =>  This Inner Loop Header: Depth=2
	s_mov_b32 s49, exec_lo
	s_delay_alu instid0(VALU_DEP_1)
	v_cmpx_gt_u32_e64 s45, v5
	s_cbranch_execz .LBB20_168
; %bb.171:                              ;   in Loop: Header=BB20_170 Depth=2
	ds_load_u8 v6, v5
	s_wait_dscnt 0x0
	v_bfe_i32 v8, v6, 0, 8
	s_delay_alu instid0(VALU_DEP_1) | instskip(NEXT) | instid1(VALU_DEP_1)
	v_add_nc_u32_e32 v8, 0x80, v8
	v_and_b32_e32 v8, v8, v4
	s_delay_alu instid0(VALU_DEP_1)
	v_cmp_eq_u32_e32 vcc_lo, v8, v3
	s_and_b32 exec_lo, exec_lo, vcc_lo
	s_cbranch_execz .LBB20_168
; %bb.172:                              ;   in Loop: Header=BB20_170 Depth=2
	v_lshlrev_b16 v6, 8, v6
	s_delay_alu instid0(VALU_DEP_1)
	v_or_b32_e32 v6, 1, v6
	ds_store_b16 v25, v6 offset:3072
	s_branch .LBB20_168
.LBB20_173:                             ;   in Loop: Header=BB20_170 Depth=2
	v_add_nc_u32_e32 v5, s41, v5
	s_mov_b32 s42, 0
	s_delay_alu instid0(VALU_DEP_1)
	v_cmp_le_u32_e32 vcc_lo, s54, v5
	s_or_not1_b32 s43, vcc_lo, exec_lo
	s_branch .LBB20_169
.LBB20_174:                             ;   in Loop: Header=BB20_6 Depth=1
	s_or_b32 exec_lo, exec_lo, s44
	v_and_b32_e32 v5, 0xffff, v6
	s_and_b32 s44, s48, exec_lo
	s_delay_alu instid0(VALU_DEP_1)
	v_lshrrev_b32_e32 v6, 8, v5
.LBB20_175:                             ;   in Loop: Header=BB20_6 Depth=1
	s_or_b32 exec_lo, exec_lo, s47
.LBB20_176:                             ;   in Loop: Header=BB20_6 Depth=1
	s_delay_alu instid0(SALU_CYCLE_1)
	s_and_b32 vcc_lo, exec_lo, s46
	s_cbranch_vccz .LBB20_187
; %bb.177:                              ;   in Loop: Header=BB20_6 Depth=1
                                        ; implicit-def: $vgpr6
	s_and_saveexec_b32 s31, s13
	s_cbranch_execz .LBB20_186
; %bb.178:                              ;   in Loop: Header=BB20_6 Depth=1
	v_dual_mov_b32 v5, v22 :: v_dual_mov_b32 v6, v0
	s_mov_b32 s33, 0
                                        ; implicit-def: $sgpr45
	s_branch .LBB20_181
.LBB20_179:                             ;   in Loop: Header=BB20_181 Depth=2
	s_or_b32 exec_lo, exec_lo, s46
	s_wait_dscnt 0x0
	s_barrier_signal -1
	s_barrier_wait -1
	ds_load_u16 v8, v25 offset:3072
	s_mov_b32 s42, -1
	s_mov_b32 s43, -1
	s_wait_dscnt 0x0
	s_barrier_signal -1
	s_barrier_wait -1
	v_and_b32_e32 v9, 0xff, v8
	s_delay_alu instid0(VALU_DEP_1)
	v_cmp_eq_u32_e32 vcc_lo, 0, v9
	s_cbranch_vccnz .LBB20_184
.LBB20_180:                             ;   in Loop: Header=BB20_181 Depth=2
	s_and_b32 s42, exec_lo, s42
	s_delay_alu instid0(SALU_CYCLE_1) | instskip(SKIP_2) | instid1(SALU_CYCLE_1)
	s_or_b32 s33, s42, s33
	s_and_not1_b32 s42, s45, exec_lo
	s_and_b32 s43, s43, exec_lo
	s_or_b32 s45, s42, s43
	s_and_not1_b32 exec_lo, exec_lo, s33
	s_cbranch_execz .LBB20_185
.LBB20_181:                             ;   Parent Loop BB20_6 Depth=1
                                        ; =>  This Inner Loop Header: Depth=2
	s_mov_b32 s46, exec_lo
	s_delay_alu instid0(VALU_DEP_1)
	v_cmpx_gt_u32_e64 s36, v6
	s_cbranch_execz .LBB20_179
; %bb.182:                              ;   in Loop: Header=BB20_181 Depth=2
	global_load_u8 v8, v5, s[38:39]
	s_wait_loadcnt 0x0
	v_bfe_i32 v9, v8, 0, 8
	s_delay_alu instid0(VALU_DEP_1) | instskip(NEXT) | instid1(VALU_DEP_1)
	v_add_nc_u32_e32 v9, 0x80, v9
	v_and_b32_e32 v9, v9, v4
	s_delay_alu instid0(VALU_DEP_1)
	v_cmp_eq_u32_e32 vcc_lo, v9, v3
	s_and_b32 exec_lo, exec_lo, vcc_lo
	s_cbranch_execz .LBB20_179
; %bb.183:                              ;   in Loop: Header=BB20_181 Depth=2
	v_lshlrev_b16 v8, 8, v8
	s_delay_alu instid0(VALU_DEP_1)
	v_or_b32_e32 v8, 1, v8
	ds_store_b16 v25, v8 offset:3072
	s_branch .LBB20_179
.LBB20_184:                             ;   in Loop: Header=BB20_181 Depth=2
	v_dual_add_nc_u32 v6, s41, v6 :: v_dual_add_nc_u32 v5, s50, v5
	s_mov_b32 s43, 0
	s_delay_alu instid0(VALU_DEP_1)
	v_cmp_le_u32_e32 vcc_lo, s87, v6
	s_or_not1_b32 s42, vcc_lo, exec_lo
	s_branch .LBB20_180
.LBB20_185:                             ;   in Loop: Header=BB20_6 Depth=1
	s_or_b32 exec_lo, exec_lo, s33
	v_and_b32_e32 v5, 0xffff, v8
	s_and_not1_b32 s33, s44, exec_lo
	s_and_b32 s42, s45, exec_lo
	s_delay_alu instid0(SALU_CYCLE_1) | instskip(NEXT) | instid1(VALU_DEP_1)
	s_or_b32 s44, s33, s42
	v_lshrrev_b32_e32 v6, 8, v5
.LBB20_186:                             ;   in Loop: Header=BB20_6 Depth=1
	s_or_b32 exec_lo, exec_lo, s31
	s_mov_b32 s31, 0
	s_mov_b32 s33, -1
.LBB20_187:                             ;   in Loop: Header=BB20_6 Depth=1
	s_or_not1_b32 s44, s44, exec_lo
.LBB20_188:                             ;   in Loop: Header=BB20_6 Depth=1
	s_or_b32 exec_lo, exec_lo, s34
	s_mov_b32 s45, 0
	s_and_saveexec_b32 s34, s44
	s_cbranch_execz .LBB20_238
; %bb.189:                              ;   in Loop: Header=BB20_6 Depth=1
	v_dual_mov_b32 v5, 1 :: v_dual_mov_b32 v2, 1
	s_xor_b32 s42, s102, -1
	s_delay_alu instid0(SALU_CYCLE_1)
	s_and_saveexec_b32 s44, s42
	s_cbranch_execz .LBB20_198
; %bb.190:                              ;   in Loop: Header=BB20_6 Depth=1
	s_mov_b32 s42, exec_lo
	v_cmpx_ge_u32_e64 s21, v7
	s_xor_b32 s45, exec_lo, s42
	s_cbranch_execz .LBB20_195
; %bb.191:                              ;   in Loop: Header=BB20_6 Depth=1
	ds_load_b32 v2, v25 offset:4096
	s_lshl_b32 s42, 2, s95
	v_or_b32_e32 v4, s18, v4
	v_and_or_b32 v3, v3, s19, s42
	s_wait_dscnt 0x0
	v_cmp_ne_u32_e32 vcc_lo, 0, v2
	s_cbranch_vccnz .LBB20_195
; %bb.192:                              ;   in Loop: Header=BB20_6 Depth=1
	s_and_saveexec_b32 s42, s5
; %bb.193:                              ;   in Loop: Header=BB20_6 Depth=1
	v_mov_b32_e32 v2, s21
	ds_store_b32 v25, v2 offset:4100
; %bb.194:                              ;   in Loop: Header=BB20_6 Depth=1
	s_or_b32 exec_lo, exec_lo, s42
	s_wait_dscnt 0x0
	s_barrier_signal -1
	s_barrier_wait -1
.LBB20_195:                             ;   in Loop: Header=BB20_6 Depth=1
	s_or_saveexec_b32 s45, s45
	v_mov_b32_e32 v2, 8
	s_mov_b32 s46, 0
	s_xor_b32 exec_lo, exec_lo, s45
; %bb.196:                              ;   in Loop: Header=BB20_6 Depth=1
	v_subrev_nc_u32_e32 v7, s21, v7
	v_mov_b32_e32 v2, 0
	s_mov_b32 s46, exec_lo
; %bb.197:                              ;   in Loop: Header=BB20_6 Depth=1
	s_or_b32 exec_lo, exec_lo, s45
	s_delay_alu instid0(VALU_DEP_2)
	v_mov_b32_e32 v5, v7
	s_and_b32 s45, s46, exec_lo
.LBB20_198:                             ;   in Loop: Header=BB20_6 Depth=1
	s_or_b32 exec_lo, exec_lo, s44
	s_mov_b32 s44, -1
                                        ; implicit-def: $vcc_hi
                                        ; implicit-def: $sgpr104
	s_and_saveexec_b32 s102, s45
	s_cbranch_execz .LBB20_237
; %bb.199:                              ;   in Loop: Header=BB20_6 Depth=1
	v_cmp_eq_u32_e32 vcc_lo, 1, v5
	s_cmp_eq_u32 s22, 1
	s_mov_b32 s45, -1
	s_cselect_b32 s42, -1, 0
                                        ; implicit-def: $vcc_hi
                                        ; implicit-def: $sgpr104
	s_delay_alu instid0(SALU_CYCLE_1) | instskip(NEXT) | instid1(SALU_CYCLE_1)
	s_and_b32 s103, s42, vcc_lo
	s_and_saveexec_b32 s44, s103
	s_cbranch_execz .LBB20_225
; %bb.200:                              ;   in Loop: Header=BB20_6 Depth=1
	ds_load_b32 v6, v25 offset:4096
	s_wait_dscnt 0x0
	s_barrier_signal -1
	s_barrier_wait -1
	v_readfirstlane_b32 s46, v6
	s_and_saveexec_b32 s42, s6
; %bb.201:                              ;   in Loop: Header=BB20_6 Depth=1
	ds_store_b8 v0, v25 offset:3072
; %bb.202:                              ;   in Loop: Header=BB20_6 Depth=1
	s_or_b32 exec_lo, exec_lo, s42
	v_or_b32_e32 v3, s18, v3
	v_or_b32_e32 v4, s18, v4
	s_mov_b32 s104, -1
	s_mov_b32 vcc_hi, 0
	s_cmp_eq_u32 s46, 0
	s_mov_b32 s45, 0
	s_mov_b32 s47, -1
	s_wait_dscnt 0x0
	s_barrier_signal -1
	s_barrier_wait -1
                                        ; implicit-def: $vgpr6
	s_cbranch_scc1 .LBB20_213
; %bb.203:                              ;   in Loop: Header=BB20_6 Depth=1
	s_add_co_i32 s54, s46, s70
	s_mov_b32 s47, 0
	s_mul_u64 s[42:43], s[54:55], s[60:61]
                                        ; implicit-def: $vgpr6
	s_delay_alu instid0(SALU_CYCLE_1) | instskip(NEXT) | instid1(SALU_CYCLE_1)
	s_mul_i32 s42, s43, s41
	s_sub_co_i32 s42, s54, s42
	s_delay_alu instid0(SALU_CYCLE_1) | instskip(SKIP_2) | instid1(SALU_CYCLE_1)
	s_sub_co_i32 s43, s42, s41
	s_cmp_ge_u32 s42, s41
	s_cselect_b32 s42, s43, s42
	s_sub_co_i32 s43, s42, s41
	s_cmp_ge_u32 s42, s41
	s_cselect_b32 s42, s43, s42
	s_delay_alu instid0(SALU_CYCLE_1)
	s_sub_co_i32 s48, s54, s42
	s_mov_b32 s54, exec_lo
	v_cmpx_gt_u32_e64 s48, v0
	s_cbranch_execz .LBB20_212
; %bb.204:                              ;   in Loop: Header=BB20_6 Depth=1
	v_mov_b32_e32 v6, v0
                                        ; implicit-def: $sgpr49
	s_branch .LBB20_207
.LBB20_205:                             ;   in Loop: Header=BB20_207 Depth=2
	s_or_b32 exec_lo, exec_lo, s42
	s_wait_dscnt 0x0
	s_barrier_signal -1
	s_barrier_wait -1
	ds_load_u16 v7, v25 offset:3072
	s_mov_b32 s43, -1
	s_mov_b32 s42, -1
	s_wait_dscnt 0x0
	s_barrier_signal -1
	s_barrier_wait -1
	v_and_b32_e32 v8, 0xff, v7
	s_delay_alu instid0(VALU_DEP_1)
	v_cmp_ne_u32_e32 vcc_lo, 0, v8
	s_cbranch_vccz .LBB20_210
.LBB20_206:                             ;   in Loop: Header=BB20_207 Depth=2
	s_and_b32 s43, exec_lo, s43
	s_delay_alu instid0(SALU_CYCLE_1) | instskip(SKIP_2) | instid1(SALU_CYCLE_1)
	s_or_b32 s45, s43, s45
	s_and_not1_b32 s43, s49, exec_lo
	s_and_b32 s42, s42, exec_lo
	s_or_b32 s49, s43, s42
	s_and_not1_b32 exec_lo, exec_lo, s45
	s_cbranch_execz .LBB20_211
.LBB20_207:                             ;   Parent Loop BB20_6 Depth=1
                                        ; =>  This Inner Loop Header: Depth=2
	s_mov_b32 s42, exec_lo
	s_delay_alu instid0(VALU_DEP_1)
	v_cmpx_gt_u32_e64 s46, v6
	s_cbranch_execz .LBB20_205
; %bb.208:                              ;   in Loop: Header=BB20_207 Depth=2
	ds_load_u8 v7, v6
	s_wait_dscnt 0x0
	v_bfe_i32 v8, v7, 0, 8
	s_delay_alu instid0(VALU_DEP_1) | instskip(NEXT) | instid1(VALU_DEP_1)
	v_add_nc_u32_e32 v8, 0x80, v8
	v_and_b32_e32 v8, v8, v4
	s_delay_alu instid0(VALU_DEP_1)
	v_cmp_eq_u32_e32 vcc_lo, v8, v3
	s_and_b32 exec_lo, exec_lo, vcc_lo
	s_cbranch_execz .LBB20_205
; %bb.209:                              ;   in Loop: Header=BB20_207 Depth=2
	v_lshlrev_b16 v7, 8, v7
	s_delay_alu instid0(VALU_DEP_1)
	v_or_b32_e32 v7, 1, v7
	ds_store_b16 v25, v7 offset:3072
	s_branch .LBB20_205
.LBB20_210:                             ;   in Loop: Header=BB20_207 Depth=2
	v_add_nc_u32_e32 v6, s41, v6
	s_mov_b32 s42, 0
	s_delay_alu instid0(VALU_DEP_1)
	v_cmp_le_u32_e32 vcc_lo, s48, v6
	s_or_not1_b32 s43, vcc_lo, exec_lo
	s_branch .LBB20_206
.LBB20_211:                             ;   in Loop: Header=BB20_6 Depth=1
	s_or_b32 exec_lo, exec_lo, s45
	v_and_b32_e32 v6, 0xffff, v7
	s_and_b32 s45, s49, exec_lo
	s_delay_alu instid0(VALU_DEP_1)
	v_lshrrev_b32_e32 v6, 8, v6
.LBB20_212:                             ;   in Loop: Header=BB20_6 Depth=1
	s_or_b32 exec_lo, exec_lo, s54
.LBB20_213:                             ;   in Loop: Header=BB20_6 Depth=1
	s_delay_alu instid0(SALU_CYCLE_1)
	s_and_b32 vcc_lo, exec_lo, s47
	s_cbranch_vccz .LBB20_224
; %bb.214:                              ;   in Loop: Header=BB20_6 Depth=1
                                        ; implicit-def: $vgpr6
	s_and_saveexec_b32 s46, s13
	s_cbranch_execz .LBB20_223
; %bb.215:                              ;   in Loop: Header=BB20_6 Depth=1
	v_dual_mov_b32 v6, v22 :: v_dual_mov_b32 v7, v0
	s_mov_b32 s47, 0
                                        ; implicit-def: $sgpr48
	s_branch .LBB20_218
.LBB20_216:                             ;   in Loop: Header=BB20_218 Depth=2
	s_or_b32 exec_lo, exec_lo, s42
	s_wait_dscnt 0x0
	s_barrier_signal -1
	s_barrier_wait -1
	ds_load_u16 v8, v25 offset:3072
	s_mov_b32 s42, -1
	s_mov_b32 s43, -1
	s_wait_dscnt 0x0
	s_barrier_signal -1
	s_barrier_wait -1
	v_and_b32_e32 v9, 0xff, v8
	s_delay_alu instid0(VALU_DEP_1)
	v_cmp_eq_u32_e32 vcc_lo, 0, v9
	s_cbranch_vccnz .LBB20_221
.LBB20_217:                             ;   in Loop: Header=BB20_218 Depth=2
	s_and_b32 s42, exec_lo, s42
	s_delay_alu instid0(SALU_CYCLE_1) | instskip(SKIP_2) | instid1(SALU_CYCLE_1)
	s_or_b32 s47, s42, s47
	s_and_not1_b32 s42, s48, exec_lo
	s_and_b32 s43, s43, exec_lo
	s_or_b32 s48, s42, s43
	s_and_not1_b32 exec_lo, exec_lo, s47
	s_cbranch_execz .LBB20_222
.LBB20_218:                             ;   Parent Loop BB20_6 Depth=1
                                        ; =>  This Inner Loop Header: Depth=2
	s_mov_b32 s42, exec_lo
	s_delay_alu instid0(VALU_DEP_1)
	v_cmpx_gt_u32_e64 s36, v7
	s_cbranch_execz .LBB20_216
; %bb.219:                              ;   in Loop: Header=BB20_218 Depth=2
	global_load_u8 v8, v6, s[38:39]
	s_wait_loadcnt 0x0
	v_bfe_i32 v9, v8, 0, 8
	s_delay_alu instid0(VALU_DEP_1) | instskip(NEXT) | instid1(VALU_DEP_1)
	v_add_nc_u32_e32 v9, 0x80, v9
	v_and_b32_e32 v9, v9, v4
	s_delay_alu instid0(VALU_DEP_1)
	v_cmp_eq_u32_e32 vcc_lo, v9, v3
	s_and_b32 exec_lo, exec_lo, vcc_lo
	s_cbranch_execz .LBB20_216
; %bb.220:                              ;   in Loop: Header=BB20_218 Depth=2
	v_lshlrev_b16 v8, 8, v8
	s_delay_alu instid0(VALU_DEP_1)
	v_or_b32_e32 v8, 1, v8
	ds_store_b16 v25, v8 offset:3072
	s_branch .LBB20_216
.LBB20_221:                             ;   in Loop: Header=BB20_218 Depth=2
	v_dual_add_nc_u32 v7, s41, v7 :: v_dual_add_nc_u32 v6, s50, v6
	s_mov_b32 s43, 0
	s_delay_alu instid0(VALU_DEP_1)
	v_cmp_le_u32_e32 vcc_lo, s87, v7
	s_or_not1_b32 s42, vcc_lo, exec_lo
	s_branch .LBB20_217
.LBB20_222:                             ;   in Loop: Header=BB20_6 Depth=1
	s_or_b32 exec_lo, exec_lo, s47
	v_and_b32_e32 v6, 0xffff, v8
	s_and_not1_b32 s42, s45, exec_lo
	s_and_b32 s43, s48, exec_lo
	s_delay_alu instid0(SALU_CYCLE_1) | instskip(NEXT) | instid1(VALU_DEP_1)
	s_or_b32 s45, s42, s43
	v_lshrrev_b32_e32 v6, 8, v6
.LBB20_223:                             ;   in Loop: Header=BB20_6 Depth=1
	s_or_b32 exec_lo, exec_lo, s46
	s_mov_b32 s104, 0
	s_mov_b32 vcc_hi, -1
.LBB20_224:                             ;   in Loop: Header=BB20_6 Depth=1
	s_or_not1_b32 s45, s45, exec_lo
.LBB20_225:                             ;   in Loop: Header=BB20_6 Depth=1
	s_or_b32 exec_lo, exec_lo, s44
	s_mov_b32 s46, 0
	s_and_saveexec_b32 s44, s45
	s_cbranch_execz .LBB20_236
; %bb.226:                              ;   in Loop: Header=BB20_6 Depth=1
	v_dual_mov_b32 v2, 1 :: v_dual_mov_b32 v7, 1
	s_xor_b32 s42, s103, -1
	s_delay_alu instid0(SALU_CYCLE_1)
	s_and_saveexec_b32 s45, s42
	s_cbranch_execz .LBB20_235
; %bb.227:                              ;   in Loop: Header=BB20_6 Depth=1
	s_mov_b32 s42, exec_lo
	v_cmpx_ge_u32_e64 s22, v5
	s_xor_b32 s46, exec_lo, s42
	s_cbranch_execz .LBB20_232
; %bb.228:                              ;   in Loop: Header=BB20_6 Depth=1
	ds_load_b32 v2, v25 offset:4096
	v_or_b32_e32 v3, s18, v3
	v_or_b32_e32 v4, s18, v4
	s_wait_dscnt 0x0
	v_cmp_ne_u32_e32 vcc_lo, 0, v2
	s_cbranch_vccnz .LBB20_232
; %bb.229:                              ;   in Loop: Header=BB20_6 Depth=1
	s_and_saveexec_b32 s42, s5
; %bb.230:                              ;   in Loop: Header=BB20_6 Depth=1
	v_mov_b32_e32 v2, s22
	ds_store_b32 v25, v2 offset:4100
; %bb.231:                              ;   in Loop: Header=BB20_6 Depth=1
	s_or_b32 exec_lo, exec_lo, s42
	s_wait_dscnt 0x0
	s_barrier_signal -1
	s_barrier_wait -1
.LBB20_232:                             ;   in Loop: Header=BB20_6 Depth=1
	s_and_not1_saveexec_b32 s42, s46
; %bb.233:                              ;   in Loop: Header=BB20_6 Depth=1
	v_subrev_nc_u32_e32 v5, s22, v5
; %bb.234:                              ;   in Loop: Header=BB20_6 Depth=1
	s_or_b32 exec_lo, exec_lo, s42
	s_delay_alu instid0(VALU_DEP_1)
	v_dual_mov_b32 v2, 8 :: v_dual_mov_b32 v7, v5
.LBB20_235:                             ;   in Loop: Header=BB20_6 Depth=1
	s_or_b32 exec_lo, exec_lo, s45
	s_delay_alu instid0(VALU_DEP_1)
	v_mov_b32_e32 v5, v7
	s_mov_b32 s46, exec_lo
.LBB20_236:                             ;   in Loop: Header=BB20_6 Depth=1
	s_or_b32 exec_lo, exec_lo, s44
	s_delay_alu instid0(SALU_CYCLE_1)
	s_or_not1_b32 s44, s46, exec_lo
.LBB20_237:                             ;   in Loop: Header=BB20_6 Depth=1
	s_or_b32 exec_lo, exec_lo, s102
	v_mov_b32_e32 v7, v5
	s_and_not1_b32 s33, s33, exec_lo
	s_and_b32 s42, vcc_hi, exec_lo
	s_and_not1_b32 s31, s31, exec_lo
	s_and_b32 s43, s104, exec_lo
	s_or_b32 s33, s33, s42
	s_or_b32 s31, s31, s43
	s_and_b32 s45, s44, exec_lo
.LBB20_238:                             ;   in Loop: Header=BB20_6 Depth=1
	s_or_b32 exec_lo, exec_lo, s34
	s_delay_alu instid0(SALU_CYCLE_1)
	s_or_not1_b32 s34, s45, exec_lo
.LBB20_239:                             ;   in Loop: Header=BB20_6 Depth=1
	s_or_b32 exec_lo, exec_lo, s30
	v_mov_b32_e32 v5, v7
	s_and_not1_b32 s28, s28, exec_lo
	s_and_b32 s30, s33, exec_lo
	s_and_not1_b32 s23, s23, exec_lo
	s_and_b32 s31, s31, exec_lo
	s_or_b32 s28, s28, s30
	s_or_b32 s23, s23, s31
	s_and_b32 s33, s34, exec_lo
.LBB20_240:                             ;   in Loop: Header=BB20_6 Depth=1
	s_or_b32 exec_lo, exec_lo, s29
	s_delay_alu instid0(SALU_CYCLE_1)
	s_or_not1_b32 s29, s33, exec_lo
.LBB20_241:                             ;   in Loop: Header=BB20_6 Depth=1
	s_or_b32 exec_lo, exec_lo, s15
	s_mov_b32 s30, 0
	s_mov_b32 s31, 0
	s_and_saveexec_b32 s15, s29
	s_delay_alu instid0(SALU_CYCLE_1)
	s_xor_b32 s29, exec_lo, s15
; %bb.242:                              ;   in Loop: Header=BB20_6 Depth=1
	v_cmp_ne_u32_e32 vcc_lo, 8, v2
	v_cmp_eq_u32_e64 s15, 8, v2
	s_and_b32 s31, vcc_lo, exec_lo
	s_and_b32 s30, s15, exec_lo
; %bb.243:                              ;   in Loop: Header=BB20_6 Depth=1
	s_or_b32 exec_lo, exec_lo, s29
	s_delay_alu instid0(SALU_CYCLE_1)
	s_and_not1_b32 s15, s25, exec_lo
	s_and_b32 s25, s28, exec_lo
	s_and_not1_b32 s24, s24, exec_lo
	s_and_b32 s23, s23, exec_lo
	s_or_b32 s25, s15, s25
	s_or_b32 s24, s24, s23
	s_and_b32 s15, s31, exec_lo
	s_and_b32 s23, s30, exec_lo
.LBB20_244:                             ;   in Loop: Header=BB20_6 Depth=1
	s_or_b32 exec_lo, exec_lo, s27
.LBB20_245:                             ;   in Loop: Header=BB20_6 Depth=1
	s_delay_alu instid0(SALU_CYCLE_1)
	s_and_b32 vcc_lo, exec_lo, s26
	s_cbranch_vccz .LBB20_258
; %bb.246:                              ;   in Loop: Header=BB20_6 Depth=1
	s_cmp_eq_u32 s22, 1
	s_mov_b32 s25, -1
	s_cselect_b32 s16, -1, 0
                                        ; implicit-def: $sgpr26
	s_delay_alu instid0(SALU_CYCLE_1) | instskip(NEXT) | instid1(SALU_CYCLE_1)
	s_and_b32 s14, s16, s14
                                        ; implicit-def: $sgpr16
	s_and_saveexec_b32 s24, s14
	s_cbranch_execz .LBB20_273
; %bb.247:                              ;   in Loop: Header=BB20_6 Depth=1
	ds_load_b32 v2, v25 offset:4096
	s_wait_dscnt 0x0
	s_barrier_signal -1
	s_barrier_wait -1
	v_readfirstlane_b32 s27, v2
	s_and_saveexec_b32 s16, s6
; %bb.248:                              ;   in Loop: Header=BB20_6 Depth=1
	ds_store_b8 v0, v25 offset:3072
; %bb.249:                              ;   in Loop: Header=BB20_6 Depth=1
	s_or_b32 exec_lo, exec_lo, s16
	v_or_b32_e32 v32, s18, v32
	v_or_b32_e32 v39, s18, v39
	s_mov_b32 s16, -1
	s_mov_b32 s26, 0
	s_cmp_eq_u32 s27, 0
	s_mov_b32 s25, 0
	s_mov_b32 s28, -1
	s_wait_dscnt 0x0
	s_barrier_signal -1
	s_barrier_wait -1
                                        ; implicit-def: $vgpr40
	s_cbranch_scc1 .LBB20_261
; %bb.250:                              ;   in Loop: Header=BB20_6 Depth=1
	s_add_co_i32 s54, s27, s70
                                        ; implicit-def: $vgpr40
	s_delay_alu instid0(SALU_CYCLE_1) | instskip(NEXT) | instid1(SALU_CYCLE_1)
	s_mul_u64 s[28:29], s[54:55], s[60:61]
	s_mul_i32 s25, s29, s41
	s_mov_b32 s29, exec_lo
	s_sub_co_i32 s25, s54, s25
	s_delay_alu instid0(SALU_CYCLE_1) | instskip(SKIP_2) | instid1(SALU_CYCLE_1)
	s_sub_co_i32 s28, s25, s41
	s_cmp_ge_u32 s25, s41
	s_cselect_b32 s25, s28, s25
	s_sub_co_i32 s28, s25, s41
	s_cmp_ge_u32 s25, s41
	s_cselect_b32 s25, s28, s25
	s_mov_b32 s28, 0
	s_sub_co_i32 s30, s54, s25
	s_mov_b32 s25, 0
	v_cmpx_gt_u32_e64 s30, v0
	s_cbranch_execz .LBB20_260
; %bb.251:                              ;   in Loop: Header=BB20_6 Depth=1
	v_mov_b32_e32 v2, v0
                                        ; implicit-def: $sgpr31
	s_branch .LBB20_254
.LBB20_252:                             ;   in Loop: Header=BB20_254 Depth=2
	s_or_b32 exec_lo, exec_lo, s33
	s_wait_dscnt 0x0
	s_barrier_signal -1
	s_barrier_wait -1
	ds_load_u16 v3, v25 offset:3072
	s_mov_b32 s34, -1
	s_mov_b32 s33, -1
	s_wait_dscnt 0x0
	s_barrier_signal -1
	s_barrier_wait -1
	v_and_b32_e32 v4, 0xff, v3
	s_delay_alu instid0(VALU_DEP_1)
	v_cmp_ne_u32_e32 vcc_lo, 0, v4
	s_cbranch_vccz .LBB20_257
.LBB20_253:                             ;   in Loop: Header=BB20_254 Depth=2
	s_and_b32 s34, exec_lo, s34
	s_delay_alu instid0(SALU_CYCLE_1) | instskip(SKIP_2) | instid1(SALU_CYCLE_1)
	s_or_b32 s25, s34, s25
	s_and_not1_b32 s31, s31, exec_lo
	s_and_b32 s33, s33, exec_lo
	s_or_b32 s31, s31, s33
	s_and_not1_b32 exec_lo, exec_lo, s25
	s_cbranch_execz .LBB20_259
.LBB20_254:                             ;   Parent Loop BB20_6 Depth=1
                                        ; =>  This Inner Loop Header: Depth=2
	s_mov_b32 s33, exec_lo
	s_delay_alu instid0(VALU_DEP_1)
	v_cmpx_gt_u32_e64 s27, v2
	s_cbranch_execz .LBB20_252
; %bb.255:                              ;   in Loop: Header=BB20_254 Depth=2
	ds_load_u8 v3, v2
	s_wait_dscnt 0x0
	v_bfe_i32 v4, v3, 0, 8
	s_delay_alu instid0(VALU_DEP_1) | instskip(NEXT) | instid1(VALU_DEP_1)
	v_add_nc_u32_e32 v4, 0x80, v4
	v_and_b32_e32 v4, v4, v39
	s_delay_alu instid0(VALU_DEP_1)
	v_cmp_eq_u32_e32 vcc_lo, v4, v32
	s_and_b32 exec_lo, exec_lo, vcc_lo
	s_cbranch_execz .LBB20_252
; %bb.256:                              ;   in Loop: Header=BB20_254 Depth=2
	v_lshlrev_b16 v3, 8, v3
	s_delay_alu instid0(VALU_DEP_1)
	v_or_b32_e32 v3, 1, v3
	ds_store_b16 v25, v3 offset:3072
	s_branch .LBB20_252
.LBB20_257:                             ;   in Loop: Header=BB20_254 Depth=2
	v_add_nc_u32_e32 v2, s41, v2
	s_mov_b32 s33, 0
	s_delay_alu instid0(VALU_DEP_1)
	v_cmp_le_u32_e32 vcc_lo, s30, v2
	s_or_not1_b32 s34, vcc_lo, exec_lo
	s_branch .LBB20_253
.LBB20_258:                             ;   in Loop: Header=BB20_6 Depth=1
	v_dual_mov_b32 v32, v3 :: v_dual_mov_b32 v39, v4
	v_mov_b32_e32 v40, v6
	s_mov_b32 s26, 0
	s_and_saveexec_b32 s14, s23
	s_cbranch_execnz .LBB20_404
	s_branch .LBB20_405
.LBB20_259:                             ;   in Loop: Header=BB20_6 Depth=1
	s_or_b32 exec_lo, exec_lo, s25
	v_and_b32_e32 v2, 0xffff, v3
	s_and_b32 s25, s31, exec_lo
	s_delay_alu instid0(VALU_DEP_1)
	v_lshrrev_b32_e32 v40, 8, v2
.LBB20_260:                             ;   in Loop: Header=BB20_6 Depth=1
	s_or_b32 exec_lo, exec_lo, s29
.LBB20_261:                             ;   in Loop: Header=BB20_6 Depth=1
	s_delay_alu instid0(SALU_CYCLE_1)
	s_and_b32 vcc_lo, exec_lo, s28
	s_cbranch_vccz .LBB20_272
; %bb.262:                              ;   in Loop: Header=BB20_6 Depth=1
                                        ; implicit-def: $vgpr40
	s_and_saveexec_b32 s16, s13
	s_cbranch_execz .LBB20_271
; %bb.263:                              ;   in Loop: Header=BB20_6 Depth=1
	v_dual_mov_b32 v2, v22 :: v_dual_mov_b32 v3, v0
	s_mov_b32 s27, 0
                                        ; implicit-def: $sgpr26
	s_branch .LBB20_266
.LBB20_264:                             ;   in Loop: Header=BB20_266 Depth=2
	s_or_b32 exec_lo, exec_lo, s28
	s_wait_dscnt 0x0
	s_barrier_signal -1
	s_barrier_wait -1
	ds_load_u16 v4, v25 offset:3072
	s_mov_b32 s28, -1
	s_mov_b32 s29, -1
	s_wait_dscnt 0x0
	s_barrier_signal -1
	s_barrier_wait -1
	v_and_b32_e32 v5, 0xff, v4
	s_delay_alu instid0(VALU_DEP_1)
	v_cmp_ne_u32_e32 vcc_lo, 0, v5
	s_cbranch_vccz .LBB20_269
.LBB20_265:                             ;   in Loop: Header=BB20_266 Depth=2
	s_and_b32 s28, exec_lo, s28
	s_delay_alu instid0(SALU_CYCLE_1) | instskip(SKIP_2) | instid1(SALU_CYCLE_1)
	s_or_b32 s27, s28, s27
	s_and_not1_b32 s26, s26, exec_lo
	s_and_b32 s28, s29, exec_lo
	s_or_b32 s26, s26, s28
	s_and_not1_b32 exec_lo, exec_lo, s27
	s_cbranch_execz .LBB20_270
.LBB20_266:                             ;   Parent Loop BB20_6 Depth=1
                                        ; =>  This Inner Loop Header: Depth=2
	s_mov_b32 s28, exec_lo
	s_delay_alu instid0(VALU_DEP_1)
	v_cmpx_gt_u32_e64 s36, v3
	s_cbranch_execz .LBB20_264
; %bb.267:                              ;   in Loop: Header=BB20_266 Depth=2
	global_load_u8 v4, v2, s[38:39]
	s_wait_loadcnt 0x0
	v_bfe_i32 v5, v4, 0, 8
	s_delay_alu instid0(VALU_DEP_1) | instskip(NEXT) | instid1(VALU_DEP_1)
	v_add_nc_u32_e32 v5, 0x80, v5
	v_and_b32_e32 v5, v5, v39
	s_delay_alu instid0(VALU_DEP_1)
	v_cmp_eq_u32_e32 vcc_lo, v5, v32
	s_and_b32 exec_lo, exec_lo, vcc_lo
	s_cbranch_execz .LBB20_264
; %bb.268:                              ;   in Loop: Header=BB20_266 Depth=2
	v_lshlrev_b16 v4, 8, v4
	s_delay_alu instid0(VALU_DEP_1)
	v_or_b32_e32 v4, 1, v4
	ds_store_b16 v25, v4 offset:3072
	s_branch .LBB20_264
.LBB20_269:                             ;   in Loop: Header=BB20_266 Depth=2
	v_dual_add_nc_u32 v3, s41, v3 :: v_dual_add_nc_u32 v2, s50, v2
	s_mov_b32 s29, 0
	s_delay_alu instid0(VALU_DEP_1)
	v_cmp_le_u32_e32 vcc_lo, s87, v3
	s_or_not1_b32 s28, vcc_lo, exec_lo
	s_branch .LBB20_265
.LBB20_270:                             ;   in Loop: Header=BB20_6 Depth=1
	s_or_b32 exec_lo, exec_lo, s27
	v_and_b32_e32 v2, 0xffff, v4
	s_and_not1_b32 s25, s25, exec_lo
	s_and_b32 s26, s26, exec_lo
	s_delay_alu instid0(SALU_CYCLE_1) | instskip(NEXT) | instid1(VALU_DEP_1)
	s_or_b32 s25, s25, s26
	v_lshrrev_b32_e32 v40, 8, v2
.LBB20_271:                             ;   in Loop: Header=BB20_6 Depth=1
	s_or_b32 exec_lo, exec_lo, s16
	s_mov_b32 s16, 0
	s_mov_b32 s26, -1
.LBB20_272:                             ;   in Loop: Header=BB20_6 Depth=1
	s_or_not1_b32 s25, s25, exec_lo
.LBB20_273:                             ;   in Loop: Header=BB20_6 Depth=1
	s_or_b32 exec_lo, exec_lo, s24
                                        ; implicit-def: $vgpr5
                                        ; implicit-def: $vgpr2
	s_and_saveexec_b32 s24, s25
	s_cbranch_execz .LBB20_403
; %bb.274:                              ;   in Loop: Header=BB20_6 Depth=1
	v_dual_mov_b32 v5, 1 :: v_dual_mov_b32 v2, 1
	s_xor_b32 s25, s14, -1
	s_mov_b32 s28, 0
	s_and_saveexec_b32 s14, s25
	s_cbranch_execz .LBB20_283
; %bb.275:                              ;   in Loop: Header=BB20_6 Depth=1
	s_mov_b32 s25, exec_lo
	v_cmpx_ge_u32_e64 s22, v41
	s_xor_b32 s25, exec_lo, s25
	s_cbranch_execz .LBB20_280
; %bb.276:                              ;   in Loop: Header=BB20_6 Depth=1
	ds_load_b32 v2, v25 offset:4096
	v_or_b32_e32 v32, s18, v32
	v_or_b32_e32 v39, s18, v39
	s_wait_dscnt 0x0
	v_cmp_ne_u32_e32 vcc_lo, 0, v2
	s_cbranch_vccnz .LBB20_280
; %bb.277:                              ;   in Loop: Header=BB20_6 Depth=1
	s_and_saveexec_b32 s27, s5
; %bb.278:                              ;   in Loop: Header=BB20_6 Depth=1
	v_mov_b32_e32 v2, s22
	ds_store_b32 v25, v2 offset:4100
; %bb.279:                              ;   in Loop: Header=BB20_6 Depth=1
	s_or_b32 exec_lo, exec_lo, s27
	s_wait_dscnt 0x0
	s_barrier_signal -1
	s_barrier_wait -1
.LBB20_280:                             ;   in Loop: Header=BB20_6 Depth=1
	s_or_saveexec_b32 s25, s25
	v_mov_b32_e32 v2, 5
	s_mov_b32 s27, 0
	s_xor_b32 exec_lo, exec_lo, s25
; %bb.281:                              ;   in Loop: Header=BB20_6 Depth=1
	v_subrev_nc_u32_e32 v41, s22, v41
	v_mov_b32_e32 v2, 0
	s_mov_b32 s27, exec_lo
; %bb.282:                              ;   in Loop: Header=BB20_6 Depth=1
	s_or_b32 exec_lo, exec_lo, s25
	s_delay_alu instid0(VALU_DEP_2)
	v_mov_b32_e32 v5, v41
	s_and_b32 s28, s27, exec_lo
.LBB20_283:                             ;   in Loop: Header=BB20_6 Depth=1
	s_or_b32 exec_lo, exec_lo, s14
	s_mov_b32 s27, -1
                                        ; implicit-def: $sgpr22
                                        ; implicit-def: $sgpr25
	s_and_saveexec_b32 s14, s28
	s_delay_alu instid0(SALU_CYCLE_1)
	s_xor_b32 s14, exec_lo, s14
	s_cbranch_execz .LBB20_400
; %bb.284:                              ;   in Loop: Header=BB20_6 Depth=1
	v_cmp_eq_u32_e32 vcc_lo, 1, v5
	s_cmp_eq_u32 s21, 1
	s_mov_b32 s29, -1
	s_cselect_b32 s22, -1, 0
                                        ; implicit-def: $sgpr25
	s_delay_alu instid0(SALU_CYCLE_1) | instskip(NEXT) | instid1(SALU_CYCLE_1)
	s_and_b32 s28, s22, vcc_lo
                                        ; implicit-def: $sgpr22
	s_and_saveexec_b32 s27, s28
	s_cbranch_execz .LBB20_310
; %bb.285:                              ;   in Loop: Header=BB20_6 Depth=1
	ds_load_b32 v3, v25 offset:4096
	s_wait_dscnt 0x0
	s_barrier_signal -1
	s_barrier_wait -1
	v_readfirstlane_b32 s30, v3
	s_and_saveexec_b32 s22, s6
; %bb.286:                              ;   in Loop: Header=BB20_6 Depth=1
	ds_store_b8 v0, v25 offset:3072
; %bb.287:                              ;   in Loop: Header=BB20_6 Depth=1
	s_or_b32 exec_lo, exec_lo, s22
	s_lshl_b32 s22, 2, s95
	v_or_b32_e32 v39, s18, v39
	v_and_or_b32 v32, v32, s19, s22
	s_mov_b32 s22, -1
	s_mov_b32 s25, 0
	s_cmp_eq_u32 s30, 0
	s_mov_b32 s29, 0
	s_mov_b32 s31, -1
	s_wait_dscnt 0x0
	s_barrier_signal -1
	s_barrier_wait -1
                                        ; implicit-def: $vgpr40
	s_cbranch_scc1 .LBB20_298
; %bb.288:                              ;   in Loop: Header=BB20_6 Depth=1
	s_add_co_i32 s54, s30, s70
	s_mov_b32 s33, exec_lo
	s_mul_u64 s[42:43], s[54:55], s[60:61]
                                        ; implicit-def: $vgpr40
	s_delay_alu instid0(SALU_CYCLE_1) | instskip(NEXT) | instid1(SALU_CYCLE_1)
	s_mul_i32 s29, s43, s41
	s_sub_co_i32 s29, s54, s29
	s_delay_alu instid0(SALU_CYCLE_1) | instskip(SKIP_2) | instid1(SALU_CYCLE_1)
	s_sub_co_i32 s31, s29, s41
	s_cmp_ge_u32 s29, s41
	s_cselect_b32 s29, s31, s29
	s_sub_co_i32 s31, s29, s41
	s_cmp_ge_u32 s29, s41
	s_cselect_b32 s29, s31, s29
	s_mov_b32 s31, 0
	s_sub_co_i32 s34, s54, s29
	s_mov_b32 s29, 0
	v_cmpx_gt_u32_e64 s34, v0
	s_cbranch_execz .LBB20_297
; %bb.289:                              ;   in Loop: Header=BB20_6 Depth=1
	v_mov_b32_e32 v3, v0
                                        ; implicit-def: $sgpr44
	s_branch .LBB20_292
.LBB20_290:                             ;   in Loop: Header=BB20_292 Depth=2
	s_or_b32 exec_lo, exec_lo, s45
	s_wait_dscnt 0x0
	s_barrier_signal -1
	s_barrier_wait -1
	ds_load_u16 v4, v25 offset:3072
	s_mov_b32 s43, -1
	s_mov_b32 s42, -1
	s_wait_dscnt 0x0
	s_barrier_signal -1
	s_barrier_wait -1
	v_and_b32_e32 v6, 0xff, v4
	s_delay_alu instid0(VALU_DEP_1)
	v_cmp_ne_u32_e32 vcc_lo, 0, v6
	s_cbranch_vccz .LBB20_295
.LBB20_291:                             ;   in Loop: Header=BB20_292 Depth=2
	s_and_b32 s43, exec_lo, s43
	s_delay_alu instid0(SALU_CYCLE_1) | instskip(SKIP_2) | instid1(SALU_CYCLE_1)
	s_or_b32 s29, s43, s29
	s_and_not1_b32 s43, s44, exec_lo
	s_and_b32 s42, s42, exec_lo
	s_or_b32 s44, s43, s42
	s_and_not1_b32 exec_lo, exec_lo, s29
	s_cbranch_execz .LBB20_296
.LBB20_292:                             ;   Parent Loop BB20_6 Depth=1
                                        ; =>  This Inner Loop Header: Depth=2
	s_mov_b32 s45, exec_lo
	s_delay_alu instid0(VALU_DEP_1)
	v_cmpx_gt_u32_e64 s30, v3
	s_cbranch_execz .LBB20_290
; %bb.293:                              ;   in Loop: Header=BB20_292 Depth=2
	ds_load_u8 v4, v3
	s_wait_dscnt 0x0
	v_bfe_i32 v6, v4, 0, 8
	s_delay_alu instid0(VALU_DEP_1) | instskip(NEXT) | instid1(VALU_DEP_1)
	v_add_nc_u32_e32 v6, 0x80, v6
	v_and_b32_e32 v6, v6, v39
	s_delay_alu instid0(VALU_DEP_1)
	v_cmp_eq_u32_e32 vcc_lo, v6, v32
	s_and_b32 exec_lo, exec_lo, vcc_lo
	s_cbranch_execz .LBB20_290
; %bb.294:                              ;   in Loop: Header=BB20_292 Depth=2
	v_lshlrev_b16 v4, 8, v4
	s_delay_alu instid0(VALU_DEP_1)
	v_or_b32_e32 v4, 1, v4
	ds_store_b16 v25, v4 offset:3072
	s_branch .LBB20_290
.LBB20_295:                             ;   in Loop: Header=BB20_292 Depth=2
	v_add_nc_u32_e32 v3, s41, v3
	s_mov_b32 s42, 0
	s_delay_alu instid0(VALU_DEP_1)
	v_cmp_le_u32_e32 vcc_lo, s34, v3
	s_or_not1_b32 s43, vcc_lo, exec_lo
	s_branch .LBB20_291
.LBB20_296:                             ;   in Loop: Header=BB20_6 Depth=1
	s_or_b32 exec_lo, exec_lo, s29
	v_and_b32_e32 v3, 0xffff, v4
	s_and_b32 s29, s44, exec_lo
	s_delay_alu instid0(VALU_DEP_1)
	v_lshrrev_b32_e32 v40, 8, v3
.LBB20_297:                             ;   in Loop: Header=BB20_6 Depth=1
	s_or_b32 exec_lo, exec_lo, s33
.LBB20_298:                             ;   in Loop: Header=BB20_6 Depth=1
	s_delay_alu instid0(SALU_CYCLE_1)
	s_and_b32 vcc_lo, exec_lo, s31
	s_cbranch_vccz .LBB20_309
; %bb.299:                              ;   in Loop: Header=BB20_6 Depth=1
                                        ; implicit-def: $vgpr40
	s_and_saveexec_b32 s22, s13
	s_cbranch_execz .LBB20_308
; %bb.300:                              ;   in Loop: Header=BB20_6 Depth=1
	v_dual_mov_b32 v3, v22 :: v_dual_mov_b32 v4, v0
	s_mov_b32 s25, 0
                                        ; implicit-def: $sgpr30
	s_branch .LBB20_303
.LBB20_301:                             ;   in Loop: Header=BB20_303 Depth=2
	s_or_b32 exec_lo, exec_lo, s31
	s_wait_dscnt 0x0
	s_barrier_signal -1
	s_barrier_wait -1
	ds_load_u16 v6, v25 offset:3072
	s_mov_b32 s31, -1
	s_mov_b32 s33, -1
	s_wait_dscnt 0x0
	s_barrier_signal -1
	s_barrier_wait -1
	v_and_b32_e32 v7, 0xff, v6
	s_delay_alu instid0(VALU_DEP_1)
	v_cmp_eq_u32_e32 vcc_lo, 0, v7
	s_cbranch_vccnz .LBB20_306
.LBB20_302:                             ;   in Loop: Header=BB20_303 Depth=2
	s_and_b32 s31, exec_lo, s31
	s_delay_alu instid0(SALU_CYCLE_1) | instskip(SKIP_2) | instid1(SALU_CYCLE_1)
	s_or_b32 s25, s31, s25
	s_and_not1_b32 s30, s30, exec_lo
	s_and_b32 s31, s33, exec_lo
	s_or_b32 s30, s30, s31
	s_and_not1_b32 exec_lo, exec_lo, s25
	s_cbranch_execz .LBB20_307
.LBB20_303:                             ;   Parent Loop BB20_6 Depth=1
                                        ; =>  This Inner Loop Header: Depth=2
	s_mov_b32 s31, exec_lo
	s_delay_alu instid0(VALU_DEP_1)
	v_cmpx_gt_u32_e64 s36, v4
	s_cbranch_execz .LBB20_301
; %bb.304:                              ;   in Loop: Header=BB20_303 Depth=2
	global_load_u8 v6, v3, s[38:39]
	s_wait_loadcnt 0x0
	v_bfe_i32 v7, v6, 0, 8
	s_delay_alu instid0(VALU_DEP_1) | instskip(NEXT) | instid1(VALU_DEP_1)
	v_add_nc_u32_e32 v7, 0x80, v7
	v_and_b32_e32 v7, v7, v39
	s_delay_alu instid0(VALU_DEP_1)
	v_cmp_eq_u32_e32 vcc_lo, v7, v32
	s_and_b32 exec_lo, exec_lo, vcc_lo
	s_cbranch_execz .LBB20_301
; %bb.305:                              ;   in Loop: Header=BB20_303 Depth=2
	v_lshlrev_b16 v6, 8, v6
	s_delay_alu instid0(VALU_DEP_1)
	v_or_b32_e32 v6, 1, v6
	ds_store_b16 v25, v6 offset:3072
	s_branch .LBB20_301
.LBB20_306:                             ;   in Loop: Header=BB20_303 Depth=2
	v_dual_add_nc_u32 v4, s41, v4 :: v_dual_add_nc_u32 v3, s50, v3
	s_mov_b32 s33, 0
	s_delay_alu instid0(VALU_DEP_1)
	v_cmp_le_u32_e32 vcc_lo, s87, v4
	s_or_not1_b32 s31, vcc_lo, exec_lo
	s_branch .LBB20_302
.LBB20_307:                             ;   in Loop: Header=BB20_6 Depth=1
	s_or_b32 exec_lo, exec_lo, s25
	v_and_b32_e32 v3, 0xffff, v6
	s_and_not1_b32 s25, s29, exec_lo
	s_and_b32 s29, s30, exec_lo
	s_delay_alu instid0(SALU_CYCLE_1) | instskip(NEXT) | instid1(VALU_DEP_1)
	s_or_b32 s29, s25, s29
	v_lshrrev_b32_e32 v40, 8, v3
.LBB20_308:                             ;   in Loop: Header=BB20_6 Depth=1
	s_or_b32 exec_lo, exec_lo, s22
	s_mov_b32 s22, 0
	s_mov_b32 s25, -1
.LBB20_309:                             ;   in Loop: Header=BB20_6 Depth=1
	s_or_not1_b32 s29, s29, exec_lo
.LBB20_310:                             ;   in Loop: Header=BB20_6 Depth=1
	s_or_b32 exec_lo, exec_lo, s27
	s_mov_b32 s30, 0
	s_and_saveexec_b32 s27, s29
	s_cbranch_execz .LBB20_399
; %bb.311:                              ;   in Loop: Header=BB20_6 Depth=1
	v_dual_mov_b32 v3, 1 :: v_dual_mov_b32 v2, 1
	s_xor_b32 s29, s28, -1
	s_mov_b32 s31, 0
	s_and_saveexec_b32 s28, s29
	s_cbranch_execz .LBB20_320
; %bb.312:                              ;   in Loop: Header=BB20_6 Depth=1
	s_mov_b32 s29, exec_lo
	v_cmpx_ge_u32_e64 s21, v5
	s_xor_b32 s29, exec_lo, s29
	s_cbranch_execz .LBB20_317
; %bb.313:                              ;   in Loop: Header=BB20_6 Depth=1
	ds_load_b32 v2, v25 offset:4096
	s_lshl_b32 s30, 2, s95
	v_or_b32_e32 v39, s18, v39
	v_and_or_b32 v32, v32, s19, s30
	s_wait_dscnt 0x0
	v_cmp_ne_u32_e32 vcc_lo, 0, v2
	s_cbranch_vccnz .LBB20_317
; %bb.314:                              ;   in Loop: Header=BB20_6 Depth=1
	s_and_saveexec_b32 s30, s5
; %bb.315:                              ;   in Loop: Header=BB20_6 Depth=1
	v_mov_b32_e32 v2, s21
	ds_store_b32 v25, v2 offset:4100
; %bb.316:                              ;   in Loop: Header=BB20_6 Depth=1
	s_or_b32 exec_lo, exec_lo, s30
	s_wait_dscnt 0x0
	s_barrier_signal -1
	s_barrier_wait -1
.LBB20_317:                             ;   in Loop: Header=BB20_6 Depth=1
	s_or_saveexec_b32 s29, s29
	v_mov_b32_e32 v2, 5
	s_mov_b32 s30, 0
	s_xor_b32 exec_lo, exec_lo, s29
; %bb.318:                              ;   in Loop: Header=BB20_6 Depth=1
	v_subrev_nc_u32_e32 v5, s21, v5
	v_mov_b32_e32 v2, 0
	s_mov_b32 s30, exec_lo
; %bb.319:                              ;   in Loop: Header=BB20_6 Depth=1
	s_or_b32 exec_lo, exec_lo, s29
	s_delay_alu instid0(VALU_DEP_2)
	v_mov_b32_e32 v3, v5
	s_and_b32 s31, s30, exec_lo
.LBB20_320:                             ;   in Loop: Header=BB20_6 Depth=1
	s_or_b32 exec_lo, exec_lo, s28
	s_mov_b32 s30, -1
                                        ; implicit-def: $sgpr28
                                        ; implicit-def: $sgpr29
	s_and_saveexec_b32 s21, s31
	s_cbranch_execz .LBB20_398
; %bb.321:                              ;   in Loop: Header=BB20_6 Depth=1
	v_cmp_eq_u32_e32 vcc_lo, 1, v3
	s_cmp_eq_u32 s20, 1
	s_mov_b32 s33, -1
	s_cselect_b32 s28, -1, 0
                                        ; implicit-def: $sgpr29
	s_delay_alu instid0(SALU_CYCLE_1) | instskip(NEXT) | instid1(SALU_CYCLE_1)
	s_and_b32 s31, s28, vcc_lo
                                        ; implicit-def: $sgpr28
	s_and_saveexec_b32 s30, s31
	s_cbranch_execz .LBB20_347
; %bb.322:                              ;   in Loop: Header=BB20_6 Depth=1
	ds_load_b32 v4, v25 offset:4096
	s_wait_dscnt 0x0
	s_barrier_signal -1
	s_barrier_wait -1
	v_readfirstlane_b32 s34, v4
	s_and_saveexec_b32 s28, s6
; %bb.323:                              ;   in Loop: Header=BB20_6 Depth=1
	ds_store_b8 v0, v25 offset:3072
; %bb.324:                              ;   in Loop: Header=BB20_6 Depth=1
	s_or_b32 exec_lo, exec_lo, s28
	s_lshl_b32 s28, 1, s95
	v_or_b32_e32 v39, s18, v39
	v_and_or_b32 v32, v32, s19, s28
	s_mov_b32 s28, -1
	s_mov_b32 s29, 0
	s_cmp_eq_u32 s34, 0
	s_mov_b32 s33, 0
	s_mov_b32 s44, -1
	s_wait_dscnt 0x0
	s_barrier_signal -1
	s_barrier_wait -1
                                        ; implicit-def: $vgpr40
	s_cbranch_scc1 .LBB20_335
; %bb.325:                              ;   in Loop: Header=BB20_6 Depth=1
	s_add_co_i32 s54, s34, s70
	s_mov_b32 s44, 0
	s_mul_u64 s[42:43], s[54:55], s[60:61]
	s_mov_b32 s45, exec_lo
	s_mul_i32 s33, s43, s41
                                        ; implicit-def: $vgpr40
	s_delay_alu instid0(SALU_CYCLE_1) | instskip(NEXT) | instid1(SALU_CYCLE_1)
	s_sub_co_i32 s33, s54, s33
	s_sub_co_i32 s42, s33, s41
	s_cmp_ge_u32 s33, s41
	s_cselect_b32 s33, s42, s33
	s_delay_alu instid0(SALU_CYCLE_1) | instskip(SKIP_2) | instid1(SALU_CYCLE_1)
	s_sub_co_i32 s42, s33, s41
	s_cmp_ge_u32 s33, s41
	s_cselect_b32 s33, s42, s33
	s_sub_co_i32 s46, s54, s33
	s_mov_b32 s33, 0
	v_cmpx_gt_u32_e64 s46, v0
	s_cbranch_execz .LBB20_334
; %bb.326:                              ;   in Loop: Header=BB20_6 Depth=1
	v_mov_b32_e32 v4, v0
                                        ; implicit-def: $sgpr47
	s_branch .LBB20_329
.LBB20_327:                             ;   in Loop: Header=BB20_329 Depth=2
	s_or_b32 exec_lo, exec_lo, s48
	s_wait_dscnt 0x0
	s_barrier_signal -1
	s_barrier_wait -1
	ds_load_u16 v5, v25 offset:3072
	s_mov_b32 s43, -1
	s_mov_b32 s42, -1
	s_wait_dscnt 0x0
	s_barrier_signal -1
	s_barrier_wait -1
	v_and_b32_e32 v6, 0xff, v5
	s_delay_alu instid0(VALU_DEP_1)
	v_cmp_ne_u32_e32 vcc_lo, 0, v6
	s_cbranch_vccz .LBB20_332
.LBB20_328:                             ;   in Loop: Header=BB20_329 Depth=2
	s_and_b32 s43, exec_lo, s43
	s_delay_alu instid0(SALU_CYCLE_1) | instskip(SKIP_2) | instid1(SALU_CYCLE_1)
	s_or_b32 s33, s43, s33
	s_and_not1_b32 s43, s47, exec_lo
	s_and_b32 s42, s42, exec_lo
	s_or_b32 s47, s43, s42
	s_and_not1_b32 exec_lo, exec_lo, s33
	s_cbranch_execz .LBB20_333
.LBB20_329:                             ;   Parent Loop BB20_6 Depth=1
                                        ; =>  This Inner Loop Header: Depth=2
	s_mov_b32 s48, exec_lo
	s_delay_alu instid0(VALU_DEP_1)
	v_cmpx_gt_u32_e64 s34, v4
	s_cbranch_execz .LBB20_327
; %bb.330:                              ;   in Loop: Header=BB20_329 Depth=2
	ds_load_u8 v5, v4
	s_wait_dscnt 0x0
	v_bfe_i32 v6, v5, 0, 8
	s_delay_alu instid0(VALU_DEP_1) | instskip(NEXT) | instid1(VALU_DEP_1)
	v_add_nc_u32_e32 v6, 0x80, v6
	v_and_b32_e32 v6, v6, v39
	s_delay_alu instid0(VALU_DEP_1)
	v_cmp_eq_u32_e32 vcc_lo, v6, v32
	s_and_b32 exec_lo, exec_lo, vcc_lo
	s_cbranch_execz .LBB20_327
; %bb.331:                              ;   in Loop: Header=BB20_329 Depth=2
	v_lshlrev_b16 v5, 8, v5
	s_delay_alu instid0(VALU_DEP_1)
	v_or_b32_e32 v5, 1, v5
	ds_store_b16 v25, v5 offset:3072
	s_branch .LBB20_327
.LBB20_332:                             ;   in Loop: Header=BB20_329 Depth=2
	v_add_nc_u32_e32 v4, s41, v4
	s_mov_b32 s42, 0
	s_delay_alu instid0(VALU_DEP_1)
	v_cmp_le_u32_e32 vcc_lo, s46, v4
	s_or_not1_b32 s43, vcc_lo, exec_lo
	s_branch .LBB20_328
.LBB20_333:                             ;   in Loop: Header=BB20_6 Depth=1
	s_or_b32 exec_lo, exec_lo, s33
	v_and_b32_e32 v4, 0xffff, v5
	s_and_b32 s33, s47, exec_lo
	s_delay_alu instid0(VALU_DEP_1)
	v_lshrrev_b32_e32 v40, 8, v4
.LBB20_334:                             ;   in Loop: Header=BB20_6 Depth=1
	s_or_b32 exec_lo, exec_lo, s45
.LBB20_335:                             ;   in Loop: Header=BB20_6 Depth=1
	s_delay_alu instid0(SALU_CYCLE_1)
	s_and_b32 vcc_lo, exec_lo, s44
	s_cbranch_vccz .LBB20_346
; %bb.336:                              ;   in Loop: Header=BB20_6 Depth=1
                                        ; implicit-def: $vgpr40
	s_and_saveexec_b32 s28, s13
	s_cbranch_execz .LBB20_345
; %bb.337:                              ;   in Loop: Header=BB20_6 Depth=1
	v_dual_mov_b32 v4, v22 :: v_dual_mov_b32 v5, v0
	s_mov_b32 s29, 0
                                        ; implicit-def: $sgpr34
	s_branch .LBB20_340
.LBB20_338:                             ;   in Loop: Header=BB20_340 Depth=2
	s_or_b32 exec_lo, exec_lo, s44
	s_wait_dscnt 0x0
	s_barrier_signal -1
	s_barrier_wait -1
	ds_load_u16 v6, v25 offset:3072
	s_mov_b32 s42, -1
	s_mov_b32 s43, -1
	s_wait_dscnt 0x0
	s_barrier_signal -1
	s_barrier_wait -1
	v_and_b32_e32 v7, 0xff, v6
	s_delay_alu instid0(VALU_DEP_1)
	v_cmp_eq_u32_e32 vcc_lo, 0, v7
	s_cbranch_vccnz .LBB20_343
.LBB20_339:                             ;   in Loop: Header=BB20_340 Depth=2
	s_and_b32 s42, exec_lo, s42
	s_delay_alu instid0(SALU_CYCLE_1) | instskip(SKIP_2) | instid1(SALU_CYCLE_1)
	s_or_b32 s29, s42, s29
	s_and_not1_b32 s34, s34, exec_lo
	s_and_b32 s42, s43, exec_lo
	s_or_b32 s34, s34, s42
	s_and_not1_b32 exec_lo, exec_lo, s29
	s_cbranch_execz .LBB20_344
.LBB20_340:                             ;   Parent Loop BB20_6 Depth=1
                                        ; =>  This Inner Loop Header: Depth=2
	s_mov_b32 s44, exec_lo
	s_delay_alu instid0(VALU_DEP_1)
	v_cmpx_gt_u32_e64 s36, v5
	s_cbranch_execz .LBB20_338
; %bb.341:                              ;   in Loop: Header=BB20_340 Depth=2
	global_load_u8 v6, v4, s[38:39]
	s_wait_loadcnt 0x0
	v_bfe_i32 v7, v6, 0, 8
	s_delay_alu instid0(VALU_DEP_1) | instskip(NEXT) | instid1(VALU_DEP_1)
	v_add_nc_u32_e32 v7, 0x80, v7
	v_and_b32_e32 v7, v7, v39
	s_delay_alu instid0(VALU_DEP_1)
	v_cmp_eq_u32_e32 vcc_lo, v7, v32
	s_and_b32 exec_lo, exec_lo, vcc_lo
	s_cbranch_execz .LBB20_338
; %bb.342:                              ;   in Loop: Header=BB20_340 Depth=2
	v_lshlrev_b16 v6, 8, v6
	s_delay_alu instid0(VALU_DEP_1)
	v_or_b32_e32 v6, 1, v6
	ds_store_b16 v25, v6 offset:3072
	s_branch .LBB20_338
.LBB20_343:                             ;   in Loop: Header=BB20_340 Depth=2
	v_dual_add_nc_u32 v5, s41, v5 :: v_dual_add_nc_u32 v4, s50, v4
	s_mov_b32 s43, 0
	s_delay_alu instid0(VALU_DEP_1)
	v_cmp_le_u32_e32 vcc_lo, s87, v5
	s_or_not1_b32 s42, vcc_lo, exec_lo
	s_branch .LBB20_339
.LBB20_344:                             ;   in Loop: Header=BB20_6 Depth=1
	s_or_b32 exec_lo, exec_lo, s29
	v_and_b32_e32 v4, 0xffff, v6
	s_and_not1_b32 s29, s33, exec_lo
	s_and_b32 s33, s34, exec_lo
	s_delay_alu instid0(SALU_CYCLE_1) | instskip(NEXT) | instid1(VALU_DEP_1)
	s_or_b32 s33, s29, s33
	v_lshrrev_b32_e32 v40, 8, v4
.LBB20_345:                             ;   in Loop: Header=BB20_6 Depth=1
	s_or_b32 exec_lo, exec_lo, s28
	s_mov_b32 s28, 0
	s_mov_b32 s29, -1
.LBB20_346:                             ;   in Loop: Header=BB20_6 Depth=1
	s_or_not1_b32 s33, s33, exec_lo
.LBB20_347:                             ;   in Loop: Header=BB20_6 Depth=1
	s_or_b32 exec_lo, exec_lo, s30
	s_mov_b32 s34, 0
	s_and_saveexec_b32 s30, s33
	s_cbranch_execz .LBB20_397
; %bb.348:                              ;   in Loop: Header=BB20_6 Depth=1
	v_dual_mov_b32 v4, 1 :: v_dual_mov_b32 v2, 1
	s_xor_b32 s33, s31, -1
	s_mov_b32 s44, 0
	s_and_saveexec_b32 s31, s33
	s_cbranch_execz .LBB20_357
; %bb.349:                              ;   in Loop: Header=BB20_6 Depth=1
	s_mov_b32 s33, exec_lo
	v_cmpx_ge_u32_e64 s20, v3
	s_xor_b32 s33, exec_lo, s33
	s_cbranch_execz .LBB20_354
; %bb.350:                              ;   in Loop: Header=BB20_6 Depth=1
	ds_load_b32 v2, v25 offset:4096
	s_lshl_b32 s34, 1, s95
	v_or_b32_e32 v39, s18, v39
	v_and_or_b32 v32, v32, s19, s34
	s_wait_dscnt 0x0
	v_cmp_ne_u32_e32 vcc_lo, 0, v2
	s_cbranch_vccnz .LBB20_354
; %bb.351:                              ;   in Loop: Header=BB20_6 Depth=1
	s_and_saveexec_b32 s34, s5
; %bb.352:                              ;   in Loop: Header=BB20_6 Depth=1
	v_mov_b32_e32 v2, s20
	ds_store_b32 v25, v2 offset:4100
; %bb.353:                              ;   in Loop: Header=BB20_6 Depth=1
	s_or_b32 exec_lo, exec_lo, s34
	s_wait_dscnt 0x0
	s_barrier_signal -1
	s_barrier_wait -1
.LBB20_354:                             ;   in Loop: Header=BB20_6 Depth=1
	s_or_saveexec_b32 s33, s33
	v_mov_b32_e32 v2, 5
	s_mov_b32 s34, 0
	s_xor_b32 exec_lo, exec_lo, s33
; %bb.355:                              ;   in Loop: Header=BB20_6 Depth=1
	v_subrev_nc_u32_e32 v3, s20, v3
	v_mov_b32_e32 v2, 0
	s_mov_b32 s34, exec_lo
; %bb.356:                              ;   in Loop: Header=BB20_6 Depth=1
	s_or_b32 exec_lo, exec_lo, s33
	s_delay_alu instid0(VALU_DEP_2)
	v_mov_b32_e32 v4, v3
	s_and_b32 s44, s34, exec_lo
.LBB20_357:                             ;   in Loop: Header=BB20_6 Depth=1
	s_or_b32 exec_lo, exec_lo, s31
	s_mov_b32 s31, -1
                                        ; implicit-def: $sgpr34
                                        ; implicit-def: $sgpr33
	s_and_saveexec_b32 s20, s44
	s_cbranch_execz .LBB20_396
; %bb.358:                              ;   in Loop: Header=BB20_6 Depth=1
	v_cmp_eq_u32_e32 vcc_lo, 1, v4
	s_cmp_eq_u32 s17, 1
	s_mov_b32 s45, -1
	s_cselect_b32 s31, -1, 0
                                        ; implicit-def: $sgpr34
                                        ; implicit-def: $sgpr33
	s_delay_alu instid0(SALU_CYCLE_1) | instskip(NEXT) | instid1(SALU_CYCLE_1)
	s_and_b32 s31, s31, vcc_lo
	s_and_saveexec_b32 s102, s31
	s_cbranch_execz .LBB20_384
; %bb.359:                              ;   in Loop: Header=BB20_6 Depth=1
	ds_load_b32 v3, v25 offset:4096
	s_wait_dscnt 0x0
	s_barrier_signal -1
	s_barrier_wait -1
	v_readfirstlane_b32 s45, v3
	s_and_saveexec_b32 s33, s6
; %bb.360:                              ;   in Loop: Header=BB20_6 Depth=1
	ds_store_b8 v0, v25 offset:3072
; %bb.361:                              ;   in Loop: Header=BB20_6 Depth=1
	s_or_b32 exec_lo, exec_lo, s33
	v_and_b32_e32 v32, s19, v32
	v_or_b32_e32 v39, s18, v39
	s_mov_b32 s33, -1
	s_mov_b32 s34, 0
	s_cmp_eq_u32 s45, 0
	s_mov_b32 s44, 0
	s_mov_b32 s46, -1
	s_wait_dscnt 0x0
	s_barrier_signal -1
	s_barrier_wait -1
                                        ; implicit-def: $vgpr40
	s_cbranch_scc1 .LBB20_372
; %bb.362:                              ;   in Loop: Header=BB20_6 Depth=1
	s_add_co_i32 s54, s45, s70
	s_mov_b32 s46, 0
	s_mul_u64 s[42:43], s[54:55], s[60:61]
	s_mov_b32 s47, exec_lo
	s_mul_i32 s42, s43, s41
                                        ; implicit-def: $vgpr40
	s_delay_alu instid0(SALU_CYCLE_1) | instskip(NEXT) | instid1(SALU_CYCLE_1)
	s_sub_co_i32 s42, s54, s42
	s_sub_co_i32 s43, s42, s41
	s_cmp_ge_u32 s42, s41
	s_cselect_b32 s42, s43, s42
	s_delay_alu instid0(SALU_CYCLE_1) | instskip(SKIP_2) | instid1(SALU_CYCLE_1)
	s_sub_co_i32 s43, s42, s41
	s_cmp_ge_u32 s42, s41
	s_cselect_b32 s42, s43, s42
	s_sub_co_i32 s54, s54, s42
	s_delay_alu instid0(SALU_CYCLE_1)
	v_cmpx_gt_u32_e64 s54, v0
	s_cbranch_execz .LBB20_371
; %bb.363:                              ;   in Loop: Header=BB20_6 Depth=1
	v_mov_b32_e32 v3, v0
                                        ; implicit-def: $sgpr48
	s_branch .LBB20_366
.LBB20_364:                             ;   in Loop: Header=BB20_366 Depth=2
	s_or_b32 exec_lo, exec_lo, s49
	s_wait_dscnt 0x0
	s_barrier_signal -1
	s_barrier_wait -1
	ds_load_u16 v5, v25 offset:3072
	s_mov_b32 s43, -1
	s_mov_b32 s42, -1
	s_wait_dscnt 0x0
	s_barrier_signal -1
	s_barrier_wait -1
	v_and_b32_e32 v6, 0xff, v5
	s_delay_alu instid0(VALU_DEP_1)
	v_cmp_ne_u32_e32 vcc_lo, 0, v6
	s_cbranch_vccz .LBB20_369
.LBB20_365:                             ;   in Loop: Header=BB20_366 Depth=2
	s_and_b32 s43, exec_lo, s43
	s_delay_alu instid0(SALU_CYCLE_1) | instskip(SKIP_2) | instid1(SALU_CYCLE_1)
	s_or_b32 s44, s43, s44
	s_and_not1_b32 s43, s48, exec_lo
	s_and_b32 s42, s42, exec_lo
	s_or_b32 s48, s43, s42
	s_and_not1_b32 exec_lo, exec_lo, s44
	s_cbranch_execz .LBB20_370
.LBB20_366:                             ;   Parent Loop BB20_6 Depth=1
                                        ; =>  This Inner Loop Header: Depth=2
	s_mov_b32 s49, exec_lo
	s_delay_alu instid0(VALU_DEP_1)
	v_cmpx_gt_u32_e64 s45, v3
	s_cbranch_execz .LBB20_364
; %bb.367:                              ;   in Loop: Header=BB20_366 Depth=2
	ds_load_u8 v5, v3
	s_wait_dscnt 0x0
	v_bfe_i32 v6, v5, 0, 8
	s_delay_alu instid0(VALU_DEP_1) | instskip(NEXT) | instid1(VALU_DEP_1)
	v_add_nc_u32_e32 v6, 0x80, v6
	v_and_b32_e32 v6, v6, v39
	s_delay_alu instid0(VALU_DEP_1)
	v_cmp_eq_u32_e32 vcc_lo, v6, v32
	s_and_b32 exec_lo, exec_lo, vcc_lo
	s_cbranch_execz .LBB20_364
; %bb.368:                              ;   in Loop: Header=BB20_366 Depth=2
	v_lshlrev_b16 v5, 8, v5
	s_delay_alu instid0(VALU_DEP_1)
	v_or_b32_e32 v5, 1, v5
	ds_store_b16 v25, v5 offset:3072
	s_branch .LBB20_364
.LBB20_369:                             ;   in Loop: Header=BB20_366 Depth=2
	v_add_nc_u32_e32 v3, s41, v3
	s_mov_b32 s42, 0
	s_delay_alu instid0(VALU_DEP_1)
	v_cmp_le_u32_e32 vcc_lo, s54, v3
	s_or_not1_b32 s43, vcc_lo, exec_lo
	s_branch .LBB20_365
.LBB20_370:                             ;   in Loop: Header=BB20_6 Depth=1
	s_or_b32 exec_lo, exec_lo, s44
	v_and_b32_e32 v3, 0xffff, v5
	s_and_b32 s44, s48, exec_lo
	s_delay_alu instid0(VALU_DEP_1)
	v_lshrrev_b32_e32 v40, 8, v3
.LBB20_371:                             ;   in Loop: Header=BB20_6 Depth=1
	s_or_b32 exec_lo, exec_lo, s47
.LBB20_372:                             ;   in Loop: Header=BB20_6 Depth=1
	s_delay_alu instid0(SALU_CYCLE_1)
	s_and_b32 vcc_lo, exec_lo, s46
	s_cbranch_vccz .LBB20_383
; %bb.373:                              ;   in Loop: Header=BB20_6 Depth=1
                                        ; implicit-def: $vgpr40
	s_and_saveexec_b32 s33, s13
	s_cbranch_execz .LBB20_382
; %bb.374:                              ;   in Loop: Header=BB20_6 Depth=1
	v_dual_mov_b32 v3, v22 :: v_dual_mov_b32 v5, v0
	s_mov_b32 s34, 0
                                        ; implicit-def: $sgpr45
	s_branch .LBB20_377
.LBB20_375:                             ;   in Loop: Header=BB20_377 Depth=2
	s_or_b32 exec_lo, exec_lo, s46
	s_wait_dscnt 0x0
	s_barrier_signal -1
	s_barrier_wait -1
	ds_load_u16 v6, v25 offset:3072
	s_mov_b32 s42, -1
	s_mov_b32 s43, -1
	s_wait_dscnt 0x0
	s_barrier_signal -1
	s_barrier_wait -1
	v_and_b32_e32 v7, 0xff, v6
	s_delay_alu instid0(VALU_DEP_1)
	v_cmp_eq_u32_e32 vcc_lo, 0, v7
	s_cbranch_vccnz .LBB20_380
.LBB20_376:                             ;   in Loop: Header=BB20_377 Depth=2
	s_and_b32 s42, exec_lo, s42
	s_delay_alu instid0(SALU_CYCLE_1) | instskip(SKIP_2) | instid1(SALU_CYCLE_1)
	s_or_b32 s34, s42, s34
	s_and_not1_b32 s42, s45, exec_lo
	s_and_b32 s43, s43, exec_lo
	s_or_b32 s45, s42, s43
	s_and_not1_b32 exec_lo, exec_lo, s34
	s_cbranch_execz .LBB20_381
.LBB20_377:                             ;   Parent Loop BB20_6 Depth=1
                                        ; =>  This Inner Loop Header: Depth=2
	s_mov_b32 s46, exec_lo
	s_delay_alu instid0(VALU_DEP_1)
	v_cmpx_gt_u32_e64 s36, v5
	s_cbranch_execz .LBB20_375
; %bb.378:                              ;   in Loop: Header=BB20_377 Depth=2
	global_load_u8 v6, v3, s[38:39]
	s_wait_loadcnt 0x0
	v_bfe_i32 v7, v6, 0, 8
	s_delay_alu instid0(VALU_DEP_1) | instskip(NEXT) | instid1(VALU_DEP_1)
	v_add_nc_u32_e32 v7, 0x80, v7
	v_and_b32_e32 v7, v7, v39
	s_delay_alu instid0(VALU_DEP_1)
	v_cmp_eq_u32_e32 vcc_lo, v7, v32
	s_and_b32 exec_lo, exec_lo, vcc_lo
	s_cbranch_execz .LBB20_375
; %bb.379:                              ;   in Loop: Header=BB20_377 Depth=2
	v_lshlrev_b16 v6, 8, v6
	s_delay_alu instid0(VALU_DEP_1)
	v_or_b32_e32 v6, 1, v6
	ds_store_b16 v25, v6 offset:3072
	s_branch .LBB20_375
.LBB20_380:                             ;   in Loop: Header=BB20_377 Depth=2
	v_dual_add_nc_u32 v5, s41, v5 :: v_dual_add_nc_u32 v3, s50, v3
	s_mov_b32 s43, 0
	s_delay_alu instid0(VALU_DEP_1)
	v_cmp_le_u32_e32 vcc_lo, s87, v5
	s_or_not1_b32 s42, vcc_lo, exec_lo
	s_branch .LBB20_376
.LBB20_381:                             ;   in Loop: Header=BB20_6 Depth=1
	s_or_b32 exec_lo, exec_lo, s34
	v_and_b32_e32 v3, 0xffff, v6
	s_and_not1_b32 s34, s44, exec_lo
	s_and_b32 s42, s45, exec_lo
	s_delay_alu instid0(SALU_CYCLE_1) | instskip(NEXT) | instid1(VALU_DEP_1)
	s_or_b32 s44, s34, s42
	v_lshrrev_b32_e32 v40, 8, v3
.LBB20_382:                             ;   in Loop: Header=BB20_6 Depth=1
	s_or_b32 exec_lo, exec_lo, s33
	s_mov_b32 s33, 0
	s_mov_b32 s34, -1
.LBB20_383:                             ;   in Loop: Header=BB20_6 Depth=1
	s_or_not1_b32 s45, s44, exec_lo
.LBB20_384:                             ;   in Loop: Header=BB20_6 Depth=1
	s_or_b32 exec_lo, exec_lo, s102
	s_mov_b32 s46, 0
	s_and_saveexec_b32 s44, s45
	s_cbranch_execz .LBB20_395
; %bb.385:                              ;   in Loop: Header=BB20_6 Depth=1
	v_dual_mov_b32 v2, 1 :: v_dual_mov_b32 v3, 1
	s_xor_b32 s42, s31, -1
	s_delay_alu instid0(SALU_CYCLE_1)
	s_and_saveexec_b32 s31, s42
	s_cbranch_execz .LBB20_394
; %bb.386:                              ;   in Loop: Header=BB20_6 Depth=1
	s_mov_b32 s42, exec_lo
	v_cmpx_ge_u32_e64 s17, v4
	s_xor_b32 s45, exec_lo, s42
	s_cbranch_execz .LBB20_391
; %bb.387:                              ;   in Loop: Header=BB20_6 Depth=1
	ds_load_b32 v2, v25 offset:4096
	v_and_b32_e32 v32, s19, v32
	v_or_b32_e32 v39, s18, v39
	s_wait_dscnt 0x0
	v_cmp_ne_u32_e32 vcc_lo, 0, v2
	s_cbranch_vccnz .LBB20_391
; %bb.388:                              ;   in Loop: Header=BB20_6 Depth=1
	s_and_saveexec_b32 s18, s5
; %bb.389:                              ;   in Loop: Header=BB20_6 Depth=1
	v_mov_b32_e32 v2, s17
	ds_store_b32 v25, v2 offset:4100
; %bb.390:                              ;   in Loop: Header=BB20_6 Depth=1
	s_or_b32 exec_lo, exec_lo, s18
	s_wait_dscnt 0x0
	s_barrier_signal -1
	s_barrier_wait -1
.LBB20_391:                             ;   in Loop: Header=BB20_6 Depth=1
	s_and_not1_saveexec_b32 s18, s45
; %bb.392:                              ;   in Loop: Header=BB20_6 Depth=1
	v_subrev_nc_u32_e32 v4, s17, v4
; %bb.393:                              ;   in Loop: Header=BB20_6 Depth=1
	s_or_b32 exec_lo, exec_lo, s18
	s_delay_alu instid0(VALU_DEP_1)
	v_dual_mov_b32 v2, 5 :: v_dual_mov_b32 v3, v4
.LBB20_394:                             ;   in Loop: Header=BB20_6 Depth=1
	s_or_b32 exec_lo, exec_lo, s31
	s_delay_alu instid0(VALU_DEP_1)
	v_mov_b32_e32 v4, v3
	s_mov_b32 s46, exec_lo
.LBB20_395:                             ;   in Loop: Header=BB20_6 Depth=1
	s_or_b32 exec_lo, exec_lo, s44
	s_delay_alu instid0(SALU_CYCLE_1)
	s_or_not1_b32 s31, s46, exec_lo
.LBB20_396:                             ;   in Loop: Header=BB20_6 Depth=1
	s_or_b32 exec_lo, exec_lo, s20
	v_mov_b32_e32 v3, v4
	s_and_not1_b32 s17, s29, exec_lo
	s_and_b32 s18, s34, exec_lo
	s_and_not1_b32 s19, s28, exec_lo
	s_and_b32 s20, s33, exec_lo
	s_or_b32 s29, s17, s18
	s_or_b32 s28, s19, s20
	s_and_b32 s34, s31, exec_lo
.LBB20_397:                             ;   in Loop: Header=BB20_6 Depth=1
	s_or_b32 exec_lo, exec_lo, s30
	s_delay_alu instid0(SALU_CYCLE_1)
	s_or_not1_b32 s30, s34, exec_lo
.LBB20_398:                             ;   in Loop: Header=BB20_6 Depth=1
	s_or_b32 exec_lo, exec_lo, s21
	v_mov_b32_e32 v5, v3
	s_and_not1_b32 s17, s25, exec_lo
	s_and_b32 s18, s29, exec_lo
	s_and_not1_b32 s19, s22, exec_lo
	s_and_b32 s20, s28, exec_lo
	s_or_b32 s25, s17, s18
	s_or_b32 s22, s19, s20
	s_and_b32 s30, s30, exec_lo
.LBB20_399:                             ;   in Loop: Header=BB20_6 Depth=1
	s_or_b32 exec_lo, exec_lo, s27
	s_delay_alu instid0(SALU_CYCLE_1)
	s_or_not1_b32 s27, s30, exec_lo
.LBB20_400:                             ;   in Loop: Header=BB20_6 Depth=1
	s_or_b32 exec_lo, exec_lo, s14
	s_mov_b32 s14, s23
	s_mov_b32 s17, s15
	s_and_saveexec_b32 s18, s27
; %bb.401:                              ;   in Loop: Header=BB20_6 Depth=1
	v_cmp_ne_u32_e32 vcc_lo, 5, v2
	v_cmp_eq_u32_e64 s14, 5, v2
	s_and_not1_b32 s17, s15, exec_lo
	s_and_not1_b32 s19, s23, exec_lo
	s_and_b32 s20, vcc_lo, exec_lo
	s_and_b32 s14, s14, exec_lo
	s_or_b32 s17, s17, s20
	s_or_b32 s14, s19, s14
; %bb.402:                              ;   in Loop: Header=BB20_6 Depth=1
	s_or_b32 exec_lo, exec_lo, s18
	s_delay_alu instid0(SALU_CYCLE_1)
	s_and_not1_b32 s18, s26, exec_lo
	s_and_b32 s19, s25, exec_lo
	s_and_not1_b32 s16, s16, exec_lo
	s_and_b32 s20, s22, exec_lo
	s_or_b32 s26, s18, s19
	s_and_not1_b32 s15, s15, exec_lo
	s_and_b32 s17, s17, exec_lo
	s_and_not1_b32 s18, s23, exec_lo
	s_and_b32 s14, s14, exec_lo
	s_or_b32 s16, s16, s20
	s_or_b32 s15, s15, s17
	s_or_b32 s23, s18, s14
.LBB20_403:                             ;   in Loop: Header=BB20_6 Depth=1
	s_or_b32 exec_lo, exec_lo, s24
	s_mov_b32 s24, 0
	s_mov_b32 s25, 0
	s_and_saveexec_b32 s14, s23
.LBB20_404:                             ;   in Loop: Header=BB20_6 Depth=1
	v_mov_b32_e32 v2, 0
	s_or_b32 s15, s15, exec_lo
.LBB20_405:                             ;   in Loop: Header=BB20_6 Depth=1
	s_or_b32 exec_lo, exec_lo, s14
	s_delay_alu instid0(SALU_CYCLE_1)
	s_and_not1_b32 s14, s99, exec_lo
	s_and_b32 s18, s26, exec_lo
	s_and_not1_b32 s19, s97, exec_lo
	s_and_b32 s16, s16, exec_lo
	v_mov_b32_e32 v41, v5
	s_or_b32 s99, s14, s18
	s_or_b32 s97, s19, s16
	s_and_not1_b32 s14, s101, exec_lo
	s_and_b32 s16, s25, exec_lo
	s_and_not1_b32 s18, s100, exec_lo
	s_and_b32 s19, s24, exec_lo
	s_mov_b32 s17, -1
	s_and_not1_b32 s98, s98, exec_lo
	s_or_b32 s101, s14, s16
	s_or_b32 s100, s18, s19
	s_and_saveexec_b32 s14, s15
	s_delay_alu instid0(SALU_CYCLE_1)
	s_xor_b32 s14, exec_lo, s14
	s_cbranch_execz .LBB20_5
; %bb.406:                              ;   in Loop: Header=BB20_6 Depth=1
	s_mov_b32 s15, -1
	s_mov_b32 s16, -1
	s_mov_b32 s17, exec_lo
	v_cmpx_eq_u32_e32 0, v2
	s_cbranch_execz .LBB20_4
; %bb.407:                              ;   in Loop: Header=BB20_6 Depth=1
	s_xor_b32 s91, s91, 1
	s_add_co_i32 s18, s95, -2
	s_cmp_eq_u32 s95, 0
	s_mov_b32 s95, s18
	s_cselect_b32 s15, -1, 0
	s_xor_b32 s16, exec_lo, -1
	s_or_not1_b32 s15, s15, exec_lo
	s_branch .LBB20_4
.LBB20_408:
	s_or_b32 exec_lo, exec_lo, s89
	s_xor_b32 s7, s96, -1
	s_xor_b32 s9, s93, -1
	;; [unrolled: 1-line block ×5, first 2 shown]
	s_mov_b32 s8, 0
	s_and_saveexec_b32 s12, s11
	s_delay_alu instid0(SALU_CYCLE_1)
	s_xor_b32 s12, exec_lo, s12
	s_cbranch_execnz .LBB20_413
; %bb.409:
	s_and_not1_saveexec_b32 s0, s12
	s_cbranch_execnz .LBB20_432
.LBB20_410:
	s_or_b32 exec_lo, exec_lo, s0
	s_and_saveexec_b32 s0, s8
.LBB20_411:
	; divergent unreachable
.LBB20_412:
	s_sendmsg sendmsg(MSG_DEALLOC_VGPRS)
	s_endpgm
.LBB20_413:
	s_and_saveexec_b32 s11, s10
	s_delay_alu instid0(SALU_CYCLE_1)
	s_xor_b32 s13, exec_lo, s11
	s_cbranch_execz .LBB20_430
; %bb.414:
	s_and_saveexec_b32 s10, s9
	s_delay_alu instid0(SALU_CYCLE_1)
	s_xor_b32 s14, exec_lo, s10
	s_cbranch_execz .LBB20_428
; %bb.415:
	;; [unrolled: 5-line block ×3, first 2 shown]
	s_and_saveexec_b32 s7, s6
	s_delay_alu instid0(SALU_CYCLE_1)
	s_xor_b32 s6, exec_lo, s7
; %bb.417:
	v_xor_b32_e32 v40, 0xffffff80, v32
; %bb.418:
	s_or_b32 exec_lo, exec_lo, s6
	s_and_saveexec_b32 s6, s5
; %bb.419:
	v_mov_b32_e32 v1, 0
	ds_store_b32 v1, v1 offset:4108
; %bb.420:
	s_or_b32 exec_lo, exec_lo, s6
	v_mov_b32_e32 v1, 0
	s_wait_dscnt 0x0
	s_barrier_signal -1
	s_barrier_wait -1
	s_and_saveexec_b32 s5, s4
	s_cbranch_execz .LBB20_422
; %bb.421:
	global_load_u8 v1, v[20:21], off
.LBB20_422:
	s_wait_xcnt 0x0
	s_or_b32 exec_lo, exec_lo, s5
	s_load_b64 s[10:11], s[0:1], 0x15c
	s_mul_i32 s6, s51, s64
	s_add_co_i32 s5, s36, 31
	s_sub_co_i32 s6, s40, s6
	s_and_not1_b32 s5, s5, 31
	s_add_co_i32 s7, s51, 1
	s_sub_co_i32 s8, s6, s64
	s_cmp_ge_u32 s6, s64
	s_clause 0x1
	s_load_b32 s16, s[0:1], 0x1c8
	s_load_b32 s17, s[0:1], 0x2a8
	s_cselect_b32 s7, s7, s51
	s_cselect_b32 s6, s8, s6
	s_add_co_i32 s8, s7, 1
	s_cmp_ge_u32 s6, s64
	s_mul_i32 s6, s35, s63
	s_cselect_b32 s7, s8, s7
	s_sub_co_i32 s6, s40, s6
	s_mul_i32 s8, s7, s64
	s_add_co_i32 s9, s35, 1
	s_sub_co_i32 s8, s40, s8
	v_readlane_b32 s18, v68, 2
	s_wait_kmcnt 0x0
	s_mul_i32 s7, s7, s10
	s_mul_i32 s8, s8, s11
	s_sub_co_i32 s11, s6, s63
	s_add_co_i32 s10, s7, s8
	s_cmp_ge_u32 s6, s63
	v_readlane_b32 s19, v68, 3
	s_cselect_b32 s7, s9, s35
	s_cselect_b32 s0, s11, s6
	s_add_co_i32 s1, s7, 1
	s_cmp_ge_u32 s0, s63
	v_readlane_b32 s8, v68, 0
	s_cselect_b32 s1, s1, s7
	v_readlane_b32 s9, v68, 1
	s_mul_i32 s6, s1, s63
	s_mov_b32 s11, 0
	s_sub_co_i32 s6, s40, s6
	s_mul_i32 s1, s1, s8
	s_mul_i32 s6, s6, s9
	s_mov_b32 s7, s11
	s_add_co_i32 s6, s1, s6
	v_cmp_gt_u32_e32 vcc_lo, s5, v0
	s_lshl_b64 s[8:9], s[6:7], 3
	v_readlane_b32 s6, v68, 4
	v_readlane_b32 s7, v68, 5
	s_mov_b32 s0, -1
	s_add_nc_u64 s[8:9], s[18:19], s[8:9]
	s_mov_b32 s1, 0
	s_add_nc_u64 s[6:7], s[6:7], s[10:11]
	s_and_saveexec_b32 s10, vcc_lo
	s_cbranch_execnz .LBB20_433
; %bb.423:
	s_or_b32 exec_lo, exec_lo, s10
	s_and_saveexec_b32 s3, s0
	s_cbranch_execnz .LBB20_448
.LBB20_424:
	s_or_b32 exec_lo, exec_lo, s3
	s_and_saveexec_b32 s0, s1
	s_delay_alu instid0(SALU_CYCLE_1)
	s_xor_b32 s0, exec_lo, s0
	s_cbranch_execnz .LBB20_471
.LBB20_425:
	s_or_b32 exec_lo, exec_lo, s0
	s_delay_alu instid0(SALU_CYCLE_1)
	s_and_b32 s8, s11, exec_lo
.LBB20_426:
	s_and_not1_saveexec_b32 s0, s15
	s_cbranch_execnz .LBB20_473
.LBB20_427:
	s_or_b32 exec_lo, exec_lo, s0
	s_delay_alu instid0(SALU_CYCLE_1)
	s_and_b32 s8, s8, exec_lo
.LBB20_428:
	s_and_not1_saveexec_b32 s0, s14
	s_cbranch_execnz .LBB20_472
.LBB20_429:
	s_or_b32 exec_lo, exec_lo, s0
	s_delay_alu instid0(SALU_CYCLE_1)
	s_and_b32 s8, s8, exec_lo
.LBB20_430:
	s_and_not1_saveexec_b32 s0, s13
	s_cbranch_execnz .LBB20_467
.LBB20_431:
	s_or_b32 exec_lo, exec_lo, s0
	s_delay_alu instid0(SALU_CYCLE_1)
	s_and_b32 s8, s8, exec_lo
	s_and_not1_saveexec_b32 s0, s12
	s_cbranch_execz .LBB20_410
.LBB20_432:
	s_or_b32 s8, s8, exec_lo
	s_trap 2
	s_or_b32 exec_lo, exec_lo, s0
	s_and_saveexec_b32 s0, s8
	s_cbranch_execnz .LBB20_411
	s_branch .LBB20_412
.LBB20_433:
	v_add_nc_u32_e32 v2, s41, v0
	v_bfe_i32 v3, v40, 0, 8
	s_mov_b32 s18, 0
                                        ; implicit-def: $sgpr19
                                        ; implicit-def: $vgpr8
	s_delay_alu instid0(VALU_DEP_1)
	v_add_nc_u32_e32 v5, 0x80, v3
	v_mov_b32_e32 v3, 0
	v_mul_lo_u32 v4, s62, v2
	v_mov_b32_e32 v2, v0
	s_branch .LBB20_435
.LBB20_434:                             ;   in Loop: Header=BB20_435 Depth=1
	s_or_b32 exec_lo, exec_lo, s21
	s_xor_b32 s0, s20, -1
	s_and_b32 s1, exec_lo, s1
	v_dual_mov_b32 v1, v7 :: v_dual_mov_b32 v2, v6
	s_or_b32 s18, s1, s18
	s_and_not1_b32 s1, s19, exec_lo
	s_and_b32 s0, s0, exec_lo
	s_delay_alu instid0(SALU_CYCLE_1)
	s_or_b32 s19, s1, s0
	s_and_not1_b32 exec_lo, exec_lo, s18
	s_cbranch_execz .LBB20_447
.LBB20_435:                             ; =>This Inner Loop Header: Depth=1
	s_delay_alu instid0(VALU_DEP_1) | instskip(SKIP_1) | instid1(VALU_DEP_1)
	v_dual_mov_b32 v7, 0 :: v_dual_add_nc_u32 v6, s41, v2
	s_mov_b32 s1, exec_lo
	v_cmpx_gt_u32_e64 s36, v6
	s_cbranch_execz .LBB20_437
; %bb.436:                              ;   in Loop: Header=BB20_435 Depth=1
	global_load_u8 v7, v4, s[38:39]
.LBB20_437:                             ;   in Loop: Header=BB20_435 Depth=1
	s_wait_xcnt 0x0
	s_or_b32 exec_lo, exec_lo, s1
	s_wait_loadcnt 0x0
	v_bfe_i32 v9, v1, 0, 8
	s_delay_alu instid0(VALU_DEP_1) | instskip(NEXT) | instid1(VALU_DEP_1)
	v_add_nc_u32_e32 v9, 0x80, v9
	v_cmp_gt_u32_e64 s0, v9, v5
	s_delay_alu instid0(VALU_DEP_1) | instskip(SKIP_1) | instid1(VALU_DEP_1)
	v_cndmask_b32_e64 v10, 0, 1, s0
	v_cmp_lt_u32_e64 s0, v9, v5
	v_cndmask_b32_e64 v9, 0, 1, s0
	v_cmp_gt_u32_e64 s0, s36, v2
	s_delay_alu instid0(VALU_DEP_2) | instskip(NEXT) | instid1(VALU_DEP_1)
	v_cndmask_b32_e64 v9, v9, v10, s3
	v_and_b32_e32 v9, 1, v9
	s_delay_alu instid0(VALU_DEP_1) | instskip(SKIP_1) | instid1(SALU_CYCLE_1)
	v_cmp_eq_u32_e64 s1, 1, v9
	s_and_b32 s20, s0, s1
	v_cndmask_b32_e64 v9, 0, 1, s20
	s_delay_alu instid0(VALU_DEP_1) | instskip(SKIP_2) | instid1(SALU_CYCLE_1)
	v_cmp_ne_u32_e64 s0, 0, v9
	s_cmp_lg_u32 s0, 0
	s_cselect_b32 s1, -1, 0
	s_and_b32 s1, s2, s1
	s_delay_alu instid0(SALU_CYCLE_1)
	s_and_saveexec_b32 s21, s1
	s_cbranch_execz .LBB20_441
; %bb.438:                              ;   in Loop: Header=BB20_435 Depth=1
	s_mov_b32 s24, exec_lo
	s_bcnt1_i32_b32 s22, s0
	s_wait_dscnt 0x0
	v_mbcnt_lo_u32_b32 v8, s24, 0
	s_mov_b32 s23, exec_lo
                                        ; implicit-def: $vgpr9
	s_delay_alu instid0(VALU_DEP_1)
	v_cmpx_eq_u32_e32 0, v8
; %bb.439:                              ;   in Loop: Header=BB20_435 Depth=1
	s_bcnt1_i32_b32 s1, s24
	s_delay_alu instid0(SALU_CYCLE_1) | instskip(NEXT) | instid1(SALU_CYCLE_1)
	s_mul_i32 s1, s22, s1
	v_mov_b32_e32 v9, s1
	ds_add_rtn_u32 v9, v3, v9 offset:4108
; %bb.440:                              ;   in Loop: Header=BB20_435 Depth=1
	s_or_b32 exec_lo, exec_lo, s23
	s_wait_dscnt 0x0
	v_readfirstlane_b32 s1, v9
	s_delay_alu instid0(VALU_DEP_1)
	v_mad_u32_u24 v8, s22, v8, s1
.LBB20_441:                             ;   in Loop: Header=BB20_435 Depth=1
	s_or_b32 exec_lo, exec_lo, s21
	s_wait_dscnt 0x0
	ds_bpermute_b32 v8, v3, v8
	s_mov_b32 s1, -1
	s_mov_b32 s22, -1
	s_and_saveexec_b32 s21, s20
	s_cbranch_execz .LBB20_445
; %bb.442:                              ;   in Loop: Header=BB20_435 Depth=1
	v_and_b32_e32 v9, s0, v18
	s_mov_b32 s20, 0
	s_mov_b32 s22, exec_lo
	s_wait_dscnt 0x0
	s_delay_alu instid0(VALU_DEP_1) | instskip(NEXT) | instid1(VALU_DEP_1)
	v_bcnt_u32_b32 v9, v9, v8
	v_cmpx_gt_u32_e64 s37, v9
; %bb.443:                              ;   in Loop: Header=BB20_435 Depth=1
	v_mul_lo_u32 v10, v9, s16
	v_mul_lo_u32 v9, v9, s17
	s_mov_b32 s20, exec_lo
	global_store_b8 v10, v1, s[6:7]
	global_store_b64 v9, v[2:3], s[8:9] scale_offset
; %bb.444:                              ;   in Loop: Header=BB20_435 Depth=1
	s_wait_xcnt 0x0
	s_or_b32 exec_lo, exec_lo, s22
	s_delay_alu instid0(SALU_CYCLE_1)
	s_or_not1_b32 s22, s20, exec_lo
.LBB20_445:                             ;   in Loop: Header=BB20_435 Depth=1
	s_or_b32 exec_lo, exec_lo, s21
	s_mov_b32 s20, -1
	s_and_saveexec_b32 s21, s22
	s_cbranch_execz .LBB20_434
; %bb.446:                              ;   in Loop: Header=BB20_435 Depth=1
	v_cmp_le_u32_e64 s0, s5, v6
	v_add_nc_u32_e32 v4, s50, v4
	s_xor_b32 s20, exec_lo, -1
	s_or_not1_b32 s1, s0, exec_lo
	s_branch .LBB20_434
.LBB20_447:
	s_or_b32 exec_lo, exec_lo, s18
	s_delay_alu instid0(SALU_CYCLE_1)
	s_mov_b32 s1, exec_lo
	s_or_not1_b32 s0, s19, exec_lo
	s_or_b32 exec_lo, exec_lo, s10
	s_and_saveexec_b32 s3, s0
	s_cbranch_execz .LBB20_424
.LBB20_448:
	v_mov_b32_e32 v7, 0
	s_wait_storecnt 0x0
	s_wait_loadcnt_dscnt 0x0
	s_barrier_signal -1
	s_barrier_wait -1
	s_and_saveexec_b32 s0, s4
	s_cbranch_execz .LBB20_450
; %bb.449:
	global_load_u8 v7, v[20:21], off
.LBB20_450:
	s_wait_xcnt 0x0
	s_or_b32 exec_lo, exec_lo, s0
	s_mov_b32 s0, 0
	s_and_saveexec_b32 s4, vcc_lo
	s_cbranch_execz .LBB20_470
; %bb.451:
	v_add_nc_u32_e32 v1, s41, v0
	v_and_b32_e32 v3, 0xff, v40
	s_mov_b32 s10, 0
                                        ; implicit-def: $sgpr11
                                        ; implicit-def: $vgpr6
	s_delay_alu instid0(VALU_DEP_2)
	v_mul_lo_u32 v2, s62, v1
	v_mov_b32_e32 v1, 0
	s_branch .LBB20_454
.LBB20_452:                             ;   in Loop: Header=BB20_454 Depth=1
	s_or_b32 exec_lo, exec_lo, s20
	s_delay_alu instid0(SALU_CYCLE_1)
	s_or_not1_b32 s20, s18, exec_lo
	s_or_not1_b32 s19, s19, exec_lo
.LBB20_453:                             ;   in Loop: Header=BB20_454 Depth=1
	s_or_b32 exec_lo, exec_lo, s0
	s_xor_b32 s0, s20, -1
	s_and_b32 s18, exec_lo, s19
	v_dual_mov_b32 v0, v4 :: v_dual_mov_b32 v7, v5
	s_or_b32 s10, s18, s10
	s_and_not1_b32 s11, s11, exec_lo
	s_and_b32 s0, s0, exec_lo
	s_delay_alu instid0(SALU_CYCLE_1)
	s_or_b32 s11, s11, s0
	s_and_not1_b32 exec_lo, exec_lo, s10
	s_cbranch_execz .LBB20_468
.LBB20_454:                             ; =>This Inner Loop Header: Depth=1
	v_dual_mov_b32 v5, 0 :: v_dual_add_nc_u32 v4, s41, v0
	s_mov_b32 s0, exec_lo
	s_delay_alu instid0(VALU_DEP_1)
	v_cmpx_gt_u32_e64 s36, v4
	s_cbranch_execz .LBB20_456
; %bb.455:                              ;   in Loop: Header=BB20_454 Depth=1
	global_load_u8 v5, v2, s[38:39]
.LBB20_456:                             ;   in Loop: Header=BB20_454 Depth=1
	s_wait_xcnt 0x0
	s_or_b32 exec_lo, exec_lo, s0
	s_wait_loadcnt 0x0
	v_and_b32_e32 v7, 0xff, v7
	v_cmp_gt_u32_e32 vcc_lo, s36, v0
	s_delay_alu instid0(VALU_DEP_2) | instskip(SKIP_1) | instid1(SALU_CYCLE_1)
	v_cmp_eq_u16_e64 s0, v7, v3
	s_and_b32 s18, vcc_lo, s0
	v_cndmask_b32_e64 v7, 0, 1, s18
	s_delay_alu instid0(VALU_DEP_1) | instskip(SKIP_2) | instid1(SALU_CYCLE_1)
	v_cmp_ne_u32_e32 vcc_lo, 0, v7
	s_cmp_lg_u32 vcc_lo, 0
	s_cselect_b32 s0, -1, 0
	s_and_b32 s0, s2, s0
	s_delay_alu instid0(SALU_CYCLE_1)
	s_and_saveexec_b32 s19, s0
	s_cbranch_execz .LBB20_460
; %bb.457:                              ;   in Loop: Header=BB20_454 Depth=1
	s_mov_b32 s22, exec_lo
	s_bcnt1_i32_b32 s20, vcc_lo
	v_mbcnt_lo_u32_b32 v6, s22, 0
	s_mov_b32 s21, exec_lo
                                        ; implicit-def: $vgpr7
	s_delay_alu instid0(VALU_DEP_1)
	v_cmpx_eq_u32_e32 0, v6
; %bb.458:                              ;   in Loop: Header=BB20_454 Depth=1
	s_bcnt1_i32_b32 s0, s22
	s_delay_alu instid0(SALU_CYCLE_1) | instskip(NEXT) | instid1(SALU_CYCLE_1)
	s_mul_i32 s0, s20, s0
	v_mov_b32_e32 v7, s0
	ds_add_rtn_u32 v7, v1, v7 offset:4108
; %bb.459:                              ;   in Loop: Header=BB20_454 Depth=1
	s_or_b32 exec_lo, exec_lo, s21
	s_wait_dscnt 0x0
	v_readfirstlane_b32 s0, v7
	s_delay_alu instid0(VALU_DEP_1)
	v_mad_u32_u24 v6, s20, v6, s0
.LBB20_460:                             ;   in Loop: Header=BB20_454 Depth=1
	s_or_b32 exec_lo, exec_lo, s19
	ds_bpermute_b32 v6, v1, v6
	s_cmp_eq_u32 vcc_lo, 0
	s_mov_b32 s19, -1
	s_cselect_b32 s20, -1, 0
	s_wait_dscnt 0x0
	v_cmp_gt_u32_e64 s0, s37, v6
	s_or_b32 s21, s20, s0
	s_mov_b32 s20, -1
	s_and_saveexec_b32 s0, s21
	s_cbranch_execz .LBB20_453
; %bb.461:                              ;   in Loop: Header=BB20_454 Depth=1
	v_and_b32_e32 v7, vcc_lo, v18
	v_sub_nc_u32_e32 v8, s37, v6
	s_mov_b32 s21, -1
	s_delay_alu instid0(VALU_DEP_2) | instskip(NEXT) | instid1(VALU_DEP_1)
	v_bcnt_u32_b32 v7, v7, 0
	v_bcnt_u32_b32 v7, 0, v7
	s_delay_alu instid0(VALU_DEP_1)
	v_cmp_gt_u32_e32 vcc_lo, v8, v7
	s_and_b32 s22, s18, vcc_lo
	s_mov_b32 s18, -1
	s_and_saveexec_b32 s20, s22
	s_cbranch_execz .LBB20_465
; %bb.462:                              ;   in Loop: Header=BB20_454 Depth=1
	v_add_nc_u32_e32 v7, v6, v7
	s_mov_b32 s21, 0
	s_mov_b32 s18, exec_lo
	s_delay_alu instid0(VALU_DEP_1)
	v_cmpx_gt_u32_e64 s37, v7
; %bb.463:                              ;   in Loop: Header=BB20_454 Depth=1
	v_mul_lo_u32 v8, v7, s16
	v_mul_lo_u32 v7, v7, s17
	s_mov_b32 s21, exec_lo
	global_store_b8 v8, v40, s[6:7]
	global_store_b64 v7, v[0:1], s[8:9] scale_offset
; %bb.464:                              ;   in Loop: Header=BB20_454 Depth=1
	s_wait_xcnt 0x0
	s_or_b32 exec_lo, exec_lo, s18
	s_delay_alu instid0(SALU_CYCLE_1)
	s_xor_b32 s18, exec_lo, -1
	s_or_not1_b32 s21, s21, exec_lo
.LBB20_465:                             ;   in Loop: Header=BB20_454 Depth=1
	s_or_b32 exec_lo, exec_lo, s20
	s_and_saveexec_b32 s20, s21
	s_cbranch_execz .LBB20_452
; %bb.466:                              ;   in Loop: Header=BB20_454 Depth=1
	v_cmp_le_u32_e32 vcc_lo, s5, v4
	v_add_nc_u32_e32 v2, s50, v2
	s_or_b32 s18, s18, exec_lo
	s_or_not1_b32 s19, vcc_lo, exec_lo
	s_branch .LBB20_452
.LBB20_467:
	s_or_b32 s8, s8, exec_lo
	s_trap 2
	s_branch .LBB20_431
.LBB20_468:
	s_or_b32 exec_lo, exec_lo, s10
	s_mov_b32 s0, 0
	s_and_saveexec_b32 s2, s11
	s_delay_alu instid0(SALU_CYCLE_1)
	s_xor_b32 s2, exec_lo, s2
	s_cbranch_execnz .LBB20_474
.LBB20_469:
	s_or_b32 exec_lo, exec_lo, s2
	s_delay_alu instid0(SALU_CYCLE_1)
	s_and_b32 s0, s0, exec_lo
.LBB20_470:
	s_or_b32 exec_lo, exec_lo, s4
	s_delay_alu instid0(SALU_CYCLE_1) | instskip(SKIP_3) | instid1(SALU_CYCLE_1)
	s_and_b32 s11, s0, exec_lo
	s_and_not1_b32 s1, s1, exec_lo
	s_or_b32 exec_lo, exec_lo, s3
	s_and_saveexec_b32 s0, s1
	s_xor_b32 s0, exec_lo, s0
	s_cbranch_execz .LBB20_425
.LBB20_471:
	s_or_b32 s11, s11, exec_lo
	s_trap 2
	s_branch .LBB20_425
.LBB20_472:
	s_or_b32 s8, s8, exec_lo
	s_trap 2
	s_branch .LBB20_429
.LBB20_473:
	s_or_b32 s8, s8, exec_lo
	s_trap 2
	s_branch .LBB20_427
.LBB20_474:
	s_mov_b32 s0, exec_lo
	s_trap 2
	s_branch .LBB20_469
	.section	.rodata,"a",@progbits
	.p2align	6, 0x0
	.amdhsa_kernel _ZN2at6native6sbtopk10gatherTopKIajLi2ELb0EEEvNS_4cuda6detail10TensorInfoIKT_T0_EES8_S8_bS8_S8_NS5_IS6_S8_EES8_NS5_IlS8_EES8_PS6_
		.amdhsa_group_segment_fixed_size 4112
		.amdhsa_private_segment_fixed_size 0
		.amdhsa_kernarg_size 952
		.amdhsa_user_sgpr_count 2
		.amdhsa_user_sgpr_dispatch_ptr 0
		.amdhsa_user_sgpr_queue_ptr 0
		.amdhsa_user_sgpr_kernarg_segment_ptr 1
		.amdhsa_user_sgpr_dispatch_id 0
		.amdhsa_user_sgpr_kernarg_preload_length 0
		.amdhsa_user_sgpr_kernarg_preload_offset 0
		.amdhsa_user_sgpr_private_segment_size 0
		.amdhsa_wavefront_size32 1
		.amdhsa_uses_dynamic_stack 0
		.amdhsa_enable_private_segment 0
		.amdhsa_system_sgpr_workgroup_id_x 1
		.amdhsa_system_sgpr_workgroup_id_y 1
		.amdhsa_system_sgpr_workgroup_id_z 1
		.amdhsa_system_sgpr_workgroup_info 0
		.amdhsa_system_vgpr_workitem_id 0
		.amdhsa_next_free_vgpr 69
		.amdhsa_next_free_sgpr 105
		.amdhsa_named_barrier_count 0
		.amdhsa_reserve_vcc 1
		.amdhsa_float_round_mode_32 0
		.amdhsa_float_round_mode_16_64 0
		.amdhsa_float_denorm_mode_32 3
		.amdhsa_float_denorm_mode_16_64 3
		.amdhsa_fp16_overflow 0
		.amdhsa_memory_ordered 1
		.amdhsa_forward_progress 1
		.amdhsa_inst_pref_size 134
		.amdhsa_round_robin_scheduling 0
		.amdhsa_exception_fp_ieee_invalid_op 0
		.amdhsa_exception_fp_denorm_src 0
		.amdhsa_exception_fp_ieee_div_zero 0
		.amdhsa_exception_fp_ieee_overflow 0
		.amdhsa_exception_fp_ieee_underflow 0
		.amdhsa_exception_fp_ieee_inexact 0
		.amdhsa_exception_int_div_zero 0
	.end_amdhsa_kernel
	.section	.text._ZN2at6native6sbtopk10gatherTopKIajLi2ELb0EEEvNS_4cuda6detail10TensorInfoIKT_T0_EES8_S8_bS8_S8_NS5_IS6_S8_EES8_NS5_IlS8_EES8_PS6_,"axG",@progbits,_ZN2at6native6sbtopk10gatherTopKIajLi2ELb0EEEvNS_4cuda6detail10TensorInfoIKT_T0_EES8_S8_bS8_S8_NS5_IS6_S8_EES8_NS5_IlS8_EES8_PS6_,comdat
.Lfunc_end20:
	.size	_ZN2at6native6sbtopk10gatherTopKIajLi2ELb0EEEvNS_4cuda6detail10TensorInfoIKT_T0_EES8_S8_bS8_S8_NS5_IS6_S8_EES8_NS5_IlS8_EES8_PS6_, .Lfunc_end20-_ZN2at6native6sbtopk10gatherTopKIajLi2ELb0EEEvNS_4cuda6detail10TensorInfoIKT_T0_EES8_S8_bS8_S8_NS5_IS6_S8_EES8_NS5_IlS8_EES8_PS6_
                                        ; -- End function
	.set _ZN2at6native6sbtopk10gatherTopKIajLi2ELb0EEEvNS_4cuda6detail10TensorInfoIKT_T0_EES8_S8_bS8_S8_NS5_IS6_S8_EES8_NS5_IlS8_EES8_PS6_.num_vgpr, 69
	.set _ZN2at6native6sbtopk10gatherTopKIajLi2ELb0EEEvNS_4cuda6detail10TensorInfoIKT_T0_EES8_S8_bS8_S8_NS5_IS6_S8_EES8_NS5_IlS8_EES8_PS6_.num_agpr, 0
	.set _ZN2at6native6sbtopk10gatherTopKIajLi2ELb0EEEvNS_4cuda6detail10TensorInfoIKT_T0_EES8_S8_bS8_S8_NS5_IS6_S8_EES8_NS5_IlS8_EES8_PS6_.numbered_sgpr, 105
	.set _ZN2at6native6sbtopk10gatherTopKIajLi2ELb0EEEvNS_4cuda6detail10TensorInfoIKT_T0_EES8_S8_bS8_S8_NS5_IS6_S8_EES8_NS5_IlS8_EES8_PS6_.num_named_barrier, 0
	.set _ZN2at6native6sbtopk10gatherTopKIajLi2ELb0EEEvNS_4cuda6detail10TensorInfoIKT_T0_EES8_S8_bS8_S8_NS5_IS6_S8_EES8_NS5_IlS8_EES8_PS6_.private_seg_size, 0
	.set _ZN2at6native6sbtopk10gatherTopKIajLi2ELb0EEEvNS_4cuda6detail10TensorInfoIKT_T0_EES8_S8_bS8_S8_NS5_IS6_S8_EES8_NS5_IlS8_EES8_PS6_.uses_vcc, 1
	.set _ZN2at6native6sbtopk10gatherTopKIajLi2ELb0EEEvNS_4cuda6detail10TensorInfoIKT_T0_EES8_S8_bS8_S8_NS5_IS6_S8_EES8_NS5_IlS8_EES8_PS6_.uses_flat_scratch, 0
	.set _ZN2at6native6sbtopk10gatherTopKIajLi2ELb0EEEvNS_4cuda6detail10TensorInfoIKT_T0_EES8_S8_bS8_S8_NS5_IS6_S8_EES8_NS5_IlS8_EES8_PS6_.has_dyn_sized_stack, 0
	.set _ZN2at6native6sbtopk10gatherTopKIajLi2ELb0EEEvNS_4cuda6detail10TensorInfoIKT_T0_EES8_S8_bS8_S8_NS5_IS6_S8_EES8_NS5_IlS8_EES8_PS6_.has_recursion, 0
	.set _ZN2at6native6sbtopk10gatherTopKIajLi2ELb0EEEvNS_4cuda6detail10TensorInfoIKT_T0_EES8_S8_bS8_S8_NS5_IS6_S8_EES8_NS5_IlS8_EES8_PS6_.has_indirect_call, 0
	.section	.AMDGPU.csdata,"",@progbits
; Kernel info:
; codeLenInByte = 17092
; TotalNumSgprs: 107
; NumVgprs: 69
; ScratchSize: 0
; MemoryBound: 0
; FloatMode: 240
; IeeeMode: 1
; LDSByteSize: 4112 bytes/workgroup (compile time only)
; SGPRBlocks: 0
; VGPRBlocks: 4
; NumSGPRsForWavesPerEU: 107
; NumVGPRsForWavesPerEU: 69
; NamedBarCnt: 0
; Occupancy: 12
; WaveLimiterHint : 1
; COMPUTE_PGM_RSRC2:SCRATCH_EN: 0
; COMPUTE_PGM_RSRC2:USER_SGPR: 2
; COMPUTE_PGM_RSRC2:TRAP_HANDLER: 0
; COMPUTE_PGM_RSRC2:TGID_X_EN: 1
; COMPUTE_PGM_RSRC2:TGID_Y_EN: 1
; COMPUTE_PGM_RSRC2:TGID_Z_EN: 1
; COMPUTE_PGM_RSRC2:TIDIG_COMP_CNT: 0
	.section	.text._ZN2at6native6mbtopk23computeBlockDigitCountsIajjLi3EEEvNS_4cuda6detail10TensorInfoIKT_T0_EEjPjjS8_iijT1_PSB_Ps,"axG",@progbits,_ZN2at6native6mbtopk23computeBlockDigitCountsIajjLi3EEEvNS_4cuda6detail10TensorInfoIKT_T0_EEjPjjS8_iijT1_PSB_Ps,comdat
	.protected	_ZN2at6native6mbtopk23computeBlockDigitCountsIajjLi3EEEvNS_4cuda6detail10TensorInfoIKT_T0_EEjPjjS8_iijT1_PSB_Ps ; -- Begin function _ZN2at6native6mbtopk23computeBlockDigitCountsIajjLi3EEEvNS_4cuda6detail10TensorInfoIKT_T0_EEjPjjS8_iijT1_PSB_Ps
	.globl	_ZN2at6native6mbtopk23computeBlockDigitCountsIajjLi3EEEvNS_4cuda6detail10TensorInfoIKT_T0_EEjPjjS8_iijT1_PSB_Ps
	.p2align	8
	.type	_ZN2at6native6mbtopk23computeBlockDigitCountsIajjLi3EEEvNS_4cuda6detail10TensorInfoIKT_T0_EEjPjjS8_iijT1_PSB_Ps,@function
_ZN2at6native6mbtopk23computeBlockDigitCountsIajjLi3EEEvNS_4cuda6detail10TensorInfoIKT_T0_EEjPjjS8_iijT1_PSB_Ps: ; @_ZN2at6native6mbtopk23computeBlockDigitCountsIajjLi3EEEvNS_4cuda6detail10TensorInfoIKT_T0_EEjPjjS8_iijT1_PSB_Ps
; %bb.0:
	s_load_b64 s[2:3], s[0:1], 0xf8
	s_bfe_u32 s4, ttmp6, 0x40010
	s_and_b32 s10, ttmp7, 0xffff
	s_add_co_i32 s4, s4, 1
	s_bfe_u32 s5, ttmp6, 0x40004
	s_mul_i32 s4, s10, s4
	s_load_b64 s[8:9], s[0:1], 0x110
	s_add_co_i32 s11, s5, s4
	s_bfe_u32 s6, ttmp6, 0x4000c
	s_bfe_u32 s7, ttmp6, 0x40014
	s_add_co_i32 s6, s6, 1
	s_and_b32 s5, ttmp6, 15
	s_mul_i32 s6, ttmp9, s6
	s_add_co_i32 s7, s7, 1
	s_add_co_i32 s12, s5, s6
	s_bfe_u32 s6, ttmp6, 0x40008
	s_mov_b32 s15, 0
	s_wait_kmcnt 0x0
	s_cvt_f32_u32 s4, s2
	s_delay_alu instid0(SALU_CYCLE_3) | instskip(SKIP_1) | instid1(SALU_CYCLE_1)
	v_rcp_iflag_f32_e32 v1, s4
	s_lshr_b32 s4, ttmp7, 16
	s_mul_i32 s5, s4, s7
	s_getreg_b32 s7, hwreg(HW_REG_IB_STS2, 6, 4)
	s_add_co_i32 s6, s6, s5
	s_cmp_eq_u32 s7, 0
	v_nop
	v_readfirstlane_b32 s13, v1
	s_cselect_b32 s14, s4, s6
	s_load_b128 s[4:7], s[0:1], 0xe8
	s_mul_i32 s9, s9, s14
	s_cselect_b32 s12, ttmp9, s12
	s_mul_f32 s13, s13, 0x4f7ffffe
	s_cselect_b32 s10, s10, s11
	s_sub_co_i32 s11, 0, s2
	s_add_co_i32 s9, s9, s10
	s_cvt_u32_f32 s13, s13
	s_mul_i32 s18, s9, s8
	s_delay_alu instid0(SALU_CYCLE_1) | instskip(NEXT) | instid1(SALU_CYCLE_1)
	s_add_co_i32 s18, s18, s12
	s_mul_i32 s11, s11, s13
	s_delay_alu instid0(SALU_CYCLE_1) | instskip(NEXT) | instid1(SALU_CYCLE_1)
	s_mul_hi_u32 s8, s13, s11
	s_add_co_i32 s13, s13, s8
	s_delay_alu instid0(SALU_CYCLE_1) | instskip(NEXT) | instid1(SALU_CYCLE_1)
	s_mul_hi_u32 s8, s18, s13
	s_mul_i32 s9, s8, s2
	s_add_co_i32 s10, s8, 1
	s_sub_co_i32 s9, s18, s9
	s_delay_alu instid0(SALU_CYCLE_1)
	s_sub_co_i32 s11, s9, s2
	s_cmp_ge_u32 s9, s2
	s_cselect_b32 s8, s10, s8
	s_cselect_b32 s9, s11, s9
	s_add_co_i32 s10, s8, 1
	s_cmp_ge_u32 s9, s2
	s_cselect_b32 s20, s10, s8
	s_wait_kmcnt 0x0
	s_cmp_ge_u32 s20, s4
	s_cbranch_scc1 .LBB21_27
; %bb.1:
	s_load_b64 s[16:17], s[0:1], 0xc
	v_cmp_gt_u32_e32 vcc_lo, 0x100, v0
	s_wait_kmcnt 0x0
	s_cvt_f32_u32 s4, s17
	s_sub_co_i32 s8, 0, s17
	s_cvt_f32_u32 s9, s16
	s_delay_alu instid0(SALU_CYCLE_1) | instskip(SKIP_1) | instid1(TRANS32_DEP_1)
	v_rcp_iflag_f32_e32 v1, s4
	v_nop
	v_readfirstlane_b32 s4, v1
	v_rcp_iflag_f32_e32 v1, s9
	s_mul_f32 s4, s4, 0x4f7ffffe
	v_nop
	s_delay_alu instid0(TRANS32_DEP_1) | instskip(NEXT) | instid1(SALU_CYCLE_1)
	v_readfirstlane_b32 s21, v1
	s_cvt_u32_f32 s4, s4
	v_lshlrev_b32_e32 v1, 2, v0
	s_delay_alu instid0(SALU_CYCLE_2) | instskip(NEXT) | instid1(SALU_CYCLE_1)
	s_mul_i32 s8, s8, s4
	s_mul_hi_u32 s8, s4, s8
	s_delay_alu instid0(SALU_CYCLE_1) | instskip(NEXT) | instid1(SALU_CYCLE_1)
	s_add_co_i32 s4, s4, s8
	s_mul_hi_u32 s4, s20, s4
	s_delay_alu instid0(SALU_CYCLE_1) | instskip(SKIP_2) | instid1(SALU_CYCLE_1)
	s_mul_i32 s8, s4, s17
	s_add_co_i32 s9, s4, 1
	s_sub_co_i32 s8, s20, s8
	s_sub_co_i32 s10, s8, s17
	s_cmp_ge_u32 s8, s17
	s_cselect_b32 s4, s9, s4
	s_cselect_b32 s8, s10, s8
	s_add_co_i32 s9, s4, 1
	s_cmp_ge_u32 s8, s17
	s_cselect_b32 s14, s9, s4
	s_and_saveexec_b32 s4, vcc_lo
; %bb.2:
	v_mov_b32_e32 v2, 0
	ds_store_b32 v1, v2
; %bb.3:
	s_or_b32 exec_lo, exec_lo, s4
	s_clause 0x1
	s_load_b32 s4, s[0:1], 0xd8
	s_load_b128 s[8:11], s[0:1], 0x100
	s_mul_i32 s12, s20, s2
	s_mov_b32 s13, 0
	s_sub_co_i32 s24, s18, s12
	s_wait_dscnt 0x0
	s_mul_i32 s12, s7, s24
	s_add_co_i32 s24, s24, 1
	s_lshl_b32 s19, s12, 8
	s_barrier_signal -1
	s_barrier_wait -1
	s_wait_kmcnt 0x0
	s_sub_co_i32 s12, s4, s19
	s_delay_alu instid0(SALU_CYCLE_1) | instskip(NEXT) | instid1(SALU_CYCLE_1)
	s_add_nc_u64 s[22:23], s[12:13], 0xff
	s_lshr_b64 s[22:23], s[22:23], 8
	s_cmp_lt_u32 s24, s2
	s_cselect_b32 s2, s7, s22
	s_delay_alu instid0(SALU_CYCLE_1)
	s_cmp_lt_i32 s2, 1
	s_cbranch_scc1 .LBB21_25
; %bb.4:
	s_mul_f32 s7, s21, 0x4f7ffffe
	s_sub_co_i32 s12, 0, s16
	s_mov_b32 s23, s15
	s_clause 0x1
	s_load_b96 s[24:26], s[0:1], 0x6c
	s_load_b64 s[28:29], s[0:1], 0x0
	s_cvt_u32_f32 s7, s7
	s_wait_xcnt 0x0
	s_mul_i32 s0, s14, s17
	s_delay_alu instid0(SALU_CYCLE_1) | instskip(SKIP_1) | instid1(SALU_CYCLE_1)
	s_sub_co_i32 s0, s20, s0
	s_mul_i32 s12, s12, s7
	s_mul_hi_u32 s12, s7, s12
	s_delay_alu instid0(SALU_CYCLE_1) | instskip(NEXT) | instid1(SALU_CYCLE_1)
	s_add_co_i32 s22, s7, s12
	s_mul_u64 s[22:23], s[14:15], s[22:23]
	s_delay_alu instid0(SALU_CYCLE_1)
	s_mul_i32 s1, s23, s16
	s_add_co_i32 s12, s23, 1
	s_sub_co_i32 s7, s14, s1
	s_load_b32 s1, s[8:9], s20 offset:0x0 scale_offset
	s_sub_co_i32 s15, s7, s16
	s_cmp_ge_u32 s7, s16
	s_wait_kmcnt 0x0
	s_mul_i32 s0, s0, s26
	s_cselect_b32 s8, s12, s23
	s_cselect_b32 s7, s15, s7
	s_add_co_i32 s9, s8, 1
	s_cmp_ge_u32 s7, s16
	s_cselect_b32 s7, s9, s8
	s_delay_alu instid0(SALU_CYCLE_1) | instskip(SKIP_2) | instid1(SALU_CYCLE_1)
	s_mul_i32 s8, s7, s16
	s_mul_i32 s7, s7, s24
	s_sub_co_i32 s8, s14, s8
	s_mul_i32 s8, s8, s25
	s_delay_alu instid0(SALU_CYCLE_1)
	s_add_co_i32 s0, s8, s0
	s_and_b32 s8, s6, 0xff
	s_add_co_i32 s12, s0, s7
	s_cmp_lt_u32 s2, 4
	s_add_nc_u64 s[6:7], s[28:29], s[12:13]
	s_cbranch_scc1 .LBB21_19
; %bb.5:
	v_dual_mov_b32 v7, 1 :: v_dual_add_nc_u32 v6, s19, v0
	s_and_b32 s13, s2, 0x7ffffffc
	s_lshl_b32 s9, s5, 10
	s_mov_b32 s12, 0
	s_delay_alu instid0(VALU_DEP_1)
	v_add_nc_u32_e32 v2, 0x300, v6
	v_add_nc_u32_e32 v4, 0x200, v6
	;; [unrolled: 1-line block ×3, first 2 shown]
	v_mul_lo_u32 v6, s5, v6
	s_mov_b32 s14, 0
	v_mul_lo_u32 v3, s5, v2
	v_mul_lo_u32 v4, s5, v4
	;; [unrolled: 1-line block ×3, first 2 shown]
	s_branch .LBB21_7
.LBB21_6:                               ;   in Loop: Header=BB21_7 Depth=1
	s_or_b32 exec_lo, exec_lo, s15
	v_add_nc_u32_e32 v2, 0x400, v2
	s_add_co_i32 s14, s14, 4
	s_add_co_i32 s12, s12, s9
	s_cmp_eq_u32 s13, s14
	s_cbranch_scc1 .LBB21_19
.LBB21_7:                               ; =>This Inner Loop Header: Depth=1
	v_add_nc_u32_e32 v8, 0xfffffd00, v2
	s_mov_b32 s15, exec_lo
	s_delay_alu instid0(VALU_DEP_1)
	v_cmpx_gt_u32_e64 s4, v8
	s_cbranch_execz .LBB21_10
; %bb.8:                                ;   in Loop: Header=BB21_7 Depth=1
	v_add_nc_u32_e32 v8, s12, v6
	global_load_i8 v8, v8, s[6:7]
	s_wait_loadcnt 0x0
	s_wait_xcnt 0x0
	v_add_nc_u32_e32 v8, 0x80, v8
	s_delay_alu instid0(VALU_DEP_1) | instskip(NEXT) | instid1(VALU_DEP_1)
	v_bitop3_b32 v9, v8, s3, s1 bitop3:0x48
	v_cmp_eq_u32_e64 s0, 0, v9
	s_and_b32 exec_lo, exec_lo, s0
; %bb.9:                                ;   in Loop: Header=BB21_7 Depth=1
	v_lshrrev_b32_e32 v8, s8, v8
	s_delay_alu instid0(VALU_DEP_1)
	v_lshlrev_b32_e32 v8, 2, v8
	ds_add_u32 v8, v7
.LBB21_10:                              ;   in Loop: Header=BB21_7 Depth=1
	s_or_b32 exec_lo, exec_lo, s15
	v_add_nc_u32_e32 v8, 0xfffffe00, v2
	s_mov_b32 s15, exec_lo
	s_delay_alu instid0(VALU_DEP_1)
	v_cmpx_gt_u32_e64 s4, v8
	s_cbranch_execz .LBB21_13
; %bb.11:                               ;   in Loop: Header=BB21_7 Depth=1
	v_add_nc_u32_e32 v8, s12, v5
	global_load_i8 v8, v8, s[6:7]
	s_wait_loadcnt 0x0
	v_add_nc_u32_e32 v8, 0x80, v8
	s_delay_alu instid0(VALU_DEP_1) | instskip(NEXT) | instid1(VALU_DEP_1)
	v_bitop3_b32 v9, v8, s3, s1 bitop3:0x48
	v_cmp_eq_u32_e64 s0, 0, v9
	s_and_b32 exec_lo, exec_lo, s0
; %bb.12:                               ;   in Loop: Header=BB21_7 Depth=1
	v_lshrrev_b32_e32 v8, s8, v8
	s_delay_alu instid0(VALU_DEP_1)
	v_lshlrev_b32_e32 v8, 2, v8
	ds_add_u32 v8, v7
.LBB21_13:                              ;   in Loop: Header=BB21_7 Depth=1
	s_or_b32 exec_lo, exec_lo, s15
	v_add_nc_u32_e32 v8, 0xffffff00, v2
	s_mov_b32 s15, exec_lo
	s_delay_alu instid0(VALU_DEP_1)
	v_cmpx_gt_u32_e64 s4, v8
	s_cbranch_execz .LBB21_16
; %bb.14:                               ;   in Loop: Header=BB21_7 Depth=1
	v_add_nc_u32_e32 v8, s12, v4
	global_load_i8 v8, v8, s[6:7]
	s_wait_loadcnt 0x0
	v_add_nc_u32_e32 v8, 0x80, v8
	s_delay_alu instid0(VALU_DEP_1) | instskip(NEXT) | instid1(VALU_DEP_1)
	v_bitop3_b32 v9, v8, s3, s1 bitop3:0x48
	v_cmp_eq_u32_e64 s0, 0, v9
	s_and_b32 exec_lo, exec_lo, s0
; %bb.15:                               ;   in Loop: Header=BB21_7 Depth=1
	v_lshrrev_b32_e32 v8, s8, v8
	s_delay_alu instid0(VALU_DEP_1)
	v_lshlrev_b32_e32 v8, 2, v8
	ds_add_u32 v8, v7
.LBB21_16:                              ;   in Loop: Header=BB21_7 Depth=1
	s_or_b32 exec_lo, exec_lo, s15
	s_delay_alu instid0(SALU_CYCLE_1)
	s_mov_b32 s15, exec_lo
	v_cmpx_gt_u32_e64 s4, v2
	s_cbranch_execz .LBB21_6
; %bb.17:                               ;   in Loop: Header=BB21_7 Depth=1
	v_add_nc_u32_e32 v8, s12, v3
	global_load_i8 v8, v8, s[6:7]
	s_wait_loadcnt 0x0
	v_add_nc_u32_e32 v8, 0x80, v8
	s_delay_alu instid0(VALU_DEP_1) | instskip(NEXT) | instid1(VALU_DEP_1)
	v_bitop3_b32 v9, v8, s3, s1 bitop3:0x48
	v_cmp_eq_u32_e64 s0, 0, v9
	s_and_b32 exec_lo, exec_lo, s0
	s_cbranch_execz .LBB21_6
; %bb.18:                               ;   in Loop: Header=BB21_7 Depth=1
	v_lshrrev_b32_e32 v8, s8, v8
	s_delay_alu instid0(VALU_DEP_1)
	v_lshlrev_b32_e32 v8, 2, v8
	ds_add_u32 v8, v7
	s_branch .LBB21_6
.LBB21_19:
	s_and_b32 s2, s2, 3
	s_delay_alu instid0(SALU_CYCLE_1)
	s_cmp_eq_u32 s2, 0
	s_cbranch_scc1 .LBB21_25
; %bb.20:
	s_lshl_b32 s0, s13, 8
	v_mov_b32_e32 v4, 1
	v_add3_u32 v2, s0, s19, v0
	s_delay_alu instid0(VALU_DEP_1)
	v_mul_lo_u32 v3, s5, v2
	s_lshl_b32 s5, s5, 8
	s_branch .LBB21_22
.LBB21_21:                              ;   in Loop: Header=BB21_22 Depth=1
	s_or_b32 exec_lo, exec_lo, s9
	s_delay_alu instid0(VALU_DEP_2) | instskip(SKIP_2) | instid1(SALU_CYCLE_1)
	v_add_nc_u32_e32 v3, s5, v3
	v_add_nc_u32_e32 v2, 0x100, v2
	s_add_co_i32 s2, s2, -1
	s_cmp_lg_u32 s2, 0
	s_cbranch_scc0 .LBB21_25
.LBB21_22:                              ; =>This Inner Loop Header: Depth=1
	s_mov_b32 s9, exec_lo
	v_cmpx_gt_u32_e64 s4, v2
	s_cbranch_execz .LBB21_21
; %bb.23:                               ;   in Loop: Header=BB21_22 Depth=1
	global_load_i8 v5, v3, s[6:7]
	s_wait_loadcnt 0x0
	v_add_nc_u32_e32 v5, 0x80, v5
	s_delay_alu instid0(VALU_DEP_1) | instskip(NEXT) | instid1(VALU_DEP_1)
	v_bitop3_b32 v6, v5, s3, s1 bitop3:0x48
	v_cmp_eq_u32_e64 s0, 0, v6
	s_and_b32 exec_lo, exec_lo, s0
	s_cbranch_execz .LBB21_21
; %bb.24:                               ;   in Loop: Header=BB21_22 Depth=1
	v_lshrrev_b32_e32 v5, s8, v5
	s_delay_alu instid0(VALU_DEP_1)
	v_lshlrev_b32_e32 v5, 2, v5
	ds_add_u32 v5, v4
	s_branch .LBB21_21
.LBB21_25:
	s_wait_dscnt 0x0
	s_barrier_signal -1
	s_barrier_wait -1
	s_and_saveexec_b32 s0, vcc_lo
	s_cbranch_execz .LBB21_27
; %bb.26:
	ds_load_b32 v1, v1
	v_lshl_or_b32 v0, s18, 8, v0
	s_wait_dscnt 0x0
	global_store_b16 v0, v1, s[10:11] scale_offset
.LBB21_27:
	s_endpgm
	.section	.rodata,"a",@progbits
	.p2align	6, 0x0
	.amdhsa_kernel _ZN2at6native6mbtopk23computeBlockDigitCountsIajjLi3EEEvNS_4cuda6detail10TensorInfoIKT_T0_EEjPjjS8_iijT1_PSB_Ps
		.amdhsa_group_segment_fixed_size 1024
		.amdhsa_private_segment_fixed_size 0
		.amdhsa_kernarg_size 528
		.amdhsa_user_sgpr_count 2
		.amdhsa_user_sgpr_dispatch_ptr 0
		.amdhsa_user_sgpr_queue_ptr 0
		.amdhsa_user_sgpr_kernarg_segment_ptr 1
		.amdhsa_user_sgpr_dispatch_id 0
		.amdhsa_user_sgpr_kernarg_preload_length 0
		.amdhsa_user_sgpr_kernarg_preload_offset 0
		.amdhsa_user_sgpr_private_segment_size 0
		.amdhsa_wavefront_size32 1
		.amdhsa_uses_dynamic_stack 0
		.amdhsa_enable_private_segment 0
		.amdhsa_system_sgpr_workgroup_id_x 1
		.amdhsa_system_sgpr_workgroup_id_y 1
		.amdhsa_system_sgpr_workgroup_id_z 1
		.amdhsa_system_sgpr_workgroup_info 0
		.amdhsa_system_vgpr_workitem_id 0
		.amdhsa_next_free_vgpr 10
		.amdhsa_next_free_sgpr 30
		.amdhsa_named_barrier_count 0
		.amdhsa_reserve_vcc 1
		.amdhsa_float_round_mode_32 0
		.amdhsa_float_round_mode_16_64 0
		.amdhsa_float_denorm_mode_32 3
		.amdhsa_float_denorm_mode_16_64 3
		.amdhsa_fp16_overflow 0
		.amdhsa_memory_ordered 1
		.amdhsa_forward_progress 1
		.amdhsa_inst_pref_size 12
		.amdhsa_round_robin_scheduling 0
		.amdhsa_exception_fp_ieee_invalid_op 0
		.amdhsa_exception_fp_denorm_src 0
		.amdhsa_exception_fp_ieee_div_zero 0
		.amdhsa_exception_fp_ieee_overflow 0
		.amdhsa_exception_fp_ieee_underflow 0
		.amdhsa_exception_fp_ieee_inexact 0
		.amdhsa_exception_int_div_zero 0
	.end_amdhsa_kernel
	.section	.text._ZN2at6native6mbtopk23computeBlockDigitCountsIajjLi3EEEvNS_4cuda6detail10TensorInfoIKT_T0_EEjPjjS8_iijT1_PSB_Ps,"axG",@progbits,_ZN2at6native6mbtopk23computeBlockDigitCountsIajjLi3EEEvNS_4cuda6detail10TensorInfoIKT_T0_EEjPjjS8_iijT1_PSB_Ps,comdat
.Lfunc_end21:
	.size	_ZN2at6native6mbtopk23computeBlockDigitCountsIajjLi3EEEvNS_4cuda6detail10TensorInfoIKT_T0_EEjPjjS8_iijT1_PSB_Ps, .Lfunc_end21-_ZN2at6native6mbtopk23computeBlockDigitCountsIajjLi3EEEvNS_4cuda6detail10TensorInfoIKT_T0_EEjPjjS8_iijT1_PSB_Ps
                                        ; -- End function
	.set _ZN2at6native6mbtopk23computeBlockDigitCountsIajjLi3EEEvNS_4cuda6detail10TensorInfoIKT_T0_EEjPjjS8_iijT1_PSB_Ps.num_vgpr, 10
	.set _ZN2at6native6mbtopk23computeBlockDigitCountsIajjLi3EEEvNS_4cuda6detail10TensorInfoIKT_T0_EEjPjjS8_iijT1_PSB_Ps.num_agpr, 0
	.set _ZN2at6native6mbtopk23computeBlockDigitCountsIajjLi3EEEvNS_4cuda6detail10TensorInfoIKT_T0_EEjPjjS8_iijT1_PSB_Ps.numbered_sgpr, 30
	.set _ZN2at6native6mbtopk23computeBlockDigitCountsIajjLi3EEEvNS_4cuda6detail10TensorInfoIKT_T0_EEjPjjS8_iijT1_PSB_Ps.num_named_barrier, 0
	.set _ZN2at6native6mbtopk23computeBlockDigitCountsIajjLi3EEEvNS_4cuda6detail10TensorInfoIKT_T0_EEjPjjS8_iijT1_PSB_Ps.private_seg_size, 0
	.set _ZN2at6native6mbtopk23computeBlockDigitCountsIajjLi3EEEvNS_4cuda6detail10TensorInfoIKT_T0_EEjPjjS8_iijT1_PSB_Ps.uses_vcc, 1
	.set _ZN2at6native6mbtopk23computeBlockDigitCountsIajjLi3EEEvNS_4cuda6detail10TensorInfoIKT_T0_EEjPjjS8_iijT1_PSB_Ps.uses_flat_scratch, 0
	.set _ZN2at6native6mbtopk23computeBlockDigitCountsIajjLi3EEEvNS_4cuda6detail10TensorInfoIKT_T0_EEjPjjS8_iijT1_PSB_Ps.has_dyn_sized_stack, 0
	.set _ZN2at6native6mbtopk23computeBlockDigitCountsIajjLi3EEEvNS_4cuda6detail10TensorInfoIKT_T0_EEjPjjS8_iijT1_PSB_Ps.has_recursion, 0
	.set _ZN2at6native6mbtopk23computeBlockDigitCountsIajjLi3EEEvNS_4cuda6detail10TensorInfoIKT_T0_EEjPjjS8_iijT1_PSB_Ps.has_indirect_call, 0
	.section	.AMDGPU.csdata,"",@progbits
; Kernel info:
; codeLenInByte = 1504
; TotalNumSgprs: 32
; NumVgprs: 10
; ScratchSize: 0
; MemoryBound: 0
; FloatMode: 240
; IeeeMode: 1
; LDSByteSize: 1024 bytes/workgroup (compile time only)
; SGPRBlocks: 0
; VGPRBlocks: 0
; NumSGPRsForWavesPerEU: 32
; NumVGPRsForWavesPerEU: 10
; NamedBarCnt: 0
; Occupancy: 16
; WaveLimiterHint : 1
; COMPUTE_PGM_RSRC2:SCRATCH_EN: 0
; COMPUTE_PGM_RSRC2:USER_SGPR: 2
; COMPUTE_PGM_RSRC2:TRAP_HANDLER: 0
; COMPUTE_PGM_RSRC2:TGID_X_EN: 1
; COMPUTE_PGM_RSRC2:TGID_Y_EN: 1
; COMPUTE_PGM_RSRC2:TGID_Z_EN: 1
; COMPUTE_PGM_RSRC2:TIDIG_COMP_CNT: 0
	.section	.text._ZN2at6native6mbtopk10gatherTopKIajLi3EEEvNS_4cuda6detail10TensorInfoIKT_T0_EES8_S8_bjS8_NS5_IS6_S8_EES8_NS5_IlS8_EES8_jjPS6_PjSD_j,"axG",@progbits,_ZN2at6native6mbtopk10gatherTopKIajLi3EEEvNS_4cuda6detail10TensorInfoIKT_T0_EES8_S8_bjS8_NS5_IS6_S8_EES8_NS5_IlS8_EES8_jjPS6_PjSD_j,comdat
	.protected	_ZN2at6native6mbtopk10gatherTopKIajLi3EEEvNS_4cuda6detail10TensorInfoIKT_T0_EES8_S8_bjS8_NS5_IS6_S8_EES8_NS5_IlS8_EES8_jjPS6_PjSD_j ; -- Begin function _ZN2at6native6mbtopk10gatherTopKIajLi3EEEvNS_4cuda6detail10TensorInfoIKT_T0_EES8_S8_bjS8_NS5_IS6_S8_EES8_NS5_IlS8_EES8_jjPS6_PjSD_j
	.globl	_ZN2at6native6mbtopk10gatherTopKIajLi3EEEvNS_4cuda6detail10TensorInfoIKT_T0_EES8_S8_bjS8_NS5_IS6_S8_EES8_NS5_IlS8_EES8_jjPS6_PjSD_j
	.p2align	8
	.type	_ZN2at6native6mbtopk10gatherTopKIajLi3EEEvNS_4cuda6detail10TensorInfoIKT_T0_EES8_S8_bjS8_NS5_IS6_S8_EES8_NS5_IlS8_EES8_jjPS6_PjSD_j,@function
_ZN2at6native6mbtopk10gatherTopKIajLi3EEEvNS_4cuda6detail10TensorInfoIKT_T0_EES8_S8_bjS8_NS5_IS6_S8_EES8_NS5_IlS8_EES8_jjPS6_PjSD_j: ; @_ZN2at6native6mbtopk10gatherTopKIajLi3EEEvNS_4cuda6detail10TensorInfoIKT_T0_EES8_S8_bjS8_NS5_IS6_S8_EES8_NS5_IlS8_EES8_jjPS6_PjSD_j
; %bb.0:
	s_bfe_u32 s2, ttmp6, 0x40010
	s_and_b32 s4, ttmp7, 0xffff
	s_add_co_i32 s5, s2, 1
	s_clause 0x1
	s_load_b32 s6, s[0:1], 0x2d0
	s_load_b64 s[2:3], s[0:1], 0x2d8
	s_bfe_u32 s8, ttmp6, 0x4000c
	s_mul_i32 s5, s4, s5
	s_bfe_u32 s7, ttmp6, 0x40004
	s_add_co_i32 s8, s8, 1
	s_bfe_u32 s9, ttmp6, 0x40014
	s_add_co_i32 s7, s7, s5
	s_and_b32 s5, ttmp6, 15
	s_mul_i32 s8, ttmp9, s8
	s_lshr_b32 s10, ttmp7, 16
	s_add_co_i32 s9, s9, 1
	s_add_co_i32 s5, s5, s8
	s_mul_i32 s8, s10, s9
	s_bfe_u32 s9, ttmp6, 0x40008
	s_getreg_b32 s11, hwreg(HW_REG_IB_STS2, 6, 4)
	s_add_co_i32 s9, s9, s8
	s_cmp_eq_u32 s11, 0
	s_mov_b32 s25, 0
	s_cselect_b32 s8, s10, s9
	s_cselect_b32 s4, s4, s7
	s_wait_kmcnt 0x0
	s_mul_i32 s3, s3, s8
	s_cselect_b32 s5, ttmp9, s5
	s_add_co_i32 s3, s3, s4
	s_delay_alu instid0(SALU_CYCLE_1) | instskip(NEXT) | instid1(SALU_CYCLE_1)
	s_mul_i32 s2, s3, s2
	s_add_co_i32 s2, s2, s5
	s_delay_alu instid0(SALU_CYCLE_1)
	s_cmp_ge_u32 s2, s6
	s_cbranch_scc1 .LBB22_40
; %bb.1:
	s_clause 0x4
	s_load_b96 s[12:14], s[0:1], 0x2a8
	s_load_b128 s[4:7], s[0:1], 0x2b8
	s_load_b64 s[30:31], s[0:1], 0xc
	s_load_b64 s[28:29], s[0:1], 0xfc
	;; [unrolled: 1-line block ×3, first 2 shown]
	s_mov_b32 s39, s25
	s_mov_b32 s37, s25
	s_mov_b32 s41, s25
	s_mov_b32 s35, s25
	s_mov_b32 s43, s25
	s_wait_kmcnt 0x0
	s_cvt_f32_u32 s3, s14
	s_sub_co_i32 s8, 0, s14
	s_delay_alu instid0(SALU_CYCLE_2) | instskip(SKIP_1) | instid1(TRANS32_DEP_1)
	v_rcp_iflag_f32_e32 v1, s3
	v_nop
	v_readfirstlane_b32 s3, v1
	s_mul_f32 s3, s3, 0x4f7ffffe
	s_delay_alu instid0(SALU_CYCLE_3) | instskip(NEXT) | instid1(SALU_CYCLE_3)
	s_cvt_u32_f32 s3, s3
	s_mul_i32 s8, s8, s3
	s_delay_alu instid0(SALU_CYCLE_1) | instskip(NEXT) | instid1(SALU_CYCLE_1)
	s_mul_hi_u32 s8, s3, s8
	s_add_co_i32 s3, s3, s8
	s_delay_alu instid0(SALU_CYCLE_1) | instskip(NEXT) | instid1(SALU_CYCLE_1)
	s_mul_hi_u32 s3, s2, s3
	s_mul_i32 s8, s3, s14
	s_add_co_i32 s9, s3, 1
	s_sub_co_i32 s8, s2, s8
	s_delay_alu instid0(SALU_CYCLE_1)
	s_sub_co_i32 s10, s8, s14
	s_cmp_ge_u32 s8, s14
	s_cselect_b32 s3, s9, s3
	s_cselect_b32 s8, s10, s8
	s_add_co_i32 s9, s3, 1
	s_cmp_ge_u32 s8, s14
	s_cvt_f32_u32 s10, s28
	s_cselect_b32 s15, s9, s3
	s_cvt_f32_u32 s3, s31
	v_mov_b32_e32 v1, s15
	s_cvt_f32_u32 s9, s30
	s_delay_alu instid0(SALU_CYCLE_1) | instskip(NEXT) | instid1(SALU_CYCLE_2)
	v_rcp_iflag_f32_e32 v2, s3
	v_rcp_iflag_f32_e32 v3, s9
	global_load_u8 v1, v1, s[4:5]
	s_wait_xcnt 0x0
	s_sub_co_i32 s4, 0, s31
	s_cvt_f32_u32 s5, s29
	v_readfirstlane_b32 s3, v2
	s_delay_alu instid0(SALU_CYCLE_2) | instskip(SKIP_2) | instid1(TRANS32_DEP_1)
	v_rcp_iflag_f32_e32 v2, s5
	s_mul_f32 s3, s3, 0x4f7ffffe
	v_nop
	v_readfirstlane_b32 s9, v2
	s_delay_alu instid0(SALU_CYCLE_1) | instskip(SKIP_1) | instid1(SALU_CYCLE_2)
	s_cvt_u32_f32 s3, s3
	s_mul_f32 s9, s9, 0x4f7ffffe
	s_mul_i32 s4, s4, s3
	s_delay_alu instid0(SALU_CYCLE_1) | instskip(NEXT) | instid1(SALU_CYCLE_1)
	s_mul_hi_u32 s4, s3, s4
	s_add_co_i32 s3, s3, s4
	s_mul_i32 s4, s15, s14
	s_mul_hi_u32 s3, s15, s3
	s_sub_co_i32 s33, s2, s4
	s_mul_i32 s8, s3, s31
	s_add_co_i32 s5, s3, 1
	s_sub_co_i32 s2, s15, s8
	s_delay_alu instid0(SALU_CYCLE_1)
	s_sub_co_i32 s8, s2, s31
	s_cmp_ge_u32 s2, s31
	s_cselect_b32 s3, s5, s3
	s_cselect_b32 s2, s8, s2
	v_readfirstlane_b32 s8, v3
	s_add_co_i32 s5, s3, 1
	s_cmp_ge_u32 s2, s31
	s_cvt_u32_f32 s2, s9
	s_cselect_b32 s24, s5, s3
	s_mul_f32 s3, s8, 0x4f7ffffe
	s_sub_co_i32 s5, 0, s29
	s_sub_co_i32 s8, 0, s30
	s_mul_i32 s5, s5, s2
	s_cvt_u32_f32 s3, s3
	s_mul_hi_u32 s5, s2, s5
	s_cvt_f32_u32 s9, s27
	s_add_co_i32 s2, s2, s5
	s_mul_i32 s8, s8, s3
	s_mul_hi_u32 s2, s15, s2
	s_mul_hi_u32 s5, s3, s8
	s_mul_i32 s8, s2, s29
	v_rcp_iflag_f32_e32 v2, s9
	s_add_co_i32 s38, s3, s5
	s_sub_co_i32 s3, s15, s8
	v_rcp_iflag_f32_e32 v3, s10
	s_add_co_i32 s5, s2, 1
	s_sub_co_i32 s8, s3, s29
	s_cmp_ge_u32 s3, s29
	s_cselect_b32 s2, s5, s2
	v_readfirstlane_b32 s5, v2
	s_delay_alu instid0(TRANS32_DEP_1)
	v_readfirstlane_b32 s9, v3
	s_cselect_b32 s3, s8, s3
	s_add_co_i32 s8, s2, 1
	s_cmp_ge_u32 s3, s29
	s_mul_f32 s3, s5, 0x4f7ffffe
	s_mul_f32 s5, s9, 0x4f7ffffe
	s_cselect_b32 s36, s8, s2
	s_cvt_f32_u32 s9, s26
	s_cvt_u32_f32 s2, s3
	s_cvt_u32_f32 s3, s5
	s_sub_co_i32 s5, 0, s27
	v_rcp_iflag_f32_e32 v2, s9
	s_mul_i32 s5, s5, s2
	s_sub_co_i32 s8, 0, s28
	s_mul_hi_u32 s5, s2, s5
	s_mul_i32 s8, s8, s3
	s_add_co_i32 s2, s2, s5
	s_mul_hi_u32 s5, s3, s8
	s_mul_hi_u32 s2, s15, s2
	s_add_co_i32 s40, s3, s5
	s_mul_i32 s8, s2, s27
	s_add_co_i32 s5, s2, 1
	s_sub_co_i32 s3, s15, s8
	v_nop
	v_readfirstlane_b32 s8, v2
	s_sub_co_i32 s9, s3, s27
	s_cmp_ge_u32 s3, s27
	s_cselect_b32 s2, s5, s2
	s_mul_f32 s5, s8, 0x4f7ffffe
	s_cselect_b32 s3, s9, s3
	s_add_co_i32 s8, s2, 1
	s_cmp_ge_u32 s3, s27
	s_cvt_u32_f32 s5, s5
	s_cselect_b32 s34, s8, s2
	s_sub_co_i32 s2, 0, s26
	v_cmp_eq_u32_e64 s3, 0, v0
	s_mul_i32 s2, s2, s5
	s_delay_alu instid0(SALU_CYCLE_1)
	s_mul_hi_u32 s8, s5, s2
	v_cmp_ne_u32_e64 s2, 0, v0
	s_add_co_i32 s42, s5, s8
	s_and_saveexec_b32 s44, s3
	s_cbranch_execz .LBB22_17
; %bb.2:
	s_load_b64 s[18:19], s[0:1], 0x2c8
	s_mov_b32 s5, 0
	s_delay_alu instid0(SALU_CYCLE_1)
	s_lshl_b64 s[20:21], s[4:5], 2
	s_cmp_lt_u32 s14, 4
	s_cbranch_scc1 .LBB22_14
; %bb.3:
	s_mov_b64 s[16:17], 0
	s_mov_b32 s4, 0
.LBB22_4:                               ; =>This Inner Loop Header: Depth=1
	s_add_nc_u64 s[22:23], s[6:7], s[20:21]
	s_cmp_ge_u32 s4, s33
	s_load_b128 s[8:11], s[22:23], 0x0
	s_wait_kmcnt 0x0
	s_add_nc_u64 s[22:23], s[18:19], s[20:21]
	s_cbranch_scc0 .LBB22_11
; %bb.5:                                ;   in Loop: Header=BB22_4 Depth=1
	s_add_co_i32 s45, s4, 1
	s_delay_alu instid0(SALU_CYCLE_1)
	s_cmp_ge_u32 s45, s33
	s_cbranch_scc0 .LBB22_12
.LBB22_6:                               ;   in Loop: Header=BB22_4 Depth=1
	s_add_co_i32 s45, s45, 1
	s_delay_alu instid0(SALU_CYCLE_1)
	s_cmp_ge_u32 s45, s33
	s_cbranch_scc0 .LBB22_13
.LBB22_7:                               ;   in Loop: Header=BB22_4 Depth=1
	s_add_co_i32 s45, s45, 1
	s_delay_alu instid0(SALU_CYCLE_1)
	s_cmp_ge_u32 s45, s33
	s_cbranch_scc1 .LBB22_9
.LBB22_8:                               ;   in Loop: Header=BB22_4 Depth=1
	s_load_b32 s22, s[22:23], 0xc
	s_add_co_i32 s17, s11, s17
	s_wait_kmcnt 0x0
	s_add_co_i32 s16, s22, s16
.LBB22_9:                               ;   in Loop: Header=BB22_4 Depth=1
	s_add_co_i32 s5, s8, s5
	s_add_co_i32 s8, s45, 1
	;; [unrolled: 1-line block ×5, first 2 shown]
	s_add_nc_u64 s[6:7], s[6:7], 16
	s_add_co_i32 s5, s5, s11
	s_cmp_ge_u32 s9, s14
	s_add_nc_u64 s[18:19], s[18:19], 16
	s_cbranch_scc1 .LBB22_15
; %bb.10:                               ;   in Loop: Header=BB22_4 Depth=1
	s_mov_b32 s4, s8
	s_branch .LBB22_4
.LBB22_11:                              ;   in Loop: Header=BB22_4 Depth=1
	s_load_b32 s45, s[22:23], 0x0
	s_add_co_i32 s17, s8, s17
	s_wait_kmcnt 0x0
	s_add_co_i32 s16, s45, s16
	s_add_co_i32 s45, s4, 1
	s_delay_alu instid0(SALU_CYCLE_1)
	s_cmp_ge_u32 s45, s33
	s_cbranch_scc1 .LBB22_6
.LBB22_12:                              ;   in Loop: Header=BB22_4 Depth=1
	s_load_b32 s46, s[22:23], 0x4
	s_add_co_i32 s17, s9, s17
	s_wait_kmcnt 0x0
	s_add_co_i32 s16, s46, s16
	s_add_co_i32 s45, s45, 1
	s_delay_alu instid0(SALU_CYCLE_1)
	s_cmp_ge_u32 s45, s33
	s_cbranch_scc1 .LBB22_7
.LBB22_13:                              ;   in Loop: Header=BB22_4 Depth=1
	s_load_b32 s46, s[22:23], 0x8
	s_add_co_i32 s17, s10, s17
	s_wait_kmcnt 0x0
	s_add_co_i32 s16, s46, s16
	s_add_co_i32 s45, s45, 1
	s_delay_alu instid0(SALU_CYCLE_1)
	s_cmp_ge_u32 s45, s33
	s_cbranch_scc0 .LBB22_8
	s_branch .LBB22_9
.LBB22_14:
	s_mov_b64 s[16:17], 0
	s_add_nc_u64 s[6:7], s[6:7], s[20:21]
	s_wait_kmcnt 0x0
	s_add_nc_u64 s[8:9], s[18:19], s[20:21]
	s_mov_b32 s4, 0
	s_delay_alu instid0(SALU_CYCLE_1)
	s_cmp_ge_u32 s4, s14
	s_cbranch_scc0 .LBB22_38
	s_branch .LBB22_16
.LBB22_15:
	s_add_co_i32 s4, s4, 4
	s_add_nc_u64 s[8:9], s[18:19], s[20:21]
	s_add_nc_u64 s[6:7], s[6:7], s[20:21]
	s_cmp_ge_u32 s4, s14
	s_cbranch_scc0 .LBB22_38
.LBB22_16:
	v_dual_mov_b32 v2, s16 :: v_dual_mov_b32 v3, s5
	v_dual_mov_b32 v4, s17 :: v_dual_mov_b32 v5, 0
	ds_store_b96 v5, v[2:4] offset:1056
.LBB22_17:
	s_or_b32 exec_lo, exec_lo, s44
	s_mul_u64 s[6:7], s[34:35], s[42:43]
	s_clause 0x6
	s_load_b96 s[4:6], s[0:1], 0xd8
	s_load_b96 s[8:10], s[0:1], 0x23c
	s_load_b64 s[44:45], s[0:1], 0x1d0
	s_load_b96 s[16:18], s[0:1], 0x15c
	s_load_b64 s[46:47], s[0:1], 0xf0
	;; [unrolled: 2-line block ×3, first 2 shown]
	s_mul_i32 s11, s13, s33
	s_mul_u64 s[50:51], s[24:25], s[38:39]
	s_lshl_b32 s19, s11, 8
	s_mov_b32 s39, 0
	s_add_co_i32 s33, s33, 1
	s_mul_u64 s[40:41], s[36:37], s[40:41]
	s_wait_loadcnt_dscnt 0x0
	s_barrier_signal -1
	s_barrier_wait -1
	s_wait_kmcnt 0x0
	s_sub_co_i32 s38, s4, s19
	s_delay_alu instid0(SALU_CYCLE_1) | instskip(NEXT) | instid1(SALU_CYCLE_1)
	s_add_nc_u64 s[42:43], s[38:39], 0xff
	s_lshr_b64 s[42:43], s[42:43], 8
	s_cmp_lt_u32 s33, s14
	s_cselect_b32 s13, s13, s42
	s_delay_alu instid0(SALU_CYCLE_1)
	s_cmp_eq_u32 s13, 0
	s_cbranch_scc1 .LBB22_40
; %bb.18:
	s_mul_i32 s14, s51, s30
	s_mul_i32 s11, s24, s31
	s_sub_co_i32 s14, s24, s14
	s_sub_co_i32 s11, s15, s11
	s_add_co_i32 s23, s51, 1
	s_sub_co_i32 s25, s14, s30
	s_cmp_ge_u32 s14, s30
	s_mul_i32 s11, s11, s22
	s_cselect_b32 s23, s23, s51
	s_cselect_b32 s14, s25, s14
	s_add_co_i32 s25, s23, 1
	s_cmp_ge_u32 s14, s30
	s_mul_i32 s14, s36, s29
	s_cselect_b32 s23, s25, s23
	s_mul_i32 s25, s41, s28
	s_mul_i32 s29, s23, s30
	;; [unrolled: 1-line block ×3, first 2 shown]
	s_sub_co_i32 s22, s24, s29
	s_sub_co_i32 s20, s36, s25
	s_mul_i32 s21, s22, s21
	s_sub_co_i32 s14, s15, s14
	s_add_co_i32 s11, s21, s11
	s_sub_co_i32 s21, s20, s28
	s_add_co_i32 s38, s11, s23
	s_add_co_i32 s11, s41, 1
	s_cmp_ge_u32 s20, s28
	s_mul_i32 s14, s14, s18
	s_cselect_b32 s11, s11, s41
	s_cselect_b32 s20, s21, s20
	s_add_co_i32 s21, s11, 1
	s_cmp_ge_u32 s20, s28
	s_mul_i32 s22, s7, s26
	s_cselect_b32 s11, s21, s11
	v_dual_mov_b32 v7, 0 :: v_dual_lshrrev_b32 v6, 3, v0
	s_mul_i32 s21, s11, s28
	s_mul_i32 s11, s11, s16
	s_sub_co_i32 s21, s36, s21
	s_mul_i32 s20, s34, s27
	s_mul_i32 s17, s21, s17
	s_sub_co_i32 s15, s15, s20
	s_add_co_i32 s14, s17, s14
	s_add_co_i32 s16, s7, 1
	;; [unrolled: 1-line block ×3, first 2 shown]
	s_sub_co_i32 s11, s34, s22
	ds_load_b96 v[2:4], v7 offset:1056
	s_sub_co_i32 s17, s11, s26
	s_cmp_ge_u32 s11, s26
	s_load_b32 s18, s[0:1], 0xe8
	s_cselect_b32 s7, s16, s7
	s_cselect_b32 s11, s17, s11
	s_add_co_i32 s16, s7, 1
	s_cmp_ge_u32 s11, s26
	s_mul_i32 s15, s15, s10
	s_cselect_b32 s7, s16, s7
	v_dual_add_nc_u32 v9, -1, v0 :: v_dual_bitop2_b32 v6, 28, v6 bitop3:0x40
	s_mul_i32 s11, s7, s26
	s_mul_i32 s7, s7, s8
	s_sub_co_i32 s10, s34, s11
	s_delay_alu instid0(VALU_DEP_1)
	v_lshrrev_b32_e32 v8, 3, v9
	s_mul_i32 s9, s10, s9
	v_lshlrev_b32_e32 v12, 5, v0
	s_add_co_i32 s8, s9, s15
	s_mov_b32 s15, s39
	s_wait_dscnt 0x0
	v_add_nc_u32_e32 v2, v2, v3
	s_add_nc_u64 s[10:11], s[46:47], s[14:15]
	s_load_b32 s14, s[0:1], 0x1c8
	v_lshl_add_u32 v3, v0, 2, v6
	v_add_nc_u32_e32 v6, s19, v0
	v_and_b32_e32 v10, 0x1ffffffc, v8
	v_bfe_i32 v5, v1, 0, 8
	s_wait_xcnt 0x0
	v_cmp_gt_u32_e64 s0, 32, v0
	v_and_b32_e32 v11, 0xfc, v0
	s_wait_kmcnt 0x0
	v_mul_lo_u32 v8, s18, v6
	v_mbcnt_lo_u32_b32 v0, -1, 0
	s_add_co_i32 s16, s8, s7
	s_mov_b32 s17, s39
	v_add_nc_u32_e32 v5, 0x80, v5
	s_lshl_b64 s[16:17], s[16:17], 3
	v_lshl_add_u32 v9, v9, 2, v10
	v_and_b32_e32 v1, 0xff, v1
	v_add_nc_u32_e32 v10, v11, v12
	v_dual_add_nc_u32 v13, -1, v0 :: v_dual_bitop2_b32 v11, 15, v0 bitop3:0x40
	v_bfe_i32 v12, v0, 4, 1
	s_bitcmp1_b32 s6, 0
	s_add_nc_u64 s[8:9], s[48:49], s[38:39]
	s_add_nc_u64 s[6:7], s[44:45], s[16:17]
	s_cselect_b32 s1, -1, 0
	s_lshl_b32 s15, s18, 8
                                        ; implicit-def: $vgpr14
	s_branch .LBB22_21
.LBB22_19:                              ;   in Loop: Header=BB22_21 Depth=1
	s_wait_xcnt 0x0
	s_or_b32 exec_lo, exec_lo, s16
	v_add_nc_u32_e32 v2, v17, v2
.LBB22_20:                              ;   in Loop: Header=BB22_21 Depth=1
	v_add_nc_u32_e32 v4, v16, v4
	v_add_nc_u32_e32 v8, s15, v8
	;; [unrolled: 1-line block ×3, first 2 shown]
	s_add_co_i32 s13, s13, -1
	s_delay_alu instid0(SALU_CYCLE_1)
	s_cmp_lg_u32 s13, 0
	s_cbranch_scc0 .LBB22_40
.LBB22_21:                              ; =>This Inner Loop Header: Depth=1
	v_dual_mov_b32 v17, 0 :: v_dual_mov_b32 v15, 0
	s_mov_b32 s16, exec_lo
	v_cmpx_gt_u32_e64 s4, v6
	s_cbranch_execz .LBB22_23
; %bb.22:                               ;   in Loop: Header=BB22_21 Depth=1
	global_load_u8 v14, v8, s[8:9]
	s_wait_loadcnt 0x0
	v_bfe_i32 v15, v14, 0, 8
	s_delay_alu instid0(VALU_DEP_1) | instskip(NEXT) | instid1(VALU_DEP_1)
	v_add_nc_u32_e32 v15, 0x80, v15
	v_cmp_gt_u32_e32 vcc_lo, v15, v5
	v_cndmask_b32_e64 v16, 0, 1, vcc_lo
	v_cmp_lt_u32_e32 vcc_lo, v15, v5
	v_cndmask_b32_e64 v15, 0, 1, vcc_lo
	v_cmp_eq_u16_e32 vcc_lo, v14, v1
	s_delay_alu instid0(VALU_DEP_2) | instskip(NEXT) | instid1(VALU_DEP_1)
	v_cndmask_b32_e64 v15, v15, v16, s1
	v_and_b32_e32 v17, 1, v15
	v_cndmask_b32_e64 v15, 0, 1, vcc_lo
.LBB22_23:                              ;   in Loop: Header=BB22_21 Depth=1
	s_wait_xcnt 0x0
	s_or_b32 exec_lo, exec_lo, s16
	ds_store_b32 v3, v17
	s_wait_dscnt 0x0
	s_barrier_signal -1
	s_barrier_wait -1
	s_and_saveexec_b32 s16, s0
	s_cbranch_execz .LBB22_25
; %bb.24:                               ;   in Loop: Header=BB22_21 Depth=1
	ds_load_2addr_b32 v[18:19], v10 offset1:1
	ds_load_2addr_b32 v[20:21], v10 offset0:2 offset1:3
	ds_load_2addr_b32 v[22:23], v10 offset0:4 offset1:5
	;; [unrolled: 1-line block ×3, first 2 shown]
	v_cmp_ne_u32_e32 vcc_lo, 0, v11
	; wave barrier
	s_wait_dscnt 0x3
	v_add_nc_u32_e32 v16, v19, v18
	s_wait_dscnt 0x2
	s_delay_alu instid0(VALU_DEP_1) | instskip(SKIP_1) | instid1(VALU_DEP_1)
	v_add3_u32 v16, v16, v20, v21
	s_wait_dscnt 0x1
	v_add3_u32 v16, v16, v22, v23
	s_wait_dscnt 0x0
	s_delay_alu instid0(VALU_DEP_1) | instskip(NEXT) | instid1(VALU_DEP_1)
	v_add3_u32 v16, v16, v24, v25
	v_mov_b32_dpp v19, v16 row_shr:1 row_mask:0xf bank_mask:0xf
	s_delay_alu instid0(VALU_DEP_1) | instskip(SKIP_1) | instid1(VALU_DEP_2)
	v_cndmask_b32_e32 v19, 0, v19, vcc_lo
	v_cmp_lt_u32_e32 vcc_lo, 1, v11
	v_add_nc_u32_e32 v16, v19, v16
	s_delay_alu instid0(VALU_DEP_1) | instskip(NEXT) | instid1(VALU_DEP_1)
	v_mov_b32_dpp v19, v16 row_shr:2 row_mask:0xf bank_mask:0xf
	v_cndmask_b32_e32 v19, 0, v19, vcc_lo
	v_cmp_lt_u32_e32 vcc_lo, 3, v11
	s_delay_alu instid0(VALU_DEP_2) | instskip(NEXT) | instid1(VALU_DEP_1)
	v_add_nc_u32_e32 v16, v16, v19
	v_mov_b32_dpp v19, v16 row_shr:4 row_mask:0xf bank_mask:0xf
	s_delay_alu instid0(VALU_DEP_1) | instskip(SKIP_1) | instid1(VALU_DEP_2)
	v_cndmask_b32_e32 v19, 0, v19, vcc_lo
	v_cmp_lt_u32_e32 vcc_lo, 7, v11
	v_add_nc_u32_e32 v16, v16, v19
	s_delay_alu instid0(VALU_DEP_1) | instskip(NEXT) | instid1(VALU_DEP_1)
	v_mov_b32_dpp v19, v16 row_shr:8 row_mask:0xf bank_mask:0xf
	v_cndmask_b32_e32 v19, 0, v19, vcc_lo
	v_cmp_gt_i32_e32 vcc_lo, 0, v13
	s_delay_alu instid0(VALU_DEP_2) | instskip(SKIP_3) | instid1(VALU_DEP_1)
	v_dual_add_nc_u32 v16, v16, v19 :: v_dual_cndmask_b32 v20, v13, v0, vcc_lo
	ds_swizzle_b32 v19, v16 offset:swizzle(BROADCAST,32,15)
	s_wait_dscnt 0x0
	v_dual_lshlrev_b32 v20, 2, v20 :: v_dual_bitop2_b32 v19, v12, v19 bitop3:0x40
	v_add_nc_u32_e32 v16, v16, v19
	ds_bpermute_b32 v16, v20, v16
	s_wait_dscnt 0x0
	v_add_nc_u32_e32 v16, v16, v18
	s_delay_alu instid0(VALU_DEP_1)
	v_cndmask_b32_e64 v16, v16, v17, s3
	ds_store_b32 v10, v16
	; wave barrier
	ds_load_2addr_b32 v[18:19], v10 offset0:1 offset1:2
	ds_load_2addr_b32 v[20:21], v10 offset0:3 offset1:4
	;; [unrolled: 1-line block ×3, first 2 shown]
	ds_load_b32 v24, v10 offset:28
	s_wait_dscnt 0x3
	v_add_nc_u32_e32 v16, v18, v16
	s_delay_alu instid0(VALU_DEP_1) | instskip(SKIP_1) | instid1(VALU_DEP_1)
	v_add_nc_u32_e32 v18, v19, v16
	s_wait_dscnt 0x2
	v_add_nc_u32_e32 v19, v20, v18
	s_delay_alu instid0(VALU_DEP_1) | instskip(SKIP_1) | instid1(VALU_DEP_1)
	v_add_nc_u32_e32 v20, v21, v19
	;; [unrolled: 4-line block ×3, first 2 shown]
	s_wait_dscnt 0x0
	v_add_nc_u32_e32 v23, v24, v22
	ds_store_2addr_b32 v10, v16, v18 offset0:1 offset1:2
	ds_store_2addr_b32 v10, v19, v20 offset0:3 offset1:4
	ds_store_2addr_b32 v10, v21, v22 offset0:5 offset1:6
	ds_store_b32 v10, v23 offset:28
.LBB22_25:                              ;   in Loop: Header=BB22_21 Depth=1
	s_or_b32 exec_lo, exec_lo, s16
	v_mov_b32_e32 v18, 0
	s_wait_dscnt 0x0
	s_barrier_signal -1
	s_barrier_wait -1
	s_and_saveexec_b32 s16, s2
; %bb.26:                               ;   in Loop: Header=BB22_21 Depth=1
	ds_load_b32 v18, v9
; %bb.27:                               ;   in Loop: Header=BB22_21 Depth=1
	s_or_b32 exec_lo, exec_lo, s16
	ds_load_b32 v16, v7 offset:1048
	s_mov_b32 s16, exec_lo
	s_wait_dscnt 0x0
	s_barrier_signal -1
	s_barrier_wait -1
	v_cmpx_ne_u32_e32 0, v17
	s_cbranch_execz .LBB22_29
; %bb.28:                               ;   in Loop: Header=BB22_21 Depth=1
	v_add_nc_u32_e32 v17, v18, v4
	s_delay_alu instid0(VALU_DEP_1)
	v_mul_lo_u32 v18, v17, s14
	v_mul_lo_u32 v17, v17, s12
	global_store_b8 v18, v14, s[10:11]
	global_store_b64 v17, v[6:7], s[6:7] scale_offset
.LBB22_29:                              ;   in Loop: Header=BB22_21 Depth=1
	s_wait_xcnt 0x0
	s_or_b32 exec_lo, exec_lo, s16
	v_cmp_le_u32_e32 vcc_lo, s5, v2
	s_cbranch_vccnz .LBB22_20
; %bb.30:                               ;   in Loop: Header=BB22_21 Depth=1
	ds_store_b32 v3, v15
	s_wait_storecnt_dscnt 0x0
	s_barrier_signal -1
	s_barrier_wait -1
	s_and_saveexec_b32 s16, s0
	s_cbranch_execz .LBB22_32
; %bb.31:                               ;   in Loop: Header=BB22_21 Depth=1
	ds_load_2addr_b32 v[18:19], v10 offset1:1
	ds_load_2addr_b32 v[20:21], v10 offset0:2 offset1:3
	ds_load_2addr_b32 v[22:23], v10 offset0:4 offset1:5
	;; [unrolled: 1-line block ×3, first 2 shown]
	v_cmp_ne_u32_e32 vcc_lo, 0, v11
	; wave barrier
	s_wait_dscnt 0x3
	v_add_nc_u32_e32 v17, v19, v18
	s_wait_dscnt 0x2
	s_delay_alu instid0(VALU_DEP_1) | instskip(SKIP_1) | instid1(VALU_DEP_1)
	v_add3_u32 v17, v17, v20, v21
	s_wait_dscnt 0x1
	v_add3_u32 v17, v17, v22, v23
	s_wait_dscnt 0x0
	s_delay_alu instid0(VALU_DEP_1) | instskip(NEXT) | instid1(VALU_DEP_1)
	v_add3_u32 v17, v17, v24, v25
	v_mov_b32_dpp v19, v17 row_shr:1 row_mask:0xf bank_mask:0xf
	s_delay_alu instid0(VALU_DEP_1) | instskip(SKIP_1) | instid1(VALU_DEP_2)
	v_cndmask_b32_e32 v19, 0, v19, vcc_lo
	v_cmp_lt_u32_e32 vcc_lo, 1, v11
	v_add_nc_u32_e32 v17, v19, v17
	s_delay_alu instid0(VALU_DEP_1) | instskip(NEXT) | instid1(VALU_DEP_1)
	v_mov_b32_dpp v19, v17 row_shr:2 row_mask:0xf bank_mask:0xf
	v_cndmask_b32_e32 v19, 0, v19, vcc_lo
	v_cmp_lt_u32_e32 vcc_lo, 3, v11
	s_delay_alu instid0(VALU_DEP_2) | instskip(NEXT) | instid1(VALU_DEP_1)
	v_add_nc_u32_e32 v17, v17, v19
	v_mov_b32_dpp v19, v17 row_shr:4 row_mask:0xf bank_mask:0xf
	s_delay_alu instid0(VALU_DEP_1) | instskip(SKIP_1) | instid1(VALU_DEP_2)
	v_cndmask_b32_e32 v19, 0, v19, vcc_lo
	v_cmp_lt_u32_e32 vcc_lo, 7, v11
	v_add_nc_u32_e32 v17, v17, v19
	s_delay_alu instid0(VALU_DEP_1) | instskip(NEXT) | instid1(VALU_DEP_1)
	v_mov_b32_dpp v19, v17 row_shr:8 row_mask:0xf bank_mask:0xf
	v_cndmask_b32_e32 v19, 0, v19, vcc_lo
	v_cmp_gt_i32_e32 vcc_lo, 0, v13
	s_delay_alu instid0(VALU_DEP_2) | instskip(SKIP_4) | instid1(VALU_DEP_1)
	v_add_nc_u32_e32 v17, v17, v19
	v_cndmask_b32_e32 v20, v13, v0, vcc_lo
	ds_swizzle_b32 v19, v17 offset:swizzle(BROADCAST,32,15)
	s_wait_dscnt 0x0
	v_dual_lshlrev_b32 v20, 2, v20 :: v_dual_bitop2_b32 v19, v12, v19 bitop3:0x40
	v_add_nc_u32_e32 v17, v17, v19
	ds_bpermute_b32 v17, v20, v17
	s_wait_dscnt 0x0
	v_add_nc_u32_e32 v17, v17, v18
	s_delay_alu instid0(VALU_DEP_1)
	v_cndmask_b32_e64 v17, v17, v15, s3
	ds_store_b32 v10, v17
	; wave barrier
	ds_load_2addr_b32 v[18:19], v10 offset0:1 offset1:2
	ds_load_2addr_b32 v[20:21], v10 offset0:3 offset1:4
	;; [unrolled: 1-line block ×3, first 2 shown]
	ds_load_b32 v24, v10 offset:28
	s_wait_dscnt 0x3
	v_add_nc_u32_e32 v17, v18, v17
	s_delay_alu instid0(VALU_DEP_1) | instskip(SKIP_1) | instid1(VALU_DEP_1)
	v_add_nc_u32_e32 v18, v19, v17
	s_wait_dscnt 0x2
	v_add_nc_u32_e32 v19, v20, v18
	s_delay_alu instid0(VALU_DEP_1) | instskip(SKIP_1) | instid1(VALU_DEP_1)
	v_add_nc_u32_e32 v20, v21, v19
	;; [unrolled: 4-line block ×3, first 2 shown]
	s_wait_dscnt 0x0
	v_add_nc_u32_e32 v23, v24, v22
	ds_store_2addr_b32 v10, v17, v18 offset0:1 offset1:2
	ds_store_2addr_b32 v10, v19, v20 offset0:3 offset1:4
	;; [unrolled: 1-line block ×3, first 2 shown]
	ds_store_b32 v10, v23 offset:28
.LBB22_32:                              ;   in Loop: Header=BB22_21 Depth=1
	s_or_b32 exec_lo, exec_lo, s16
	v_mov_b32_e32 v18, 0
	s_wait_dscnt 0x0
	s_barrier_signal -1
	s_barrier_wait -1
	s_and_saveexec_b32 s16, s2
; %bb.33:                               ;   in Loop: Header=BB22_21 Depth=1
	ds_load_b32 v18, v9
; %bb.34:                               ;   in Loop: Header=BB22_21 Depth=1
	s_or_b32 exec_lo, exec_lo, s16
	ds_load_b32 v17, v7 offset:1048
	s_mov_b32 s16, exec_lo
	s_wait_dscnt 0x0
	s_barrier_signal -1
	s_barrier_wait -1
	v_cmpx_ne_u32_e32 0, v15
	s_cbranch_execz .LBB22_19
; %bb.35:                               ;   in Loop: Header=BB22_21 Depth=1
	v_add_nc_u32_e32 v15, v18, v2
	s_delay_alu instid0(VALU_DEP_1)
	v_cmp_gt_u32_e32 vcc_lo, s5, v15
	s_and_b32 exec_lo, exec_lo, vcc_lo
	s_cbranch_execz .LBB22_19
; %bb.36:                               ;   in Loop: Header=BB22_21 Depth=1
	v_mul_lo_u32 v18, v15, s14
	v_mul_lo_u32 v15, v15, s12
	global_store_b8 v18, v14, s[10:11]
	global_store_b64 v15, v[6:7], s[6:7] scale_offset
	s_branch .LBB22_19
.LBB22_37:                              ;   in Loop: Header=BB22_38 Depth=1
	s_add_co_i32 s4, s4, 1
	s_wait_kmcnt 0x0
	s_add_co_i32 s5, s10, s5
	s_add_nc_u64 s[6:7], s[6:7], 4
	s_cmp_lt_u32 s4, s14
	s_add_nc_u64 s[8:9], s[8:9], 4
	s_cbranch_scc0 .LBB22_16
.LBB22_38:                              ; =>This Inner Loop Header: Depth=1
	s_load_b32 s10, s[6:7], 0x0
	s_cmp_ge_u32 s4, s33
	s_cbranch_scc1 .LBB22_37
; %bb.39:                               ;   in Loop: Header=BB22_38 Depth=1
	s_load_b32 s11, s[8:9], 0x0
	s_wait_kmcnt 0x0
	s_add_co_i32 s17, s10, s17
	s_add_co_i32 s16, s11, s16
	s_branch .LBB22_37
.LBB22_40:
	s_endpgm
	.section	.rodata,"a",@progbits
	.p2align	6, 0x0
	.amdhsa_kernel _ZN2at6native6mbtopk10gatherTopKIajLi3EEEvNS_4cuda6detail10TensorInfoIKT_T0_EES8_S8_bjS8_NS5_IS6_S8_EES8_NS5_IlS8_EES8_jjPS6_PjSD_j
		.amdhsa_group_segment_fixed_size 1068
		.amdhsa_private_segment_fixed_size 0
		.amdhsa_kernarg_size 984
		.amdhsa_user_sgpr_count 2
		.amdhsa_user_sgpr_dispatch_ptr 0
		.amdhsa_user_sgpr_queue_ptr 0
		.amdhsa_user_sgpr_kernarg_segment_ptr 1
		.amdhsa_user_sgpr_dispatch_id 0
		.amdhsa_user_sgpr_kernarg_preload_length 0
		.amdhsa_user_sgpr_kernarg_preload_offset 0
		.amdhsa_user_sgpr_private_segment_size 0
		.amdhsa_wavefront_size32 1
		.amdhsa_uses_dynamic_stack 0
		.amdhsa_enable_private_segment 0
		.amdhsa_system_sgpr_workgroup_id_x 1
		.amdhsa_system_sgpr_workgroup_id_y 1
		.amdhsa_system_sgpr_workgroup_id_z 1
		.amdhsa_system_sgpr_workgroup_info 0
		.amdhsa_system_vgpr_workitem_id 0
		.amdhsa_next_free_vgpr 26
		.amdhsa_next_free_sgpr 52
		.amdhsa_named_barrier_count 0
		.amdhsa_reserve_vcc 1
		.amdhsa_float_round_mode_32 0
		.amdhsa_float_round_mode_16_64 0
		.amdhsa_float_denorm_mode_32 3
		.amdhsa_float_denorm_mode_16_64 3
		.amdhsa_fp16_overflow 0
		.amdhsa_memory_ordered 1
		.amdhsa_forward_progress 1
		.amdhsa_inst_pref_size 25
		.amdhsa_round_robin_scheduling 0
		.amdhsa_exception_fp_ieee_invalid_op 0
		.amdhsa_exception_fp_denorm_src 0
		.amdhsa_exception_fp_ieee_div_zero 0
		.amdhsa_exception_fp_ieee_overflow 0
		.amdhsa_exception_fp_ieee_underflow 0
		.amdhsa_exception_fp_ieee_inexact 0
		.amdhsa_exception_int_div_zero 0
	.end_amdhsa_kernel
	.section	.text._ZN2at6native6mbtopk10gatherTopKIajLi3EEEvNS_4cuda6detail10TensorInfoIKT_T0_EES8_S8_bjS8_NS5_IS6_S8_EES8_NS5_IlS8_EES8_jjPS6_PjSD_j,"axG",@progbits,_ZN2at6native6mbtopk10gatherTopKIajLi3EEEvNS_4cuda6detail10TensorInfoIKT_T0_EES8_S8_bjS8_NS5_IS6_S8_EES8_NS5_IlS8_EES8_jjPS6_PjSD_j,comdat
.Lfunc_end22:
	.size	_ZN2at6native6mbtopk10gatherTopKIajLi3EEEvNS_4cuda6detail10TensorInfoIKT_T0_EES8_S8_bjS8_NS5_IS6_S8_EES8_NS5_IlS8_EES8_jjPS6_PjSD_j, .Lfunc_end22-_ZN2at6native6mbtopk10gatherTopKIajLi3EEEvNS_4cuda6detail10TensorInfoIKT_T0_EES8_S8_bjS8_NS5_IS6_S8_EES8_NS5_IlS8_EES8_jjPS6_PjSD_j
                                        ; -- End function
	.set _ZN2at6native6mbtopk10gatherTopKIajLi3EEEvNS_4cuda6detail10TensorInfoIKT_T0_EES8_S8_bjS8_NS5_IS6_S8_EES8_NS5_IlS8_EES8_jjPS6_PjSD_j.num_vgpr, 26
	.set _ZN2at6native6mbtopk10gatherTopKIajLi3EEEvNS_4cuda6detail10TensorInfoIKT_T0_EES8_S8_bjS8_NS5_IS6_S8_EES8_NS5_IlS8_EES8_jjPS6_PjSD_j.num_agpr, 0
	.set _ZN2at6native6mbtopk10gatherTopKIajLi3EEEvNS_4cuda6detail10TensorInfoIKT_T0_EES8_S8_bjS8_NS5_IS6_S8_EES8_NS5_IlS8_EES8_jjPS6_PjSD_j.numbered_sgpr, 52
	.set _ZN2at6native6mbtopk10gatherTopKIajLi3EEEvNS_4cuda6detail10TensorInfoIKT_T0_EES8_S8_bjS8_NS5_IS6_S8_EES8_NS5_IlS8_EES8_jjPS6_PjSD_j.num_named_barrier, 0
	.set _ZN2at6native6mbtopk10gatherTopKIajLi3EEEvNS_4cuda6detail10TensorInfoIKT_T0_EES8_S8_bjS8_NS5_IS6_S8_EES8_NS5_IlS8_EES8_jjPS6_PjSD_j.private_seg_size, 0
	.set _ZN2at6native6mbtopk10gatherTopKIajLi3EEEvNS_4cuda6detail10TensorInfoIKT_T0_EES8_S8_bjS8_NS5_IS6_S8_EES8_NS5_IlS8_EES8_jjPS6_PjSD_j.uses_vcc, 1
	.set _ZN2at6native6mbtopk10gatherTopKIajLi3EEEvNS_4cuda6detail10TensorInfoIKT_T0_EES8_S8_bjS8_NS5_IS6_S8_EES8_NS5_IlS8_EES8_jjPS6_PjSD_j.uses_flat_scratch, 0
	.set _ZN2at6native6mbtopk10gatherTopKIajLi3EEEvNS_4cuda6detail10TensorInfoIKT_T0_EES8_S8_bjS8_NS5_IS6_S8_EES8_NS5_IlS8_EES8_jjPS6_PjSD_j.has_dyn_sized_stack, 0
	.set _ZN2at6native6mbtopk10gatherTopKIajLi3EEEvNS_4cuda6detail10TensorInfoIKT_T0_EES8_S8_bjS8_NS5_IS6_S8_EES8_NS5_IlS8_EES8_jjPS6_PjSD_j.has_recursion, 0
	.set _ZN2at6native6mbtopk10gatherTopKIajLi3EEEvNS_4cuda6detail10TensorInfoIKT_T0_EES8_S8_bjS8_NS5_IS6_S8_EES8_NS5_IlS8_EES8_jjPS6_PjSD_j.has_indirect_call, 0
	.section	.AMDGPU.csdata,"",@progbits
; Kernel info:
; codeLenInByte = 3100
; TotalNumSgprs: 54
; NumVgprs: 26
; ScratchSize: 0
; MemoryBound: 0
; FloatMode: 240
; IeeeMode: 1
; LDSByteSize: 1068 bytes/workgroup (compile time only)
; SGPRBlocks: 0
; VGPRBlocks: 1
; NumSGPRsForWavesPerEU: 54
; NumVGPRsForWavesPerEU: 26
; NamedBarCnt: 0
; Occupancy: 16
; WaveLimiterHint : 1
; COMPUTE_PGM_RSRC2:SCRATCH_EN: 0
; COMPUTE_PGM_RSRC2:USER_SGPR: 2
; COMPUTE_PGM_RSRC2:TRAP_HANDLER: 0
; COMPUTE_PGM_RSRC2:TGID_X_EN: 1
; COMPUTE_PGM_RSRC2:TGID_Y_EN: 1
; COMPUTE_PGM_RSRC2:TGID_Z_EN: 1
; COMPUTE_PGM_RSRC2:TIDIG_COMP_CNT: 0
	.section	.text._ZN2at6native6sbtopk10gatherTopKIajLi3ELb0EEEvNS_4cuda6detail10TensorInfoIKT_T0_EES8_S8_bS8_S8_NS5_IS6_S8_EES8_NS5_IlS8_EES8_PS6_,"axG",@progbits,_ZN2at6native6sbtopk10gatherTopKIajLi3ELb0EEEvNS_4cuda6detail10TensorInfoIKT_T0_EES8_S8_bS8_S8_NS5_IS6_S8_EES8_NS5_IlS8_EES8_PS6_,comdat
	.protected	_ZN2at6native6sbtopk10gatherTopKIajLi3ELb0EEEvNS_4cuda6detail10TensorInfoIKT_T0_EES8_S8_bS8_S8_NS5_IS6_S8_EES8_NS5_IlS8_EES8_PS6_ ; -- Begin function _ZN2at6native6sbtopk10gatherTopKIajLi3ELb0EEEvNS_4cuda6detail10TensorInfoIKT_T0_EES8_S8_bS8_S8_NS5_IS6_S8_EES8_NS5_IlS8_EES8_PS6_
	.globl	_ZN2at6native6sbtopk10gatherTopKIajLi3ELb0EEEvNS_4cuda6detail10TensorInfoIKT_T0_EES8_S8_bS8_S8_NS5_IS6_S8_EES8_NS5_IlS8_EES8_PS6_
	.p2align	8
	.type	_ZN2at6native6sbtopk10gatherTopKIajLi3ELb0EEEvNS_4cuda6detail10TensorInfoIKT_T0_EES8_S8_bS8_S8_NS5_IS6_S8_EES8_NS5_IlS8_EES8_PS6_,@function
_ZN2at6native6sbtopk10gatherTopKIajLi3ELb0EEEvNS_4cuda6detail10TensorInfoIKT_T0_EES8_S8_bS8_S8_NS5_IS6_S8_EES8_NS5_IlS8_EES8_PS6_: ; @_ZN2at6native6sbtopk10gatherTopKIajLi3ELb0EEEvNS_4cuda6detail10TensorInfoIKT_T0_EES8_S8_bS8_S8_NS5_IS6_S8_EES8_NS5_IlS8_EES8_PS6_
; %bb.0:
	s_clause 0x1
	s_load_b128 s[36:39], s[0:1], 0xd8
	s_load_b64 s[12:13], s[0:1], 0x2b8
	s_bfe_u32 s2, ttmp6, 0x40010
	s_and_b32 s3, ttmp7, 0xffff
	s_add_co_i32 s2, s2, 1
	s_bfe_u32 s5, ttmp6, 0x4000c
	s_mul_i32 s2, s3, s2
	s_bfe_u32 s4, ttmp6, 0x40004
	s_add_co_i32 s5, s5, 1
	s_bfe_u32 s6, ttmp6, 0x40014
	s_add_co_i32 s4, s4, s2
	s_and_b32 s2, ttmp6, 15
	s_mul_i32 s5, ttmp9, s5
	s_lshr_b32 s7, ttmp7, 16
	s_add_co_i32 s6, s6, 1
	s_add_co_i32 s2, s2, s5
	s_mul_i32 s5, s7, s6
	s_bfe_u32 s6, ttmp6, 0x40008
	s_getreg_b32 s8, hwreg(HW_REG_IB_STS2, 6, 4)
	s_add_co_i32 s6, s6, s5
	s_cmp_eq_u32 s8, 0
	s_mov_b32 s51, 0
	s_cselect_b32 s5, s7, s6
	s_cselect_b32 s3, s3, s4
	s_wait_kmcnt 0x0
	s_mul_i32 s5, s13, s5
	s_cselect_b32 s11, ttmp9, s2
	s_add_co_i32 s2, s5, s3
	s_delay_alu instid0(SALU_CYCLE_1) | instskip(NEXT) | instid1(SALU_CYCLE_1)
	s_mul_i32 s72, s2, s12
	s_add_co_i32 s72, s72, s11
	s_delay_alu instid0(SALU_CYCLE_1)
	s_cmp_ge_u32 s72, s39
	s_cbranch_scc1 .LBB23_412
; %bb.1:
	s_clause 0x2
	s_load_b64 s[6:7], s[0:1], 0xc
	s_load_b64 s[52:53], s[0:1], 0xfc
	;; [unrolled: 1-line block ×3, first 2 shown]
	s_mov_b32 s5, s51
	s_clause 0x2
	s_load_b64 s[2:3], s[0:1], 0x0
	s_load_b32 s43, s[0:1], 0xe8
	s_load_b96 s[8:10], s[0:1], 0x6c
	s_add_nc_u64 s[54:55], s[0:1], 0x2b8
	s_mov_b32 s57, s51
	s_wait_kmcnt 0x0
	s_cvt_f32_u32 s4, s7
	s_cvt_f32_u32 s13, s6
	;; [unrolled: 1-line block ×4, first 2 shown]
	v_rcp_iflag_f32_e32 v1, s4
	s_sub_co_i32 s4, 0, s7
	v_rcp_iflag_f32_e32 v2, s15
	v_rcp_iflag_f32_e32 v3, s16
	s_cvt_f32_u32 s17, s49
	s_delay_alu instid0(TRANS32_DEP_3) | instskip(SKIP_1) | instid1(TRANS32_DEP_3)
	v_readfirstlane_b32 s14, v1
	v_rcp_iflag_f32_e32 v1, s13
	v_readfirstlane_b32 s15, v2
	s_delay_alu instid0(TRANS32_DEP_2)
	v_readfirstlane_b32 s16, v3
	v_rcp_iflag_f32_e32 v4, s17
	s_mul_f32 s13, s14, 0x4f7ffffe
	s_cvt_f32_u32 s14, s48
	s_mul_f32 s15, s15, 0x4f7ffffe
	s_mul_f32 s20, s16, 0x4f7ffffe
	s_cvt_u32_f32 s13, s13
	v_rcp_iflag_f32_e32 v5, s14
	v_nop
	v_readfirstlane_b32 s14, v1
	v_readfirstlane_b32 s17, v4
	s_mul_i32 s4, s4, s13
	s_delay_alu instid0(SALU_CYCLE_1) | instskip(NEXT) | instid1(SALU_CYCLE_1)
	s_mul_hi_u32 s4, s13, s4
	s_add_co_i32 s13, s13, s4
	s_delay_alu instid0(SALU_CYCLE_1)
	s_mul_hi_u32 s4, s72, s13
	s_mul_f32 s13, s14, 0x4f7ffffe
	s_mul_i32 s14, s4, s7
	s_add_co_i32 s18, s4, 1
	s_sub_co_i32 s14, s72, s14
	s_cvt_u32_f32 s13, s13
	s_sub_co_i32 s19, s14, s7
	s_cmp_ge_u32 s14, s7
	s_cselect_b32 s4, s18, s4
	s_cselect_b32 s14, s19, s14
	s_add_co_i32 s16, s4, 1
	s_cmp_ge_u32 s14, s7
	s_cvt_u32_f32 s14, s15
	s_cselect_b32 s4, s16, s4
	s_sub_co_i32 s15, 0, s53
	s_mul_f32 s16, s17, 0x4f7ffffe
	s_mul_i32 s15, s15, s14
	s_sub_co_i32 s17, 0, s6
	s_mul_hi_u32 s15, s14, s15
	s_mul_i32 s17, s17, s13
	s_add_co_i32 s14, s14, s15
	s_mul_hi_u32 s15, s13, s17
	s_mul_hi_u32 s14, s72, s14
	s_add_co_i32 s50, s13, s15
	s_mul_i32 s17, s14, s53
	s_add_co_i32 s15, s14, 1
	s_sub_co_i32 s13, s72, s17
	s_cvt_u32_f32 s18, s16
	s_sub_co_i32 s17, s13, s53
	s_cmp_ge_u32 s13, s53
	s_mov_b32 s19, s51
	s_cselect_b32 s14, s15, s14
	s_cselect_b32 s13, s17, s13
	s_add_co_i32 s15, s14, 1
	s_cmp_ge_u32 s13, s53
	s_mul_u64 s[16:17], s[4:5], s[50:51]
	s_cselect_b32 s50, s15, s14
	s_sub_co_i32 s5, 0, s49
	s_cvt_u32_f32 s14, s20
	s_mul_i32 s5, s5, s18
	s_sub_co_i32 s15, 0, s52
	s_mul_hi_u32 s5, s18, s5
	s_mul_i32 s15, s15, s14
	s_add_co_i32 s18, s18, s5
	s_mul_hi_u32 s15, s14, s15
	s_mul_hi_u32 s5, s72, s18
	v_readfirstlane_b32 s13, v5
	s_mul_i32 s16, s5, s49
	s_add_co_i32 s14, s14, s15
	s_sub_co_i32 s15, s72, s16
	s_add_co_i32 s16, s5, 1
	s_sub_co_i32 s18, s15, s49
	s_cmp_ge_u32 s15, s49
	s_mul_f32 s13, s13, 0x4f7ffffe
	s_cselect_b32 s5, s16, s5
	s_cselect_b32 s15, s18, s15
	s_add_co_i32 s16, s5, 1
	s_cmp_ge_u32 s15, s49
	s_cvt_u32_f32 s13, s13
	s_cselect_b32 s56, s16, s5
	s_sub_co_i32 s5, 0, s48
	s_mov_b32 s15, s51
	s_mul_i32 s16, s5, s13
	v_cmp_eq_u32_e64 s5, 0, v0
	s_mul_hi_u32 s16, s13, s16
	s_delay_alu instid0(SALU_CYCLE_1)
	s_add_co_i32 s18, s13, s16
	s_and_saveexec_b32 s13, s5
; %bb.2:
	v_dual_mov_b32 v2, 0 :: v_dual_mov_b32 v3, s36
	s_delay_alu instid0(VALU_DEP_1)
	v_mov_b32_e32 v4, v2
	ds_store_b96 v2, v[2:4] offset:4096
; %bb.3:
	s_or_b32 exec_lo, exec_lo, s13
	s_mul_i32 s13, s17, s6
	s_mul_i32 s7, s4, s7
	s_sub_co_i32 s13, s4, s13
	s_sub_co_i32 s7, s72, s7
	s_add_co_i32 s16, s17, 1
	s_sub_co_i32 s20, s13, s6
	s_cmp_ge_u32 s13, s6
                                        ; implicit-def: $vgpr68 : SGPR spill to VGPR lane
	s_wait_dscnt 0x0
	s_cselect_b32 s13, s20, s13
	s_load_b96 s[20:22], s[0:1], 0x23c
	s_cselect_b32 s16, s16, s17
	s_barrier_signal -1
	s_add_co_i32 s17, s16, 1
	s_cmp_ge_u32 s13, s6
	s_barrier_wait -1
	s_load_b32 s13, s[54:55], 0xc
	s_cselect_b32 s16, s17, s16
	s_mul_i32 s7, s7, s10
	s_mul_i32 s6, s16, s6
	v_mbcnt_lo_u32_b32 v1, -1, 0
	s_sub_co_i32 s4, s4, s6
	s_mul_i32 s16, s16, s8
	s_mul_i32 s4, s4, s9
	s_mov_b32 s65, 0
	s_add_co_i32 s4, s4, s7
	s_mul_u64 s[14:15], s[50:51], s[14:15]
	s_add_co_i32 s64, s4, s16
	s_bitcmp1_b32 s38, 0
	s_wait_kmcnt 0x0
	v_writelane_b32 v68, s20, 0
	s_add_nc_u64 s[38:39], s[2:3], s[64:65]
	v_cmp_gt_u32_e32 vcc_lo, 32, v0
	v_cmp_gt_i32_e64 s2, 4, v1
	s_cselect_b32 s3, -1, 0
	v_writelane_b32 v68, s21, 1
	s_mul_u64 s[6:7], s[56:57], s[18:19]
	s_and_b32 s47, s13, 0xffff
	s_xor_b32 s57, s3, -1
	s_lshl_b32 s62, s47, 2
	v_writelane_b32 v68, s22, 2
	s_load_b64 s[20:21], s[0:1], 0x1d0
	s_and_b32 s73, vcc_lo, s2
	s_cmp_gt_u32 s36, 0xc00
	v_mul_lo_u32 v22, s43, v0
	v_dual_mov_b32 v25, 0 :: v_dual_lshlrev_b32 v19, 2, v0
	s_cselect_b32 s74, -1, 0
	v_add_max_u32_e64 v4, v0, 2, s36
	s_cmp_gt_u32 s47, 31
	v_lshlrev_b64_e64 v[2:3], v1, -1
	s_cselect_b32 s75, -1, 0
	s_add_co_i32 s76, s47, -1
	v_mov_b32_e32 v23, v25
	s_add_co_i32 s8, s76, s36
	v_xad_u32 v3, v0, -1, v4
	v_lshrrev_b32_e32 v4, 1, v0
	s_cmp_lt_u32 s11, s12
	s_cvt_f32_u32 s10, s62
	s_cselect_b32 s66, 12, 18
	s_bfe_u32 s77, s13, 0xb0005
	s_wait_kmcnt 0x0
	v_writelane_b32 v68, s20, 3
	s_add_co_i32 s9, s77, -2
	v_add_nc_u64_e32 v[20:21], s[38:39], v[22:23]
	v_add_nc_u32_e32 v5, -8, v3
	v_not_b32_e32 v18, v2
	v_writelane_b32 v68, s21, 4
	s_load_b64 s[20:21], s[0:1], 0xf0
	s_delay_alu instid0(VALU_DEP_3)
	v_dual_lshrrev_b32 v2, 3, v5 :: v_dual_bitop2_b32 v28, -8, v3 bitop3:0x40
	v_mad_u32 v33, s43, v19, s43
	v_cmp_eq_u32_e64 s2, 0, v1
	v_cmp_gt_u32_e64 s4, s36, v0
	v_lshl_or_b32 v38, v1, 2, 0xc00
	v_dual_add_nc_u32 v2, 1, v2 :: v_dual_add_nc_u32 v29, v0, v28
	v_cmp_lt_u32_e64 s12, 7, v5
	v_dual_mov_b32 v41, s37 :: v_dual_mov_b32 v40, 0
	s_delay_alu instid0(VALU_DEP_3)
	v_and_b32_e32 v31, 0x3ffffffe, v2
	v_add3_u32 v2, s47, s36, v0
	v_dual_mov_b32 v32, 0 :: v_dual_mov_b32 v39, 0
	s_mul_i32 s51, s43, s47
	s_mov_b32 s67, s65
	s_mov_b32 s81, s43
	s_mov_b32 s84, s43
	s_wait_kmcnt 0x0
	v_writelane_b32 v68, s20, 5
	s_mov_b32 s87, s43
	s_mov_b32 s88, s43
	;; [unrolled: 1-line block ×4, first 2 shown]
	v_writelane_b32 v68, s21, 6
	s_mov_b32 s91, s43
	s_mov_b32 s69, s65
	;; [unrolled: 1-line block ×4, first 2 shown]
	v_writelane_b32 v68, s14, 7
	s_mov_b32 s95, 0
	s_mov_b32 s97, 0
                                        ; implicit-def: $sgpr96
                                        ; implicit-def: $sgpr100
                                        ; implicit-def: $sgpr99
                                        ; implicit-def: $sgpr102
                                        ; implicit-def: $sgpr98
                                        ; implicit-def: $sgpr44
                                        ; implicit-def: $sgpr45
                                        ; implicit-def: $sgpr103
                                        ; implicit-def: $vcc_hi
                                        ; implicit-def: $sgpr104
	v_lshlrev_b32_e32 v37, 2, v22
	v_writelane_b32 v68, s15, 8
	v_writelane_b32 v68, s6, 9
	v_writelane_b32 v68, s7, 10
	s_movk_i32 s7, 0x1f0
	v_cmp_gt_u32_e64 s6, 2, v0
	v_and_or_b32 v23, v4, s7, 0xc00
	v_rcp_iflag_f32_e32 v4, s10
	s_lshr_b32 s7, s9, 1
	v_writelane_b32 v68, s12, 11
	s_add_co_i32 s11, s7, 1
	s_cmp_gt_u32 s47, 63
	v_cmp_lt_u32_e64 s7, 31, v3
	s_cselect_b32 s78, -1, 0
	s_and_b32 s79, s77, 0x7fe
	s_and_b32 s80, s11, 7
	s_cmp_gt_u32 s9, 13
	v_readfirstlane_b32 s9, v4
	s_cselect_b32 s82, -1, 0
	s_and_b32 s83, s11, -8
	s_cmp_lg_u32 s80, 0
	s_cvt_f32_u32 s11, s47
	s_mul_f32 s9, s9, 0x4f7ffffe
	s_cselect_b32 s85, -1, 0
	s_cmp_lg_u32 s79, s77
	v_rcp_iflag_f32_e32 v4, s11
	s_cvt_u32_f32 s9, s9
	s_cselect_b32 s86, -1, 0
	s_sub_co_i32 s10, 0, s62
	s_delay_alu instid0(SALU_CYCLE_1) | instskip(NEXT) | instid1(SALU_CYCLE_1)
	s_mul_i32 s10, s10, s9
	s_mul_hi_u32 s10, s9, s10
	s_delay_alu instid0(SALU_CYCLE_1)
	s_add_co_i32 s68, s9, s10
	v_nop
	v_readfirstlane_b32 s10, v4
	s_mul_hi_u32 s9, s36, s68
	v_and_b32_e32 v4, 8, v5
	s_mul_i32 s9, s9, s62
	s_delay_alu instid0(SALU_CYCLE_1)
	s_sub_co_i32 s9, s36, s9
	s_mul_f32 s10, s10, 0x4f7ffffe
	s_sub_co_i32 s11, s9, s62
	s_cmp_ge_u32 s9, s62
	s_cselect_b32 s9, s11, s9
	s_cvt_u32_f32 s10, s10
	s_sub_co_i32 s11, s9, s62
	s_cmp_ge_u32 s9, s62
	s_cselect_b32 s9, s11, s9
	s_sub_co_i32 s11, 0, s47
	s_sub_co_i32 s92, s36, s9
	s_mul_i32 s11, s11, s10
	v_add_nc_u32_e32 v30, s92, v0
	s_mul_hi_u32 s11, s10, s11
	v_subrev_nc_u32_e32 v2, s9, v2
	s_add_co_i32 s70, s10, s11
	v_cmp_eq_u32_e64 s10, 0, v4
	v_or_b32_e32 v4, 3, v19
	s_delay_alu instid0(VALU_DEP_3) | instskip(NEXT) | instid1(VALU_DEP_3)
	v_mul_lo_u32 v36, s43, v2
	v_writelane_b32 v68, s10, 12
	s_mul_hi_u32 s10, s8, s70
	s_delay_alu instid0(VALU_DEP_3)
	v_mul_lo_u32 v35, s43, v4
	s_mul_i32 s11, s10, s47
	v_cmp_ne_u32_e64 s10, v3, v28
	s_sub_co_i32 s12, s8, s11
	v_or_b32_e32 v3, 2, v19
	v_mul_lo_u32 v24, v30, s43
	s_sub_co_i32 s13, s12, s47
	s_cmp_ge_u32 s12, s47
	v_cmp_gt_u32_e64 s11, s92, v19
	s_cselect_b32 s13, s13, s12
	v_mul_lo_u32 v34, s43, v3
	s_sub_co_i32 s14, s13, s47
	s_cmp_ge_u32 s13, s47
	v_cmp_gt_u32_e64 s12, s36, v30
	s_cselect_b32 s13, s14, s13
	s_lshl_b32 s94, s51, 2
	v_add_nc_u64_e32 v[26:27], s[38:39], v[24:25]
	s_sub_co_i32 s93, s8, s13
	s_delay_alu instid0(SALU_CYCLE_1)
	v_cmp_gt_u32_e64 s13, s93, v0
	s_branch .LBB23_6
.LBB23_4:                               ;   in Loop: Header=BB23_6 Depth=1
	s_or_b32 exec_lo, exec_lo, s8
	v_mov_b32_e32 v41, v5
	s_and_not1_b32 s8, s104, exec_lo
	s_and_b32 s9, s16, exec_lo
	s_and_not1_b32 vcc_hi, vcc_hi, exec_lo
	s_or_b32 s104, s8, s9
	s_and_not1_b32 s103, s103, exec_lo
	s_and_not1_b32 s45, s45, exec_lo
	;; [unrolled: 1-line block ×3, first 2 shown]
	s_or_not1_b32 s17, s15, exec_lo
.LBB23_5:                               ;   in Loop: Header=BB23_6 Depth=1
	s_or_b32 exec_lo, exec_lo, s14
	s_delay_alu instid0(SALU_CYCLE_1) | instskip(NEXT) | instid1(SALU_CYCLE_1)
	s_and_b32 s8, exec_lo, s17
	s_or_b32 s95, s8, s95
	s_and_not1_b32 s8, s98, exec_lo
	s_and_b32 s9, s104, exec_lo
	s_and_not1_b32 s14, s102, exec_lo
	s_or_b32 s98, s8, s9
	s_and_b32 s8, vcc_hi, exec_lo
	s_and_not1_b32 s9, s99, exec_lo
	s_and_b32 s15, s103, exec_lo
	s_or_b32 s102, s14, s8
	s_or_b32 s99, s9, s15
	s_and_not1_b32 s8, s100, exec_lo
	s_and_b32 s9, s45, exec_lo
	s_and_not1_b32 s14, s96, exec_lo
	s_and_b32 s15, s44, exec_lo
	s_or_b32 s100, s8, s9
	s_or_b32 s96, s14, s15
	s_and_not1_b32 exec_lo, exec_lo, s95
	s_cbranch_execz .LBB23_408
.LBB23_6:                               ; =>This Loop Header: Depth=1
                                        ;     Child Loop BB23_11 Depth 2
                                        ;     Child Loop BB23_32 Depth 2
	;; [unrolled: 1-line block ×26, first 2 shown]
	ds_load_b64 v[2:3], v25 offset:4096
	s_wait_dscnt 0x0
	v_readfirstlane_b32 s64, v2
	s_cmp_lg_u32 s64, 0
	s_cbranch_scc1 .LBB23_49
; %bb.7:                                ;   in Loop: Header=BB23_6 Depth=1
	s_and_b32 vcc_lo, exec_lo, s74
	s_cbranch_vccz .LBB23_19
; %bb.8:                                ;   in Loop: Header=BB23_6 Depth=1
	v_cmp_gt_u32_e32 vcc_lo, 0xc01, v3
	s_mov_b32 s16, 0
	s_mov_b32 s14, 0
	s_cbranch_vccz .LBB23_20
; %bb.9:                                ;   in Loop: Header=BB23_6 Depth=1
	global_load_u8 v3, v[20:21], off
	s_add_nc_u64 s[8:9], s[54:55], s[66:67]
	s_mov_b32 s18, 0
	s_load_u16 s17, s[8:9], 0x0
	s_wait_kmcnt 0x0
	v_dual_mov_b32 v4, v0 :: v_dual_add_nc_u32 v2, s17, v0
	s_mul_i32 s19, s43, s17
	s_delay_alu instid0(VALU_DEP_1)
	v_mul_lo_u32 v2, s43, v2
	s_branch .LBB23_11
.LBB23_10:                              ;   in Loop: Header=BB23_11 Depth=2
	s_or_b32 exec_lo, exec_lo, s8
	v_dual_mov_b32 v3, v5 :: v_dual_add_nc_u32 v2, s19, v2
	s_and_not1_b32 exec_lo, exec_lo, s18
	s_cbranch_execz .LBB23_26
.LBB23_11:                              ;   Parent Loop BB23_6 Depth=1
                                        ; =>  This Inner Loop Header: Depth=2
	s_wait_dscnt 0x0
	v_dual_add_nc_u32 v4, s17, v4 :: v_dual_mov_b32 v6, 0
	v_mov_b32_e32 v5, 0
	s_mov_b32 s8, exec_lo
	s_delay_alu instid0(VALU_DEP_2)
	v_cmp_le_u32_e32 vcc_lo, s36, v4
	v_cmpx_gt_u32_e64 s36, v4
	s_cbranch_execz .LBB23_13
; %bb.12:                               ;   in Loop: Header=BB23_11 Depth=2
	global_load_u8 v5, v2, s[38:39]
.LBB23_13:                              ;   in Loop: Header=BB23_11 Depth=2
	s_wait_xcnt 0x0
	s_or_b32 exec_lo, exec_lo, s8
	s_wait_loadcnt 0x0
	v_bfe_i32 v7, v3, 0, 8
	s_delay_alu instid0(VALU_DEP_1) | instskip(NEXT) | instid1(VALU_DEP_1)
	v_add_nc_u32_e32 v7, 0x80, v7
	v_and_b32_e32 v7, v7, v39
	s_delay_alu instid0(VALU_DEP_1) | instskip(SKIP_2) | instid1(SALU_CYCLE_1)
	v_cmp_eq_u32_e64 s14, v7, v32
	s_cmp_lg_u32 s14, 0
	s_cselect_b32 s8, -1, 0
	s_and_b32 s8, s2, s8
	s_delay_alu instid0(SALU_CYCLE_1)
	s_and_saveexec_b32 s20, s8
	s_cbranch_execz .LBB23_17
; %bb.14:                               ;   in Loop: Header=BB23_11 Depth=2
	s_mov_b32 s21, exec_lo
	s_bcnt1_i32_b32 s8, s14
	v_mbcnt_lo_u32_b32 v6, s21, 0
	s_mov_b32 s9, exec_lo
                                        ; implicit-def: $vgpr7
	s_delay_alu instid0(VALU_DEP_1)
	v_cmpx_eq_u32_e32 0, v6
; %bb.15:                               ;   in Loop: Header=BB23_11 Depth=2
	s_bcnt1_i32_b32 s15, s21
	s_delay_alu instid0(SALU_CYCLE_1) | instskip(NEXT) | instid1(SALU_CYCLE_1)
	s_mul_i32 s15, s8, s15
	v_mov_b32_e32 v7, s15
	ds_add_rtn_u32 v7, v25, v7 offset:4104
; %bb.16:                               ;   in Loop: Header=BB23_11 Depth=2
	s_or_b32 exec_lo, exec_lo, s9
	s_wait_dscnt 0x0
	v_readfirstlane_b32 s9, v7
	s_delay_alu instid0(VALU_DEP_1)
	v_mad_u32_u24 v6, s8, v6, s9
.LBB23_17:                              ;   in Loop: Header=BB23_11 Depth=2
	s_or_b32 exec_lo, exec_lo, s20
	ds_bpermute_b32 v6, v25, v6
	s_and_b32 s8, exec_lo, vcc_lo
	s_delay_alu instid0(SALU_CYCLE_1)
	s_or_b32 s18, s8, s18
	s_and_saveexec_b32 s8, s14
	s_cbranch_execz .LBB23_10
; %bb.18:                               ;   in Loop: Header=BB23_11 Depth=2
	v_and_b32_e32 v7, s14, v18
	s_wait_dscnt 0x0
	s_delay_alu instid0(VALU_DEP_1)
	v_bcnt_u32_b32 v6, v7, v6
	ds_store_b8 v6, v3
	s_branch .LBB23_10
.LBB23_19:                              ;   in Loop: Header=BB23_6 Depth=1
	s_mov_b32 s16, -1
	s_mov_b32 s14, 0
.LBB23_20:                              ;   in Loop: Header=BB23_6 Depth=1
	s_and_b32 vcc_lo, exec_lo, s16
	s_cbranch_vccz .LBB23_47
.LBB23_21:                              ;   in Loop: Header=BB23_6 Depth=1
	s_and_saveexec_b32 s15, s4
	s_cbranch_execz .LBB23_44
; %bb.22:                               ;   in Loop: Header=BB23_6 Depth=1
	global_load_u8 v24, v[20:21], off
	s_add_nc_u64 s[8:9], s[54:55], s[66:67]
	s_mov_b32 s16, exec_lo
	s_load_u16 s17, s[8:9], 0x0
	s_wait_kmcnt 0x0
	v_dual_mov_b32 v3, v0 :: v_dual_add_nc_u32 v2, s17, v0
	s_delay_alu instid0(VALU_DEP_1)
	v_cmpx_gt_u32_e64 s36, v2
	s_cbranch_execz .LBB23_43
; %bb.23:                               ;   in Loop: Header=BB23_6 Depth=1
	s_mov_b32 s14, 0
	s_mul_i32 s18, s43, s17
                                        ; implicit-def: $vgpr3
                                        ; implicit-def: $vgpr4
                                        ; implicit-def: $vgpr5
	s_and_saveexec_b32 s8, s7
	s_delay_alu instid0(SALU_CYCLE_1)
	s_xor_b32 s19, exec_lo, s8
	s_cbranch_execnz .LBB23_29
; %bb.24:                               ;   in Loop: Header=BB23_6 Depth=1
	s_and_not1_saveexec_b32 s19, s19
	s_cbranch_execnz .LBB23_38
.LBB23_25:                              ;   in Loop: Header=BB23_6 Depth=1
	s_or_b32 exec_lo, exec_lo, s19
	s_and_saveexec_b32 s18, s14
	s_cbranch_execnz .LBB23_39
	s_branch .LBB23_42
.LBB23_26:                              ;   in Loop: Header=BB23_6 Depth=1
	s_or_b32 exec_lo, exec_lo, s18
	s_wait_dscnt 0x0
	s_barrier_signal -1
	s_barrier_wait -1
	s_and_saveexec_b32 s8, s5
	s_cbranch_execz .LBB23_28
; %bb.27:                               ;   in Loop: Header=BB23_6 Depth=1
	ds_load_b32 v2, v25 offset:4104
	s_wait_dscnt 0x0
	ds_store_b32 v25, v2 offset:4096
.LBB23_28:                              ;   in Loop: Header=BB23_6 Depth=1
	s_or_b32 exec_lo, exec_lo, s8
	s_wait_dscnt 0x0
	s_barrier_signal -1
	s_mov_b32 s14, -1
	s_barrier_wait -1
	s_and_b32 vcc_lo, exec_lo, s16
	s_cbranch_vccnz .LBB23_21
	s_branch .LBB23_47
.LBB23_29:                              ;   in Loop: Header=BB23_6 Depth=1
	s_cvt_f32_u32 s8, s17
	v_add_max_u32_e64 v3, v2, s17, s36
	s_delay_alu instid0(SALU_CYCLE_2) | instskip(SKIP_1) | instid1(VALU_DEP_1)
	v_rcp_iflag_f32_e32 v4, s8
	s_lshl_b32 s8, s17, 1
	v_sub_nc_u32_e32 v3, v3, v0
	s_delay_alu instid0(VALU_DEP_1) | instskip(NEXT) | instid1(TRANS32_DEP_1)
	v_cmp_ne_u32_e32 vcc_lo, s8, v3
	v_readfirstlane_b32 s9, v4
	v_cndmask_b32_e64 v4, 0, 1, vcc_lo
	s_mul_f32 s9, s9, 0x4f7ffffe
	s_delay_alu instid0(VALU_DEP_1) | instskip(NEXT) | instid1(SALU_CYCLE_2)
	v_or_b32_e32 v4, s8, v4
	s_cvt_u32_f32 s8, s9
	s_sub_co_i32 s9, 0, s17
	s_delay_alu instid0(SALU_CYCLE_2) | instskip(NEXT) | instid1(VALU_DEP_1)
	s_mul_i32 s9, s9, s8
	v_sub_nc_u32_e32 v3, v3, v4
	s_mul_hi_u32 s9, s8, s9
	s_delay_alu instid0(SALU_CYCLE_1)
	s_add_co_i32 s8, s8, s9
	s_delay_alu instid0(VALU_DEP_1) | instid1(SALU_CYCLE_1)
	v_mul_hi_u32 v4, v3, s8
	s_abs_i32 s8, s18
	s_delay_alu instid0(VALU_DEP_1) | instskip(NEXT) | instid1(VALU_DEP_1)
	v_mul_lo_u32 v5, v4, s17
	v_dual_sub_nc_u32 v3, v3, v5 :: v_dual_add_nc_u32 v5, 1, v4
	s_delay_alu instid0(VALU_DEP_1) | instskip(SKIP_1) | instid1(VALU_DEP_1)
	v_subrev_nc_u32_e32 v6, s17, v3
	v_cmp_le_u32_e64 s14, s17, v3
	v_dual_cndmask_b32 v4, v4, v5, s14 :: v_dual_cndmask_b32 v3, v3, v6, s14
	s_delay_alu instid0(VALU_DEP_1) | instskip(NEXT) | instid1(VALU_DEP_2)
	v_add_nc_u32_e32 v5, 1, v4
	v_cmp_le_u32_e64 s14, s17, v3
	s_delay_alu instid0(VALU_DEP_1) | instskip(SKIP_1) | instid1(VALU_DEP_2)
	v_cndmask_b32_e64 v3, v4, v5, s14
	v_mul_lo_u32 v4, s43, v2
	v_add_co_ci_u32_e64 v3, null, 0, v3, vcc_lo
	s_delay_alu instid0(VALU_DEP_1) | instskip(SKIP_2) | instid1(SALU_CYCLE_1)
	v_mul_hi_u32 v5, s8, v3
	v_mul_lo_u32 v3, s8, v3
	s_not_b32 s8, s18
	s_ashr_i32 s8, s8, 31
	s_cmp_eq_u32 s17, 1
	s_delay_alu instid0(VALU_DEP_4) | instskip(SKIP_1) | instid1(VALU_DEP_3)
	v_xor_b32_e32 v4, s8, v4
	s_cselect_b32 s8, -1, 0
	v_cmp_eq_u32_e32 vcc_lo, 0, v5
	s_delay_alu instid0(VALU_DEP_2) | instskip(SKIP_2) | instid1(SALU_CYCLE_1)
	v_cmp_le_u32_e64 s14, v3, v4
	v_mov_b32_e32 v4, v0
                                        ; implicit-def: $vgpr3
	s_and_b32 s8, vcc_lo, s8
	s_and_b32 s9, s8, s14
	s_mov_b32 s8, -1
	s_and_saveexec_b32 s14, s9
	s_cbranch_execz .LBB23_37
; %bb.30:                               ;   in Loop: Header=BB23_6 Depth=1
	v_dual_add_nc_u32 v9, 7, v2 :: v_dual_add_nc_u32 v8, 6, v2
	v_dual_add_nc_u32 v7, 5, v2 :: v_dual_add_nc_u32 v6, 4, v2
	;; [unrolled: 1-line block ×3, first 2 shown]
	s_wait_loadcnt 0x0
	v_dual_add_nc_u32 v3, 1, v2 :: v_dual_lshlrev_b32 v42, 24, v24
	v_mov_b64_e32 v[16:17], v[8:9]
	v_mov_b64_e32 v[14:15], v[6:7]
	;; [unrolled: 1-line block ×3, first 2 shown]
	s_delay_alu instid0(VALU_DEP_4) | instskip(SKIP_4) | instid1(SALU_CYCLE_1)
	v_mov_b64_e32 v[10:11], v[2:3]
	v_mov_b32_e32 v44, 0
                                        ; implicit-def: $vgpr24
	s_mov_b32 s20, exec_lo
	v_readlane_b32 s8, v68, 11
	s_and_b32 s8, s20, s8
	s_mov_b32 exec_lo, s8
	s_cbranch_execz .LBB23_34
; %bb.31:                               ;   in Loop: Header=BB23_6 Depth=1
	v_mov_b64_e32 v[16:17], v[8:9]
	v_mov_b64_e32 v[14:15], v[6:7]
	;; [unrolled: 1-line block ×4, first 2 shown]
	v_mov_b32_e32 v43, v31
	s_mov_b32 s21, 0
	s_mov_b32 s22, 0
.LBB23_32:                              ;   Parent Loop BB23_6 Depth=1
                                        ; =>  This Inner Loop Header: Depth=2
	s_delay_alu instid0(VALU_DEP_2) | instskip(NEXT) | instid1(VALU_DEP_4)
	v_mul_lo_u32 v24, v10, s43
	v_dual_add_nc_u32 v56, 8, v13 :: v_dual_add_nc_u32 v58, 8, v14
	v_dual_add_nc_u32 v60, 8, v15 :: v_dual_add_nc_u32 v62, 8, v16
	v_mul_lo_u32 v44, v14, s88
	v_dual_add_nc_u32 v52, 8, v11 :: v_dual_add_nc_u32 v54, 8, v12
	v_mul_lo_u32 v6, v16, s90
	v_mul_lo_u32 v56, v56, s87
	;; [unrolled: 1-line block ×3, first 2 shown]
	v_dual_mov_b32 v5, v25 :: v_dual_add_nc_u32 v3, 8, v10
	v_mul_lo_u32 v58, v58, s88
	v_mul_lo_u32 v8, v15, s89
	v_dual_mov_b32 v53, v25 :: v_dual_add_nc_u32 v64, 8, v17
	v_mul_lo_u32 v62, v62, s90
	v_mul_lo_u32 v46, v13, s87
	;; [unrolled: 1-line block ×6, first 2 shown]
	v_dual_mov_b32 v47, v25 :: v_dual_mov_b32 v45, v25
	v_mul_lo_u32 v52, v52, s81
	v_dual_mov_b32 v9, v25 :: v_dual_mov_b32 v7, v25
	v_dual_mov_b32 v55, v25 :: v_dual_mov_b32 v57, v25
	v_add_nc_u64_e32 v[66:67], s[38:39], v[24:25]
	v_mul_lo_u32 v24, v3, s43
	v_dual_mov_b32 v59, v25 :: v_dual_mov_b32 v61, v25
	v_mul_lo_u32 v64, v64, s91
	v_dual_mov_b32 v63, v25 :: v_dual_mov_b32 v65, v25
	v_dual_mov_b32 v51, v25 :: v_dual_mov_b32 v49, v25
	v_add_nc_u64_e32 v[44:45], s[38:39], v[44:45]
	v_add_nc_u64_e32 v[6:7], s[38:39], v[6:7]
	;; [unrolled: 1-line block ×13, first 2 shown]
	s_clause 0x7
	global_load_u8 v3, v[44:45], off
	global_load_u8 v6, v[6:7], off
	global_load_u8 v7, v[4:5], off
	global_load_u8 v8, v[8:9], off
	global_load_u8 v9, v[46:47], off
	global_load_u8 v45, v[48:49], off
	global_load_u8 v46, v[50:51], off
	global_load_u8 v47, v[66:67], off
	v_add_nc_u64_e32 v[4:5], s[38:39], v[24:25]
	v_add_nc_u64_e32 v[64:65], s[38:39], v[64:65]
	s_clause 0x7
	global_load_u8 v48, v[56:57], off
	global_load_u8 v49, v[58:59], off
	;; [unrolled: 1-line block ×8, first 2 shown]
	v_dual_add_nc_u32 v43, -2, v43 :: v_dual_add_nc_u32 v12, 16, v12
	s_wait_xcnt 0x2
	v_dual_add_nc_u32 v53, s22, v0 :: v_dual_add_nc_u32 v17, 16, v17
	s_add_co_i32 s22, s22, 16
	s_delay_alu instid0(VALU_DEP_2)
	v_cmp_eq_u32_e32 vcc_lo, 0, v43
	v_dual_add_nc_u32 v16, 16, v16 :: v_dual_add_nc_u32 v15, 16, v15
	v_dual_add_nc_u32 v14, 16, v14 :: v_dual_add_nc_u32 v13, 16, v13
	;; [unrolled: 1-line block ×3, first 2 shown]
	v_mov_b32_e32 v44, s22
	s_or_b32 s21, vcc_lo, s21
	s_wait_loadcnt 0xc
	s_wait_xcnt 0x1
	v_perm_b32 v5, v8, v6, 0xc0c0004
	s_wait_loadcnt 0xb
	v_perm_b32 v3, v9, v3, 0xc0c0004
	s_wait_loadcnt 0x6
	v_perm_b32 v9, v48, v49, 0xc0c0004
	v_perm_b32 v6, v46, v45, 0xc0c0004
	;; [unrolled: 1-line block ×3, first 2 shown]
	s_wait_loadcnt 0x4
	v_perm_b32 v42, v51, v50, 0xc0c0004
	v_perm_b32 v45, v49, v51, 0xc0c0004
	s_wait_loadcnt 0x2
	v_perm_b32 v46, v52, v54, 0xc0c0004
	s_wait_loadcnt 0x1
	v_perm_b32 v47, v7, v4, 0xc0c0004
	s_wait_loadcnt 0x0
	v_perm_b32 v48, v50, v24, 0xc0c0004
	v_lshl_or_b32 v5, v5, 16, v3
	v_lshl_or_b32 v4, v6, 16, v8
	v_lshl_or_b32 v7, v42, 16, v9
	v_lshl_or_b32 v6, v46, 16, v47
	v_lshl_or_b32 v42, v48, 16, v45
	ds_store_b128 v53, v[4:7]
	s_wait_xcnt 0x0
	s_and_not1_b32 exec_lo, exec_lo, s21
	s_cbranch_execnz .LBB23_32
; %bb.33:                               ;   in Loop: Header=BB23_6 Depth=1
	s_or_b32 exec_lo, exec_lo, s21
.LBB23_34:                              ;   in Loop: Header=BB23_6 Depth=1
	s_delay_alu instid0(SALU_CYCLE_1) | instskip(NEXT) | instid1(SALU_CYCLE_1)
	s_or_b32 exec_lo, exec_lo, s20
	s_mov_b32 s20, exec_lo
	v_readlane_b32 s8, v68, 12
	s_and_b32 s8, s20, s8
	s_delay_alu instid0(SALU_CYCLE_1)
	s_mov_b32 exec_lo, s8
	s_cbranch_execz .LBB23_36
; %bb.35:                               ;   in Loop: Header=BB23_6 Depth=1
	v_mul_lo_u32 v24, v10, s43
	v_mul_lo_u32 v10, v14, s88
	v_mul_lo_u32 v6, v16, s90
	v_mul_lo_u32 v8, v15, s89
	v_mul_lo_u32 v14, v13, s87
	v_mul_lo_u32 v12, v12, s84
	v_mul_lo_u32 v16, v11, s81
	v_mul_lo_u32 v4, v17, s91
	v_dual_mov_b32 v17, v25 :: v_dual_mov_b32 v11, v25
	v_dual_mov_b32 v7, v25 :: v_dual_mov_b32 v9, v25
	;; [unrolled: 1-line block ×3, first 2 shown]
	s_delay_alu instid0(VALU_DEP_3) | instskip(NEXT) | instid1(VALU_DEP_3)
	v_add_nc_u64_e32 v[10:11], s[38:39], v[10:11]
	v_add_nc_u64_e32 v[6:7], s[38:39], v[6:7]
	s_delay_alu instid0(VALU_DEP_4) | instskip(NEXT) | instid1(VALU_DEP_4)
	v_add_nc_u64_e32 v[8:9], s[38:39], v[8:9]
	v_add_nc_u64_e32 v[14:15], s[38:39], v[14:15]
	;; [unrolled: 1-line block ×4, first 2 shown]
	v_mov_b32_e32 v5, v25
	v_add_nc_u64_e32 v[46:47], s[38:39], v[24:25]
	s_clause 0x6
	global_load_u8 v3, v[10:11], off
	global_load_u8 v6, v[6:7], off
	;; [unrolled: 1-line block ×7, first 2 shown]
	v_add_nc_u64_e32 v[4:5], s[38:39], v[4:5]
	global_load_u8 v24, v[4:5], off
	s_wait_loadcnt 0x5
	s_wait_xcnt 0x0
	v_perm_b32 v4, v7, v6, 0xc0c0004
	s_wait_loadcnt 0x4
	v_perm_b32 v3, v8, v3, 0xc0c0004
	s_wait_loadcnt 0x2
	;; [unrolled: 2-line block ×3, first 2 shown]
	v_perm_b32 v7, v42, v11, 0xc0c0007
	v_lshl_or_b32 v5, v4, 16, v3
	v_add_nc_u32_e32 v3, v0, v44
	s_delay_alu instid0(VALU_DEP_3)
	v_lshl_or_b32 v4, v6, 16, v7
	ds_store_b64 v3, v[4:5]
.LBB23_36:                              ;   in Loop: Header=BB23_6 Depth=1
	s_or_b32 exec_lo, exec_lo, s20
	v_dual_add_nc_u32 v2, v2, v28 :: v_dual_mov_b32 v4, v29
	s_or_not1_b32 s8, s10, exec_lo
	s_delay_alu instid0(VALU_DEP_1)
	v_add_nc_u32_e32 v3, -1, v2
.LBB23_37:                              ;   in Loop: Header=BB23_6 Depth=1
	s_or_b32 exec_lo, exec_lo, s14
	v_mov_b32_e32 v5, s18
	s_and_b32 s14, s8, exec_lo
	s_and_not1_saveexec_b32 s19, s19
	s_cbranch_execz .LBB23_25
.LBB23_38:                              ;   in Loop: Header=BB23_6 Depth=1
	v_dual_mov_b32 v5, s18 :: v_dual_mov_b32 v4, v0
	s_or_b32 s14, s14, exec_lo
	s_or_b32 exec_lo, exec_lo, s19
	s_and_saveexec_b32 s18, s14
	s_cbranch_execz .LBB23_42
.LBB23_39:                              ;   in Loop: Header=BB23_6 Depth=1
	v_mul_lo_u32 v3, s43, v2
	s_mov_b32 s19, 0
	s_sub_co_i32 s14, 0, s17
.LBB23_40:                              ;   Parent Loop BB23_6 Depth=1
                                        ; =>  This Inner Loop Header: Depth=2
	global_load_u8 v6, v3, s[38:39]
	s_wait_xcnt 0x0
	v_dual_mov_b32 v7, v2 :: v_dual_add_nc_u32 v3, v3, v5
	s_wait_loadcnt 0x1
	ds_store_b8 v4, v24
	v_dual_add_nc_u32 v2, s17, v7 :: v_dual_mov_b32 v4, v7
	s_delay_alu instid0(VALU_DEP_1)
	v_cmp_le_u32_e32 vcc_lo, s36, v2
	s_or_b32 s19, vcc_lo, s19
	s_wait_loadcnt 0x0
	v_mov_b32_e32 v24, v6
	s_and_not1_b32 exec_lo, exec_lo, s19
	s_cbranch_execnz .LBB23_40
; %bb.41:                               ;   in Loop: Header=BB23_6 Depth=1
	s_or_b32 exec_lo, exec_lo, s19
	v_dual_mov_b32 v24, v6 :: v_dual_add_nc_u32 v3, s14, v2
.LBB23_42:                              ;   in Loop: Header=BB23_6 Depth=1
	s_or_b32 exec_lo, exec_lo, s18
.LBB23_43:                              ;   in Loop: Header=BB23_6 Depth=1
	s_delay_alu instid0(SALU_CYCLE_1)
	s_or_b32 exec_lo, exec_lo, s16
	s_wait_loadcnt 0x0
	ds_store_b8 v3, v24
.LBB23_44:                              ;   in Loop: Header=BB23_6 Depth=1
	s_or_b32 exec_lo, exec_lo, s15
	s_wait_dscnt 0x0
	s_barrier_signal -1
	s_barrier_wait -1
	s_and_saveexec_b32 s8, s5
; %bb.45:                               ;   in Loop: Header=BB23_6 Depth=1
	v_mov_b32_e32 v2, s36
	ds_store_b32 v25, v2 offset:4096
; %bb.46:                               ;   in Loop: Header=BB23_6 Depth=1
	s_or_b32 exec_lo, exec_lo, s8
	s_mov_b32 s14, -1
	s_wait_dscnt 0x0
	s_barrier_signal -1
	s_barrier_wait -1
.LBB23_47:                              ;   in Loop: Header=BB23_6 Depth=1
	s_and_b32 vcc_lo, exec_lo, s14
	s_mov_b32 s64, 0
	s_cbranch_vccz .LBB23_49
; %bb.48:                               ;   in Loop: Header=BB23_6 Depth=1
	ds_load_b32 v2, v25 offset:4096
	s_wait_dscnt 0x0
	v_readfirstlane_b32 s64, v2
.LBB23_49:                              ;   in Loop: Header=BB23_6 Depth=1
	s_delay_alu instid0(VALU_DEP_1)
	s_cmp_lt_i32 s64, 1
	s_mov_b32 s8, -1
                                        ; implicit-def: $vgpr5
	s_cbranch_scc1 .LBB23_62
; %bb.50:                               ;   in Loop: Header=BB23_6 Depth=1
	s_and_b32 vcc_lo, exec_lo, s8
	s_cbranch_vccnz .LBB23_73
.LBB23_51:                              ;   in Loop: Header=BB23_6 Depth=1
	s_lshl_b32 s16, s97, 7
	s_and_saveexec_b32 s8, s2
.LBB23_52:                              ;   in Loop: Header=BB23_6 Depth=1
	v_lshl_add_u32 v6, s16, 2, v23
	ds_store_b128 v6, v[2:5]
.LBB23_53:                              ;   in Loop: Header=BB23_6 Depth=1
	s_or_b32 exec_lo, exec_lo, s8
	s_wait_dscnt 0x0
	s_barrier_signal -1
	s_barrier_wait -1
	s_and_saveexec_b32 s17, s73
	s_cbranch_execz .LBB23_86
; %bb.54:                               ;   in Loop: Header=BB23_6 Depth=1
	v_dual_add_nc_u32 v4, s16, v1 :: v_dual_mov_b32 v2, 0
	s_and_not1_b32 vcc_lo, exec_lo, s75
	s_cbranch_vccnz .LBB23_85
; %bb.55:                               ;   in Loop: Header=BB23_6 Depth=1
	s_and_not1_b32 vcc_lo, exec_lo, s78
	s_cbranch_vccnz .LBB23_82
; %bb.56:                               ;   in Loop: Header=BB23_6 Depth=1
	v_lshl_add_u32 v5, v4, 2, 0xc00
	s_and_not1_b32 vcc_lo, exec_lo, s82
	s_cbranch_vccnz .LBB23_110
; %bb.57:                               ;   in Loop: Header=BB23_6 Depth=1
	v_dual_mov_b32 v2, 0 :: v_dual_mov_b32 v3, 0
	s_mov_b32 s15, 1
	s_mov_b32 s14, 0
	;; [unrolled: 1-line block ×3, first 2 shown]
.LBB23_58:                              ;   Parent Loop BB23_6 Depth=1
                                        ; =>  This Inner Loop Header: Depth=2
	v_lshl_add_u32 v24, s15, 4, v5
	v_lshl_add_u32 v44, s14, 4, v5
	s_add_co_i32 s18, s18, -8
	s_add_co_i32 s15, s15, 16
	s_add_co_i32 s14, s14, 16
	ds_load_2addr_b32 v[6:7], v24 offset1:8
	ds_load_2addr_b32 v[8:9], v44 offset1:8
	ds_load_2addr_b32 v[10:11], v24 offset0:16 offset1:24
	ds_load_2addr_b32 v[12:13], v44 offset0:16 offset1:24
	;; [unrolled: 1-line block ×6, first 2 shown]
	s_cmp_lg_u32 s18, 0
	s_wait_dscnt 0x7
	v_add3_u32 v3, v6, v3, v7
	s_wait_dscnt 0x6
	v_add3_u32 v2, v8, v2, v9
	s_wait_dscnt 0x5
	s_delay_alu instid0(VALU_DEP_2) | instskip(SKIP_1) | instid1(VALU_DEP_2)
	v_add3_u32 v3, v10, v3, v11
	s_wait_dscnt 0x4
	v_add3_u32 v2, v12, v2, v13
	s_wait_dscnt 0x3
	s_delay_alu instid0(VALU_DEP_2) | instskip(SKIP_1) | instid1(VALU_DEP_2)
	;; [unrolled: 5-line block ×3, first 2 shown]
	v_add3_u32 v3, v42, v3, v43
	s_wait_dscnt 0x0
	v_add3_u32 v2, v44, v2, v45
	s_cbranch_scc1 .LBB23_58
; %bb.59:                               ;   in Loop: Header=BB23_6 Depth=1
	s_and_not1_b32 vcc_lo, exec_lo, s85
	s_mov_b32 s18, s80
	s_cbranch_vccnz .LBB23_61
.LBB23_60:                              ;   Parent Loop BB23_6 Depth=1
                                        ; =>  This Inner Loop Header: Depth=2
	v_lshl_add_u32 v6, s15, 4, v5
	v_lshl_add_u32 v7, s14, 4, v5
	s_add_co_i32 s18, s18, -1
	s_add_co_i32 s15, s15, 2
	s_add_co_i32 s14, s14, 2
	ds_load_b32 v6, v6
	ds_load_b32 v7, v7
	s_cmp_lg_u32 s18, 0
	s_wait_dscnt 0x0
	v_dual_add_nc_u32 v3, v6, v3 :: v_dual_add_nc_u32 v2, v7, v2
	s_cbranch_scc1 .LBB23_60
.LBB23_61:                              ;   in Loop: Header=BB23_6 Depth=1
	s_delay_alu instid0(VALU_DEP_1) | instskip(SKIP_2) | instid1(SALU_CYCLE_1)
	v_add_nc_u32_e32 v2, v2, v3
	s_mov_b32 s14, s79
	s_mov_b32 s8, s86
	s_and_b32 vcc_lo, exec_lo, s8
	s_cbranch_vccnz .LBB23_83
	s_branch .LBB23_85
.LBB23_62:                              ;   in Loop: Header=BB23_6 Depth=1
	v_dual_mov_b32 v2, 0 :: v_dual_mov_b32 v3, 0
	v_dual_mov_b32 v4, 0 :: v_dual_mov_b32 v5, 0
	s_and_saveexec_b32 s46, s11
	s_cbranch_execz .LBB23_66
; %bb.63:                               ;   in Loop: Header=BB23_6 Depth=1
	v_mov_b32_e32 v6, v19
	s_mov_b32 s58, 0
	s_mov_b32 s59, 0
	;; [unrolled: 1-line block ×6, first 2 shown]
.LBB23_64:                              ;   Parent Loop BB23_6 Depth=1
                                        ; =>  This Inner Loop Header: Depth=2
	v_dual_add_nc_u32 v2, s59, v37 :: v_dual_add_nc_u32 v4, s59, v34
	v_dual_add_nc_u32 v3, s59, v33 :: v_dual_add_nc_u32 v5, s59, v35
	s_add_co_i32 s59, s59, s94
	s_clause 0x3
	global_load_i8 v2, v2, s[38:39]
	global_load_i8 v3, v3, s[38:39]
	;; [unrolled: 1-line block ×4, first 2 shown]
	s_wait_loadcnt 0x3
	s_wait_xcnt 0x3
	v_add_nc_u32_e32 v2, 0x80, v2
	s_wait_loadcnt 0x2
	s_wait_xcnt 0x2
	v_add_nc_u32_e32 v3, 0x80, v3
	;; [unrolled: 3-line block ×3, first 2 shown]
	v_add_nc_u32_e32 v6, s62, v6
	s_wait_loadcnt 0x0
	v_add_nc_u32_e32 v5, 0x80, v5
	v_and_b32_e32 v7, v2, v39
	v_bfe_u32 v2, v2, s101, 2
	v_and_b32_e32 v8, v3, v39
	v_bfe_u32 v3, v3, s101, 2
	;; [unrolled: 2-line block ×3, first 2 shown]
	v_cmp_eq_u32_e64 s14, v7, v32
	v_cmp_eq_u32_e64 s18, 0, v2
	v_and_b32_e32 v10, v5, v39
	v_bfe_u32 v5, v5, s101, 2
	v_cmp_eq_u32_e64 s15, v8, v32
	v_cmp_eq_u32_e64 s19, 0, v3
	;; [unrolled: 1-line block ×4, first 2 shown]
	s_and_b32 s8, s14, s18
	v_cmp_eq_u32_e64 s17, v10, v32
	v_cmp_eq_u32_e64 s21, 0, v5
	;; [unrolled: 1-line block ×5, first 2 shown]
	v_cndmask_b32_e64 v2, 0, 1, s8
	s_and_b32 s8, s15, s19
	v_cmp_eq_u32_e64 s23, 1, v3
	v_cmp_eq_u32_e64 s27, 2, v3
	v_cmp_eq_u32_e64 s31, 3, v3
	v_cndmask_b32_e64 v3, 0, 1, s8
	s_and_b32 s8, s16, s20
	v_cmp_eq_u32_e64 s24, 1, v4
	v_cmp_eq_u32_e64 s28, 2, v4
	v_cmp_eq_u32_e64 s33, 3, v4
	;; [unrolled: 5-line block ×3, first 2 shown]
	v_cndmask_b32_e64 v5, 0, 1, s8
	s_and_b32 s8, s14, s22
	v_cmp_le_u32_e32 vcc_lo, s92, v6
	v_cndmask_b32_e64 v7, 0, 1, s8
	s_and_b32 s8, s15, s23
	s_delay_alu instid0(SALU_CYCLE_1) | instskip(SKIP_1) | instid1(VALU_DEP_2)
	v_cndmask_b32_e64 v8, 0, 1, s8
	s_and_b32 s8, s16, s24
	v_cmp_ne_u32_e64 s18, 0, v7
	v_cndmask_b32_e64 v9, 0, 1, s8
	s_and_b32 s8, s17, s25
	v_cmp_ne_u32_e64 s19, 0, v8
	;; [unrolled: 3-line block ×10, first 2 shown]
	v_cndmask_b32_e64 v24, 0, 1, s8
	v_cmp_ne_u32_e64 s15, 0, v3
	v_cmp_ne_u32_e64 s17, 0, v5
	;; [unrolled: 1-line block ×5, first 2 shown]
	s_bcnt1_i32_b32 s8, s14
	s_bcnt1_i32_b32 s14, s16
	;; [unrolled: 1-line block ×7, first 2 shown]
	v_cmp_ne_u32_e64 s29, 0, v24
	s_bcnt1_i32_b32 s9, s15
	s_bcnt1_i32_b32 s15, s17
	;; [unrolled: 1-line block ×7, first 2 shown]
	s_add_co_i32 s8, s8, s41
	s_add_co_i32 s16, s16, s40
	;; [unrolled: 1-line block ×4, first 2 shown]
	s_bcnt1_i32_b32 s26, s28
	s_add_co_i32 s8, s8, s9
	s_add_co_i32 s9, s16, s17
	;; [unrolled: 1-line block ×4, first 2 shown]
	s_bcnt1_i32_b32 s27, s29
	s_add_co_i32 s8, s8, s14
	s_add_co_i32 s9, s9, s18
	;; [unrolled: 1-line block ×8, first 2 shown]
	v_dual_mov_b32 v2, s41 :: v_dual_mov_b32 v3, s40
	v_dual_mov_b32 v4, s61 :: v_dual_mov_b32 v5, s60
	s_or_b32 s58, vcc_lo, s58
	s_delay_alu instid0(SALU_CYCLE_1)
	s_and_not1_b32 exec_lo, exec_lo, s58
	s_cbranch_execnz .LBB23_64
; %bb.65:                               ;   in Loop: Header=BB23_6 Depth=1
	s_or_b32 exec_lo, exec_lo, s58
.LBB23_66:                              ;   in Loop: Header=BB23_6 Depth=1
	s_delay_alu instid0(SALU_CYCLE_1)
	s_or_b32 exec_lo, exec_lo, s46
	s_and_saveexec_b32 s18, s12
	s_cbranch_execz .LBB23_72
; %bb.67:                               ;   in Loop: Header=BB23_6 Depth=1
	global_load_u8 v9, v[26:27], off
	v_dual_mov_b32 v6, v36 :: v_dual_mov_b32 v7, v30
	s_mov_b32 s19, 0
	s_branch .LBB23_69
.LBB23_68:                              ;   in Loop: Header=BB23_69 Depth=2
	s_wait_xcnt 0x0
	s_or_b32 exec_lo, exec_lo, s8
	s_wait_loadcnt 0x0
	v_bfe_i32 v9, v9, 0, 8
	s_and_b32 s8, exec_lo, vcc_lo
	v_add_nc_u32_e32 v6, s51, v6
	s_or_b32 s19, s8, s19
	s_delay_alu instid0(VALU_DEP_2) | instskip(NEXT) | instid1(VALU_DEP_1)
	v_add_nc_u32_e32 v9, 0x80, v9
	v_and_b32_e32 v10, v9, v39
	v_bfe_u32 v9, v9, s101, 2
	s_delay_alu instid0(VALU_DEP_2) | instskip(NEXT) | instid1(VALU_DEP_2)
	v_cmp_eq_u32_e32 vcc_lo, v10, v32
	v_cmp_eq_u32_e64 s14, 0, v9
	v_cmp_eq_u32_e64 s15, 1, v9
	;; [unrolled: 1-line block ×4, first 2 shown]
	s_and_b32 s8, vcc_lo, s14
	s_delay_alu instid0(SALU_CYCLE_1) | instskip(SKIP_1) | instid1(SALU_CYCLE_1)
	v_cndmask_b32_e64 v9, 0, 1, s8
	s_and_b32 s8, vcc_lo, s15
	v_cndmask_b32_e64 v10, 0, 1, s8
	s_and_b32 s8, vcc_lo, s16
	s_delay_alu instid0(SALU_CYCLE_1)
	v_cndmask_b32_e64 v11, 0, 1, s8
	s_and_b32 s8, vcc_lo, s17
	v_cmp_ne_u32_e32 vcc_lo, 0, v9
	v_cndmask_b32_e64 v12, 0, 1, s8
	v_cmp_ne_u32_e64 s14, 0, v10
	v_cmp_ne_u32_e64 s15, 0, v11
	v_mov_b32_e32 v9, v8
	s_bcnt1_i32_b32 s8, vcc_lo
	v_cmp_ne_u32_e64 s16, 0, v12
	s_bcnt1_i32_b32 s9, s14
	s_bcnt1_i32_b32 s14, s15
	v_dual_add_nc_u32 v2, s8, v2 :: v_dual_add_nc_u32 v3, s9, v3
	s_bcnt1_i32_b32 s15, s16
	s_delay_alu instid0(SALU_CYCLE_1)
	v_dual_add_nc_u32 v4, s14, v4 :: v_dual_add_nc_u32 v5, s15, v5
	s_and_not1_b32 exec_lo, exec_lo, s19
	s_cbranch_execz .LBB23_71
.LBB23_69:                              ;   Parent Loop BB23_6 Depth=1
                                        ; =>  This Inner Loop Header: Depth=2
	s_delay_alu instid0(VALU_DEP_1) | instskip(SKIP_1) | instid1(VALU_DEP_1)
	v_dual_mov_b32 v8, 0 :: v_dual_add_nc_u32 v7, s47, v7
	s_mov_b32 s8, exec_lo
	v_cmp_le_u32_e32 vcc_lo, s36, v7
	s_wait_xcnt 0x0
	v_cmpx_gt_u32_e64 s36, v7
	s_cbranch_execz .LBB23_68
; %bb.70:                               ;   in Loop: Header=BB23_69 Depth=2
	global_load_u8 v8, v6, s[38:39]
	s_branch .LBB23_68
.LBB23_71:                              ;   in Loop: Header=BB23_6 Depth=1
	s_or_b32 exec_lo, exec_lo, s19
.LBB23_72:                              ;   in Loop: Header=BB23_6 Depth=1
	s_delay_alu instid0(SALU_CYCLE_1)
	s_or_b32 exec_lo, exec_lo, s18
	s_branch .LBB23_51
.LBB23_73:                              ;   in Loop: Header=BB23_6 Depth=1
	s_mul_u64 s[8:9], s[64:65], s[68:69]
	v_dual_mov_b32 v2, 0 :: v_dual_mov_b32 v3, 0
	s_mul_i32 s8, s9, s62
	v_dual_mov_b32 v4, 0 :: v_dual_mov_b32 v5, 0
	s_sub_co_i32 s8, s64, s8
	s_mov_b32 s58, exec_lo
	s_sub_co_i32 s9, s8, s62
	s_cmp_ge_u32 s8, s62
	s_cselect_b32 s8, s9, s8
	s_delay_alu instid0(SALU_CYCLE_1) | instskip(SKIP_2) | instid1(SALU_CYCLE_1)
	s_sub_co_i32 s9, s8, s62
	s_cmp_ge_u32 s8, s62
	s_cselect_b32 s8, s9, s8
	s_sub_co_i32 s46, s64, s8
	s_delay_alu instid0(SALU_CYCLE_1)
	v_cmpx_gt_u32_e64 s46, v19
	s_cbranch_execz .LBB23_77
; %bb.74:                               ;   in Loop: Header=BB23_6 Depth=1
	v_mov_b32_e32 v6, v19
	s_mov_b32 s59, 0
	s_mov_b32 s60, 0
	;; [unrolled: 1-line block ×5, first 2 shown]
.LBB23_75:                              ;   Parent Loop BB23_6 Depth=1
                                        ; =>  This Inner Loop Header: Depth=2
	ds_load_b32 v2, v6
	s_wait_dscnt 0x0
	v_bfe_i32 v3, v2, 0, 8
	v_bfe_i32 v4, v2, 8, 8
	;; [unrolled: 1-line block ×3, first 2 shown]
	s_delay_alu instid0(VALU_DEP_3) | instskip(NEXT) | instid1(VALU_DEP_3)
	v_add_nc_u32_e32 v3, 0x80, v3
	v_add_nc_u32_e32 v4, 0x80, v4
	v_ashrrev_i32_e32 v2, 24, v2
	s_delay_alu instid0(VALU_DEP_4) | instskip(NEXT) | instid1(VALU_DEP_4)
	v_add_nc_u32_e32 v5, 0x80, v5
	v_dual_add_nc_u32 v6, s62, v6 :: v_dual_bitop2_b32 v7, v3, v39 bitop3:0x40
	v_bfe_u32 v3, v3, s101, 2
	v_and_b32_e32 v8, v4, v39
	v_add_nc_u32_e32 v2, 0x80, v2
	v_bfe_u32 v4, v4, s101, 2
	v_and_b32_e32 v9, v5, v39
	v_bfe_u32 v5, v5, s101, 2
	v_cmp_eq_u32_e64 s14, v7, v32
	v_cmp_eq_u32_e64 s18, 0, v3
	v_and_b32_e32 v10, v2, v39
	v_bfe_u32 v2, v2, s101, 2
	v_cmp_eq_u32_e64 s15, v8, v32
	v_cmp_eq_u32_e64 s19, 0, v4
	;; [unrolled: 1-line block ×4, first 2 shown]
	s_and_b32 s8, s14, s18
	v_cmp_eq_u32_e64 s17, v10, v32
	v_cmp_eq_u32_e64 s21, 0, v2
	;; [unrolled: 1-line block ×5, first 2 shown]
	v_cndmask_b32_e64 v2, 0, 1, s8
	s_and_b32 s8, s15, s19
	v_cmp_eq_u32_e64 s22, 1, v3
	v_cmp_eq_u32_e64 s26, 2, v3
	v_cmp_eq_u32_e64 s30, 3, v3
	v_cndmask_b32_e64 v3, 0, 1, s8
	s_and_b32 s8, s16, s20
	v_cmp_eq_u32_e64 s23, 1, v4
	v_cmp_eq_u32_e64 s27, 2, v4
	v_cmp_eq_u32_e64 s31, 3, v4
	;; [unrolled: 5-line block ×3, first 2 shown]
	v_cndmask_b32_e64 v5, 0, 1, s8
	s_and_b32 s8, s14, s22
	v_cmp_le_u32_e32 vcc_lo, s46, v6
	v_cndmask_b32_e64 v7, 0, 1, s8
	s_and_b32 s8, s15, s23
	s_delay_alu instid0(SALU_CYCLE_1) | instskip(SKIP_1) | instid1(VALU_DEP_2)
	v_cndmask_b32_e64 v8, 0, 1, s8
	s_and_b32 s8, s16, s24
	v_cmp_ne_u32_e64 s18, 0, v7
	v_cndmask_b32_e64 v9, 0, 1, s8
	s_and_b32 s8, s17, s25
	v_cmp_ne_u32_e64 s19, 0, v8
	;; [unrolled: 3-line block ×10, first 2 shown]
	v_cndmask_b32_e64 v24, 0, 1, s8
	v_cmp_ne_u32_e64 s15, 0, v3
	v_cmp_ne_u32_e64 s17, 0, v5
	;; [unrolled: 1-line block ×5, first 2 shown]
	s_bcnt1_i32_b32 s8, s14
	s_bcnt1_i32_b32 s14, s16
	;; [unrolled: 1-line block ×7, first 2 shown]
	v_cmp_ne_u32_e64 s29, 0, v24
	s_bcnt1_i32_b32 s9, s15
	s_bcnt1_i32_b32 s15, s17
	s_bcnt1_i32_b32 s17, s19
	s_bcnt1_i32_b32 s19, s21
	s_bcnt1_i32_b32 s21, s23
	s_bcnt1_i32_b32 s23, s25
	s_bcnt1_i32_b32 s25, s27
	s_add_co_i32 s8, s8, s42
	s_add_co_i32 s16, s16, s41
	;; [unrolled: 1-line block ×4, first 2 shown]
	s_bcnt1_i32_b32 s26, s28
	s_add_co_i32 s8, s8, s9
	s_add_co_i32 s9, s16, s17
	;; [unrolled: 1-line block ×4, first 2 shown]
	s_bcnt1_i32_b32 s27, s29
	s_add_co_i32 s8, s8, s14
	s_add_co_i32 s9, s9, s18
	;; [unrolled: 1-line block ×8, first 2 shown]
	v_dual_mov_b32 v2, s42 :: v_dual_mov_b32 v3, s41
	v_dual_mov_b32 v4, s40 :: v_dual_mov_b32 v5, s60
	s_or_b32 s59, vcc_lo, s59
	s_delay_alu instid0(SALU_CYCLE_1)
	s_and_not1_b32 exec_lo, exec_lo, s59
	s_cbranch_execnz .LBB23_75
; %bb.76:                               ;   in Loop: Header=BB23_6 Depth=1
	s_or_b32 exec_lo, exec_lo, s59
.LBB23_77:                              ;   in Loop: Header=BB23_6 Depth=1
	s_delay_alu instid0(SALU_CYCLE_1) | instskip(SKIP_2) | instid1(VALU_DEP_1)
	s_or_b32 exec_lo, exec_lo, s58
	v_add_nc_u32_e32 v6, s46, v0
	s_mov_b32 s19, exec_lo
	v_cmpx_gt_u32_e64 s64, v6
	s_cbranch_execz .LBB23_81
; %bb.78:                               ;   in Loop: Header=BB23_6 Depth=1
	s_mov_b32 s20, 0
.LBB23_79:                              ;   Parent Loop BB23_6 Depth=1
                                        ; =>  This Inner Loop Header: Depth=2
	ds_load_i8 v7, v6
	s_wait_dscnt 0x0
	v_add_nc_u32_e32 v7, 0x80, v7
	s_delay_alu instid0(VALU_DEP_1) | instskip(SKIP_1) | instid1(VALU_DEP_2)
	v_dual_add_nc_u32 v6, s47, v6 :: v_dual_bitop2_b32 v8, v7, v39 bitop3:0x40
	v_bfe_u32 v7, v7, s101, 2
	v_cmp_le_u32_e32 vcc_lo, s64, v6
	s_delay_alu instid0(VALU_DEP_3) | instskip(NEXT) | instid1(VALU_DEP_3)
	v_cmp_eq_u32_e64 s14, v8, v32
	v_cmp_eq_u32_e64 s15, 0, v7
	;; [unrolled: 1-line block ×5, first 2 shown]
	s_and_b32 s8, s14, s15
	s_delay_alu instid0(SALU_CYCLE_1) | instskip(SKIP_1) | instid1(SALU_CYCLE_1)
	v_cndmask_b32_e64 v7, 0, 1, s8
	s_and_b32 s8, s14, s16
	v_cndmask_b32_e64 v8, 0, 1, s8
	s_and_b32 s8, s14, s17
	s_delay_alu instid0(SALU_CYCLE_1)
	v_cndmask_b32_e64 v9, 0, 1, s8
	s_and_b32 s8, s14, s18
	v_cmp_ne_u32_e64 s14, 0, v7
	v_cndmask_b32_e64 v10, 0, 1, s8
	v_cmp_ne_u32_e64 s15, 0, v8
	v_cmp_ne_u32_e64 s16, 0, v9
	s_bcnt1_i32_b32 s8, s14
	v_cmp_ne_u32_e64 s17, 0, v10
	s_bcnt1_i32_b32 s9, s15
	s_bcnt1_i32_b32 s14, s16
	v_dual_add_nc_u32 v2, s8, v2 :: v_dual_add_nc_u32 v3, s9, v3
	s_bcnt1_i32_b32 s15, s17
	s_delay_alu instid0(SALU_CYCLE_1) | instskip(SKIP_1) | instid1(SALU_CYCLE_1)
	v_dual_add_nc_u32 v4, s14, v4 :: v_dual_add_nc_u32 v5, s15, v5
	s_or_b32 s20, vcc_lo, s20
	s_and_not1_b32 exec_lo, exec_lo, s20
	s_cbranch_execnz .LBB23_79
; %bb.80:                               ;   in Loop: Header=BB23_6 Depth=1
	s_or_b32 exec_lo, exec_lo, s20
.LBB23_81:                              ;   in Loop: Header=BB23_6 Depth=1
	s_delay_alu instid0(SALU_CYCLE_1)
	s_or_b32 exec_lo, exec_lo, s19
	s_lshl_b32 s16, s97, 7
	s_and_saveexec_b32 s8, s2
	s_cbranch_execnz .LBB23_52
	s_branch .LBB23_53
.LBB23_82:                              ;   in Loop: Header=BB23_6 Depth=1
	v_mov_b32_e32 v2, 0
	s_mov_b32 s14, 0
	s_cbranch_execz .LBB23_85
.LBB23_83:                              ;   in Loop: Header=BB23_6 Depth=1
	s_lshl_b32 s8, s97, 9
	s_lshl_b32 s9, s14, 4
	s_delay_alu instid0(SALU_CYCLE_1)
	v_add3_u32 v3, s8, s9, v38
	s_sub_co_i32 s8, s77, s14
.LBB23_84:                              ;   Parent Loop BB23_6 Depth=1
                                        ; =>  This Inner Loop Header: Depth=2
	ds_load_b32 v5, v3
	v_add_nc_u32_e32 v3, 16, v3
	s_add_co_i32 s8, s8, -1
	s_delay_alu instid0(SALU_CYCLE_1)
	s_cmp_eq_u32 s8, 0
	s_wait_dscnt 0x0
	v_add_nc_u32_e32 v2, v5, v2
	s_cbranch_scc0 .LBB23_84
.LBB23_85:                              ;   in Loop: Header=BB23_6 Depth=1
	s_delay_alu instid0(VALU_DEP_1)
	v_lshlrev_b32_e32 v3, 2, v4
	ds_store_b32 v3, v2 offset:3072
.LBB23_86:                              ;   in Loop: Header=BB23_6 Depth=1
	s_or_b32 exec_lo, exec_lo, s17
	s_lshl_b32 s8, s16, 2
	s_wait_dscnt 0x0
	v_mov_b32_e32 v2, s8
	s_barrier_signal -1
	s_barrier_wait -1
	v_cmp_eq_u32_e64 s14, 1, v41
	ds_load_b128 v[2:5], v2 offset:3072
	s_lshl_b32 s18, 3, s101
	s_mov_b32 s26, -1
	s_not_b32 s19, s18
	s_mov_b32 s16, 0
	s_and_not1_b32 vcc_lo, exec_lo, s57
	s_mov_b32 s23, 0
	s_mov_b32 s15, 0
                                        ; implicit-def: $sgpr24
                                        ; implicit-def: $sgpr25
                                        ; implicit-def: $vgpr6
	s_wait_dscnt 0x0
	v_readfirstlane_b32 s17, v2
	v_readfirstlane_b32 s20, v3
	;; [unrolled: 1-line block ×4, first 2 shown]
                                        ; implicit-def: $vgpr5
                                        ; implicit-def: $vgpr2
                                        ; implicit-def: $vgpr3
                                        ; implicit-def: $vgpr4
	s_cbranch_vccnz .LBB23_245
; %bb.87:                               ;   in Loop: Header=BB23_6 Depth=1
	s_cmp_eq_u32 s17, 1
	v_dual_mov_b32 v3, v32 :: v_dual_mov_b32 v4, v39
	v_mov_b32_e32 v6, v40
	s_cselect_b32 s8, -1, 0
	s_mov_b32 s29, -1
	s_and_b32 s28, s8, s14
                                        ; implicit-def: $sgpr25
                                        ; implicit-def: $sgpr24
	s_delay_alu instid0(SALU_CYCLE_1)
	s_and_saveexec_b32 s15, s28
	s_cbranch_execz .LBB23_114
; %bb.88:                               ;   in Loop: Header=BB23_6 Depth=1
	ds_load_b32 v2, v25 offset:4096
	s_wait_dscnt 0x0
	s_barrier_signal -1
	s_barrier_wait -1
	v_readfirstlane_b32 s26, v2
	s_and_saveexec_b32 s8, s6
; %bb.89:                               ;   in Loop: Header=BB23_6 Depth=1
	ds_store_b8 v0, v25 offset:3072
; %bb.90:                               ;   in Loop: Header=BB23_6 Depth=1
	s_or_b32 exec_lo, exec_lo, s8
	v_and_b32_e32 v3, s19, v32
	v_or_b32_e32 v4, s18, v39
	s_mov_b32 s24, -1
	s_mov_b32 s25, 0
	s_cmp_eq_u32 s26, 0
	s_mov_b32 s27, -1
	s_wait_dscnt 0x0
	s_barrier_signal -1
	s_barrier_wait -1
                                        ; implicit-def: $vgpr6
	s_cbranch_scc1 .LBB23_101
; %bb.91:                               ;   in Loop: Header=BB23_6 Depth=1
	s_add_co_i32 s64, s26, s76
	s_mov_b32 s27, 0
	s_mul_u64 s[8:9], s[64:65], s[70:71]
	s_mov_b32 s29, exec_lo
	s_mul_i32 s8, s9, s47
                                        ; implicit-def: $vgpr6
	s_delay_alu instid0(SALU_CYCLE_1) | instskip(NEXT) | instid1(SALU_CYCLE_1)
	s_sub_co_i32 s8, s64, s8
	s_sub_co_i32 s9, s8, s47
	s_cmp_ge_u32 s8, s47
	s_cselect_b32 s8, s9, s8
	s_delay_alu instid0(SALU_CYCLE_1) | instskip(SKIP_2) | instid1(SALU_CYCLE_1)
	s_sub_co_i32 s9, s8, s47
	s_cmp_ge_u32 s8, s47
	s_cselect_b32 s8, s9, s8
	s_sub_co_i32 s30, s64, s8
	s_delay_alu instid0(SALU_CYCLE_1)
	v_cmpx_gt_u32_e64 s30, v0
	s_cbranch_execz .LBB23_100
; %bb.92:                               ;   in Loop: Header=BB23_6 Depth=1
	v_mov_b32_e32 v2, v0
                                        ; implicit-def: $sgpr31
	s_branch .LBB23_95
.LBB23_93:                              ;   in Loop: Header=BB23_95 Depth=2
	s_or_b32 exec_lo, exec_lo, s8
	s_wait_dscnt 0x0
	s_barrier_signal -1
	s_barrier_wait -1
	ds_load_u16 v5, v25 offset:3072
	s_mov_b32 s33, -1
	s_mov_b32 s8, -1
	s_wait_dscnt 0x0
	s_barrier_signal -1
	s_barrier_wait -1
	v_and_b32_e32 v6, 0xff, v5
	s_delay_alu instid0(VALU_DEP_1)
	v_cmp_ne_u32_e32 vcc_lo, 0, v6
	s_cbranch_vccz .LBB23_98
.LBB23_94:                              ;   in Loop: Header=BB23_95 Depth=2
	s_and_b32 s9, exec_lo, s33
	s_delay_alu instid0(SALU_CYCLE_1) | instskip(SKIP_2) | instid1(SALU_CYCLE_1)
	s_or_b32 s23, s9, s23
	s_and_not1_b32 s9, s31, exec_lo
	s_and_b32 s8, s8, exec_lo
	s_or_b32 s31, s9, s8
	s_and_not1_b32 exec_lo, exec_lo, s23
	s_cbranch_execz .LBB23_99
.LBB23_95:                              ;   Parent Loop BB23_6 Depth=1
                                        ; =>  This Inner Loop Header: Depth=2
	s_mov_b32 s8, exec_lo
	s_delay_alu instid0(VALU_DEP_1)
	v_cmpx_gt_u32_e64 s26, v2
	s_cbranch_execz .LBB23_93
; %bb.96:                               ;   in Loop: Header=BB23_95 Depth=2
	ds_load_u8 v5, v2
	s_wait_dscnt 0x0
	v_bfe_i32 v6, v5, 0, 8
	s_delay_alu instid0(VALU_DEP_1) | instskip(NEXT) | instid1(VALU_DEP_1)
	v_add_nc_u32_e32 v6, 0x80, v6
	v_and_b32_e32 v6, v6, v4
	s_delay_alu instid0(VALU_DEP_1)
	v_cmp_eq_u32_e32 vcc_lo, v6, v3
	s_and_b32 exec_lo, exec_lo, vcc_lo
	s_cbranch_execz .LBB23_93
; %bb.97:                               ;   in Loop: Header=BB23_95 Depth=2
	v_lshlrev_b16 v5, 8, v5
	s_delay_alu instid0(VALU_DEP_1)
	v_or_b32_e32 v5, 1, v5
	ds_store_b16 v25, v5 offset:3072
	s_branch .LBB23_93
.LBB23_98:                              ;   in Loop: Header=BB23_95 Depth=2
	v_add_nc_u32_e32 v2, s47, v2
	s_mov_b32 s8, 0
	s_delay_alu instid0(VALU_DEP_1)
	v_cmp_le_u32_e32 vcc_lo, s30, v2
	s_or_not1_b32 s33, vcc_lo, exec_lo
	s_branch .LBB23_94
.LBB23_99:                              ;   in Loop: Header=BB23_6 Depth=1
	s_or_b32 exec_lo, exec_lo, s23
	v_and_b32_e32 v2, 0xffff, v5
	s_and_b32 s23, s31, exec_lo
	s_delay_alu instid0(VALU_DEP_1)
	v_lshrrev_b32_e32 v6, 8, v2
.LBB23_100:                             ;   in Loop: Header=BB23_6 Depth=1
	s_or_b32 exec_lo, exec_lo, s29
.LBB23_101:                             ;   in Loop: Header=BB23_6 Depth=1
	s_delay_alu instid0(SALU_CYCLE_1)
	s_and_b32 vcc_lo, exec_lo, s27
	s_cbranch_vccz .LBB23_113
; %bb.102:                              ;   in Loop: Header=BB23_6 Depth=1
                                        ; implicit-def: $vgpr6
	s_and_saveexec_b32 s24, s13
	s_cbranch_execz .LBB23_112
; %bb.103:                              ;   in Loop: Header=BB23_6 Depth=1
	v_dual_mov_b32 v2, v22 :: v_dual_mov_b32 v5, v0
	s_mov_b32 s26, 0
                                        ; implicit-def: $sgpr25
	s_branch .LBB23_106
.LBB23_104:                             ;   in Loop: Header=BB23_106 Depth=2
	s_or_b32 exec_lo, exec_lo, s8
	s_wait_dscnt 0x0
	s_barrier_signal -1
	s_barrier_wait -1
	ds_load_u16 v6, v25 offset:3072
	s_mov_b32 s8, -1
	s_mov_b32 s27, -1
	s_wait_dscnt 0x0
	s_barrier_signal -1
	s_barrier_wait -1
	v_and_b32_e32 v7, 0xff, v6
	s_delay_alu instid0(VALU_DEP_1)
	v_cmp_ne_u32_e32 vcc_lo, 0, v7
	s_cbranch_vccz .LBB23_109
.LBB23_105:                             ;   in Loop: Header=BB23_106 Depth=2
	s_and_b32 s8, exec_lo, s8
	s_delay_alu instid0(SALU_CYCLE_1) | instskip(SKIP_2) | instid1(SALU_CYCLE_1)
	s_or_b32 s26, s8, s26
	s_and_not1_b32 s8, s25, exec_lo
	s_and_b32 s9, s27, exec_lo
	s_or_b32 s25, s8, s9
	s_and_not1_b32 exec_lo, exec_lo, s26
	s_cbranch_execz .LBB23_111
.LBB23_106:                             ;   Parent Loop BB23_6 Depth=1
                                        ; =>  This Inner Loop Header: Depth=2
	s_mov_b32 s8, exec_lo
	s_delay_alu instid0(VALU_DEP_1)
	v_cmpx_gt_u32_e64 s36, v5
	s_cbranch_execz .LBB23_104
; %bb.107:                              ;   in Loop: Header=BB23_106 Depth=2
	global_load_u8 v6, v2, s[38:39]
	s_wait_loadcnt 0x0
	v_bfe_i32 v7, v6, 0, 8
	s_delay_alu instid0(VALU_DEP_1) | instskip(NEXT) | instid1(VALU_DEP_1)
	v_add_nc_u32_e32 v7, 0x80, v7
	v_and_b32_e32 v7, v7, v4
	s_delay_alu instid0(VALU_DEP_1)
	v_cmp_eq_u32_e32 vcc_lo, v7, v3
	s_and_b32 exec_lo, exec_lo, vcc_lo
	s_cbranch_execz .LBB23_104
; %bb.108:                              ;   in Loop: Header=BB23_106 Depth=2
	v_lshlrev_b16 v6, 8, v6
	s_delay_alu instid0(VALU_DEP_1)
	v_or_b32_e32 v6, 1, v6
	ds_store_b16 v25, v6 offset:3072
	s_branch .LBB23_104
.LBB23_109:                             ;   in Loop: Header=BB23_106 Depth=2
	v_dual_add_nc_u32 v5, s47, v5 :: v_dual_add_nc_u32 v2, s51, v2
	s_mov_b32 s27, 0
	s_delay_alu instid0(VALU_DEP_1)
	v_cmp_le_u32_e32 vcc_lo, s93, v5
	s_or_not1_b32 s8, vcc_lo, exec_lo
	s_branch .LBB23_105
.LBB23_110:                             ;   in Loop: Header=BB23_6 Depth=1
	s_mov_b64 s[14:15], 0x100000000
	v_mov_b64_e32 v[2:3], 0
	s_and_not1_b32 vcc_lo, exec_lo, s85
	s_mov_b32 s18, s80
	s_cbranch_vccz .LBB23_60
	s_branch .LBB23_61
.LBB23_111:                             ;   in Loop: Header=BB23_6 Depth=1
	s_or_b32 exec_lo, exec_lo, s26
	v_and_b32_e32 v2, 0xffff, v6
	s_and_not1_b32 s8, s23, exec_lo
	s_and_b32 s9, s25, exec_lo
	s_delay_alu instid0(SALU_CYCLE_1) | instskip(NEXT) | instid1(VALU_DEP_1)
	s_or_b32 s23, s8, s9
	v_lshrrev_b32_e32 v6, 8, v2
.LBB23_112:                             ;   in Loop: Header=BB23_6 Depth=1
	s_or_b32 exec_lo, exec_lo, s24
	s_mov_b32 s24, 0
	s_mov_b32 s25, -1
.LBB23_113:                             ;   in Loop: Header=BB23_6 Depth=1
	s_or_not1_b32 s29, s23, exec_lo
.LBB23_114:                             ;   in Loop: Header=BB23_6 Depth=1
	s_or_b32 exec_lo, exec_lo, s15
	s_mov_b32 s26, 0
	s_mov_b32 s23, 0
	;; [unrolled: 1-line block ×3, first 2 shown]
                                        ; implicit-def: $vgpr5
                                        ; implicit-def: $vgpr2
	s_and_saveexec_b32 s27, s29
	s_cbranch_execz .LBB23_244
; %bb.115:                              ;   in Loop: Header=BB23_6 Depth=1
	v_dual_mov_b32 v5, 1 :: v_dual_mov_b32 v2, 1
	s_xor_b32 s8, s28, -1
	s_mov_b32 s30, 0
	s_and_saveexec_b32 s15, s8
	s_cbranch_execz .LBB23_124
; %bb.116:                              ;   in Loop: Header=BB23_6 Depth=1
	s_mov_b32 s8, exec_lo
	v_cmpx_ge_u32_e64 s17, v41
	s_xor_b32 s23, exec_lo, s8
	s_cbranch_execz .LBB23_121
; %bb.117:                              ;   in Loop: Header=BB23_6 Depth=1
	ds_load_b32 v2, v25 offset:4096
	v_and_b32_e32 v3, s19, v3
	v_or_b32_e32 v4, s18, v4
	s_wait_dscnt 0x0
	v_cmp_ne_u32_e32 vcc_lo, 0, v2
	s_cbranch_vccnz .LBB23_121
; %bb.118:                              ;   in Loop: Header=BB23_6 Depth=1
	s_and_saveexec_b32 s8, s5
; %bb.119:                              ;   in Loop: Header=BB23_6 Depth=1
	v_mov_b32_e32 v2, s17
	ds_store_b32 v25, v2 offset:4100
; %bb.120:                              ;   in Loop: Header=BB23_6 Depth=1
	s_or_b32 exec_lo, exec_lo, s8
	s_wait_dscnt 0x0
	s_barrier_signal -1
	s_barrier_wait -1
.LBB23_121:                             ;   in Loop: Header=BB23_6 Depth=1
	s_or_saveexec_b32 s23, s23
	v_dual_mov_b32 v2, 8 :: v_dual_mov_b32 v5, v41
	s_mov_b32 s8, 0
	s_xor_b32 exec_lo, exec_lo, s23
; %bb.122:                              ;   in Loop: Header=BB23_6 Depth=1
	v_subrev_nc_u32_e32 v5, s17, v41
	v_mov_b32_e32 v2, 0
	s_mov_b32 s8, exec_lo
; %bb.123:                              ;   in Loop: Header=BB23_6 Depth=1
	s_or_b32 exec_lo, exec_lo, s23
	s_delay_alu instid0(SALU_CYCLE_1)
	s_and_b32 s30, s8, exec_lo
.LBB23_124:                             ;   in Loop: Header=BB23_6 Depth=1
	s_or_b32 exec_lo, exec_lo, s15
	s_mov_b32 s29, -1
                                        ; implicit-def: $sgpr23
                                        ; implicit-def: $sgpr28
	s_and_saveexec_b32 s8, s30
	s_delay_alu instid0(SALU_CYCLE_1)
	s_xor_b32 s15, exec_lo, s8
	s_cbranch_execz .LBB23_241
; %bb.125:                              ;   in Loop: Header=BB23_6 Depth=1
	v_cmp_eq_u32_e32 vcc_lo, 1, v5
	s_cmp_eq_u32 s20, 1
	s_mov_b32 s31, -1
	s_cselect_b32 s8, -1, 0
                                        ; implicit-def: $sgpr28
                                        ; implicit-def: $sgpr23
	s_delay_alu instid0(SALU_CYCLE_1) | instskip(NEXT) | instid1(SALU_CYCLE_1)
	s_and_b32 s30, s8, vcc_lo
	s_and_saveexec_b32 s29, s30
	s_cbranch_execz .LBB23_151
; %bb.126:                              ;   in Loop: Header=BB23_6 Depth=1
	ds_load_b32 v6, v25 offset:4096
	s_wait_dscnt 0x0
	s_barrier_signal -1
	s_barrier_wait -1
	v_readfirstlane_b32 s33, v6
	s_and_saveexec_b32 s8, s6
; %bb.127:                              ;   in Loop: Header=BB23_6 Depth=1
	ds_store_b8 v0, v25 offset:3072
; %bb.128:                              ;   in Loop: Header=BB23_6 Depth=1
	s_or_b32 exec_lo, exec_lo, s8
	s_lshl_b32 s8, 1, s101
	v_or_b32_e32 v4, s18, v4
	v_and_or_b32 v3, v3, s19, s8
	s_mov_b32 s23, -1
	s_mov_b32 s28, 0
	s_cmp_eq_u32 s33, 0
	s_mov_b32 s31, 0
	s_mov_b32 s34, -1
	s_wait_dscnt 0x0
	s_barrier_signal -1
	s_barrier_wait -1
                                        ; implicit-def: $vgpr6
	s_cbranch_scc1 .LBB23_139
; %bb.129:                              ;   in Loop: Header=BB23_6 Depth=1
	s_add_co_i32 s64, s33, s76
	s_mov_b32 s34, 0
	s_mul_u64 s[8:9], s[64:65], s[70:71]
	s_mov_b32 s40, exec_lo
	s_mul_i32 s8, s9, s47
                                        ; implicit-def: $vgpr6
	s_delay_alu instid0(SALU_CYCLE_1) | instskip(NEXT) | instid1(SALU_CYCLE_1)
	s_sub_co_i32 s8, s64, s8
	s_sub_co_i32 s9, s8, s47
	s_cmp_ge_u32 s8, s47
	s_cselect_b32 s8, s9, s8
	s_delay_alu instid0(SALU_CYCLE_1) | instskip(SKIP_2) | instid1(SALU_CYCLE_1)
	s_sub_co_i32 s9, s8, s47
	s_cmp_ge_u32 s8, s47
	s_cselect_b32 s8, s9, s8
	s_sub_co_i32 s41, s64, s8
	s_delay_alu instid0(SALU_CYCLE_1)
	v_cmpx_gt_u32_e64 s41, v0
	s_cbranch_execz .LBB23_138
; %bb.130:                              ;   in Loop: Header=BB23_6 Depth=1
	v_mov_b32_e32 v6, v0
                                        ; implicit-def: $sgpr35
	s_branch .LBB23_133
.LBB23_131:                             ;   in Loop: Header=BB23_133 Depth=2
	s_or_b32 exec_lo, exec_lo, s42
	s_wait_dscnt 0x0
	s_barrier_signal -1
	s_barrier_wait -1
	ds_load_u16 v7, v25 offset:3072
	s_mov_b32 s42, -1
	s_mov_b32 s8, -1
	s_wait_dscnt 0x0
	s_barrier_signal -1
	s_barrier_wait -1
	v_and_b32_e32 v8, 0xff, v7
	s_delay_alu instid0(VALU_DEP_1)
	v_cmp_ne_u32_e32 vcc_lo, 0, v8
	s_cbranch_vccz .LBB23_136
.LBB23_132:                             ;   in Loop: Header=BB23_133 Depth=2
	s_and_b32 s9, exec_lo, s42
	s_delay_alu instid0(SALU_CYCLE_1) | instskip(SKIP_2) | instid1(SALU_CYCLE_1)
	s_or_b32 s31, s9, s31
	s_and_not1_b32 s9, s35, exec_lo
	s_and_b32 s8, s8, exec_lo
	s_or_b32 s35, s9, s8
	s_and_not1_b32 exec_lo, exec_lo, s31
	s_cbranch_execz .LBB23_137
.LBB23_133:                             ;   Parent Loop BB23_6 Depth=1
                                        ; =>  This Inner Loop Header: Depth=2
	s_mov_b32 s42, exec_lo
	s_delay_alu instid0(VALU_DEP_1)
	v_cmpx_gt_u32_e64 s33, v6
	s_cbranch_execz .LBB23_131
; %bb.134:                              ;   in Loop: Header=BB23_133 Depth=2
	ds_load_u8 v7, v6
	s_wait_dscnt 0x0
	v_bfe_i32 v8, v7, 0, 8
	s_delay_alu instid0(VALU_DEP_1) | instskip(NEXT) | instid1(VALU_DEP_1)
	v_add_nc_u32_e32 v8, 0x80, v8
	v_and_b32_e32 v8, v8, v4
	s_delay_alu instid0(VALU_DEP_1)
	v_cmp_eq_u32_e32 vcc_lo, v8, v3
	s_and_b32 exec_lo, exec_lo, vcc_lo
	s_cbranch_execz .LBB23_131
; %bb.135:                              ;   in Loop: Header=BB23_133 Depth=2
	v_lshlrev_b16 v7, 8, v7
	s_delay_alu instid0(VALU_DEP_1)
	v_or_b32_e32 v7, 1, v7
	ds_store_b16 v25, v7 offset:3072
	s_branch .LBB23_131
.LBB23_136:                             ;   in Loop: Header=BB23_133 Depth=2
	v_add_nc_u32_e32 v6, s47, v6
	s_mov_b32 s8, 0
	s_delay_alu instid0(VALU_DEP_1)
	v_cmp_le_u32_e32 vcc_lo, s41, v6
	s_or_not1_b32 s42, vcc_lo, exec_lo
	s_branch .LBB23_132
.LBB23_137:                             ;   in Loop: Header=BB23_6 Depth=1
	s_or_b32 exec_lo, exec_lo, s31
	v_and_b32_e32 v6, 0xffff, v7
	s_and_b32 s31, s35, exec_lo
	s_delay_alu instid0(VALU_DEP_1)
	v_lshrrev_b32_e32 v6, 8, v6
.LBB23_138:                             ;   in Loop: Header=BB23_6 Depth=1
	s_or_b32 exec_lo, exec_lo, s40
.LBB23_139:                             ;   in Loop: Header=BB23_6 Depth=1
	s_delay_alu instid0(SALU_CYCLE_1)
	s_and_b32 vcc_lo, exec_lo, s34
	s_cbranch_vccz .LBB23_150
; %bb.140:                              ;   in Loop: Header=BB23_6 Depth=1
                                        ; implicit-def: $vgpr6
	s_and_saveexec_b32 s23, s13
	s_cbranch_execz .LBB23_149
; %bb.141:                              ;   in Loop: Header=BB23_6 Depth=1
	v_dual_mov_b32 v6, v22 :: v_dual_mov_b32 v7, v0
	s_mov_b32 s28, 0
                                        ; implicit-def: $sgpr33
	s_branch .LBB23_144
.LBB23_142:                             ;   in Loop: Header=BB23_144 Depth=2
	s_or_b32 exec_lo, exec_lo, s34
	s_wait_dscnt 0x0
	s_barrier_signal -1
	s_barrier_wait -1
	ds_load_u16 v8, v25 offset:3072
	s_mov_b32 s8, -1
	s_mov_b32 s34, -1
	s_wait_dscnt 0x0
	s_barrier_signal -1
	s_barrier_wait -1
	v_and_b32_e32 v9, 0xff, v8
	s_delay_alu instid0(VALU_DEP_1)
	v_cmp_eq_u32_e32 vcc_lo, 0, v9
	s_cbranch_vccnz .LBB23_147
.LBB23_143:                             ;   in Loop: Header=BB23_144 Depth=2
	s_and_b32 s8, exec_lo, s8
	s_delay_alu instid0(SALU_CYCLE_1) | instskip(SKIP_2) | instid1(SALU_CYCLE_1)
	s_or_b32 s28, s8, s28
	s_and_not1_b32 s8, s33, exec_lo
	s_and_b32 s9, s34, exec_lo
	s_or_b32 s33, s8, s9
	s_and_not1_b32 exec_lo, exec_lo, s28
	s_cbranch_execz .LBB23_148
.LBB23_144:                             ;   Parent Loop BB23_6 Depth=1
                                        ; =>  This Inner Loop Header: Depth=2
	s_mov_b32 s34, exec_lo
	s_delay_alu instid0(VALU_DEP_1)
	v_cmpx_gt_u32_e64 s36, v7
	s_cbranch_execz .LBB23_142
; %bb.145:                              ;   in Loop: Header=BB23_144 Depth=2
	global_load_u8 v8, v6, s[38:39]
	s_wait_loadcnt 0x0
	v_bfe_i32 v9, v8, 0, 8
	s_delay_alu instid0(VALU_DEP_1) | instskip(NEXT) | instid1(VALU_DEP_1)
	v_add_nc_u32_e32 v9, 0x80, v9
	v_and_b32_e32 v9, v9, v4
	s_delay_alu instid0(VALU_DEP_1)
	v_cmp_eq_u32_e32 vcc_lo, v9, v3
	s_and_b32 exec_lo, exec_lo, vcc_lo
	s_cbranch_execz .LBB23_142
; %bb.146:                              ;   in Loop: Header=BB23_144 Depth=2
	v_lshlrev_b16 v8, 8, v8
	s_delay_alu instid0(VALU_DEP_1)
	v_or_b32_e32 v8, 1, v8
	ds_store_b16 v25, v8 offset:3072
	s_branch .LBB23_142
.LBB23_147:                             ;   in Loop: Header=BB23_144 Depth=2
	v_dual_add_nc_u32 v7, s47, v7 :: v_dual_add_nc_u32 v6, s51, v6
	s_mov_b32 s34, 0
	s_delay_alu instid0(VALU_DEP_1)
	v_cmp_le_u32_e32 vcc_lo, s93, v7
	s_or_not1_b32 s8, vcc_lo, exec_lo
	s_branch .LBB23_143
.LBB23_148:                             ;   in Loop: Header=BB23_6 Depth=1
	s_or_b32 exec_lo, exec_lo, s28
	v_and_b32_e32 v6, 0xffff, v8
	s_and_not1_b32 s8, s31, exec_lo
	s_and_b32 s9, s33, exec_lo
	s_delay_alu instid0(SALU_CYCLE_1) | instskip(NEXT) | instid1(VALU_DEP_1)
	s_or_b32 s31, s8, s9
	v_lshrrev_b32_e32 v6, 8, v6
.LBB23_149:                             ;   in Loop: Header=BB23_6 Depth=1
	s_or_b32 exec_lo, exec_lo, s23
	s_mov_b32 s23, 0
	s_mov_b32 s28, -1
.LBB23_150:                             ;   in Loop: Header=BB23_6 Depth=1
	s_or_not1_b32 s31, s31, exec_lo
.LBB23_151:                             ;   in Loop: Header=BB23_6 Depth=1
	s_or_b32 exec_lo, exec_lo, s29
	s_mov_b32 s33, 0
	s_and_saveexec_b32 s29, s31
	s_cbranch_execz .LBB23_240
; %bb.152:                              ;   in Loop: Header=BB23_6 Depth=1
	v_dual_mov_b32 v7, 1 :: v_dual_mov_b32 v2, 1
	s_xor_b32 s8, s30, -1
	s_mov_b32 s35, 0
	s_and_saveexec_b32 s30, s8
	s_cbranch_execz .LBB23_161
; %bb.153:                              ;   in Loop: Header=BB23_6 Depth=1
	s_mov_b32 s8, exec_lo
	v_cmpx_ge_u32_e64 s20, v5
	s_xor_b32 s31, exec_lo, s8
	s_cbranch_execz .LBB23_158
; %bb.154:                              ;   in Loop: Header=BB23_6 Depth=1
	ds_load_b32 v2, v25 offset:4096
	s_lshl_b32 s8, 1, s101
	v_or_b32_e32 v4, s18, v4
	v_and_or_b32 v3, v3, s19, s8
	s_wait_dscnt 0x0
	v_cmp_ne_u32_e32 vcc_lo, 0, v2
	s_cbranch_vccnz .LBB23_158
; %bb.155:                              ;   in Loop: Header=BB23_6 Depth=1
	s_and_saveexec_b32 s8, s5
; %bb.156:                              ;   in Loop: Header=BB23_6 Depth=1
	v_mov_b32_e32 v2, s20
	ds_store_b32 v25, v2 offset:4100
; %bb.157:                              ;   in Loop: Header=BB23_6 Depth=1
	s_or_b32 exec_lo, exec_lo, s8
	s_wait_dscnt 0x0
	s_barrier_signal -1
	s_barrier_wait -1
.LBB23_158:                             ;   in Loop: Header=BB23_6 Depth=1
	s_or_saveexec_b32 s31, s31
	v_mov_b32_e32 v2, 8
	s_xor_b32 exec_lo, exec_lo, s31
; %bb.159:                              ;   in Loop: Header=BB23_6 Depth=1
	v_subrev_nc_u32_e32 v5, s20, v5
	v_mov_b32_e32 v2, 0
	s_mov_b32 s33, exec_lo
; %bb.160:                              ;   in Loop: Header=BB23_6 Depth=1
	s_or_b32 exec_lo, exec_lo, s31
	s_delay_alu instid0(VALU_DEP_2)
	v_mov_b32_e32 v7, v5
	s_and_b32 s35, s33, exec_lo
.LBB23_161:                             ;   in Loop: Header=BB23_6 Depth=1
	s_or_b32 exec_lo, exec_lo, s30
	s_mov_b32 s34, -1
                                        ; implicit-def: $sgpr31
                                        ; implicit-def: $sgpr33
	s_and_saveexec_b32 s30, s35
	s_cbranch_execz .LBB23_239
; %bb.162:                              ;   in Loop: Header=BB23_6 Depth=1
	v_cmp_eq_u32_e32 vcc_lo, 1, v7
	s_cmp_eq_u32 s21, 1
	s_mov_b32 s35, -1
	s_cselect_b32 s8, -1, 0
                                        ; implicit-def: $sgpr33
                                        ; implicit-def: $sgpr31
	s_delay_alu instid0(SALU_CYCLE_1) | instskip(NEXT) | instid1(SALU_CYCLE_1)
	s_and_b32 s46, s8, vcc_lo
	s_and_saveexec_b32 s34, s46
	s_cbranch_execz .LBB23_188
; %bb.163:                              ;   in Loop: Header=BB23_6 Depth=1
	ds_load_b32 v5, v25 offset:4096
	s_wait_dscnt 0x0
	s_barrier_signal -1
	s_barrier_wait -1
	v_readfirstlane_b32 s41, v5
	s_and_saveexec_b32 s8, s6
; %bb.164:                              ;   in Loop: Header=BB23_6 Depth=1
	ds_store_b8 v0, v25 offset:3072
; %bb.165:                              ;   in Loop: Header=BB23_6 Depth=1
	s_or_b32 exec_lo, exec_lo, s8
	s_lshl_b32 s8, 2, s101
	v_or_b32_e32 v4, s18, v4
	v_and_or_b32 v3, v3, s19, s8
	s_mov_b32 s31, -1
	s_mov_b32 s33, 0
	s_cmp_eq_u32 s41, 0
	s_mov_b32 s40, 0
	s_mov_b32 s42, -1
	s_wait_dscnt 0x0
	s_barrier_signal -1
	s_barrier_wait -1
                                        ; implicit-def: $vgpr6
	s_cbranch_scc1 .LBB23_176
; %bb.166:                              ;   in Loop: Header=BB23_6 Depth=1
	s_add_co_i32 s64, s41, s76
	s_mov_b32 s42, 0
	s_mul_u64 s[8:9], s[64:65], s[70:71]
	s_mov_b32 s58, exec_lo
	s_mul_i32 s8, s9, s47
                                        ; implicit-def: $vgpr6
	s_delay_alu instid0(SALU_CYCLE_1) | instskip(NEXT) | instid1(SALU_CYCLE_1)
	s_sub_co_i32 s8, s64, s8
	s_sub_co_i32 s9, s8, s47
	s_cmp_ge_u32 s8, s47
	s_cselect_b32 s8, s9, s8
	s_delay_alu instid0(SALU_CYCLE_1) | instskip(SKIP_2) | instid1(SALU_CYCLE_1)
	s_sub_co_i32 s9, s8, s47
	s_cmp_ge_u32 s8, s47
	s_cselect_b32 s8, s9, s8
	s_sub_co_i32 s59, s64, s8
	s_delay_alu instid0(SALU_CYCLE_1)
	v_cmpx_gt_u32_e64 s59, v0
	s_cbranch_execz .LBB23_175
; %bb.167:                              ;   in Loop: Header=BB23_6 Depth=1
	v_mov_b32_e32 v5, v0
	s_mov_b32 s35, 0
                                        ; implicit-def: $sgpr40
	s_branch .LBB23_170
.LBB23_168:                             ;   in Loop: Header=BB23_170 Depth=2
	s_or_b32 exec_lo, exec_lo, s60
	s_wait_dscnt 0x0
	s_barrier_signal -1
	s_barrier_wait -1
	ds_load_u16 v6, v25 offset:3072
	s_mov_b32 s60, -1
	s_mov_b32 s8, -1
	s_wait_dscnt 0x0
	s_barrier_signal -1
	s_barrier_wait -1
	v_and_b32_e32 v8, 0xff, v6
	s_delay_alu instid0(VALU_DEP_1)
	v_cmp_ne_u32_e32 vcc_lo, 0, v8
	s_cbranch_vccz .LBB23_173
.LBB23_169:                             ;   in Loop: Header=BB23_170 Depth=2
	s_and_b32 s9, exec_lo, s60
	s_delay_alu instid0(SALU_CYCLE_1) | instskip(SKIP_2) | instid1(SALU_CYCLE_1)
	s_or_b32 s35, s9, s35
	s_and_not1_b32 s9, s40, exec_lo
	s_and_b32 s8, s8, exec_lo
	s_or_b32 s40, s9, s8
	s_and_not1_b32 exec_lo, exec_lo, s35
	s_cbranch_execz .LBB23_174
.LBB23_170:                             ;   Parent Loop BB23_6 Depth=1
                                        ; =>  This Inner Loop Header: Depth=2
	s_mov_b32 s60, exec_lo
	s_delay_alu instid0(VALU_DEP_1)
	v_cmpx_gt_u32_e64 s41, v5
	s_cbranch_execz .LBB23_168
; %bb.171:                              ;   in Loop: Header=BB23_170 Depth=2
	ds_load_u8 v6, v5
	s_wait_dscnt 0x0
	v_bfe_i32 v8, v6, 0, 8
	s_delay_alu instid0(VALU_DEP_1) | instskip(NEXT) | instid1(VALU_DEP_1)
	v_add_nc_u32_e32 v8, 0x80, v8
	v_and_b32_e32 v8, v8, v4
	s_delay_alu instid0(VALU_DEP_1)
	v_cmp_eq_u32_e32 vcc_lo, v8, v3
	s_and_b32 exec_lo, exec_lo, vcc_lo
	s_cbranch_execz .LBB23_168
; %bb.172:                              ;   in Loop: Header=BB23_170 Depth=2
	v_lshlrev_b16 v6, 8, v6
	s_delay_alu instid0(VALU_DEP_1)
	v_or_b32_e32 v6, 1, v6
	ds_store_b16 v25, v6 offset:3072
	s_branch .LBB23_168
.LBB23_173:                             ;   in Loop: Header=BB23_170 Depth=2
	v_add_nc_u32_e32 v5, s47, v5
	s_mov_b32 s8, 0
	s_delay_alu instid0(VALU_DEP_1)
	v_cmp_le_u32_e32 vcc_lo, s59, v5
	s_or_not1_b32 s60, vcc_lo, exec_lo
	s_branch .LBB23_169
.LBB23_174:                             ;   in Loop: Header=BB23_6 Depth=1
	s_or_b32 exec_lo, exec_lo, s35
	v_and_b32_e32 v5, 0xffff, v6
	s_and_b32 s40, s40, exec_lo
	s_delay_alu instid0(VALU_DEP_1)
	v_lshrrev_b32_e32 v6, 8, v5
.LBB23_175:                             ;   in Loop: Header=BB23_6 Depth=1
	s_or_b32 exec_lo, exec_lo, s58
.LBB23_176:                             ;   in Loop: Header=BB23_6 Depth=1
	s_delay_alu instid0(SALU_CYCLE_1)
	s_and_b32 vcc_lo, exec_lo, s42
	s_cbranch_vccz .LBB23_187
; %bb.177:                              ;   in Loop: Header=BB23_6 Depth=1
                                        ; implicit-def: $vgpr6
	s_and_saveexec_b32 s31, s13
	s_cbranch_execz .LBB23_186
; %bb.178:                              ;   in Loop: Header=BB23_6 Depth=1
	v_dual_mov_b32 v5, v22 :: v_dual_mov_b32 v6, v0
	s_mov_b32 s33, 0
                                        ; implicit-def: $sgpr35
	s_branch .LBB23_181
.LBB23_179:                             ;   in Loop: Header=BB23_181 Depth=2
	s_or_b32 exec_lo, exec_lo, s41
	s_wait_dscnt 0x0
	s_barrier_signal -1
	s_barrier_wait -1
	ds_load_u16 v8, v25 offset:3072
	s_mov_b32 s8, -1
	s_mov_b32 s41, -1
	s_wait_dscnt 0x0
	s_barrier_signal -1
	s_barrier_wait -1
	v_and_b32_e32 v9, 0xff, v8
	s_delay_alu instid0(VALU_DEP_1)
	v_cmp_eq_u32_e32 vcc_lo, 0, v9
	s_cbranch_vccnz .LBB23_184
.LBB23_180:                             ;   in Loop: Header=BB23_181 Depth=2
	s_and_b32 s8, exec_lo, s8
	s_delay_alu instid0(SALU_CYCLE_1) | instskip(SKIP_2) | instid1(SALU_CYCLE_1)
	s_or_b32 s33, s8, s33
	s_and_not1_b32 s8, s35, exec_lo
	s_and_b32 s9, s41, exec_lo
	s_or_b32 s35, s8, s9
	s_and_not1_b32 exec_lo, exec_lo, s33
	s_cbranch_execz .LBB23_185
.LBB23_181:                             ;   Parent Loop BB23_6 Depth=1
                                        ; =>  This Inner Loop Header: Depth=2
	s_mov_b32 s41, exec_lo
	s_delay_alu instid0(VALU_DEP_1)
	v_cmpx_gt_u32_e64 s36, v6
	s_cbranch_execz .LBB23_179
; %bb.182:                              ;   in Loop: Header=BB23_181 Depth=2
	global_load_u8 v8, v5, s[38:39]
	s_wait_loadcnt 0x0
	v_bfe_i32 v9, v8, 0, 8
	s_delay_alu instid0(VALU_DEP_1) | instskip(NEXT) | instid1(VALU_DEP_1)
	v_add_nc_u32_e32 v9, 0x80, v9
	v_and_b32_e32 v9, v9, v4
	s_delay_alu instid0(VALU_DEP_1)
	v_cmp_eq_u32_e32 vcc_lo, v9, v3
	s_and_b32 exec_lo, exec_lo, vcc_lo
	s_cbranch_execz .LBB23_179
; %bb.183:                              ;   in Loop: Header=BB23_181 Depth=2
	v_lshlrev_b16 v8, 8, v8
	s_delay_alu instid0(VALU_DEP_1)
	v_or_b32_e32 v8, 1, v8
	ds_store_b16 v25, v8 offset:3072
	s_branch .LBB23_179
.LBB23_184:                             ;   in Loop: Header=BB23_181 Depth=2
	v_dual_add_nc_u32 v6, s47, v6 :: v_dual_add_nc_u32 v5, s51, v5
	s_mov_b32 s41, 0
	s_delay_alu instid0(VALU_DEP_1)
	v_cmp_le_u32_e32 vcc_lo, s93, v6
	s_or_not1_b32 s8, vcc_lo, exec_lo
	s_branch .LBB23_180
.LBB23_185:                             ;   in Loop: Header=BB23_6 Depth=1
	s_or_b32 exec_lo, exec_lo, s33
	v_and_b32_e32 v5, 0xffff, v8
	s_and_not1_b32 s8, s40, exec_lo
	s_and_b32 s9, s35, exec_lo
	s_delay_alu instid0(SALU_CYCLE_1) | instskip(NEXT) | instid1(VALU_DEP_1)
	s_or_b32 s40, s8, s9
	v_lshrrev_b32_e32 v6, 8, v5
.LBB23_186:                             ;   in Loop: Header=BB23_6 Depth=1
	s_or_b32 exec_lo, exec_lo, s31
	s_mov_b32 s31, 0
	s_mov_b32 s33, -1
.LBB23_187:                             ;   in Loop: Header=BB23_6 Depth=1
	s_or_not1_b32 s35, s40, exec_lo
.LBB23_188:                             ;   in Loop: Header=BB23_6 Depth=1
	s_or_b32 exec_lo, exec_lo, s34
	s_mov_b32 s40, 0
	s_and_saveexec_b32 s34, s35
	s_cbranch_execz .LBB23_238
; %bb.189:                              ;   in Loop: Header=BB23_6 Depth=1
	v_dual_mov_b32 v5, 1 :: v_dual_mov_b32 v2, 1
	s_xor_b32 s8, s46, -1
	s_mov_b32 s41, 0
	s_and_saveexec_b32 s40, s8
	s_cbranch_execz .LBB23_198
; %bb.190:                              ;   in Loop: Header=BB23_6 Depth=1
	s_mov_b32 s8, exec_lo
	v_cmpx_ge_u32_e64 s21, v7
	s_xor_b32 s35, exec_lo, s8
	s_cbranch_execz .LBB23_195
; %bb.191:                              ;   in Loop: Header=BB23_6 Depth=1
	ds_load_b32 v2, v25 offset:4096
	s_lshl_b32 s8, 2, s101
	v_or_b32_e32 v4, s18, v4
	v_and_or_b32 v3, v3, s19, s8
	s_wait_dscnt 0x0
	v_cmp_ne_u32_e32 vcc_lo, 0, v2
	s_cbranch_vccnz .LBB23_195
; %bb.192:                              ;   in Loop: Header=BB23_6 Depth=1
	s_and_saveexec_b32 s8, s5
; %bb.193:                              ;   in Loop: Header=BB23_6 Depth=1
	v_mov_b32_e32 v2, s21
	ds_store_b32 v25, v2 offset:4100
; %bb.194:                              ;   in Loop: Header=BB23_6 Depth=1
	s_or_b32 exec_lo, exec_lo, s8
	s_wait_dscnt 0x0
	s_barrier_signal -1
	s_barrier_wait -1
.LBB23_195:                             ;   in Loop: Header=BB23_6 Depth=1
	s_or_saveexec_b32 s35, s35
	v_mov_b32_e32 v2, 8
	s_xor_b32 exec_lo, exec_lo, s35
; %bb.196:                              ;   in Loop: Header=BB23_6 Depth=1
	v_subrev_nc_u32_e32 v7, s21, v7
	v_mov_b32_e32 v2, 0
	s_mov_b32 s41, exec_lo
; %bb.197:                              ;   in Loop: Header=BB23_6 Depth=1
	s_or_b32 exec_lo, exec_lo, s35
	s_delay_alu instid0(VALU_DEP_2)
	v_mov_b32_e32 v5, v7
	s_and_b32 s41, s41, exec_lo
.LBB23_198:                             ;   in Loop: Header=BB23_6 Depth=1
	s_or_b32 exec_lo, exec_lo, s40
	s_mov_b32 s35, -1
                                        ; implicit-def: $sgpr60
                                        ; implicit-def: $sgpr59
	s_and_saveexec_b32 s46, s41
	s_cbranch_execz .LBB23_237
; %bb.199:                              ;   in Loop: Header=BB23_6 Depth=1
	v_cmp_eq_u32_e32 vcc_lo, 1, v5
	s_cmp_eq_u32 s22, 1
                                        ; implicit-def: $sgpr60
                                        ; implicit-def: $sgpr59
	s_cselect_b32 s8, -1, 0
	s_delay_alu instid0(SALU_CYCLE_1) | instskip(NEXT) | instid1(SALU_CYCLE_1)
	s_and_b32 s58, s8, vcc_lo
	s_and_saveexec_b32 s61, s58
	s_cbranch_execz .LBB23_225
; %bb.200:                              ;   in Loop: Header=BB23_6 Depth=1
	ds_load_b32 v6, v25 offset:4096
	s_wait_dscnt 0x0
	s_barrier_signal -1
	s_barrier_wait -1
	v_readfirstlane_b32 s41, v6
	s_and_saveexec_b32 s8, s6
; %bb.201:                              ;   in Loop: Header=BB23_6 Depth=1
	ds_store_b8 v0, v25 offset:3072
; %bb.202:                              ;   in Loop: Header=BB23_6 Depth=1
	s_or_b32 exec_lo, exec_lo, s8
	v_or_b32_e32 v3, s18, v3
	v_or_b32_e32 v4, s18, v4
	s_mov_b32 s59, -1
	s_mov_b32 s60, 0
	s_cmp_eq_u32 s41, 0
	s_mov_b32 s40, 0
	s_mov_b32 s42, -1
	s_wait_dscnt 0x0
	s_barrier_signal -1
	s_barrier_wait -1
                                        ; implicit-def: $vgpr6
	s_cbranch_scc1 .LBB23_213
; %bb.203:                              ;   in Loop: Header=BB23_6 Depth=1
	s_add_co_i32 s64, s41, s76
	s_mov_b32 s42, 0
	s_mul_u64 s[8:9], s[64:65], s[70:71]
                                        ; implicit-def: $vgpr6
	s_delay_alu instid0(SALU_CYCLE_1) | instskip(NEXT) | instid1(SALU_CYCLE_1)
	s_mul_i32 s8, s9, s47
	s_sub_co_i32 s8, s64, s8
	s_delay_alu instid0(SALU_CYCLE_1) | instskip(SKIP_2) | instid1(SALU_CYCLE_1)
	s_sub_co_i32 s9, s8, s47
	s_cmp_ge_u32 s8, s47
	s_cselect_b32 s8, s9, s8
	s_sub_co_i32 s9, s8, s47
	s_cmp_ge_u32 s8, s47
	s_cselect_b32 s8, s9, s8
	s_delay_alu instid0(SALU_CYCLE_1)
	s_sub_co_i32 s35, s64, s8
	s_mov_b32 s64, exec_lo
	v_cmpx_gt_u32_e64 s35, v0
	s_cbranch_execz .LBB23_212
; %bb.204:                              ;   in Loop: Header=BB23_6 Depth=1
	v_mov_b32_e32 v6, v0
                                        ; implicit-def: $sgpr63
	s_branch .LBB23_207
.LBB23_205:                             ;   in Loop: Header=BB23_207 Depth=2
	s_or_b32 exec_lo, exec_lo, s8
	s_wait_dscnt 0x0
	s_barrier_signal -1
	s_barrier_wait -1
	ds_load_u16 v7, v25 offset:3072
	s_mov_b32 s9, -1
	s_mov_b32 s8, -1
	s_wait_dscnt 0x0
	s_barrier_signal -1
	s_barrier_wait -1
	v_and_b32_e32 v8, 0xff, v7
	s_delay_alu instid0(VALU_DEP_1)
	v_cmp_ne_u32_e32 vcc_lo, 0, v8
	s_cbranch_vccz .LBB23_210
.LBB23_206:                             ;   in Loop: Header=BB23_207 Depth=2
	s_and_b32 s9, exec_lo, s9
	s_delay_alu instid0(SALU_CYCLE_1) | instskip(SKIP_2) | instid1(SALU_CYCLE_1)
	s_or_b32 s40, s9, s40
	s_and_not1_b32 s9, s63, exec_lo
	s_and_b32 s8, s8, exec_lo
	s_or_b32 s63, s9, s8
	s_and_not1_b32 exec_lo, exec_lo, s40
	s_cbranch_execz .LBB23_211
.LBB23_207:                             ;   Parent Loop BB23_6 Depth=1
                                        ; =>  This Inner Loop Header: Depth=2
	s_mov_b32 s8, exec_lo
	s_delay_alu instid0(VALU_DEP_1)
	v_cmpx_gt_u32_e64 s41, v6
	s_cbranch_execz .LBB23_205
; %bb.208:                              ;   in Loop: Header=BB23_207 Depth=2
	ds_load_u8 v7, v6
	s_wait_dscnt 0x0
	v_bfe_i32 v8, v7, 0, 8
	s_delay_alu instid0(VALU_DEP_1) | instskip(NEXT) | instid1(VALU_DEP_1)
	v_add_nc_u32_e32 v8, 0x80, v8
	v_and_b32_e32 v8, v8, v4
	s_delay_alu instid0(VALU_DEP_1)
	v_cmp_eq_u32_e32 vcc_lo, v8, v3
	s_and_b32 exec_lo, exec_lo, vcc_lo
	s_cbranch_execz .LBB23_205
; %bb.209:                              ;   in Loop: Header=BB23_207 Depth=2
	v_lshlrev_b16 v7, 8, v7
	s_delay_alu instid0(VALU_DEP_1)
	v_or_b32_e32 v7, 1, v7
	ds_store_b16 v25, v7 offset:3072
	s_branch .LBB23_205
.LBB23_210:                             ;   in Loop: Header=BB23_207 Depth=2
	v_add_nc_u32_e32 v6, s47, v6
	s_mov_b32 s8, 0
	s_delay_alu instid0(VALU_DEP_1)
	v_cmp_le_u32_e32 vcc_lo, s35, v6
	s_or_not1_b32 s9, vcc_lo, exec_lo
	s_branch .LBB23_206
.LBB23_211:                             ;   in Loop: Header=BB23_6 Depth=1
	s_or_b32 exec_lo, exec_lo, s40
	v_and_b32_e32 v6, 0xffff, v7
	s_and_b32 s40, s63, exec_lo
	s_delay_alu instid0(VALU_DEP_1)
	v_lshrrev_b32_e32 v6, 8, v6
.LBB23_212:                             ;   in Loop: Header=BB23_6 Depth=1
	s_or_b32 exec_lo, exec_lo, s64
.LBB23_213:                             ;   in Loop: Header=BB23_6 Depth=1
	s_delay_alu instid0(SALU_CYCLE_1)
	s_and_b32 vcc_lo, exec_lo, s42
	s_cbranch_vccz .LBB23_224
; %bb.214:                              ;   in Loop: Header=BB23_6 Depth=1
                                        ; implicit-def: $vgpr6
	s_and_saveexec_b32 s41, s13
	s_cbranch_execz .LBB23_223
; %bb.215:                              ;   in Loop: Header=BB23_6 Depth=1
	v_dual_mov_b32 v6, v22 :: v_dual_mov_b32 v7, v0
	s_mov_b32 s35, 0
                                        ; implicit-def: $sgpr42
	s_branch .LBB23_218
.LBB23_216:                             ;   in Loop: Header=BB23_218 Depth=2
	s_or_b32 exec_lo, exec_lo, s8
	s_wait_dscnt 0x0
	s_barrier_signal -1
	s_barrier_wait -1
	ds_load_u16 v8, v25 offset:3072
	s_mov_b32 s8, -1
	s_mov_b32 s59, -1
	s_wait_dscnt 0x0
	s_barrier_signal -1
	s_barrier_wait -1
	v_and_b32_e32 v9, 0xff, v8
	s_delay_alu instid0(VALU_DEP_1)
	v_cmp_eq_u32_e32 vcc_lo, 0, v9
	s_cbranch_vccnz .LBB23_221
.LBB23_217:                             ;   in Loop: Header=BB23_218 Depth=2
	s_and_b32 s8, exec_lo, s8
	s_delay_alu instid0(SALU_CYCLE_1) | instskip(SKIP_2) | instid1(SALU_CYCLE_1)
	s_or_b32 s35, s8, s35
	s_and_not1_b32 s8, s42, exec_lo
	s_and_b32 s9, s59, exec_lo
	s_or_b32 s42, s8, s9
	s_and_not1_b32 exec_lo, exec_lo, s35
	s_cbranch_execz .LBB23_222
.LBB23_218:                             ;   Parent Loop BB23_6 Depth=1
                                        ; =>  This Inner Loop Header: Depth=2
	s_mov_b32 s8, exec_lo
	s_delay_alu instid0(VALU_DEP_1)
	v_cmpx_gt_u32_e64 s36, v7
	s_cbranch_execz .LBB23_216
; %bb.219:                              ;   in Loop: Header=BB23_218 Depth=2
	global_load_u8 v8, v6, s[38:39]
	s_wait_loadcnt 0x0
	v_bfe_i32 v9, v8, 0, 8
	s_delay_alu instid0(VALU_DEP_1) | instskip(NEXT) | instid1(VALU_DEP_1)
	v_add_nc_u32_e32 v9, 0x80, v9
	v_and_b32_e32 v9, v9, v4
	s_delay_alu instid0(VALU_DEP_1)
	v_cmp_eq_u32_e32 vcc_lo, v9, v3
	s_and_b32 exec_lo, exec_lo, vcc_lo
	s_cbranch_execz .LBB23_216
; %bb.220:                              ;   in Loop: Header=BB23_218 Depth=2
	v_lshlrev_b16 v8, 8, v8
	s_delay_alu instid0(VALU_DEP_1)
	v_or_b32_e32 v8, 1, v8
	ds_store_b16 v25, v8 offset:3072
	s_branch .LBB23_216
.LBB23_221:                             ;   in Loop: Header=BB23_218 Depth=2
	v_dual_add_nc_u32 v7, s47, v7 :: v_dual_add_nc_u32 v6, s51, v6
	s_mov_b32 s59, 0
	s_delay_alu instid0(VALU_DEP_1)
	v_cmp_le_u32_e32 vcc_lo, s93, v7
	s_or_not1_b32 s8, vcc_lo, exec_lo
	s_branch .LBB23_217
.LBB23_222:                             ;   in Loop: Header=BB23_6 Depth=1
	s_or_b32 exec_lo, exec_lo, s35
	v_and_b32_e32 v6, 0xffff, v8
	s_and_not1_b32 s8, s40, exec_lo
	s_and_b32 s9, s42, exec_lo
	s_delay_alu instid0(SALU_CYCLE_1) | instskip(NEXT) | instid1(VALU_DEP_1)
	s_or_b32 s40, s8, s9
	v_lshrrev_b32_e32 v6, 8, v6
.LBB23_223:                             ;   in Loop: Header=BB23_6 Depth=1
	s_or_b32 exec_lo, exec_lo, s41
	s_mov_b32 s59, 0
	s_mov_b32 s60, -1
.LBB23_224:                             ;   in Loop: Header=BB23_6 Depth=1
	s_or_not1_b32 s35, s40, exec_lo
.LBB23_225:                             ;   in Loop: Header=BB23_6 Depth=1
	s_or_b32 exec_lo, exec_lo, s61
	s_mov_b32 s41, 0
	s_and_saveexec_b32 s40, s35
	s_cbranch_execz .LBB23_236
; %bb.226:                              ;   in Loop: Header=BB23_6 Depth=1
	v_dual_mov_b32 v2, 1 :: v_dual_mov_b32 v7, 1
	s_xor_b32 s8, s58, -1
	s_delay_alu instid0(SALU_CYCLE_1)
	s_and_saveexec_b32 s35, s8
	s_cbranch_execz .LBB23_235
; %bb.227:                              ;   in Loop: Header=BB23_6 Depth=1
	s_mov_b32 s8, exec_lo
	v_cmpx_ge_u32_e64 s22, v5
	s_xor_b32 s41, exec_lo, s8
	s_cbranch_execz .LBB23_232
; %bb.228:                              ;   in Loop: Header=BB23_6 Depth=1
	ds_load_b32 v2, v25 offset:4096
	v_or_b32_e32 v3, s18, v3
	v_or_b32_e32 v4, s18, v4
	s_wait_dscnt 0x0
	v_cmp_ne_u32_e32 vcc_lo, 0, v2
	s_cbranch_vccnz .LBB23_232
; %bb.229:                              ;   in Loop: Header=BB23_6 Depth=1
	s_and_saveexec_b32 s8, s5
; %bb.230:                              ;   in Loop: Header=BB23_6 Depth=1
	v_mov_b32_e32 v2, s22
	ds_store_b32 v25, v2 offset:4100
; %bb.231:                              ;   in Loop: Header=BB23_6 Depth=1
	s_or_b32 exec_lo, exec_lo, s8
	s_wait_dscnt 0x0
	s_barrier_signal -1
	s_barrier_wait -1
.LBB23_232:                             ;   in Loop: Header=BB23_6 Depth=1
	s_and_not1_saveexec_b32 s8, s41
; %bb.233:                              ;   in Loop: Header=BB23_6 Depth=1
	v_subrev_nc_u32_e32 v5, s22, v5
; %bb.234:                              ;   in Loop: Header=BB23_6 Depth=1
	s_or_b32 exec_lo, exec_lo, s8
	s_delay_alu instid0(VALU_DEP_1)
	v_dual_mov_b32 v2, 8 :: v_dual_mov_b32 v7, v5
.LBB23_235:                             ;   in Loop: Header=BB23_6 Depth=1
	s_or_b32 exec_lo, exec_lo, s35
	s_delay_alu instid0(VALU_DEP_1)
	v_mov_b32_e32 v5, v7
	s_mov_b32 s41, exec_lo
.LBB23_236:                             ;   in Loop: Header=BB23_6 Depth=1
	s_or_b32 exec_lo, exec_lo, s40
	s_delay_alu instid0(SALU_CYCLE_1)
	s_or_not1_b32 s35, s41, exec_lo
.LBB23_237:                             ;   in Loop: Header=BB23_6 Depth=1
	s_or_b32 exec_lo, exec_lo, s46
	v_mov_b32_e32 v7, v5
	s_and_not1_b32 s8, s33, exec_lo
	s_and_b32 s9, s60, exec_lo
	s_and_not1_b32 s31, s31, exec_lo
	s_and_b32 s40, s59, exec_lo
	s_or_b32 s33, s8, s9
	s_or_b32 s31, s31, s40
	s_and_b32 s40, s35, exec_lo
.LBB23_238:                             ;   in Loop: Header=BB23_6 Depth=1
	s_or_b32 exec_lo, exec_lo, s34
	s_delay_alu instid0(SALU_CYCLE_1)
	s_or_not1_b32 s34, s40, exec_lo
.LBB23_239:                             ;   in Loop: Header=BB23_6 Depth=1
	s_or_b32 exec_lo, exec_lo, s30
	v_mov_b32_e32 v5, v7
	s_and_not1_b32 s8, s28, exec_lo
	s_and_b32 s9, s33, exec_lo
	s_and_not1_b32 s23, s23, exec_lo
	s_and_b32 s30, s31, exec_lo
	s_or_b32 s28, s8, s9
	s_or_b32 s23, s23, s30
	s_and_b32 s33, s34, exec_lo
.LBB23_240:                             ;   in Loop: Header=BB23_6 Depth=1
	s_or_b32 exec_lo, exec_lo, s29
	s_delay_alu instid0(SALU_CYCLE_1)
	s_or_not1_b32 s29, s33, exec_lo
.LBB23_241:                             ;   in Loop: Header=BB23_6 Depth=1
	s_or_b32 exec_lo, exec_lo, s15
	s_mov_b32 s30, 0
	s_mov_b32 s31, 0
	s_and_saveexec_b32 s8, s29
	s_delay_alu instid0(SALU_CYCLE_1)
	s_xor_b32 s8, exec_lo, s8
; %bb.242:                              ;   in Loop: Header=BB23_6 Depth=1
	v_cmp_ne_u32_e32 vcc_lo, 8, v2
	v_cmp_eq_u32_e64 s15, 8, v2
	s_and_b32 s31, vcc_lo, exec_lo
	s_and_b32 s30, s15, exec_lo
; %bb.243:                              ;   in Loop: Header=BB23_6 Depth=1
	s_or_b32 exec_lo, exec_lo, s8
	s_delay_alu instid0(SALU_CYCLE_1)
	s_and_not1_b32 s8, s25, exec_lo
	s_and_b32 s9, s28, exec_lo
	s_and_not1_b32 s15, s24, exec_lo
	s_and_b32 s23, s23, exec_lo
	s_or_b32 s25, s8, s9
	s_or_b32 s24, s15, s23
	s_and_b32 s15, s31, exec_lo
	s_and_b32 s23, s30, exec_lo
.LBB23_244:                             ;   in Loop: Header=BB23_6 Depth=1
	s_or_b32 exec_lo, exec_lo, s27
.LBB23_245:                             ;   in Loop: Header=BB23_6 Depth=1
	s_delay_alu instid0(SALU_CYCLE_1)
	s_and_b32 vcc_lo, exec_lo, s26
	s_cbranch_vccz .LBB23_258
; %bb.246:                              ;   in Loop: Header=BB23_6 Depth=1
	s_cmp_eq_u32 s22, 1
	s_mov_b32 s25, -1
	s_cselect_b32 s8, -1, 0
                                        ; implicit-def: $sgpr26
                                        ; implicit-def: $sgpr16
	s_delay_alu instid0(SALU_CYCLE_1) | instskip(NEXT) | instid1(SALU_CYCLE_1)
	s_and_b32 s14, s8, s14
	s_and_saveexec_b32 s24, s14
	s_cbranch_execz .LBB23_273
; %bb.247:                              ;   in Loop: Header=BB23_6 Depth=1
	ds_load_b32 v2, v25 offset:4096
	s_wait_dscnt 0x0
	s_barrier_signal -1
	s_barrier_wait -1
	v_readfirstlane_b32 s27, v2
	s_and_saveexec_b32 s8, s6
; %bb.248:                              ;   in Loop: Header=BB23_6 Depth=1
	ds_store_b8 v0, v25 offset:3072
; %bb.249:                              ;   in Loop: Header=BB23_6 Depth=1
	s_or_b32 exec_lo, exec_lo, s8
	v_or_b32_e32 v32, s18, v32
	v_or_b32_e32 v39, s18, v39
	s_mov_b32 s16, -1
	s_mov_b32 s26, 0
	s_cmp_eq_u32 s27, 0
	s_mov_b32 s25, 0
	s_mov_b32 s28, -1
	s_wait_dscnt 0x0
	s_barrier_signal -1
	s_barrier_wait -1
                                        ; implicit-def: $vgpr40
	s_cbranch_scc1 .LBB23_261
; %bb.250:                              ;   in Loop: Header=BB23_6 Depth=1
	s_add_co_i32 s64, s27, s76
	s_mov_b32 s28, 0
	s_mul_u64 s[8:9], s[64:65], s[70:71]
	s_mov_b32 s29, exec_lo
	s_mul_i32 s8, s9, s47
                                        ; implicit-def: $vgpr40
	s_delay_alu instid0(SALU_CYCLE_1) | instskip(NEXT) | instid1(SALU_CYCLE_1)
	s_sub_co_i32 s8, s64, s8
	s_sub_co_i32 s9, s8, s47
	s_cmp_ge_u32 s8, s47
	s_cselect_b32 s8, s9, s8
	s_delay_alu instid0(SALU_CYCLE_1) | instskip(SKIP_2) | instid1(SALU_CYCLE_1)
	s_sub_co_i32 s9, s8, s47
	s_cmp_ge_u32 s8, s47
	s_cselect_b32 s8, s9, s8
	s_sub_co_i32 s30, s64, s8
	s_delay_alu instid0(SALU_CYCLE_1)
	v_cmpx_gt_u32_e64 s30, v0
	s_cbranch_execz .LBB23_260
; %bb.251:                              ;   in Loop: Header=BB23_6 Depth=1
	v_mov_b32_e32 v2, v0
                                        ; implicit-def: $sgpr31
	s_branch .LBB23_254
.LBB23_252:                             ;   in Loop: Header=BB23_254 Depth=2
	s_or_b32 exec_lo, exec_lo, s33
	s_wait_dscnt 0x0
	s_barrier_signal -1
	s_barrier_wait -1
	ds_load_u16 v3, v25 offset:3072
	s_mov_b32 s9, -1
	s_mov_b32 s8, -1
	s_wait_dscnt 0x0
	s_barrier_signal -1
	s_barrier_wait -1
	v_and_b32_e32 v4, 0xff, v3
	s_delay_alu instid0(VALU_DEP_1)
	v_cmp_ne_u32_e32 vcc_lo, 0, v4
	s_cbranch_vccz .LBB23_257
.LBB23_253:                             ;   in Loop: Header=BB23_254 Depth=2
	s_and_b32 s9, exec_lo, s9
	s_delay_alu instid0(SALU_CYCLE_1) | instskip(SKIP_2) | instid1(SALU_CYCLE_1)
	s_or_b32 s25, s9, s25
	s_and_not1_b32 s9, s31, exec_lo
	s_and_b32 s8, s8, exec_lo
	s_or_b32 s31, s9, s8
	s_and_not1_b32 exec_lo, exec_lo, s25
	s_cbranch_execz .LBB23_259
.LBB23_254:                             ;   Parent Loop BB23_6 Depth=1
                                        ; =>  This Inner Loop Header: Depth=2
	s_mov_b32 s33, exec_lo
	s_delay_alu instid0(VALU_DEP_1)
	v_cmpx_gt_u32_e64 s27, v2
	s_cbranch_execz .LBB23_252
; %bb.255:                              ;   in Loop: Header=BB23_254 Depth=2
	ds_load_u8 v3, v2
	s_wait_dscnt 0x0
	v_bfe_i32 v4, v3, 0, 8
	s_delay_alu instid0(VALU_DEP_1) | instskip(NEXT) | instid1(VALU_DEP_1)
	v_add_nc_u32_e32 v4, 0x80, v4
	v_and_b32_e32 v4, v4, v39
	s_delay_alu instid0(VALU_DEP_1)
	v_cmp_eq_u32_e32 vcc_lo, v4, v32
	s_and_b32 exec_lo, exec_lo, vcc_lo
	s_cbranch_execz .LBB23_252
; %bb.256:                              ;   in Loop: Header=BB23_254 Depth=2
	v_lshlrev_b16 v3, 8, v3
	s_delay_alu instid0(VALU_DEP_1)
	v_or_b32_e32 v3, 1, v3
	ds_store_b16 v25, v3 offset:3072
	s_branch .LBB23_252
.LBB23_257:                             ;   in Loop: Header=BB23_254 Depth=2
	v_add_nc_u32_e32 v2, s47, v2
	s_mov_b32 s8, 0
	s_delay_alu instid0(VALU_DEP_1)
	v_cmp_le_u32_e32 vcc_lo, s30, v2
	s_or_not1_b32 s9, vcc_lo, exec_lo
	s_branch .LBB23_253
.LBB23_258:                             ;   in Loop: Header=BB23_6 Depth=1
	v_dual_mov_b32 v32, v3 :: v_dual_mov_b32 v39, v4
	v_mov_b32_e32 v40, v6
	s_mov_b32 s26, 0
	s_and_saveexec_b32 s8, s23
	s_cbranch_execnz .LBB23_404
	s_branch .LBB23_405
.LBB23_259:                             ;   in Loop: Header=BB23_6 Depth=1
	s_or_b32 exec_lo, exec_lo, s25
	v_and_b32_e32 v2, 0xffff, v3
	s_and_b32 s25, s31, exec_lo
	s_delay_alu instid0(VALU_DEP_1)
	v_lshrrev_b32_e32 v40, 8, v2
.LBB23_260:                             ;   in Loop: Header=BB23_6 Depth=1
	s_or_b32 exec_lo, exec_lo, s29
.LBB23_261:                             ;   in Loop: Header=BB23_6 Depth=1
	s_delay_alu instid0(SALU_CYCLE_1)
	s_and_b32 vcc_lo, exec_lo, s28
	s_cbranch_vccz .LBB23_272
; %bb.262:                              ;   in Loop: Header=BB23_6 Depth=1
                                        ; implicit-def: $vgpr40
	s_and_saveexec_b32 s16, s13
	s_cbranch_execz .LBB23_271
; %bb.263:                              ;   in Loop: Header=BB23_6 Depth=1
	v_dual_mov_b32 v2, v22 :: v_dual_mov_b32 v3, v0
	s_mov_b32 s27, 0
                                        ; implicit-def: $sgpr26
	s_branch .LBB23_266
.LBB23_264:                             ;   in Loop: Header=BB23_266 Depth=2
	s_or_b32 exec_lo, exec_lo, s28
	s_wait_dscnt 0x0
	s_barrier_signal -1
	s_barrier_wait -1
	ds_load_u16 v4, v25 offset:3072
	s_mov_b32 s8, -1
	s_mov_b32 s28, -1
	s_wait_dscnt 0x0
	s_barrier_signal -1
	s_barrier_wait -1
	v_and_b32_e32 v5, 0xff, v4
	s_delay_alu instid0(VALU_DEP_1)
	v_cmp_ne_u32_e32 vcc_lo, 0, v5
	s_cbranch_vccz .LBB23_269
.LBB23_265:                             ;   in Loop: Header=BB23_266 Depth=2
	s_and_b32 s8, exec_lo, s8
	s_delay_alu instid0(SALU_CYCLE_1) | instskip(SKIP_2) | instid1(SALU_CYCLE_1)
	s_or_b32 s27, s8, s27
	s_and_not1_b32 s8, s26, exec_lo
	s_and_b32 s9, s28, exec_lo
	s_or_b32 s26, s8, s9
	s_and_not1_b32 exec_lo, exec_lo, s27
	s_cbranch_execz .LBB23_270
.LBB23_266:                             ;   Parent Loop BB23_6 Depth=1
                                        ; =>  This Inner Loop Header: Depth=2
	s_mov_b32 s28, exec_lo
	s_delay_alu instid0(VALU_DEP_1)
	v_cmpx_gt_u32_e64 s36, v3
	s_cbranch_execz .LBB23_264
; %bb.267:                              ;   in Loop: Header=BB23_266 Depth=2
	global_load_u8 v4, v2, s[38:39]
	s_wait_loadcnt 0x0
	v_bfe_i32 v5, v4, 0, 8
	s_delay_alu instid0(VALU_DEP_1) | instskip(NEXT) | instid1(VALU_DEP_1)
	v_add_nc_u32_e32 v5, 0x80, v5
	v_and_b32_e32 v5, v5, v39
	s_delay_alu instid0(VALU_DEP_1)
	v_cmp_eq_u32_e32 vcc_lo, v5, v32
	s_and_b32 exec_lo, exec_lo, vcc_lo
	s_cbranch_execz .LBB23_264
; %bb.268:                              ;   in Loop: Header=BB23_266 Depth=2
	v_lshlrev_b16 v4, 8, v4
	s_delay_alu instid0(VALU_DEP_1)
	v_or_b32_e32 v4, 1, v4
	ds_store_b16 v25, v4 offset:3072
	s_branch .LBB23_264
.LBB23_269:                             ;   in Loop: Header=BB23_266 Depth=2
	v_dual_add_nc_u32 v3, s47, v3 :: v_dual_add_nc_u32 v2, s51, v2
	s_mov_b32 s28, 0
	s_delay_alu instid0(VALU_DEP_1)
	v_cmp_le_u32_e32 vcc_lo, s93, v3
	s_or_not1_b32 s8, vcc_lo, exec_lo
	s_branch .LBB23_265
.LBB23_270:                             ;   in Loop: Header=BB23_6 Depth=1
	s_or_b32 exec_lo, exec_lo, s27
	v_and_b32_e32 v2, 0xffff, v4
	s_and_not1_b32 s8, s25, exec_lo
	s_and_b32 s9, s26, exec_lo
	s_delay_alu instid0(SALU_CYCLE_1) | instskip(NEXT) | instid1(VALU_DEP_1)
	s_or_b32 s25, s8, s9
	v_lshrrev_b32_e32 v40, 8, v2
.LBB23_271:                             ;   in Loop: Header=BB23_6 Depth=1
	s_or_b32 exec_lo, exec_lo, s16
	s_mov_b32 s16, 0
	s_mov_b32 s26, -1
.LBB23_272:                             ;   in Loop: Header=BB23_6 Depth=1
	s_or_not1_b32 s25, s25, exec_lo
.LBB23_273:                             ;   in Loop: Header=BB23_6 Depth=1
	s_or_b32 exec_lo, exec_lo, s24
                                        ; implicit-def: $vgpr5
                                        ; implicit-def: $vgpr2
	s_and_saveexec_b32 s24, s25
	s_cbranch_execz .LBB23_403
; %bb.274:                              ;   in Loop: Header=BB23_6 Depth=1
	v_dual_mov_b32 v5, 1 :: v_dual_mov_b32 v2, 1
	s_xor_b32 s8, s14, -1
	s_mov_b32 s28, 0
	s_and_saveexec_b32 s14, s8
	s_cbranch_execz .LBB23_283
; %bb.275:                              ;   in Loop: Header=BB23_6 Depth=1
	s_mov_b32 s8, exec_lo
	v_cmpx_ge_u32_e64 s22, v41
	s_xor_b32 s25, exec_lo, s8
	s_cbranch_execz .LBB23_280
; %bb.276:                              ;   in Loop: Header=BB23_6 Depth=1
	ds_load_b32 v2, v25 offset:4096
	v_or_b32_e32 v32, s18, v32
	v_or_b32_e32 v39, s18, v39
	s_wait_dscnt 0x0
	v_cmp_ne_u32_e32 vcc_lo, 0, v2
	s_cbranch_vccnz .LBB23_280
; %bb.277:                              ;   in Loop: Header=BB23_6 Depth=1
	s_and_saveexec_b32 s8, s5
; %bb.278:                              ;   in Loop: Header=BB23_6 Depth=1
	v_mov_b32_e32 v2, s22
	ds_store_b32 v25, v2 offset:4100
; %bb.279:                              ;   in Loop: Header=BB23_6 Depth=1
	s_or_b32 exec_lo, exec_lo, s8
	s_wait_dscnt 0x0
	s_barrier_signal -1
	s_barrier_wait -1
.LBB23_280:                             ;   in Loop: Header=BB23_6 Depth=1
	s_or_saveexec_b32 s25, s25
	v_mov_b32_e32 v2, 5
	s_mov_b32 s27, 0
	s_xor_b32 exec_lo, exec_lo, s25
; %bb.281:                              ;   in Loop: Header=BB23_6 Depth=1
	v_subrev_nc_u32_e32 v41, s22, v41
	v_mov_b32_e32 v2, 0
	s_mov_b32 s27, exec_lo
; %bb.282:                              ;   in Loop: Header=BB23_6 Depth=1
	s_or_b32 exec_lo, exec_lo, s25
	s_delay_alu instid0(VALU_DEP_2)
	v_mov_b32_e32 v5, v41
	s_and_b32 s28, s27, exec_lo
.LBB23_283:                             ;   in Loop: Header=BB23_6 Depth=1
	s_or_b32 exec_lo, exec_lo, s14
	s_mov_b32 s27, -1
                                        ; implicit-def: $sgpr22
                                        ; implicit-def: $sgpr25
	s_and_saveexec_b32 s8, s28
	s_delay_alu instid0(SALU_CYCLE_1)
	s_xor_b32 s14, exec_lo, s8
	s_cbranch_execz .LBB23_400
; %bb.284:                              ;   in Loop: Header=BB23_6 Depth=1
	v_cmp_eq_u32_e32 vcc_lo, 1, v5
	s_cmp_eq_u32 s21, 1
	s_mov_b32 s29, -1
	s_cselect_b32 s8, -1, 0
                                        ; implicit-def: $sgpr25
                                        ; implicit-def: $sgpr22
	s_delay_alu instid0(SALU_CYCLE_1) | instskip(NEXT) | instid1(SALU_CYCLE_1)
	s_and_b32 s28, s8, vcc_lo
	s_and_saveexec_b32 s27, s28
	s_cbranch_execz .LBB23_310
; %bb.285:                              ;   in Loop: Header=BB23_6 Depth=1
	ds_load_b32 v3, v25 offset:4096
	s_wait_dscnt 0x0
	s_barrier_signal -1
	s_barrier_wait -1
	v_readfirstlane_b32 s30, v3
	s_and_saveexec_b32 s8, s6
; %bb.286:                              ;   in Loop: Header=BB23_6 Depth=1
	ds_store_b8 v0, v25 offset:3072
; %bb.287:                              ;   in Loop: Header=BB23_6 Depth=1
	s_or_b32 exec_lo, exec_lo, s8
	s_lshl_b32 s8, 2, s101
	v_or_b32_e32 v39, s18, v39
	v_and_or_b32 v32, v32, s19, s8
	s_mov_b32 s22, -1
	s_mov_b32 s25, 0
	s_cmp_eq_u32 s30, 0
	s_mov_b32 s29, 0
	s_mov_b32 s31, -1
	s_wait_dscnt 0x0
	s_barrier_signal -1
	s_barrier_wait -1
                                        ; implicit-def: $vgpr40
	s_cbranch_scc1 .LBB23_298
; %bb.288:                              ;   in Loop: Header=BB23_6 Depth=1
	s_add_co_i32 s64, s30, s76
	s_mov_b32 s31, 0
	s_mul_u64 s[8:9], s[64:65], s[70:71]
	s_mov_b32 s33, exec_lo
	s_mul_i32 s8, s9, s47
                                        ; implicit-def: $vgpr40
	s_delay_alu instid0(SALU_CYCLE_1) | instskip(NEXT) | instid1(SALU_CYCLE_1)
	s_sub_co_i32 s8, s64, s8
	s_sub_co_i32 s9, s8, s47
	s_cmp_ge_u32 s8, s47
	s_cselect_b32 s8, s9, s8
	s_delay_alu instid0(SALU_CYCLE_1) | instskip(SKIP_2) | instid1(SALU_CYCLE_1)
	s_sub_co_i32 s9, s8, s47
	s_cmp_ge_u32 s8, s47
	s_cselect_b32 s8, s9, s8
	s_sub_co_i32 s34, s64, s8
	s_delay_alu instid0(SALU_CYCLE_1)
	v_cmpx_gt_u32_e64 s34, v0
	s_cbranch_execz .LBB23_297
; %bb.289:                              ;   in Loop: Header=BB23_6 Depth=1
	v_mov_b32_e32 v3, v0
                                        ; implicit-def: $sgpr35
	s_branch .LBB23_292
.LBB23_290:                             ;   in Loop: Header=BB23_292 Depth=2
	s_or_b32 exec_lo, exec_lo, s40
	s_wait_dscnt 0x0
	s_barrier_signal -1
	s_barrier_wait -1
	ds_load_u16 v4, v25 offset:3072
	s_mov_b32 s9, -1
	s_mov_b32 s8, -1
	s_wait_dscnt 0x0
	s_barrier_signal -1
	s_barrier_wait -1
	v_and_b32_e32 v6, 0xff, v4
	s_delay_alu instid0(VALU_DEP_1)
	v_cmp_ne_u32_e32 vcc_lo, 0, v6
	s_cbranch_vccz .LBB23_295
.LBB23_291:                             ;   in Loop: Header=BB23_292 Depth=2
	s_and_b32 s9, exec_lo, s9
	s_delay_alu instid0(SALU_CYCLE_1) | instskip(SKIP_2) | instid1(SALU_CYCLE_1)
	s_or_b32 s29, s9, s29
	s_and_not1_b32 s9, s35, exec_lo
	s_and_b32 s8, s8, exec_lo
	s_or_b32 s35, s9, s8
	s_and_not1_b32 exec_lo, exec_lo, s29
	s_cbranch_execz .LBB23_296
.LBB23_292:                             ;   Parent Loop BB23_6 Depth=1
                                        ; =>  This Inner Loop Header: Depth=2
	s_mov_b32 s40, exec_lo
	s_delay_alu instid0(VALU_DEP_1)
	v_cmpx_gt_u32_e64 s30, v3
	s_cbranch_execz .LBB23_290
; %bb.293:                              ;   in Loop: Header=BB23_292 Depth=2
	ds_load_u8 v4, v3
	s_wait_dscnt 0x0
	v_bfe_i32 v6, v4, 0, 8
	s_delay_alu instid0(VALU_DEP_1) | instskip(NEXT) | instid1(VALU_DEP_1)
	v_add_nc_u32_e32 v6, 0x80, v6
	v_and_b32_e32 v6, v6, v39
	s_delay_alu instid0(VALU_DEP_1)
	v_cmp_eq_u32_e32 vcc_lo, v6, v32
	s_and_b32 exec_lo, exec_lo, vcc_lo
	s_cbranch_execz .LBB23_290
; %bb.294:                              ;   in Loop: Header=BB23_292 Depth=2
	v_lshlrev_b16 v4, 8, v4
	s_delay_alu instid0(VALU_DEP_1)
	v_or_b32_e32 v4, 1, v4
	ds_store_b16 v25, v4 offset:3072
	s_branch .LBB23_290
.LBB23_295:                             ;   in Loop: Header=BB23_292 Depth=2
	v_add_nc_u32_e32 v3, s47, v3
	s_mov_b32 s8, 0
	s_delay_alu instid0(VALU_DEP_1)
	v_cmp_le_u32_e32 vcc_lo, s34, v3
	s_or_not1_b32 s9, vcc_lo, exec_lo
	s_branch .LBB23_291
.LBB23_296:                             ;   in Loop: Header=BB23_6 Depth=1
	s_or_b32 exec_lo, exec_lo, s29
	v_and_b32_e32 v3, 0xffff, v4
	s_and_b32 s29, s35, exec_lo
	s_delay_alu instid0(VALU_DEP_1)
	v_lshrrev_b32_e32 v40, 8, v3
.LBB23_297:                             ;   in Loop: Header=BB23_6 Depth=1
	s_or_b32 exec_lo, exec_lo, s33
.LBB23_298:                             ;   in Loop: Header=BB23_6 Depth=1
	s_delay_alu instid0(SALU_CYCLE_1)
	s_and_b32 vcc_lo, exec_lo, s31
	s_cbranch_vccz .LBB23_309
; %bb.299:                              ;   in Loop: Header=BB23_6 Depth=1
                                        ; implicit-def: $vgpr40
	s_and_saveexec_b32 s22, s13
	s_cbranch_execz .LBB23_308
; %bb.300:                              ;   in Loop: Header=BB23_6 Depth=1
	v_dual_mov_b32 v3, v22 :: v_dual_mov_b32 v4, v0
	s_mov_b32 s25, 0
                                        ; implicit-def: $sgpr30
	s_branch .LBB23_303
.LBB23_301:                             ;   in Loop: Header=BB23_303 Depth=2
	s_or_b32 exec_lo, exec_lo, s31
	s_wait_dscnt 0x0
	s_barrier_signal -1
	s_barrier_wait -1
	ds_load_u16 v6, v25 offset:3072
	s_mov_b32 s8, -1
	s_mov_b32 s31, -1
	s_wait_dscnt 0x0
	s_barrier_signal -1
	s_barrier_wait -1
	v_and_b32_e32 v7, 0xff, v6
	s_delay_alu instid0(VALU_DEP_1)
	v_cmp_eq_u32_e32 vcc_lo, 0, v7
	s_cbranch_vccnz .LBB23_306
.LBB23_302:                             ;   in Loop: Header=BB23_303 Depth=2
	s_and_b32 s8, exec_lo, s8
	s_delay_alu instid0(SALU_CYCLE_1) | instskip(SKIP_2) | instid1(SALU_CYCLE_1)
	s_or_b32 s25, s8, s25
	s_and_not1_b32 s8, s30, exec_lo
	s_and_b32 s9, s31, exec_lo
	s_or_b32 s30, s8, s9
	s_and_not1_b32 exec_lo, exec_lo, s25
	s_cbranch_execz .LBB23_307
.LBB23_303:                             ;   Parent Loop BB23_6 Depth=1
                                        ; =>  This Inner Loop Header: Depth=2
	s_mov_b32 s31, exec_lo
	s_delay_alu instid0(VALU_DEP_1)
	v_cmpx_gt_u32_e64 s36, v4
	s_cbranch_execz .LBB23_301
; %bb.304:                              ;   in Loop: Header=BB23_303 Depth=2
	global_load_u8 v6, v3, s[38:39]
	s_wait_loadcnt 0x0
	v_bfe_i32 v7, v6, 0, 8
	s_delay_alu instid0(VALU_DEP_1) | instskip(NEXT) | instid1(VALU_DEP_1)
	v_add_nc_u32_e32 v7, 0x80, v7
	v_and_b32_e32 v7, v7, v39
	s_delay_alu instid0(VALU_DEP_1)
	v_cmp_eq_u32_e32 vcc_lo, v7, v32
	s_and_b32 exec_lo, exec_lo, vcc_lo
	s_cbranch_execz .LBB23_301
; %bb.305:                              ;   in Loop: Header=BB23_303 Depth=2
	v_lshlrev_b16 v6, 8, v6
	s_delay_alu instid0(VALU_DEP_1)
	v_or_b32_e32 v6, 1, v6
	ds_store_b16 v25, v6 offset:3072
	s_branch .LBB23_301
.LBB23_306:                             ;   in Loop: Header=BB23_303 Depth=2
	v_dual_add_nc_u32 v4, s47, v4 :: v_dual_add_nc_u32 v3, s51, v3
	s_mov_b32 s31, 0
	s_delay_alu instid0(VALU_DEP_1)
	v_cmp_le_u32_e32 vcc_lo, s93, v4
	s_or_not1_b32 s8, vcc_lo, exec_lo
	s_branch .LBB23_302
.LBB23_307:                             ;   in Loop: Header=BB23_6 Depth=1
	s_or_b32 exec_lo, exec_lo, s25
	v_and_b32_e32 v3, 0xffff, v6
	s_and_not1_b32 s8, s29, exec_lo
	s_and_b32 s9, s30, exec_lo
	s_delay_alu instid0(SALU_CYCLE_1) | instskip(NEXT) | instid1(VALU_DEP_1)
	s_or_b32 s29, s8, s9
	v_lshrrev_b32_e32 v40, 8, v3
.LBB23_308:                             ;   in Loop: Header=BB23_6 Depth=1
	s_or_b32 exec_lo, exec_lo, s22
	s_mov_b32 s22, 0
	s_mov_b32 s25, -1
.LBB23_309:                             ;   in Loop: Header=BB23_6 Depth=1
	s_or_not1_b32 s29, s29, exec_lo
.LBB23_310:                             ;   in Loop: Header=BB23_6 Depth=1
	s_or_b32 exec_lo, exec_lo, s27
	s_mov_b32 s30, 0
	s_and_saveexec_b32 s27, s29
	s_cbranch_execz .LBB23_399
; %bb.311:                              ;   in Loop: Header=BB23_6 Depth=1
	v_dual_mov_b32 v3, 1 :: v_dual_mov_b32 v2, 1
	s_xor_b32 s8, s28, -1
	s_mov_b32 s31, 0
	s_and_saveexec_b32 s28, s8
	s_cbranch_execz .LBB23_320
; %bb.312:                              ;   in Loop: Header=BB23_6 Depth=1
	s_mov_b32 s8, exec_lo
	v_cmpx_ge_u32_e64 s21, v5
	s_xor_b32 s29, exec_lo, s8
	s_cbranch_execz .LBB23_317
; %bb.313:                              ;   in Loop: Header=BB23_6 Depth=1
	ds_load_b32 v2, v25 offset:4096
	s_lshl_b32 s8, 2, s101
	v_or_b32_e32 v39, s18, v39
	v_and_or_b32 v32, v32, s19, s8
	s_wait_dscnt 0x0
	v_cmp_ne_u32_e32 vcc_lo, 0, v2
	s_cbranch_vccnz .LBB23_317
; %bb.314:                              ;   in Loop: Header=BB23_6 Depth=1
	s_and_saveexec_b32 s8, s5
; %bb.315:                              ;   in Loop: Header=BB23_6 Depth=1
	v_mov_b32_e32 v2, s21
	ds_store_b32 v25, v2 offset:4100
; %bb.316:                              ;   in Loop: Header=BB23_6 Depth=1
	s_or_b32 exec_lo, exec_lo, s8
	s_wait_dscnt 0x0
	s_barrier_signal -1
	s_barrier_wait -1
.LBB23_317:                             ;   in Loop: Header=BB23_6 Depth=1
	s_or_saveexec_b32 s29, s29
	v_mov_b32_e32 v2, 5
	s_xor_b32 exec_lo, exec_lo, s29
; %bb.318:                              ;   in Loop: Header=BB23_6 Depth=1
	v_subrev_nc_u32_e32 v5, s21, v5
	v_mov_b32_e32 v2, 0
	s_mov_b32 s30, exec_lo
; %bb.319:                              ;   in Loop: Header=BB23_6 Depth=1
	s_or_b32 exec_lo, exec_lo, s29
	s_delay_alu instid0(VALU_DEP_2)
	v_mov_b32_e32 v3, v5
	s_and_b32 s31, s30, exec_lo
.LBB23_320:                             ;   in Loop: Header=BB23_6 Depth=1
	s_or_b32 exec_lo, exec_lo, s28
	s_mov_b32 s30, -1
                                        ; implicit-def: $sgpr28
                                        ; implicit-def: $sgpr29
	s_and_saveexec_b32 s21, s31
	s_cbranch_execz .LBB23_398
; %bb.321:                              ;   in Loop: Header=BB23_6 Depth=1
	v_cmp_eq_u32_e32 vcc_lo, 1, v3
	s_cmp_eq_u32 s20, 1
	s_mov_b32 s33, -1
	s_cselect_b32 s8, -1, 0
                                        ; implicit-def: $sgpr29
                                        ; implicit-def: $sgpr28
	s_delay_alu instid0(SALU_CYCLE_1) | instskip(NEXT) | instid1(SALU_CYCLE_1)
	s_and_b32 s31, s8, vcc_lo
	s_and_saveexec_b32 s30, s31
	s_cbranch_execz .LBB23_347
; %bb.322:                              ;   in Loop: Header=BB23_6 Depth=1
	ds_load_b32 v4, v25 offset:4096
	s_wait_dscnt 0x0
	s_barrier_signal -1
	s_barrier_wait -1
	v_readfirstlane_b32 s34, v4
	s_and_saveexec_b32 s8, s6
; %bb.323:                              ;   in Loop: Header=BB23_6 Depth=1
	ds_store_b8 v0, v25 offset:3072
; %bb.324:                              ;   in Loop: Header=BB23_6 Depth=1
	s_or_b32 exec_lo, exec_lo, s8
	s_lshl_b32 s8, 1, s101
	v_or_b32_e32 v39, s18, v39
	v_and_or_b32 v32, v32, s19, s8
	s_mov_b32 s28, -1
	s_mov_b32 s29, 0
	s_cmp_eq_u32 s34, 0
	s_mov_b32 s33, 0
	s_mov_b32 s40, -1
	s_wait_dscnt 0x0
	s_barrier_signal -1
	s_barrier_wait -1
                                        ; implicit-def: $vgpr40
	s_cbranch_scc1 .LBB23_335
; %bb.325:                              ;   in Loop: Header=BB23_6 Depth=1
	s_add_co_i32 s64, s34, s76
	s_mov_b32 s40, 0
	s_mul_u64 s[8:9], s[64:65], s[70:71]
	s_mov_b32 s41, exec_lo
	s_mul_i32 s8, s9, s47
                                        ; implicit-def: $vgpr40
	s_delay_alu instid0(SALU_CYCLE_1) | instskip(NEXT) | instid1(SALU_CYCLE_1)
	s_sub_co_i32 s8, s64, s8
	s_sub_co_i32 s9, s8, s47
	s_cmp_ge_u32 s8, s47
	s_cselect_b32 s8, s9, s8
	s_delay_alu instid0(SALU_CYCLE_1) | instskip(SKIP_2) | instid1(SALU_CYCLE_1)
	s_sub_co_i32 s9, s8, s47
	s_cmp_ge_u32 s8, s47
	s_cselect_b32 s8, s9, s8
	s_sub_co_i32 s42, s64, s8
	s_delay_alu instid0(SALU_CYCLE_1)
	v_cmpx_gt_u32_e64 s42, v0
	s_cbranch_execz .LBB23_334
; %bb.326:                              ;   in Loop: Header=BB23_6 Depth=1
	v_mov_b32_e32 v4, v0
                                        ; implicit-def: $sgpr35
	s_branch .LBB23_329
.LBB23_327:                             ;   in Loop: Header=BB23_329 Depth=2
	s_or_b32 exec_lo, exec_lo, s46
	s_wait_dscnt 0x0
	s_barrier_signal -1
	s_barrier_wait -1
	ds_load_u16 v5, v25 offset:3072
	s_mov_b32 s9, -1
	s_mov_b32 s8, -1
	s_wait_dscnt 0x0
	s_barrier_signal -1
	s_barrier_wait -1
	v_and_b32_e32 v6, 0xff, v5
	s_delay_alu instid0(VALU_DEP_1)
	v_cmp_ne_u32_e32 vcc_lo, 0, v6
	s_cbranch_vccz .LBB23_332
.LBB23_328:                             ;   in Loop: Header=BB23_329 Depth=2
	s_and_b32 s9, exec_lo, s9
	s_delay_alu instid0(SALU_CYCLE_1) | instskip(SKIP_2) | instid1(SALU_CYCLE_1)
	s_or_b32 s33, s9, s33
	s_and_not1_b32 s9, s35, exec_lo
	s_and_b32 s8, s8, exec_lo
	s_or_b32 s35, s9, s8
	s_and_not1_b32 exec_lo, exec_lo, s33
	s_cbranch_execz .LBB23_333
.LBB23_329:                             ;   Parent Loop BB23_6 Depth=1
                                        ; =>  This Inner Loop Header: Depth=2
	s_mov_b32 s46, exec_lo
	s_delay_alu instid0(VALU_DEP_1)
	v_cmpx_gt_u32_e64 s34, v4
	s_cbranch_execz .LBB23_327
; %bb.330:                              ;   in Loop: Header=BB23_329 Depth=2
	ds_load_u8 v5, v4
	s_wait_dscnt 0x0
	v_bfe_i32 v6, v5, 0, 8
	s_delay_alu instid0(VALU_DEP_1) | instskip(NEXT) | instid1(VALU_DEP_1)
	v_add_nc_u32_e32 v6, 0x80, v6
	v_and_b32_e32 v6, v6, v39
	s_delay_alu instid0(VALU_DEP_1)
	v_cmp_eq_u32_e32 vcc_lo, v6, v32
	s_and_b32 exec_lo, exec_lo, vcc_lo
	s_cbranch_execz .LBB23_327
; %bb.331:                              ;   in Loop: Header=BB23_329 Depth=2
	v_lshlrev_b16 v5, 8, v5
	s_delay_alu instid0(VALU_DEP_1)
	v_or_b32_e32 v5, 1, v5
	ds_store_b16 v25, v5 offset:3072
	s_branch .LBB23_327
.LBB23_332:                             ;   in Loop: Header=BB23_329 Depth=2
	v_add_nc_u32_e32 v4, s47, v4
	s_mov_b32 s8, 0
	s_delay_alu instid0(VALU_DEP_1)
	v_cmp_le_u32_e32 vcc_lo, s42, v4
	s_or_not1_b32 s9, vcc_lo, exec_lo
	s_branch .LBB23_328
.LBB23_333:                             ;   in Loop: Header=BB23_6 Depth=1
	s_or_b32 exec_lo, exec_lo, s33
	v_and_b32_e32 v4, 0xffff, v5
	s_and_b32 s33, s35, exec_lo
	s_delay_alu instid0(VALU_DEP_1)
	v_lshrrev_b32_e32 v40, 8, v4
.LBB23_334:                             ;   in Loop: Header=BB23_6 Depth=1
	s_or_b32 exec_lo, exec_lo, s41
.LBB23_335:                             ;   in Loop: Header=BB23_6 Depth=1
	s_delay_alu instid0(SALU_CYCLE_1)
	s_and_b32 vcc_lo, exec_lo, s40
	s_cbranch_vccz .LBB23_346
; %bb.336:                              ;   in Loop: Header=BB23_6 Depth=1
                                        ; implicit-def: $vgpr40
	s_and_saveexec_b32 s28, s13
	s_cbranch_execz .LBB23_345
; %bb.337:                              ;   in Loop: Header=BB23_6 Depth=1
	v_dual_mov_b32 v4, v22 :: v_dual_mov_b32 v5, v0
	s_mov_b32 s29, 0
                                        ; implicit-def: $sgpr34
	s_branch .LBB23_340
.LBB23_338:                             ;   in Loop: Header=BB23_340 Depth=2
	s_or_b32 exec_lo, exec_lo, s35
	s_wait_dscnt 0x0
	s_barrier_signal -1
	s_barrier_wait -1
	ds_load_u16 v6, v25 offset:3072
	s_mov_b32 s8, -1
	s_mov_b32 s35, -1
	s_wait_dscnt 0x0
	s_barrier_signal -1
	s_barrier_wait -1
	v_and_b32_e32 v7, 0xff, v6
	s_delay_alu instid0(VALU_DEP_1)
	v_cmp_eq_u32_e32 vcc_lo, 0, v7
	s_cbranch_vccnz .LBB23_343
.LBB23_339:                             ;   in Loop: Header=BB23_340 Depth=2
	s_and_b32 s8, exec_lo, s8
	s_delay_alu instid0(SALU_CYCLE_1) | instskip(SKIP_2) | instid1(SALU_CYCLE_1)
	s_or_b32 s29, s8, s29
	s_and_not1_b32 s8, s34, exec_lo
	s_and_b32 s9, s35, exec_lo
	s_or_b32 s34, s8, s9
	s_and_not1_b32 exec_lo, exec_lo, s29
	s_cbranch_execz .LBB23_344
.LBB23_340:                             ;   Parent Loop BB23_6 Depth=1
                                        ; =>  This Inner Loop Header: Depth=2
	s_mov_b32 s35, exec_lo
	s_delay_alu instid0(VALU_DEP_1)
	v_cmpx_gt_u32_e64 s36, v5
	s_cbranch_execz .LBB23_338
; %bb.341:                              ;   in Loop: Header=BB23_340 Depth=2
	global_load_u8 v6, v4, s[38:39]
	s_wait_loadcnt 0x0
	v_bfe_i32 v7, v6, 0, 8
	s_delay_alu instid0(VALU_DEP_1) | instskip(NEXT) | instid1(VALU_DEP_1)
	v_add_nc_u32_e32 v7, 0x80, v7
	v_and_b32_e32 v7, v7, v39
	s_delay_alu instid0(VALU_DEP_1)
	v_cmp_eq_u32_e32 vcc_lo, v7, v32
	s_and_b32 exec_lo, exec_lo, vcc_lo
	s_cbranch_execz .LBB23_338
; %bb.342:                              ;   in Loop: Header=BB23_340 Depth=2
	v_lshlrev_b16 v6, 8, v6
	s_delay_alu instid0(VALU_DEP_1)
	v_or_b32_e32 v6, 1, v6
	ds_store_b16 v25, v6 offset:3072
	s_branch .LBB23_338
.LBB23_343:                             ;   in Loop: Header=BB23_340 Depth=2
	v_dual_add_nc_u32 v5, s47, v5 :: v_dual_add_nc_u32 v4, s51, v4
	s_mov_b32 s35, 0
	s_delay_alu instid0(VALU_DEP_1)
	v_cmp_le_u32_e32 vcc_lo, s93, v5
	s_or_not1_b32 s8, vcc_lo, exec_lo
	s_branch .LBB23_339
.LBB23_344:                             ;   in Loop: Header=BB23_6 Depth=1
	s_or_b32 exec_lo, exec_lo, s29
	v_and_b32_e32 v4, 0xffff, v6
	s_and_not1_b32 s8, s33, exec_lo
	s_and_b32 s9, s34, exec_lo
	s_delay_alu instid0(SALU_CYCLE_1) | instskip(NEXT) | instid1(VALU_DEP_1)
	s_or_b32 s33, s8, s9
	v_lshrrev_b32_e32 v40, 8, v4
.LBB23_345:                             ;   in Loop: Header=BB23_6 Depth=1
	s_or_b32 exec_lo, exec_lo, s28
	s_mov_b32 s28, 0
	s_mov_b32 s29, -1
.LBB23_346:                             ;   in Loop: Header=BB23_6 Depth=1
	s_or_not1_b32 s33, s33, exec_lo
.LBB23_347:                             ;   in Loop: Header=BB23_6 Depth=1
	s_or_b32 exec_lo, exec_lo, s30
	s_mov_b32 s34, 0
	s_and_saveexec_b32 s30, s33
	s_cbranch_execz .LBB23_397
; %bb.348:                              ;   in Loop: Header=BB23_6 Depth=1
	v_dual_mov_b32 v4, 1 :: v_dual_mov_b32 v2, 1
	s_xor_b32 s8, s31, -1
	s_mov_b32 s35, 0
	s_and_saveexec_b32 s31, s8
	s_cbranch_execz .LBB23_357
; %bb.349:                              ;   in Loop: Header=BB23_6 Depth=1
	s_mov_b32 s8, exec_lo
	v_cmpx_ge_u32_e64 s20, v3
	s_xor_b32 s33, exec_lo, s8
	s_cbranch_execz .LBB23_354
; %bb.350:                              ;   in Loop: Header=BB23_6 Depth=1
	ds_load_b32 v2, v25 offset:4096
	s_lshl_b32 s8, 1, s101
	v_or_b32_e32 v39, s18, v39
	v_and_or_b32 v32, v32, s19, s8
	s_wait_dscnt 0x0
	v_cmp_ne_u32_e32 vcc_lo, 0, v2
	s_cbranch_vccnz .LBB23_354
; %bb.351:                              ;   in Loop: Header=BB23_6 Depth=1
	s_and_saveexec_b32 s8, s5
; %bb.352:                              ;   in Loop: Header=BB23_6 Depth=1
	v_mov_b32_e32 v2, s20
	ds_store_b32 v25, v2 offset:4100
; %bb.353:                              ;   in Loop: Header=BB23_6 Depth=1
	s_or_b32 exec_lo, exec_lo, s8
	s_wait_dscnt 0x0
	s_barrier_signal -1
	s_barrier_wait -1
.LBB23_354:                             ;   in Loop: Header=BB23_6 Depth=1
	s_or_saveexec_b32 s33, s33
	v_mov_b32_e32 v2, 5
	s_xor_b32 exec_lo, exec_lo, s33
; %bb.355:                              ;   in Loop: Header=BB23_6 Depth=1
	v_subrev_nc_u32_e32 v3, s20, v3
	v_mov_b32_e32 v2, 0
	s_mov_b32 s34, exec_lo
; %bb.356:                              ;   in Loop: Header=BB23_6 Depth=1
	s_or_b32 exec_lo, exec_lo, s33
	s_delay_alu instid0(VALU_DEP_2)
	v_mov_b32_e32 v4, v3
	s_and_b32 s35, s34, exec_lo
.LBB23_357:                             ;   in Loop: Header=BB23_6 Depth=1
	s_or_b32 exec_lo, exec_lo, s31
	s_mov_b32 s31, -1
                                        ; implicit-def: $sgpr34
                                        ; implicit-def: $sgpr33
	s_and_saveexec_b32 s20, s35
	s_cbranch_execz .LBB23_396
; %bb.358:                              ;   in Loop: Header=BB23_6 Depth=1
	v_cmp_eq_u32_e32 vcc_lo, 1, v4
	s_cmp_eq_u32 s17, 1
	s_mov_b32 s35, -1
	s_cselect_b32 s8, -1, 0
                                        ; implicit-def: $sgpr34
                                        ; implicit-def: $sgpr33
	s_delay_alu instid0(SALU_CYCLE_1) | instskip(NEXT) | instid1(SALU_CYCLE_1)
	s_and_b32 s31, s8, vcc_lo
	s_and_saveexec_b32 s46, s31
	s_cbranch_execz .LBB23_384
; %bb.359:                              ;   in Loop: Header=BB23_6 Depth=1
	ds_load_b32 v3, v25 offset:4096
	s_wait_dscnt 0x0
	s_barrier_signal -1
	s_barrier_wait -1
	v_readfirstlane_b32 s41, v3
	s_and_saveexec_b32 s8, s6
; %bb.360:                              ;   in Loop: Header=BB23_6 Depth=1
	ds_store_b8 v0, v25 offset:3072
; %bb.361:                              ;   in Loop: Header=BB23_6 Depth=1
	s_or_b32 exec_lo, exec_lo, s8
	v_and_b32_e32 v32, s19, v32
	v_or_b32_e32 v39, s18, v39
	s_mov_b32 s33, -1
	s_mov_b32 s34, 0
	s_cmp_eq_u32 s41, 0
	s_mov_b32 s40, 0
	s_mov_b32 s42, -1
	s_wait_dscnt 0x0
	s_barrier_signal -1
	s_barrier_wait -1
                                        ; implicit-def: $vgpr40
	s_cbranch_scc1 .LBB23_372
; %bb.362:                              ;   in Loop: Header=BB23_6 Depth=1
	s_add_co_i32 s64, s41, s76
	s_mov_b32 s42, 0
	s_mul_u64 s[8:9], s[64:65], s[70:71]
	s_mov_b32 s58, exec_lo
	s_mul_i32 s8, s9, s47
                                        ; implicit-def: $vgpr40
	s_delay_alu instid0(SALU_CYCLE_1) | instskip(NEXT) | instid1(SALU_CYCLE_1)
	s_sub_co_i32 s8, s64, s8
	s_sub_co_i32 s9, s8, s47
	s_cmp_ge_u32 s8, s47
	s_cselect_b32 s8, s9, s8
	s_delay_alu instid0(SALU_CYCLE_1) | instskip(SKIP_2) | instid1(SALU_CYCLE_1)
	s_sub_co_i32 s9, s8, s47
	s_cmp_ge_u32 s8, s47
	s_cselect_b32 s8, s9, s8
	s_sub_co_i32 s59, s64, s8
	s_delay_alu instid0(SALU_CYCLE_1)
	v_cmpx_gt_u32_e64 s59, v0
	s_cbranch_execz .LBB23_371
; %bb.363:                              ;   in Loop: Header=BB23_6 Depth=1
	v_mov_b32_e32 v3, v0
	s_mov_b32 s35, 0
                                        ; implicit-def: $sgpr40
	s_branch .LBB23_366
.LBB23_364:                             ;   in Loop: Header=BB23_366 Depth=2
	s_or_b32 exec_lo, exec_lo, s60
	s_wait_dscnt 0x0
	s_barrier_signal -1
	s_barrier_wait -1
	ds_load_u16 v5, v25 offset:3072
	s_mov_b32 s9, -1
	s_mov_b32 s8, -1
	s_wait_dscnt 0x0
	s_barrier_signal -1
	s_barrier_wait -1
	v_and_b32_e32 v6, 0xff, v5
	s_delay_alu instid0(VALU_DEP_1)
	v_cmp_ne_u32_e32 vcc_lo, 0, v6
	s_cbranch_vccz .LBB23_369
.LBB23_365:                             ;   in Loop: Header=BB23_366 Depth=2
	s_and_b32 s9, exec_lo, s9
	s_delay_alu instid0(SALU_CYCLE_1) | instskip(SKIP_2) | instid1(SALU_CYCLE_1)
	s_or_b32 s35, s9, s35
	s_and_not1_b32 s9, s40, exec_lo
	s_and_b32 s8, s8, exec_lo
	s_or_b32 s40, s9, s8
	s_and_not1_b32 exec_lo, exec_lo, s35
	s_cbranch_execz .LBB23_370
.LBB23_366:                             ;   Parent Loop BB23_6 Depth=1
                                        ; =>  This Inner Loop Header: Depth=2
	s_mov_b32 s60, exec_lo
	s_delay_alu instid0(VALU_DEP_1)
	v_cmpx_gt_u32_e64 s41, v3
	s_cbranch_execz .LBB23_364
; %bb.367:                              ;   in Loop: Header=BB23_366 Depth=2
	ds_load_u8 v5, v3
	s_wait_dscnt 0x0
	v_bfe_i32 v6, v5, 0, 8
	s_delay_alu instid0(VALU_DEP_1) | instskip(NEXT) | instid1(VALU_DEP_1)
	v_add_nc_u32_e32 v6, 0x80, v6
	v_and_b32_e32 v6, v6, v39
	s_delay_alu instid0(VALU_DEP_1)
	v_cmp_eq_u32_e32 vcc_lo, v6, v32
	s_and_b32 exec_lo, exec_lo, vcc_lo
	s_cbranch_execz .LBB23_364
; %bb.368:                              ;   in Loop: Header=BB23_366 Depth=2
	v_lshlrev_b16 v5, 8, v5
	s_delay_alu instid0(VALU_DEP_1)
	v_or_b32_e32 v5, 1, v5
	ds_store_b16 v25, v5 offset:3072
	s_branch .LBB23_364
.LBB23_369:                             ;   in Loop: Header=BB23_366 Depth=2
	v_add_nc_u32_e32 v3, s47, v3
	s_mov_b32 s8, 0
	s_delay_alu instid0(VALU_DEP_1)
	v_cmp_le_u32_e32 vcc_lo, s59, v3
	s_or_not1_b32 s9, vcc_lo, exec_lo
	s_branch .LBB23_365
.LBB23_370:                             ;   in Loop: Header=BB23_6 Depth=1
	s_or_b32 exec_lo, exec_lo, s35
	v_and_b32_e32 v3, 0xffff, v5
	s_and_b32 s40, s40, exec_lo
	s_delay_alu instid0(VALU_DEP_1)
	v_lshrrev_b32_e32 v40, 8, v3
.LBB23_371:                             ;   in Loop: Header=BB23_6 Depth=1
	s_or_b32 exec_lo, exec_lo, s58
.LBB23_372:                             ;   in Loop: Header=BB23_6 Depth=1
	s_delay_alu instid0(SALU_CYCLE_1)
	s_and_b32 vcc_lo, exec_lo, s42
	s_cbranch_vccz .LBB23_383
; %bb.373:                              ;   in Loop: Header=BB23_6 Depth=1
                                        ; implicit-def: $vgpr40
	s_and_saveexec_b32 s33, s13
	s_cbranch_execz .LBB23_382
; %bb.374:                              ;   in Loop: Header=BB23_6 Depth=1
	v_dual_mov_b32 v3, v22 :: v_dual_mov_b32 v5, v0
	s_mov_b32 s34, 0
                                        ; implicit-def: $sgpr35
	s_branch .LBB23_377
.LBB23_375:                             ;   in Loop: Header=BB23_377 Depth=2
	s_or_b32 exec_lo, exec_lo, s41
	s_wait_dscnt 0x0
	s_barrier_signal -1
	s_barrier_wait -1
	ds_load_u16 v6, v25 offset:3072
	s_mov_b32 s8, -1
	s_mov_b32 s41, -1
	s_wait_dscnt 0x0
	s_barrier_signal -1
	s_barrier_wait -1
	v_and_b32_e32 v7, 0xff, v6
	s_delay_alu instid0(VALU_DEP_1)
	v_cmp_eq_u32_e32 vcc_lo, 0, v7
	s_cbranch_vccnz .LBB23_380
.LBB23_376:                             ;   in Loop: Header=BB23_377 Depth=2
	s_and_b32 s8, exec_lo, s8
	s_delay_alu instid0(SALU_CYCLE_1) | instskip(SKIP_2) | instid1(SALU_CYCLE_1)
	s_or_b32 s34, s8, s34
	s_and_not1_b32 s8, s35, exec_lo
	s_and_b32 s9, s41, exec_lo
	s_or_b32 s35, s8, s9
	s_and_not1_b32 exec_lo, exec_lo, s34
	s_cbranch_execz .LBB23_381
.LBB23_377:                             ;   Parent Loop BB23_6 Depth=1
                                        ; =>  This Inner Loop Header: Depth=2
	s_mov_b32 s41, exec_lo
	s_delay_alu instid0(VALU_DEP_1)
	v_cmpx_gt_u32_e64 s36, v5
	s_cbranch_execz .LBB23_375
; %bb.378:                              ;   in Loop: Header=BB23_377 Depth=2
	global_load_u8 v6, v3, s[38:39]
	s_wait_loadcnt 0x0
	v_bfe_i32 v7, v6, 0, 8
	s_delay_alu instid0(VALU_DEP_1) | instskip(NEXT) | instid1(VALU_DEP_1)
	v_add_nc_u32_e32 v7, 0x80, v7
	v_and_b32_e32 v7, v7, v39
	s_delay_alu instid0(VALU_DEP_1)
	v_cmp_eq_u32_e32 vcc_lo, v7, v32
	s_and_b32 exec_lo, exec_lo, vcc_lo
	s_cbranch_execz .LBB23_375
; %bb.379:                              ;   in Loop: Header=BB23_377 Depth=2
	v_lshlrev_b16 v6, 8, v6
	s_delay_alu instid0(VALU_DEP_1)
	v_or_b32_e32 v6, 1, v6
	ds_store_b16 v25, v6 offset:3072
	s_branch .LBB23_375
.LBB23_380:                             ;   in Loop: Header=BB23_377 Depth=2
	v_dual_add_nc_u32 v5, s47, v5 :: v_dual_add_nc_u32 v3, s51, v3
	s_mov_b32 s41, 0
	s_delay_alu instid0(VALU_DEP_1)
	v_cmp_le_u32_e32 vcc_lo, s93, v5
	s_or_not1_b32 s8, vcc_lo, exec_lo
	s_branch .LBB23_376
.LBB23_381:                             ;   in Loop: Header=BB23_6 Depth=1
	s_or_b32 exec_lo, exec_lo, s34
	v_and_b32_e32 v3, 0xffff, v6
	s_and_not1_b32 s8, s40, exec_lo
	s_and_b32 s9, s35, exec_lo
	s_delay_alu instid0(SALU_CYCLE_1) | instskip(NEXT) | instid1(VALU_DEP_1)
	s_or_b32 s40, s8, s9
	v_lshrrev_b32_e32 v40, 8, v3
.LBB23_382:                             ;   in Loop: Header=BB23_6 Depth=1
	s_or_b32 exec_lo, exec_lo, s33
	s_mov_b32 s33, 0
	s_mov_b32 s34, -1
.LBB23_383:                             ;   in Loop: Header=BB23_6 Depth=1
	s_or_not1_b32 s35, s40, exec_lo
.LBB23_384:                             ;   in Loop: Header=BB23_6 Depth=1
	s_or_b32 exec_lo, exec_lo, s46
	s_mov_b32 s41, 0
	s_and_saveexec_b32 s40, s35
	s_cbranch_execz .LBB23_395
; %bb.385:                              ;   in Loop: Header=BB23_6 Depth=1
	v_dual_mov_b32 v2, 1 :: v_dual_mov_b32 v3, 1
	s_xor_b32 s8, s31, -1
	s_delay_alu instid0(SALU_CYCLE_1)
	s_and_saveexec_b32 s31, s8
	s_cbranch_execz .LBB23_394
; %bb.386:                              ;   in Loop: Header=BB23_6 Depth=1
	s_mov_b32 s8, exec_lo
	v_cmpx_ge_u32_e64 s17, v4
	s_xor_b32 s35, exec_lo, s8
	s_cbranch_execz .LBB23_391
; %bb.387:                              ;   in Loop: Header=BB23_6 Depth=1
	ds_load_b32 v2, v25 offset:4096
	v_and_b32_e32 v32, s19, v32
	v_or_b32_e32 v39, s18, v39
	s_wait_dscnt 0x0
	v_cmp_ne_u32_e32 vcc_lo, 0, v2
	s_cbranch_vccnz .LBB23_391
; %bb.388:                              ;   in Loop: Header=BB23_6 Depth=1
	s_and_saveexec_b32 s8, s5
; %bb.389:                              ;   in Loop: Header=BB23_6 Depth=1
	v_mov_b32_e32 v2, s17
	ds_store_b32 v25, v2 offset:4100
; %bb.390:                              ;   in Loop: Header=BB23_6 Depth=1
	s_or_b32 exec_lo, exec_lo, s8
	s_wait_dscnt 0x0
	s_barrier_signal -1
	s_barrier_wait -1
.LBB23_391:                             ;   in Loop: Header=BB23_6 Depth=1
	s_and_not1_saveexec_b32 s8, s35
; %bb.392:                              ;   in Loop: Header=BB23_6 Depth=1
	v_subrev_nc_u32_e32 v4, s17, v4
; %bb.393:                              ;   in Loop: Header=BB23_6 Depth=1
	s_or_b32 exec_lo, exec_lo, s8
	s_delay_alu instid0(VALU_DEP_1)
	v_dual_mov_b32 v2, 5 :: v_dual_mov_b32 v3, v4
.LBB23_394:                             ;   in Loop: Header=BB23_6 Depth=1
	s_or_b32 exec_lo, exec_lo, s31
	s_delay_alu instid0(VALU_DEP_1)
	v_mov_b32_e32 v4, v3
	s_mov_b32 s41, exec_lo
.LBB23_395:                             ;   in Loop: Header=BB23_6 Depth=1
	s_or_b32 exec_lo, exec_lo, s40
	s_delay_alu instid0(SALU_CYCLE_1)
	s_or_not1_b32 s31, s41, exec_lo
.LBB23_396:                             ;   in Loop: Header=BB23_6 Depth=1
	s_or_b32 exec_lo, exec_lo, s20
	v_mov_b32_e32 v3, v4
	s_and_not1_b32 s8, s29, exec_lo
	s_and_b32 s9, s34, exec_lo
	s_and_not1_b32 s17, s28, exec_lo
	s_and_b32 s18, s33, exec_lo
	s_or_b32 s29, s8, s9
	s_or_b32 s28, s17, s18
	s_and_b32 s34, s31, exec_lo
.LBB23_397:                             ;   in Loop: Header=BB23_6 Depth=1
	s_or_b32 exec_lo, exec_lo, s30
	s_delay_alu instid0(SALU_CYCLE_1)
	s_or_not1_b32 s30, s34, exec_lo
.LBB23_398:                             ;   in Loop: Header=BB23_6 Depth=1
	s_or_b32 exec_lo, exec_lo, s21
	v_mov_b32_e32 v5, v3
	s_and_not1_b32 s8, s25, exec_lo
	s_and_b32 s9, s29, exec_lo
	s_and_not1_b32 s17, s22, exec_lo
	s_and_b32 s18, s28, exec_lo
	s_or_b32 s25, s8, s9
	s_or_b32 s22, s17, s18
	s_and_b32 s30, s30, exec_lo
.LBB23_399:                             ;   in Loop: Header=BB23_6 Depth=1
	s_or_b32 exec_lo, exec_lo, s27
	s_delay_alu instid0(SALU_CYCLE_1)
	s_or_not1_b32 s27, s30, exec_lo
.LBB23_400:                             ;   in Loop: Header=BB23_6 Depth=1
	s_or_b32 exec_lo, exec_lo, s14
	s_mov_b32 s14, s23
	s_mov_b32 s17, s15
	s_and_saveexec_b32 s18, s27
; %bb.401:                              ;   in Loop: Header=BB23_6 Depth=1
	v_cmp_ne_u32_e32 vcc_lo, 5, v2
	v_cmp_eq_u32_e64 s14, 5, v2
	s_and_not1_b32 s8, s15, exec_lo
	s_and_not1_b32 s9, s23, exec_lo
	s_and_b32 s17, vcc_lo, exec_lo
	s_and_b32 s14, s14, exec_lo
	s_or_b32 s17, s8, s17
	s_or_b32 s14, s9, s14
; %bb.402:                              ;   in Loop: Header=BB23_6 Depth=1
	s_or_b32 exec_lo, exec_lo, s18
	s_delay_alu instid0(SALU_CYCLE_1)
	s_and_not1_b32 s8, s26, exec_lo
	s_and_b32 s9, s25, exec_lo
	s_and_not1_b32 s16, s16, exec_lo
	s_and_b32 s18, s22, exec_lo
	s_or_b32 s26, s8, s9
	s_and_not1_b32 s8, s15, exec_lo
	s_and_b32 s9, s17, exec_lo
	s_and_not1_b32 s17, s23, exec_lo
	s_and_b32 s14, s14, exec_lo
	s_or_b32 s16, s16, s18
	s_or_b32 s15, s8, s9
	;; [unrolled: 1-line block ×3, first 2 shown]
.LBB23_403:                             ;   in Loop: Header=BB23_6 Depth=1
	s_or_b32 exec_lo, exec_lo, s24
	s_mov_b32 s24, 0
	s_mov_b32 s25, 0
	s_and_saveexec_b32 s8, s23
.LBB23_404:                             ;   in Loop: Header=BB23_6 Depth=1
	v_mov_b32_e32 v2, 0
	s_or_b32 s15, s15, exec_lo
.LBB23_405:                             ;   in Loop: Header=BB23_6 Depth=1
	s_or_b32 exec_lo, exec_lo, s8
	s_delay_alu instid0(SALU_CYCLE_1)
	s_and_not1_b32 s8, vcc_hi, exec_lo
	s_and_b32 s9, s26, exec_lo
	s_and_not1_b32 s14, s103, exec_lo
	s_and_b32 s16, s16, exec_lo
	v_mov_b32_e32 v41, v5
	s_or_b32 vcc_hi, s8, s9
	s_or_b32 s103, s14, s16
	s_and_not1_b32 s8, s45, exec_lo
	s_and_b32 s9, s25, exec_lo
	s_and_not1_b32 s14, s44, exec_lo
	s_and_b32 s16, s24, exec_lo
	s_mov_b32 s17, -1
	s_and_not1_b32 s104, s104, exec_lo
	s_or_b32 s45, s8, s9
	s_or_b32 s44, s14, s16
	s_and_saveexec_b32 s8, s15
	s_delay_alu instid0(SALU_CYCLE_1)
	s_xor_b32 s14, exec_lo, s8
	s_cbranch_execz .LBB23_5
; %bb.406:                              ;   in Loop: Header=BB23_6 Depth=1
	s_mov_b32 s15, -1
	s_mov_b32 s16, -1
	s_mov_b32 s8, exec_lo
	v_cmpx_eq_u32_e32 0, v2
	s_cbranch_execz .LBB23_4
; %bb.407:                              ;   in Loop: Header=BB23_6 Depth=1
	s_xor_b32 s97, s97, 1
	s_add_co_i32 s9, s101, -2
	s_cmp_eq_u32 s101, 0
	s_mov_b32 s101, s9
	s_cselect_b32 s15, -1, 0
	s_xor_b32 s16, exec_lo, -1
	s_or_not1_b32 s15, s15, exec_lo
	s_branch .LBB23_4
.LBB23_408:
	s_or_b32 exec_lo, exec_lo, s95
	s_xor_b32 s7, s102, -1
	s_xor_b32 s9, s99, -1
	;; [unrolled: 1-line block ×5, first 2 shown]
	s_mov_b32 s8, 0
	s_and_saveexec_b32 s12, s11
	s_delay_alu instid0(SALU_CYCLE_1)
	s_xor_b32 s12, exec_lo, s12
	s_cbranch_execnz .LBB23_413
; %bb.409:
	s_and_not1_saveexec_b32 s0, s12
	s_cbranch_execnz .LBB23_432
.LBB23_410:
	s_or_b32 exec_lo, exec_lo, s0
	s_and_saveexec_b32 s0, s8
.LBB23_411:
	; divergent unreachable
.LBB23_412:
	s_sendmsg sendmsg(MSG_DEALLOC_VGPRS)
	s_endpgm
.LBB23_413:
	s_and_saveexec_b32 s11, s10
	s_delay_alu instid0(SALU_CYCLE_1)
	s_xor_b32 s13, exec_lo, s11
	s_cbranch_execz .LBB23_430
; %bb.414:
	s_and_saveexec_b32 s10, s9
	s_delay_alu instid0(SALU_CYCLE_1)
	s_xor_b32 s14, exec_lo, s10
	s_cbranch_execz .LBB23_428
; %bb.415:
	;; [unrolled: 5-line block ×3, first 2 shown]
	s_and_saveexec_b32 s7, s6
	s_delay_alu instid0(SALU_CYCLE_1)
	s_xor_b32 s6, exec_lo, s7
; %bb.417:
	v_xor_b32_e32 v40, 0xffffff80, v32
; %bb.418:
	s_or_b32 exec_lo, exec_lo, s6
	s_and_saveexec_b32 s6, s5
; %bb.419:
	v_mov_b32_e32 v1, 0
	ds_store_b32 v1, v1 offset:4108
; %bb.420:
	s_or_b32 exec_lo, exec_lo, s6
	v_mov_b32_e32 v1, 0
	s_wait_dscnt 0x0
	s_barrier_signal -1
	s_barrier_wait -1
	s_and_saveexec_b32 s5, s4
	s_cbranch_execz .LBB23_422
; %bb.421:
	global_load_u8 v1, v[20:21], off
.LBB23_422:
	s_wait_xcnt 0x0
	s_or_b32 exec_lo, exec_lo, s5
	v_readlane_b32 s8, v68, 7
	v_readlane_b32 s9, v68, 8
	s_load_b96 s[16:18], s[0:1], 0x15c
	s_add_co_i32 s5, s36, 31
	s_mul_i32 s6, s50, s53
	s_and_not1_b32 s5, s5, 31
	s_mul_i32 s7, s9, s52
	s_mov_b32 s11, s9
	s_sub_co_i32 s7, s50, s7
	s_sub_co_i32 s6, s72, s6
	s_add_co_i32 s8, s9, 1
	s_sub_co_i32 s9, s7, s52
	s_cmp_ge_u32 s7, s52
	v_readlane_b32 s20, v68, 0
	s_cselect_b32 s8, s8, s11
	s_cselect_b32 s7, s9, s7
	s_add_co_i32 s9, s8, 1
	s_cmp_ge_u32 s7, s52
	v_readlane_b32 s10, v68, 9
	s_cselect_b32 s7, s9, s8
	v_readlane_b32 s11, v68, 10
	s_mul_i32 s8, s7, s52
	s_wait_kmcnt 0x0
	s_mul_i32 s6, s6, s18
	s_sub_co_i32 s8, s50, s8
	s_mul_i32 s7, s7, s16
	s_mul_i32 s8, s8, s17
	;; [unrolled: 1-line block ×3, first 2 shown]
	s_add_co_i32 s6, s8, s6
	s_mul_i32 s8, s11, s48
	s_add_co_i32 s10, s6, s7
	s_sub_co_i32 s7, s56, s8
	s_sub_co_i32 s6, s72, s9
	s_add_co_i32 s8, s11, 1
	s_sub_co_i32 s9, s7, s48
	s_cmp_ge_u32 s7, s48
	s_clause 0x1
	s_load_b32 s16, s[0:1], 0x1c8
	s_load_b32 s17, s[0:1], 0x2a8
	s_cselect_b32 s8, s8, s11
	s_cselect_b32 s7, s9, s7
	s_add_co_i32 s9, s8, 1
	s_cmp_ge_u32 s7, s48
	v_readlane_b32 s21, v68, 1
	s_cselect_b32 s7, s9, s8
	v_readlane_b32 s22, v68, 2
	s_wait_xcnt 0x0
	s_mul_i32 s0, s7, s48
	s_mul_i32 s7, s7, s20
	s_sub_co_i32 s0, s56, s0
	s_mov_b32 s11, 0
	s_mul_i32 s6, s6, s22
	s_mul_i32 s0, s0, s21
	v_readlane_b32 s8, v68, 3
	s_add_co_i32 s0, s0, s6
	v_readlane_b32 s9, v68, 4
	s_add_co_i32 s0, s0, s7
	v_readlane_b32 s6, v68, 5
	v_readlane_b32 s7, v68, 6
	s_mov_b32 s1, s11
	v_cmp_gt_u32_e32 vcc_lo, s5, v0
	s_lshl_b64 s[0:1], s[0:1], 3
	s_add_nc_u64 s[6:7], s[6:7], s[10:11]
	s_add_nc_u64 s[8:9], s[8:9], s[0:1]
	s_mov_b32 s0, -1
	s_mov_b32 s1, 0
	s_and_saveexec_b32 s10, vcc_lo
	s_cbranch_execnz .LBB23_433
; %bb.423:
	s_or_b32 exec_lo, exec_lo, s10
	s_and_saveexec_b32 s3, s0
	s_cbranch_execnz .LBB23_448
.LBB23_424:
	s_or_b32 exec_lo, exec_lo, s3
	s_and_saveexec_b32 s0, s1
	s_delay_alu instid0(SALU_CYCLE_1)
	s_xor_b32 s0, exec_lo, s0
	s_cbranch_execnz .LBB23_471
.LBB23_425:
	s_or_b32 exec_lo, exec_lo, s0
	s_delay_alu instid0(SALU_CYCLE_1)
	s_and_b32 s8, s11, exec_lo
.LBB23_426:
	s_and_not1_saveexec_b32 s0, s15
	s_cbranch_execnz .LBB23_473
.LBB23_427:
	s_or_b32 exec_lo, exec_lo, s0
	s_delay_alu instid0(SALU_CYCLE_1)
	s_and_b32 s8, s8, exec_lo
.LBB23_428:
	s_and_not1_saveexec_b32 s0, s14
	s_cbranch_execnz .LBB23_472
.LBB23_429:
	s_or_b32 exec_lo, exec_lo, s0
	s_delay_alu instid0(SALU_CYCLE_1)
	s_and_b32 s8, s8, exec_lo
.LBB23_430:
	s_and_not1_saveexec_b32 s0, s13
	s_cbranch_execnz .LBB23_467
.LBB23_431:
	s_or_b32 exec_lo, exec_lo, s0
	s_delay_alu instid0(SALU_CYCLE_1)
	s_and_b32 s8, s8, exec_lo
	s_and_not1_saveexec_b32 s0, s12
	s_cbranch_execz .LBB23_410
.LBB23_432:
	s_or_b32 s8, s8, exec_lo
	s_trap 2
	s_or_b32 exec_lo, exec_lo, s0
	s_and_saveexec_b32 s0, s8
	s_cbranch_execnz .LBB23_411
	s_branch .LBB23_412
.LBB23_433:
	v_add_nc_u32_e32 v2, s47, v0
	v_bfe_i32 v3, v40, 0, 8
	s_mov_b32 s18, 0
                                        ; implicit-def: $sgpr19
                                        ; implicit-def: $vgpr8
	s_delay_alu instid0(VALU_DEP_1)
	v_add_nc_u32_e32 v5, 0x80, v3
	v_mov_b32_e32 v3, 0
	v_mul_lo_u32 v4, s43, v2
	v_mov_b32_e32 v2, v0
	s_branch .LBB23_435
.LBB23_434:                             ;   in Loop: Header=BB23_435 Depth=1
	s_or_b32 exec_lo, exec_lo, s21
	s_xor_b32 s0, s20, -1
	s_and_b32 s1, exec_lo, s1
	v_dual_mov_b32 v1, v7 :: v_dual_mov_b32 v2, v6
	s_or_b32 s18, s1, s18
	s_and_not1_b32 s1, s19, exec_lo
	s_and_b32 s0, s0, exec_lo
	s_delay_alu instid0(SALU_CYCLE_1)
	s_or_b32 s19, s1, s0
	s_and_not1_b32 exec_lo, exec_lo, s18
	s_cbranch_execz .LBB23_447
.LBB23_435:                             ; =>This Inner Loop Header: Depth=1
	s_delay_alu instid0(VALU_DEP_1) | instskip(SKIP_1) | instid1(VALU_DEP_1)
	v_dual_mov_b32 v7, 0 :: v_dual_add_nc_u32 v6, s47, v2
	s_mov_b32 s1, exec_lo
	v_cmpx_gt_u32_e64 s36, v6
	s_cbranch_execz .LBB23_437
; %bb.436:                              ;   in Loop: Header=BB23_435 Depth=1
	global_load_u8 v7, v4, s[38:39]
.LBB23_437:                             ;   in Loop: Header=BB23_435 Depth=1
	s_wait_xcnt 0x0
	s_or_b32 exec_lo, exec_lo, s1
	s_wait_loadcnt 0x0
	v_bfe_i32 v9, v1, 0, 8
	s_delay_alu instid0(VALU_DEP_1) | instskip(NEXT) | instid1(VALU_DEP_1)
	v_add_nc_u32_e32 v9, 0x80, v9
	v_cmp_gt_u32_e64 s0, v9, v5
	s_delay_alu instid0(VALU_DEP_1) | instskip(SKIP_1) | instid1(VALU_DEP_1)
	v_cndmask_b32_e64 v10, 0, 1, s0
	v_cmp_lt_u32_e64 s0, v9, v5
	v_cndmask_b32_e64 v9, 0, 1, s0
	v_cmp_gt_u32_e64 s0, s36, v2
	s_delay_alu instid0(VALU_DEP_2) | instskip(NEXT) | instid1(VALU_DEP_1)
	v_cndmask_b32_e64 v9, v9, v10, s3
	v_and_b32_e32 v9, 1, v9
	s_delay_alu instid0(VALU_DEP_1) | instskip(SKIP_1) | instid1(SALU_CYCLE_1)
	v_cmp_eq_u32_e64 s1, 1, v9
	s_and_b32 s20, s0, s1
	v_cndmask_b32_e64 v9, 0, 1, s20
	s_delay_alu instid0(VALU_DEP_1) | instskip(SKIP_2) | instid1(SALU_CYCLE_1)
	v_cmp_ne_u32_e64 s0, 0, v9
	s_cmp_lg_u32 s0, 0
	s_cselect_b32 s1, -1, 0
	s_and_b32 s1, s2, s1
	s_delay_alu instid0(SALU_CYCLE_1)
	s_and_saveexec_b32 s21, s1
	s_cbranch_execz .LBB23_441
; %bb.438:                              ;   in Loop: Header=BB23_435 Depth=1
	s_mov_b32 s24, exec_lo
	s_bcnt1_i32_b32 s22, s0
	s_wait_dscnt 0x0
	v_mbcnt_lo_u32_b32 v8, s24, 0
	s_mov_b32 s23, exec_lo
                                        ; implicit-def: $vgpr9
	s_delay_alu instid0(VALU_DEP_1)
	v_cmpx_eq_u32_e32 0, v8
; %bb.439:                              ;   in Loop: Header=BB23_435 Depth=1
	s_bcnt1_i32_b32 s1, s24
	s_delay_alu instid0(SALU_CYCLE_1) | instskip(NEXT) | instid1(SALU_CYCLE_1)
	s_mul_i32 s1, s22, s1
	v_mov_b32_e32 v9, s1
	ds_add_rtn_u32 v9, v3, v9 offset:4108
; %bb.440:                              ;   in Loop: Header=BB23_435 Depth=1
	s_or_b32 exec_lo, exec_lo, s23
	s_wait_dscnt 0x0
	v_readfirstlane_b32 s1, v9
	s_delay_alu instid0(VALU_DEP_1)
	v_mad_u32_u24 v8, s22, v8, s1
.LBB23_441:                             ;   in Loop: Header=BB23_435 Depth=1
	s_or_b32 exec_lo, exec_lo, s21
	s_wait_dscnt 0x0
	ds_bpermute_b32 v8, v3, v8
	s_mov_b32 s1, -1
	s_mov_b32 s22, -1
	s_and_saveexec_b32 s21, s20
	s_cbranch_execz .LBB23_445
; %bb.442:                              ;   in Loop: Header=BB23_435 Depth=1
	v_and_b32_e32 v9, s0, v18
	s_mov_b32 s20, 0
	s_mov_b32 s22, exec_lo
	s_wait_dscnt 0x0
	s_delay_alu instid0(VALU_DEP_1) | instskip(NEXT) | instid1(VALU_DEP_1)
	v_bcnt_u32_b32 v9, v9, v8
	v_cmpx_gt_u32_e64 s37, v9
	s_cbranch_execz .LBB23_444
; %bb.443:                              ;   in Loop: Header=BB23_435 Depth=1
	s_wait_kmcnt 0x0
	v_mul_lo_u32 v10, v9, s16
	v_mul_lo_u32 v9, v9, s17
	s_mov_b32 s20, exec_lo
	global_store_b8 v10, v1, s[6:7]
	global_store_b64 v9, v[2:3], s[8:9] scale_offset
.LBB23_444:                             ;   in Loop: Header=BB23_435 Depth=1
	s_wait_xcnt 0x0
	s_or_b32 exec_lo, exec_lo, s22
	s_delay_alu instid0(SALU_CYCLE_1)
	s_or_not1_b32 s22, s20, exec_lo
.LBB23_445:                             ;   in Loop: Header=BB23_435 Depth=1
	s_or_b32 exec_lo, exec_lo, s21
	s_mov_b32 s20, -1
	s_and_saveexec_b32 s21, s22
	s_cbranch_execz .LBB23_434
; %bb.446:                              ;   in Loop: Header=BB23_435 Depth=1
	v_cmp_le_u32_e64 s0, s5, v6
	v_add_nc_u32_e32 v4, s51, v4
	s_xor_b32 s20, exec_lo, -1
	s_or_not1_b32 s1, s0, exec_lo
	s_branch .LBB23_434
.LBB23_447:
	s_or_b32 exec_lo, exec_lo, s18
	s_delay_alu instid0(SALU_CYCLE_1)
	s_mov_b32 s1, exec_lo
	s_or_not1_b32 s0, s19, exec_lo
	s_or_b32 exec_lo, exec_lo, s10
	s_and_saveexec_b32 s3, s0
	s_cbranch_execz .LBB23_424
.LBB23_448:
	v_mov_b32_e32 v7, 0
	s_wait_storecnt 0x0
	s_wait_loadcnt_dscnt 0x0
	s_barrier_signal -1
	s_barrier_wait -1
	s_and_saveexec_b32 s0, s4
	s_cbranch_execz .LBB23_450
; %bb.449:
	global_load_u8 v7, v[20:21], off
.LBB23_450:
	s_wait_xcnt 0x0
	s_or_b32 exec_lo, exec_lo, s0
	s_mov_b32 s0, 0
	s_and_saveexec_b32 s4, vcc_lo
	s_cbranch_execz .LBB23_470
; %bb.451:
	v_add_nc_u32_e32 v1, s47, v0
	v_and_b32_e32 v3, 0xff, v40
	s_mov_b32 s10, 0
                                        ; implicit-def: $sgpr11
                                        ; implicit-def: $vgpr6
	s_delay_alu instid0(VALU_DEP_2)
	v_mul_lo_u32 v2, s43, v1
	v_mov_b32_e32 v1, 0
	s_branch .LBB23_454
.LBB23_452:                             ;   in Loop: Header=BB23_454 Depth=1
	s_or_b32 exec_lo, exec_lo, s20
	s_delay_alu instid0(SALU_CYCLE_1)
	s_or_not1_b32 s20, s18, exec_lo
	s_or_not1_b32 s19, s19, exec_lo
.LBB23_453:                             ;   in Loop: Header=BB23_454 Depth=1
	s_or_b32 exec_lo, exec_lo, s0
	s_xor_b32 s0, s20, -1
	s_and_b32 s18, exec_lo, s19
	v_dual_mov_b32 v0, v4 :: v_dual_mov_b32 v7, v5
	s_or_b32 s10, s18, s10
	s_and_not1_b32 s11, s11, exec_lo
	s_and_b32 s0, s0, exec_lo
	s_delay_alu instid0(SALU_CYCLE_1)
	s_or_b32 s11, s11, s0
	s_and_not1_b32 exec_lo, exec_lo, s10
	s_cbranch_execz .LBB23_468
.LBB23_454:                             ; =>This Inner Loop Header: Depth=1
	v_dual_mov_b32 v5, 0 :: v_dual_add_nc_u32 v4, s47, v0
	s_mov_b32 s0, exec_lo
	s_delay_alu instid0(VALU_DEP_1)
	v_cmpx_gt_u32_e64 s36, v4
	s_cbranch_execz .LBB23_456
; %bb.455:                              ;   in Loop: Header=BB23_454 Depth=1
	global_load_u8 v5, v2, s[38:39]
.LBB23_456:                             ;   in Loop: Header=BB23_454 Depth=1
	s_wait_xcnt 0x0
	s_or_b32 exec_lo, exec_lo, s0
	s_wait_loadcnt 0x0
	v_and_b32_e32 v7, 0xff, v7
	v_cmp_gt_u32_e32 vcc_lo, s36, v0
	s_delay_alu instid0(VALU_DEP_2) | instskip(SKIP_1) | instid1(SALU_CYCLE_1)
	v_cmp_eq_u16_e64 s0, v7, v3
	s_and_b32 s18, vcc_lo, s0
	v_cndmask_b32_e64 v7, 0, 1, s18
	s_delay_alu instid0(VALU_DEP_1) | instskip(SKIP_2) | instid1(SALU_CYCLE_1)
	v_cmp_ne_u32_e32 vcc_lo, 0, v7
	s_cmp_lg_u32 vcc_lo, 0
	s_cselect_b32 s0, -1, 0
	s_and_b32 s0, s2, s0
	s_delay_alu instid0(SALU_CYCLE_1)
	s_and_saveexec_b32 s19, s0
	s_cbranch_execz .LBB23_460
; %bb.457:                              ;   in Loop: Header=BB23_454 Depth=1
	s_mov_b32 s22, exec_lo
	s_bcnt1_i32_b32 s20, vcc_lo
	v_mbcnt_lo_u32_b32 v6, s22, 0
	s_mov_b32 s21, exec_lo
                                        ; implicit-def: $vgpr7
	s_delay_alu instid0(VALU_DEP_1)
	v_cmpx_eq_u32_e32 0, v6
; %bb.458:                              ;   in Loop: Header=BB23_454 Depth=1
	s_bcnt1_i32_b32 s0, s22
	s_delay_alu instid0(SALU_CYCLE_1) | instskip(NEXT) | instid1(SALU_CYCLE_1)
	s_mul_i32 s0, s20, s0
	v_mov_b32_e32 v7, s0
	ds_add_rtn_u32 v7, v1, v7 offset:4108
; %bb.459:                              ;   in Loop: Header=BB23_454 Depth=1
	s_or_b32 exec_lo, exec_lo, s21
	s_wait_dscnt 0x0
	v_readfirstlane_b32 s0, v7
	s_delay_alu instid0(VALU_DEP_1)
	v_mad_u32_u24 v6, s20, v6, s0
.LBB23_460:                             ;   in Loop: Header=BB23_454 Depth=1
	s_or_b32 exec_lo, exec_lo, s19
	ds_bpermute_b32 v6, v1, v6
	s_cmp_eq_u32 vcc_lo, 0
	s_mov_b32 s19, -1
	s_cselect_b32 s20, -1, 0
	s_wait_dscnt 0x0
	v_cmp_gt_u32_e64 s0, s37, v6
	s_or_b32 s21, s20, s0
	s_mov_b32 s20, -1
	s_and_saveexec_b32 s0, s21
	s_cbranch_execz .LBB23_453
; %bb.461:                              ;   in Loop: Header=BB23_454 Depth=1
	v_and_b32_e32 v7, vcc_lo, v18
	v_sub_nc_u32_e32 v8, s37, v6
	s_mov_b32 s21, -1
	s_delay_alu instid0(VALU_DEP_2) | instskip(NEXT) | instid1(VALU_DEP_1)
	v_bcnt_u32_b32 v7, v7, 0
	v_bcnt_u32_b32 v7, 0, v7
	s_delay_alu instid0(VALU_DEP_1)
	v_cmp_gt_u32_e32 vcc_lo, v8, v7
	s_and_b32 s22, s18, vcc_lo
	s_mov_b32 s18, -1
	s_and_saveexec_b32 s20, s22
	s_cbranch_execz .LBB23_465
; %bb.462:                              ;   in Loop: Header=BB23_454 Depth=1
	v_add_nc_u32_e32 v7, v6, v7
	s_mov_b32 s21, 0
	s_mov_b32 s18, exec_lo
	s_delay_alu instid0(VALU_DEP_1)
	v_cmpx_gt_u32_e64 s37, v7
	s_cbranch_execz .LBB23_464
; %bb.463:                              ;   in Loop: Header=BB23_454 Depth=1
	s_wait_kmcnt 0x0
	v_mul_lo_u32 v8, v7, s16
	v_mul_lo_u32 v7, v7, s17
	s_mov_b32 s21, exec_lo
	global_store_b8 v8, v40, s[6:7]
	global_store_b64 v7, v[0:1], s[8:9] scale_offset
.LBB23_464:                             ;   in Loop: Header=BB23_454 Depth=1
	s_wait_xcnt 0x0
	s_or_b32 exec_lo, exec_lo, s18
	s_delay_alu instid0(SALU_CYCLE_1)
	s_xor_b32 s18, exec_lo, -1
	s_or_not1_b32 s21, s21, exec_lo
.LBB23_465:                             ;   in Loop: Header=BB23_454 Depth=1
	s_or_b32 exec_lo, exec_lo, s20
	s_and_saveexec_b32 s20, s21
	s_cbranch_execz .LBB23_452
; %bb.466:                              ;   in Loop: Header=BB23_454 Depth=1
	v_cmp_le_u32_e32 vcc_lo, s5, v4
	v_add_nc_u32_e32 v2, s51, v2
	s_or_b32 s18, s18, exec_lo
	s_or_not1_b32 s19, vcc_lo, exec_lo
	s_branch .LBB23_452
.LBB23_467:
	s_or_b32 s8, s8, exec_lo
	s_trap 2
	s_branch .LBB23_431
.LBB23_468:
	s_or_b32 exec_lo, exec_lo, s10
	s_mov_b32 s0, 0
	s_and_saveexec_b32 s2, s11
	s_delay_alu instid0(SALU_CYCLE_1)
	s_xor_b32 s2, exec_lo, s2
	s_cbranch_execnz .LBB23_474
.LBB23_469:
	s_or_b32 exec_lo, exec_lo, s2
	s_delay_alu instid0(SALU_CYCLE_1)
	s_and_b32 s0, s0, exec_lo
.LBB23_470:
	s_or_b32 exec_lo, exec_lo, s4
	s_delay_alu instid0(SALU_CYCLE_1) | instskip(SKIP_3) | instid1(SALU_CYCLE_1)
	s_and_b32 s11, s0, exec_lo
	s_and_not1_b32 s1, s1, exec_lo
	s_or_b32 exec_lo, exec_lo, s3
	s_and_saveexec_b32 s0, s1
	s_xor_b32 s0, exec_lo, s0
	s_cbranch_execz .LBB23_425
.LBB23_471:
	s_or_b32 s11, s11, exec_lo
	s_trap 2
	s_branch .LBB23_425
.LBB23_472:
	s_or_b32 s8, s8, exec_lo
	s_trap 2
	s_branch .LBB23_429
.LBB23_473:
	s_or_b32 s8, s8, exec_lo
	s_trap 2
	s_branch .LBB23_427
.LBB23_474:
	s_mov_b32 s0, exec_lo
	s_trap 2
	s_branch .LBB23_469
	.section	.rodata,"a",@progbits
	.p2align	6, 0x0
	.amdhsa_kernel _ZN2at6native6sbtopk10gatherTopKIajLi3ELb0EEEvNS_4cuda6detail10TensorInfoIKT_T0_EES8_S8_bS8_S8_NS5_IS6_S8_EES8_NS5_IlS8_EES8_PS6_
		.amdhsa_group_segment_fixed_size 4112
		.amdhsa_private_segment_fixed_size 0
		.amdhsa_kernarg_size 952
		.amdhsa_user_sgpr_count 2
		.amdhsa_user_sgpr_dispatch_ptr 0
		.amdhsa_user_sgpr_queue_ptr 0
		.amdhsa_user_sgpr_kernarg_segment_ptr 1
		.amdhsa_user_sgpr_dispatch_id 0
		.amdhsa_user_sgpr_kernarg_preload_length 0
		.amdhsa_user_sgpr_kernarg_preload_offset 0
		.amdhsa_user_sgpr_private_segment_size 0
		.amdhsa_wavefront_size32 1
		.amdhsa_uses_dynamic_stack 0
		.amdhsa_enable_private_segment 0
		.amdhsa_system_sgpr_workgroup_id_x 1
		.amdhsa_system_sgpr_workgroup_id_y 1
		.amdhsa_system_sgpr_workgroup_id_z 1
		.amdhsa_system_sgpr_workgroup_info 0
		.amdhsa_system_vgpr_workitem_id 0
		.amdhsa_next_free_vgpr 69
		.amdhsa_next_free_sgpr 105
		.amdhsa_named_barrier_count 0
		.amdhsa_reserve_vcc 1
		.amdhsa_float_round_mode_32 0
		.amdhsa_float_round_mode_16_64 0
		.amdhsa_float_denorm_mode_32 3
		.amdhsa_float_denorm_mode_16_64 3
		.amdhsa_fp16_overflow 0
		.amdhsa_memory_ordered 1
		.amdhsa_forward_progress 1
		.amdhsa_inst_pref_size 138
		.amdhsa_round_robin_scheduling 0
		.amdhsa_exception_fp_ieee_invalid_op 0
		.amdhsa_exception_fp_denorm_src 0
		.amdhsa_exception_fp_ieee_div_zero 0
		.amdhsa_exception_fp_ieee_overflow 0
		.amdhsa_exception_fp_ieee_underflow 0
		.amdhsa_exception_fp_ieee_inexact 0
		.amdhsa_exception_int_div_zero 0
	.end_amdhsa_kernel
	.section	.text._ZN2at6native6sbtopk10gatherTopKIajLi3ELb0EEEvNS_4cuda6detail10TensorInfoIKT_T0_EES8_S8_bS8_S8_NS5_IS6_S8_EES8_NS5_IlS8_EES8_PS6_,"axG",@progbits,_ZN2at6native6sbtopk10gatherTopKIajLi3ELb0EEEvNS_4cuda6detail10TensorInfoIKT_T0_EES8_S8_bS8_S8_NS5_IS6_S8_EES8_NS5_IlS8_EES8_PS6_,comdat
.Lfunc_end23:
	.size	_ZN2at6native6sbtopk10gatherTopKIajLi3ELb0EEEvNS_4cuda6detail10TensorInfoIKT_T0_EES8_S8_bS8_S8_NS5_IS6_S8_EES8_NS5_IlS8_EES8_PS6_, .Lfunc_end23-_ZN2at6native6sbtopk10gatherTopKIajLi3ELb0EEEvNS_4cuda6detail10TensorInfoIKT_T0_EES8_S8_bS8_S8_NS5_IS6_S8_EES8_NS5_IlS8_EES8_PS6_
                                        ; -- End function
	.set _ZN2at6native6sbtopk10gatherTopKIajLi3ELb0EEEvNS_4cuda6detail10TensorInfoIKT_T0_EES8_S8_bS8_S8_NS5_IS6_S8_EES8_NS5_IlS8_EES8_PS6_.num_vgpr, 69
	.set _ZN2at6native6sbtopk10gatherTopKIajLi3ELb0EEEvNS_4cuda6detail10TensorInfoIKT_T0_EES8_S8_bS8_S8_NS5_IS6_S8_EES8_NS5_IlS8_EES8_PS6_.num_agpr, 0
	.set _ZN2at6native6sbtopk10gatherTopKIajLi3ELb0EEEvNS_4cuda6detail10TensorInfoIKT_T0_EES8_S8_bS8_S8_NS5_IS6_S8_EES8_NS5_IlS8_EES8_PS6_.numbered_sgpr, 105
	.set _ZN2at6native6sbtopk10gatherTopKIajLi3ELb0EEEvNS_4cuda6detail10TensorInfoIKT_T0_EES8_S8_bS8_S8_NS5_IS6_S8_EES8_NS5_IlS8_EES8_PS6_.num_named_barrier, 0
	.set _ZN2at6native6sbtopk10gatherTopKIajLi3ELb0EEEvNS_4cuda6detail10TensorInfoIKT_T0_EES8_S8_bS8_S8_NS5_IS6_S8_EES8_NS5_IlS8_EES8_PS6_.private_seg_size, 0
	.set _ZN2at6native6sbtopk10gatherTopKIajLi3ELb0EEEvNS_4cuda6detail10TensorInfoIKT_T0_EES8_S8_bS8_S8_NS5_IS6_S8_EES8_NS5_IlS8_EES8_PS6_.uses_vcc, 1
	.set _ZN2at6native6sbtopk10gatherTopKIajLi3ELb0EEEvNS_4cuda6detail10TensorInfoIKT_T0_EES8_S8_bS8_S8_NS5_IS6_S8_EES8_NS5_IlS8_EES8_PS6_.uses_flat_scratch, 0
	.set _ZN2at6native6sbtopk10gatherTopKIajLi3ELb0EEEvNS_4cuda6detail10TensorInfoIKT_T0_EES8_S8_bS8_S8_NS5_IS6_S8_EES8_NS5_IlS8_EES8_PS6_.has_dyn_sized_stack, 0
	.set _ZN2at6native6sbtopk10gatherTopKIajLi3ELb0EEEvNS_4cuda6detail10TensorInfoIKT_T0_EES8_S8_bS8_S8_NS5_IS6_S8_EES8_NS5_IlS8_EES8_PS6_.has_recursion, 0
	.set _ZN2at6native6sbtopk10gatherTopKIajLi3ELb0EEEvNS_4cuda6detail10TensorInfoIKT_T0_EES8_S8_bS8_S8_NS5_IS6_S8_EES8_NS5_IlS8_EES8_PS6_.has_indirect_call, 0
	.section	.AMDGPU.csdata,"",@progbits
; Kernel info:
; codeLenInByte = 17560
; TotalNumSgprs: 107
; NumVgprs: 69
; ScratchSize: 0
; MemoryBound: 0
; FloatMode: 240
; IeeeMode: 1
; LDSByteSize: 4112 bytes/workgroup (compile time only)
; SGPRBlocks: 0
; VGPRBlocks: 4
; NumSGPRsForWavesPerEU: 107
; NumVGPRsForWavesPerEU: 69
; NamedBarCnt: 0
; Occupancy: 12
; WaveLimiterHint : 1
; COMPUTE_PGM_RSRC2:SCRATCH_EN: 0
; COMPUTE_PGM_RSRC2:USER_SGPR: 2
; COMPUTE_PGM_RSRC2:TRAP_HANDLER: 0
; COMPUTE_PGM_RSRC2:TGID_X_EN: 1
; COMPUTE_PGM_RSRC2:TGID_Y_EN: 1
; COMPUTE_PGM_RSRC2:TGID_Z_EN: 1
; COMPUTE_PGM_RSRC2:TIDIG_COMP_CNT: 0
	.section	.text._ZN2at6native6mbtopk23computeBlockDigitCountsIajjLin1EEEvNS_4cuda6detail10TensorInfoIKT_T0_EEjPjjS8_iijT1_PSB_Ps,"axG",@progbits,_ZN2at6native6mbtopk23computeBlockDigitCountsIajjLin1EEEvNS_4cuda6detail10TensorInfoIKT_T0_EEjPjjS8_iijT1_PSB_Ps,comdat
	.protected	_ZN2at6native6mbtopk23computeBlockDigitCountsIajjLin1EEEvNS_4cuda6detail10TensorInfoIKT_T0_EEjPjjS8_iijT1_PSB_Ps ; -- Begin function _ZN2at6native6mbtopk23computeBlockDigitCountsIajjLin1EEEvNS_4cuda6detail10TensorInfoIKT_T0_EEjPjjS8_iijT1_PSB_Ps
	.globl	_ZN2at6native6mbtopk23computeBlockDigitCountsIajjLin1EEEvNS_4cuda6detail10TensorInfoIKT_T0_EEjPjjS8_iijT1_PSB_Ps
	.p2align	8
	.type	_ZN2at6native6mbtopk23computeBlockDigitCountsIajjLin1EEEvNS_4cuda6detail10TensorInfoIKT_T0_EEjPjjS8_iijT1_PSB_Ps,@function
_ZN2at6native6mbtopk23computeBlockDigitCountsIajjLin1EEEvNS_4cuda6detail10TensorInfoIKT_T0_EEjPjjS8_iijT1_PSB_Ps: ; @_ZN2at6native6mbtopk23computeBlockDigitCountsIajjLin1EEEvNS_4cuda6detail10TensorInfoIKT_T0_EEjPjjS8_iijT1_PSB_Ps
; %bb.0:
	s_load_b64 s[2:3], s[0:1], 0xf8
	s_bfe_u32 s4, ttmp6, 0x40010
	s_and_b32 s6, ttmp7, 0xffff
	s_add_co_i32 s7, s4, 1
	s_bfe_u32 s8, ttmp6, 0x40004
	s_mul_i32 s7, s6, s7
	s_load_b64 s[4:5], s[0:1], 0x110
	s_add_co_i32 s7, s8, s7
	s_bfe_u32 s9, ttmp6, 0x4000c
	s_bfe_u32 s11, ttmp6, 0x40014
	s_add_co_i32 s9, s9, 1
	s_and_b32 s10, ttmp6, 15
	s_mul_i32 s9, ttmp9, s9
	s_add_co_i32 s11, s11, 1
	s_add_co_i32 s12, s10, s9
	s_bfe_u32 s10, ttmp6, 0x40008
	s_mov_b32 s15, 0
	s_wait_kmcnt 0x0
	s_cvt_f32_u32 s8, s2
	s_delay_alu instid0(SALU_CYCLE_3) | instskip(SKIP_1) | instid1(SALU_CYCLE_1)
	v_rcp_iflag_f32_e32 v1, s8
	s_lshr_b32 s8, ttmp7, 16
	s_mul_i32 s9, s8, s11
	s_getreg_b32 s11, hwreg(HW_REG_IB_STS2, 6, 4)
	s_add_co_i32 s10, s10, s9
	s_cmp_eq_u32 s11, 0
	v_nop
	v_readfirstlane_b32 s13, v1
	s_cselect_b32 s14, s8, s10
	s_load_b128 s[8:11], s[0:1], 0xe8
	s_mul_i32 s5, s5, s14
	s_cselect_b32 s12, ttmp9, s12
	s_mul_f32 s13, s13, 0x4f7ffffe
	s_cselect_b32 s6, s6, s7
	s_sub_co_i32 s7, 0, s2
	s_add_co_i32 s5, s5, s6
	s_cvt_u32_f32 s13, s13
	s_mul_i32 s16, s5, s4
	s_delay_alu instid0(SALU_CYCLE_1) | instskip(NEXT) | instid1(SALU_CYCLE_1)
	s_add_co_i32 s16, s16, s12
	s_mul_i32 s7, s7, s13
	s_delay_alu instid0(SALU_CYCLE_1) | instskip(NEXT) | instid1(SALU_CYCLE_1)
	s_mul_hi_u32 s4, s13, s7
	s_add_co_i32 s13, s13, s4
	s_delay_alu instid0(SALU_CYCLE_1) | instskip(NEXT) | instid1(SALU_CYCLE_1)
	s_mul_hi_u32 s4, s16, s13
	s_mul_i32 s5, s4, s2
	s_add_co_i32 s6, s4, 1
	s_sub_co_i32 s5, s16, s5
	s_delay_alu instid0(SALU_CYCLE_1)
	s_sub_co_i32 s7, s5, s2
	s_cmp_ge_u32 s5, s2
	s_cselect_b32 s4, s6, s4
	s_cselect_b32 s5, s7, s5
	s_add_co_i32 s6, s4, 1
	s_cmp_ge_u32 s5, s2
	s_cselect_b32 s17, s6, s4
	s_wait_kmcnt 0x0
	s_cmp_ge_u32 s17, s8
	s_cbranch_scc1 .LBB24_30
; %bb.1:
	s_clause 0x1
	s_load_b32 s8, s[0:1], 0xd0
	s_load_b128 s[4:7], s[0:1], 0x100
	s_mov_b32 s18, s17
	s_wait_kmcnt 0x0
	s_cmp_lt_i32 s8, 2
	s_cbranch_scc1 .LBB24_4
; %bb.2:
	s_add_co_i32 s14, s8, -1
	s_add_co_i32 s8, s8, 1
	s_lshl_b64 s[12:13], s[14:15], 2
	s_mov_b32 s18, s17
	s_add_nc_u64 s[12:13], s[0:1], s[12:13]
	s_delay_alu instid0(SALU_CYCLE_1)
	s_add_nc_u64 s[12:13], s[12:13], 8
.LBB24_3:                               ; =>This Inner Loop Header: Depth=1
	s_clause 0x1
	s_load_b32 s14, s[12:13], 0x0
	s_load_b32 s19, s[12:13], 0x64
	s_mov_b32 s22, s18
	s_wait_xcnt 0x0
	s_add_nc_u64 s[12:13], s[12:13], -4
	s_wait_kmcnt 0x0
	s_cvt_f32_u32 s20, s14
	s_sub_co_i32 s21, 0, s14
	s_delay_alu instid0(SALU_CYCLE_2) | instskip(SKIP_1) | instid1(TRANS32_DEP_1)
	v_rcp_iflag_f32_e32 v1, s20
	v_nop
	v_readfirstlane_b32 s20, v1
	s_mul_f32 s20, s20, 0x4f7ffffe
	s_delay_alu instid0(SALU_CYCLE_3) | instskip(NEXT) | instid1(SALU_CYCLE_3)
	s_cvt_u32_f32 s20, s20
	s_mul_i32 s21, s21, s20
	s_delay_alu instid0(SALU_CYCLE_1) | instskip(NEXT) | instid1(SALU_CYCLE_1)
	s_mul_hi_u32 s21, s20, s21
	s_add_co_i32 s20, s20, s21
	s_delay_alu instid0(SALU_CYCLE_1) | instskip(NEXT) | instid1(SALU_CYCLE_1)
	s_mul_hi_u32 s18, s18, s20
	s_mul_i32 s20, s18, s14
	s_add_co_i32 s21, s18, 1
	s_sub_co_i32 s20, s22, s20
	s_delay_alu instid0(SALU_CYCLE_1)
	s_sub_co_i32 s23, s20, s14
	s_cmp_ge_u32 s20, s14
	s_cselect_b32 s18, s21, s18
	s_cselect_b32 s20, s23, s20
	s_add_co_i32 s21, s18, 1
	s_cmp_ge_u32 s20, s14
	s_cselect_b32 s18, s21, s18
	s_add_co_i32 s8, s8, -1
	s_mul_i32 s14, s18, s14
	s_delay_alu instid0(SALU_CYCLE_1) | instskip(NEXT) | instid1(SALU_CYCLE_1)
	s_sub_co_i32 s14, s22, s14
	s_mul_i32 s14, s19, s14
	s_delay_alu instid0(SALU_CYCLE_1)
	s_add_co_i32 s15, s14, s15
	s_cmp_gt_u32 s8, 2
	s_cbranch_scc1 .LBB24_3
.LBB24_4:
	s_load_b32 s8, s[4:5], s17 offset:0x0 scale_offset
	v_cmp_gt_u32_e32 vcc_lo, 0x100, v0
	v_lshlrev_b32_e32 v1, 2, v0
	s_wait_xcnt 0x0
	s_and_saveexec_b32 s4, vcc_lo
; %bb.5:
	v_mov_b32_e32 v2, 0
	ds_store_b32 v1, v2
; %bb.6:
	s_or_b32 exec_lo, exec_lo, s4
	s_load_b32 s14, s[0:1], 0xd8
	s_mul_i32 s17, s17, s2
	s_mov_b32 s13, 0
	s_sub_co_i32 s19, s16, s17
	s_wait_dscnt 0x0
	s_mul_i32 s4, s11, s19
	s_add_co_i32 s19, s19, 1
	s_lshl_b32 s17, s4, 8
	s_barrier_signal -1
	s_barrier_wait -1
	s_wait_kmcnt 0x0
	s_sub_co_i32 s12, s14, s17
	s_delay_alu instid0(SALU_CYCLE_1) | instskip(NEXT) | instid1(SALU_CYCLE_1)
	s_add_nc_u64 s[4:5], s[12:13], 0xff
	s_lshr_b64 s[4:5], s[4:5], 8
	s_cmp_lt_u32 s19, s2
	s_cselect_b32 s2, s11, s4
	s_delay_alu instid0(SALU_CYCLE_1)
	s_cmp_lt_i32 s2, 1
	s_cbranch_scc1 .LBB24_28
; %bb.7:
	s_clause 0x1
	s_load_b32 s11, s[0:1], 0x6c
	s_load_b64 s[4:5], s[0:1], 0x0
	s_wait_xcnt 0x0
	s_and_b32 s1, s10, 0xff
	s_wait_kmcnt 0x0
	s_mul_i32 s0, s11, s18
	s_delay_alu instid0(SALU_CYCLE_1)
	s_add_co_i32 s12, s0, s15
	s_cmp_lt_u32 s2, 4
	s_add_nc_u64 s[4:5], s[4:5], s[12:13]
	s_cbranch_scc1 .LBB24_22
; %bb.8:
	v_dual_mov_b32 v7, 1 :: v_dual_add_nc_u32 v6, s17, v0
	s_and_b32 s13, s2, 0x7ffffffc
	s_lshl_b32 s10, s9, 10
	s_mov_b32 s11, 0
	s_delay_alu instid0(VALU_DEP_1)
	v_add_nc_u32_e32 v2, 0x300, v6
	v_add_nc_u32_e32 v4, 0x200, v6
	;; [unrolled: 1-line block ×3, first 2 shown]
	v_mul_lo_u32 v6, s9, v6
	s_mov_b32 s12, 0
	v_mul_lo_u32 v3, s9, v2
	v_mul_lo_u32 v4, s9, v4
	;; [unrolled: 1-line block ×3, first 2 shown]
	s_branch .LBB24_10
.LBB24_9:                               ;   in Loop: Header=BB24_10 Depth=1
	s_or_b32 exec_lo, exec_lo, s15
	v_add_nc_u32_e32 v2, 0x400, v2
	s_add_co_i32 s12, s12, 4
	s_add_co_i32 s11, s11, s10
	s_cmp_eq_u32 s13, s12
	s_cbranch_scc1 .LBB24_22
.LBB24_10:                              ; =>This Inner Loop Header: Depth=1
	v_add_nc_u32_e32 v8, 0xfffffd00, v2
	s_mov_b32 s15, exec_lo
	s_delay_alu instid0(VALU_DEP_1)
	v_cmpx_gt_u32_e64 s14, v8
	s_cbranch_execz .LBB24_13
; %bb.11:                               ;   in Loop: Header=BB24_10 Depth=1
	v_add_nc_u32_e32 v8, s11, v6
	global_load_i8 v8, v8, s[4:5]
	s_wait_loadcnt 0x0
	s_wait_xcnt 0x0
	v_add_nc_u32_e32 v8, 0x80, v8
	s_delay_alu instid0(VALU_DEP_1) | instskip(NEXT) | instid1(VALU_DEP_1)
	v_bitop3_b32 v9, v8, s3, s8 bitop3:0x48
	v_cmp_eq_u32_e64 s0, 0, v9
	s_and_b32 exec_lo, exec_lo, s0
; %bb.12:                               ;   in Loop: Header=BB24_10 Depth=1
	v_lshrrev_b32_e32 v8, s1, v8
	s_delay_alu instid0(VALU_DEP_1)
	v_lshlrev_b32_e32 v8, 2, v8
	ds_add_u32 v8, v7
.LBB24_13:                              ;   in Loop: Header=BB24_10 Depth=1
	s_or_b32 exec_lo, exec_lo, s15
	v_add_nc_u32_e32 v8, 0xfffffe00, v2
	s_mov_b32 s15, exec_lo
	s_delay_alu instid0(VALU_DEP_1)
	v_cmpx_gt_u32_e64 s14, v8
	s_cbranch_execz .LBB24_16
; %bb.14:                               ;   in Loop: Header=BB24_10 Depth=1
	v_add_nc_u32_e32 v8, s11, v5
	global_load_i8 v8, v8, s[4:5]
	s_wait_loadcnt 0x0
	v_add_nc_u32_e32 v8, 0x80, v8
	s_delay_alu instid0(VALU_DEP_1) | instskip(NEXT) | instid1(VALU_DEP_1)
	v_bitop3_b32 v9, v8, s3, s8 bitop3:0x48
	v_cmp_eq_u32_e64 s0, 0, v9
	s_and_b32 exec_lo, exec_lo, s0
; %bb.15:                               ;   in Loop: Header=BB24_10 Depth=1
	v_lshrrev_b32_e32 v8, s1, v8
	s_delay_alu instid0(VALU_DEP_1)
	v_lshlrev_b32_e32 v8, 2, v8
	ds_add_u32 v8, v7
.LBB24_16:                              ;   in Loop: Header=BB24_10 Depth=1
	s_or_b32 exec_lo, exec_lo, s15
	v_add_nc_u32_e32 v8, 0xffffff00, v2
	s_mov_b32 s15, exec_lo
	s_delay_alu instid0(VALU_DEP_1)
	v_cmpx_gt_u32_e64 s14, v8
	s_cbranch_execz .LBB24_19
; %bb.17:                               ;   in Loop: Header=BB24_10 Depth=1
	v_add_nc_u32_e32 v8, s11, v4
	global_load_i8 v8, v8, s[4:5]
	s_wait_loadcnt 0x0
	v_add_nc_u32_e32 v8, 0x80, v8
	s_delay_alu instid0(VALU_DEP_1) | instskip(NEXT) | instid1(VALU_DEP_1)
	v_bitop3_b32 v9, v8, s3, s8 bitop3:0x48
	v_cmp_eq_u32_e64 s0, 0, v9
	s_and_b32 exec_lo, exec_lo, s0
; %bb.18:                               ;   in Loop: Header=BB24_10 Depth=1
	v_lshrrev_b32_e32 v8, s1, v8
	s_delay_alu instid0(VALU_DEP_1)
	v_lshlrev_b32_e32 v8, 2, v8
	ds_add_u32 v8, v7
.LBB24_19:                              ;   in Loop: Header=BB24_10 Depth=1
	s_or_b32 exec_lo, exec_lo, s15
	s_delay_alu instid0(SALU_CYCLE_1)
	s_mov_b32 s15, exec_lo
	v_cmpx_gt_u32_e64 s14, v2
	s_cbranch_execz .LBB24_9
; %bb.20:                               ;   in Loop: Header=BB24_10 Depth=1
	v_add_nc_u32_e32 v8, s11, v3
	global_load_i8 v8, v8, s[4:5]
	s_wait_loadcnt 0x0
	v_add_nc_u32_e32 v8, 0x80, v8
	s_delay_alu instid0(VALU_DEP_1) | instskip(NEXT) | instid1(VALU_DEP_1)
	v_bitop3_b32 v9, v8, s3, s8 bitop3:0x48
	v_cmp_eq_u32_e64 s0, 0, v9
	s_and_b32 exec_lo, exec_lo, s0
	s_cbranch_execz .LBB24_9
; %bb.21:                               ;   in Loop: Header=BB24_10 Depth=1
	v_lshrrev_b32_e32 v8, s1, v8
	s_delay_alu instid0(VALU_DEP_1)
	v_lshlrev_b32_e32 v8, 2, v8
	ds_add_u32 v8, v7
	s_branch .LBB24_9
.LBB24_22:
	s_and_b32 s2, s2, 3
	s_delay_alu instid0(SALU_CYCLE_1)
	s_cmp_eq_u32 s2, 0
	s_cbranch_scc1 .LBB24_28
; %bb.23:
	s_lshl_b32 s0, s13, 8
	v_mov_b32_e32 v4, 1
	v_add3_u32 v2, s0, s17, v0
	s_delay_alu instid0(VALU_DEP_1)
	v_mul_lo_u32 v3, s9, v2
	s_lshl_b32 s9, s9, 8
	s_branch .LBB24_25
.LBB24_24:                              ;   in Loop: Header=BB24_25 Depth=1
	s_or_b32 exec_lo, exec_lo, s10
	s_delay_alu instid0(VALU_DEP_2) | instskip(SKIP_2) | instid1(SALU_CYCLE_1)
	v_add_nc_u32_e32 v3, s9, v3
	v_add_nc_u32_e32 v2, 0x100, v2
	s_add_co_i32 s2, s2, -1
	s_cmp_lg_u32 s2, 0
	s_cbranch_scc0 .LBB24_28
.LBB24_25:                              ; =>This Inner Loop Header: Depth=1
	s_mov_b32 s10, exec_lo
	v_cmpx_gt_u32_e64 s14, v2
	s_cbranch_execz .LBB24_24
; %bb.26:                               ;   in Loop: Header=BB24_25 Depth=1
	global_load_i8 v5, v3, s[4:5]
	s_wait_loadcnt 0x0
	v_add_nc_u32_e32 v5, 0x80, v5
	s_delay_alu instid0(VALU_DEP_1) | instskip(NEXT) | instid1(VALU_DEP_1)
	v_bitop3_b32 v6, v5, s3, s8 bitop3:0x48
	v_cmp_eq_u32_e64 s0, 0, v6
	s_and_b32 exec_lo, exec_lo, s0
	s_cbranch_execz .LBB24_24
; %bb.27:                               ;   in Loop: Header=BB24_25 Depth=1
	v_lshrrev_b32_e32 v5, s1, v5
	s_delay_alu instid0(VALU_DEP_1)
	v_lshlrev_b32_e32 v5, 2, v5
	ds_add_u32 v5, v4
	s_branch .LBB24_24
.LBB24_28:
	s_wait_dscnt 0x0
	s_barrier_signal -1
	s_barrier_wait -1
	s_and_saveexec_b32 s0, vcc_lo
	s_cbranch_execz .LBB24_30
; %bb.29:
	ds_load_b32 v1, v1
	v_lshl_or_b32 v0, s16, 8, v0
	s_wait_dscnt 0x0
	global_store_b16 v0, v1, s[6:7] scale_offset
.LBB24_30:
	s_endpgm
	.section	.rodata,"a",@progbits
	.p2align	6, 0x0
	.amdhsa_kernel _ZN2at6native6mbtopk23computeBlockDigitCountsIajjLin1EEEvNS_4cuda6detail10TensorInfoIKT_T0_EEjPjjS8_iijT1_PSB_Ps
		.amdhsa_group_segment_fixed_size 1024
		.amdhsa_private_segment_fixed_size 0
		.amdhsa_kernarg_size 528
		.amdhsa_user_sgpr_count 2
		.amdhsa_user_sgpr_dispatch_ptr 0
		.amdhsa_user_sgpr_queue_ptr 0
		.amdhsa_user_sgpr_kernarg_segment_ptr 1
		.amdhsa_user_sgpr_dispatch_id 0
		.amdhsa_user_sgpr_kernarg_preload_length 0
		.amdhsa_user_sgpr_kernarg_preload_offset 0
		.amdhsa_user_sgpr_private_segment_size 0
		.amdhsa_wavefront_size32 1
		.amdhsa_uses_dynamic_stack 0
		.amdhsa_enable_private_segment 0
		.amdhsa_system_sgpr_workgroup_id_x 1
		.amdhsa_system_sgpr_workgroup_id_y 1
		.amdhsa_system_sgpr_workgroup_id_z 1
		.amdhsa_system_sgpr_workgroup_info 0
		.amdhsa_system_vgpr_workitem_id 0
		.amdhsa_next_free_vgpr 10
		.amdhsa_next_free_sgpr 24
		.amdhsa_named_barrier_count 0
		.amdhsa_reserve_vcc 1
		.amdhsa_float_round_mode_32 0
		.amdhsa_float_round_mode_16_64 0
		.amdhsa_float_denorm_mode_32 3
		.amdhsa_float_denorm_mode_16_64 3
		.amdhsa_fp16_overflow 0
		.amdhsa_memory_ordered 1
		.amdhsa_forward_progress 1
		.amdhsa_inst_pref_size 12
		.amdhsa_round_robin_scheduling 0
		.amdhsa_exception_fp_ieee_invalid_op 0
		.amdhsa_exception_fp_denorm_src 0
		.amdhsa_exception_fp_ieee_div_zero 0
		.amdhsa_exception_fp_ieee_overflow 0
		.amdhsa_exception_fp_ieee_underflow 0
		.amdhsa_exception_fp_ieee_inexact 0
		.amdhsa_exception_int_div_zero 0
	.end_amdhsa_kernel
	.section	.text._ZN2at6native6mbtopk23computeBlockDigitCountsIajjLin1EEEvNS_4cuda6detail10TensorInfoIKT_T0_EEjPjjS8_iijT1_PSB_Ps,"axG",@progbits,_ZN2at6native6mbtopk23computeBlockDigitCountsIajjLin1EEEvNS_4cuda6detail10TensorInfoIKT_T0_EEjPjjS8_iijT1_PSB_Ps,comdat
.Lfunc_end24:
	.size	_ZN2at6native6mbtopk23computeBlockDigitCountsIajjLin1EEEvNS_4cuda6detail10TensorInfoIKT_T0_EEjPjjS8_iijT1_PSB_Ps, .Lfunc_end24-_ZN2at6native6mbtopk23computeBlockDigitCountsIajjLin1EEEvNS_4cuda6detail10TensorInfoIKT_T0_EEjPjjS8_iijT1_PSB_Ps
                                        ; -- End function
	.set _ZN2at6native6mbtopk23computeBlockDigitCountsIajjLin1EEEvNS_4cuda6detail10TensorInfoIKT_T0_EEjPjjS8_iijT1_PSB_Ps.num_vgpr, 10
	.set _ZN2at6native6mbtopk23computeBlockDigitCountsIajjLin1EEEvNS_4cuda6detail10TensorInfoIKT_T0_EEjPjjS8_iijT1_PSB_Ps.num_agpr, 0
	.set _ZN2at6native6mbtopk23computeBlockDigitCountsIajjLin1EEEvNS_4cuda6detail10TensorInfoIKT_T0_EEjPjjS8_iijT1_PSB_Ps.numbered_sgpr, 24
	.set _ZN2at6native6mbtopk23computeBlockDigitCountsIajjLin1EEEvNS_4cuda6detail10TensorInfoIKT_T0_EEjPjjS8_iijT1_PSB_Ps.num_named_barrier, 0
	.set _ZN2at6native6mbtopk23computeBlockDigitCountsIajjLin1EEEvNS_4cuda6detail10TensorInfoIKT_T0_EEjPjjS8_iijT1_PSB_Ps.private_seg_size, 0
	.set _ZN2at6native6mbtopk23computeBlockDigitCountsIajjLin1EEEvNS_4cuda6detail10TensorInfoIKT_T0_EEjPjjS8_iijT1_PSB_Ps.uses_vcc, 1
	.set _ZN2at6native6mbtopk23computeBlockDigitCountsIajjLin1EEEvNS_4cuda6detail10TensorInfoIKT_T0_EEjPjjS8_iijT1_PSB_Ps.uses_flat_scratch, 0
	.set _ZN2at6native6mbtopk23computeBlockDigitCountsIajjLin1EEEvNS_4cuda6detail10TensorInfoIKT_T0_EEjPjjS8_iijT1_PSB_Ps.has_dyn_sized_stack, 0
	.set _ZN2at6native6mbtopk23computeBlockDigitCountsIajjLin1EEEvNS_4cuda6detail10TensorInfoIKT_T0_EEjPjjS8_iijT1_PSB_Ps.has_recursion, 0
	.set _ZN2at6native6mbtopk23computeBlockDigitCountsIajjLin1EEEvNS_4cuda6detail10TensorInfoIKT_T0_EEjPjjS8_iijT1_PSB_Ps.has_indirect_call, 0
	.section	.AMDGPU.csdata,"",@progbits
; Kernel info:
; codeLenInByte = 1484
; TotalNumSgprs: 26
; NumVgprs: 10
; ScratchSize: 0
; MemoryBound: 0
; FloatMode: 240
; IeeeMode: 1
; LDSByteSize: 1024 bytes/workgroup (compile time only)
; SGPRBlocks: 0
; VGPRBlocks: 0
; NumSGPRsForWavesPerEU: 26
; NumVGPRsForWavesPerEU: 10
; NamedBarCnt: 0
; Occupancy: 16
; WaveLimiterHint : 1
; COMPUTE_PGM_RSRC2:SCRATCH_EN: 0
; COMPUTE_PGM_RSRC2:USER_SGPR: 2
; COMPUTE_PGM_RSRC2:TRAP_HANDLER: 0
; COMPUTE_PGM_RSRC2:TGID_X_EN: 1
; COMPUTE_PGM_RSRC2:TGID_Y_EN: 1
; COMPUTE_PGM_RSRC2:TGID_Z_EN: 1
; COMPUTE_PGM_RSRC2:TIDIG_COMP_CNT: 0
	.section	.text._ZN2at6native6mbtopk10gatherTopKIajLin1EEEvNS_4cuda6detail10TensorInfoIKT_T0_EES8_S8_bjS8_NS5_IS6_S8_EES8_NS5_IlS8_EES8_jjPS6_PjSD_j,"axG",@progbits,_ZN2at6native6mbtopk10gatherTopKIajLin1EEEvNS_4cuda6detail10TensorInfoIKT_T0_EES8_S8_bjS8_NS5_IS6_S8_EES8_NS5_IlS8_EES8_jjPS6_PjSD_j,comdat
	.protected	_ZN2at6native6mbtopk10gatherTopKIajLin1EEEvNS_4cuda6detail10TensorInfoIKT_T0_EES8_S8_bjS8_NS5_IS6_S8_EES8_NS5_IlS8_EES8_jjPS6_PjSD_j ; -- Begin function _ZN2at6native6mbtopk10gatherTopKIajLin1EEEvNS_4cuda6detail10TensorInfoIKT_T0_EES8_S8_bjS8_NS5_IS6_S8_EES8_NS5_IlS8_EES8_jjPS6_PjSD_j
	.globl	_ZN2at6native6mbtopk10gatherTopKIajLin1EEEvNS_4cuda6detail10TensorInfoIKT_T0_EES8_S8_bjS8_NS5_IS6_S8_EES8_NS5_IlS8_EES8_jjPS6_PjSD_j
	.p2align	8
	.type	_ZN2at6native6mbtopk10gatherTopKIajLin1EEEvNS_4cuda6detail10TensorInfoIKT_T0_EES8_S8_bjS8_NS5_IS6_S8_EES8_NS5_IlS8_EES8_jjPS6_PjSD_j,@function
_ZN2at6native6mbtopk10gatherTopKIajLin1EEEvNS_4cuda6detail10TensorInfoIKT_T0_EES8_S8_bjS8_NS5_IS6_S8_EES8_NS5_IlS8_EES8_jjPS6_PjSD_j: ; @_ZN2at6native6mbtopk10gatherTopKIajLin1EEEvNS_4cuda6detail10TensorInfoIKT_T0_EES8_S8_bjS8_NS5_IS6_S8_EES8_NS5_IlS8_EES8_jjPS6_PjSD_j
; %bb.0:
	s_bfe_u32 s2, ttmp6, 0x40010
	s_and_b32 s4, ttmp7, 0xffff
	s_add_co_i32 s5, s2, 1
	s_clause 0x1
	s_load_b32 s6, s[0:1], 0x2d0
	s_load_b64 s[2:3], s[0:1], 0x2d8
	s_bfe_u32 s8, ttmp6, 0x4000c
	s_mul_i32 s5, s4, s5
	s_bfe_u32 s7, ttmp6, 0x40004
	s_add_co_i32 s8, s8, 1
	s_bfe_u32 s9, ttmp6, 0x40014
	s_add_co_i32 s7, s7, s5
	s_and_b32 s5, ttmp6, 15
	s_mul_i32 s8, ttmp9, s8
	s_lshr_b32 s10, ttmp7, 16
	s_add_co_i32 s9, s9, 1
	s_add_co_i32 s5, s5, s8
	s_mul_i32 s8, s10, s9
	s_bfe_u32 s9, ttmp6, 0x40008
	s_getreg_b32 s11, hwreg(HW_REG_IB_STS2, 6, 4)
	s_add_co_i32 s9, s9, s8
	s_cmp_eq_u32 s11, 0
	s_mov_b32 s17, 0
	s_cselect_b32 s8, s10, s9
	s_cselect_b32 s4, s4, s7
	s_wait_kmcnt 0x0
	s_mul_i32 s3, s3, s8
	s_cselect_b32 s5, ttmp9, s5
	s_add_co_i32 s3, s3, s4
	s_delay_alu instid0(SALU_CYCLE_1) | instskip(NEXT) | instid1(SALU_CYCLE_1)
	s_mul_i32 s8, s3, s2
	s_add_co_i32 s8, s8, s5
	s_delay_alu instid0(SALU_CYCLE_1)
	s_cmp_ge_u32 s8, s6
	s_cbranch_scc1 .LBB25_49
; %bb.1:
	s_clause 0x1
	s_load_b96 s[12:14], s[0:1], 0x2a8
	s_load_b32 s2, s[0:1], 0xd0
	s_wait_kmcnt 0x0
	s_cvt_f32_u32 s3, s14
	s_sub_co_i32 s4, 0, s14
	s_delay_alu instid0(SALU_CYCLE_2) | instskip(SKIP_1) | instid1(TRANS32_DEP_1)
	v_rcp_iflag_f32_e32 v1, s3
	v_nop
	v_readfirstlane_b32 s3, v1
	s_mul_f32 s3, s3, 0x4f7ffffe
	s_delay_alu instid0(SALU_CYCLE_3) | instskip(NEXT) | instid1(SALU_CYCLE_3)
	s_cvt_u32_f32 s3, s3
	s_mul_i32 s4, s4, s3
	s_delay_alu instid0(SALU_CYCLE_1) | instskip(NEXT) | instid1(SALU_CYCLE_1)
	s_mul_hi_u32 s4, s3, s4
	s_add_co_i32 s3, s3, s4
	s_delay_alu instid0(SALU_CYCLE_1) | instskip(NEXT) | instid1(SALU_CYCLE_1)
	s_mul_hi_u32 s3, s8, s3
	s_mul_i32 s4, s3, s14
	s_add_co_i32 s5, s3, 1
	s_sub_co_i32 s4, s8, s4
	s_delay_alu instid0(SALU_CYCLE_1)
	s_sub_co_i32 s6, s4, s14
	s_cmp_ge_u32 s4, s14
	s_cselect_b32 s3, s5, s3
	s_cselect_b32 s4, s6, s4
	s_add_co_i32 s5, s3, 1
	s_cmp_ge_u32 s4, s14
	s_cselect_b32 s9, s5, s3
	s_cmp_lt_i32 s2, 2
	s_mov_b32 s15, s9
	s_cbranch_scc1 .LBB25_4
; %bb.2:
	s_add_co_i32 s16, s2, -1
	s_mov_b32 s15, s9
	s_lshl_b64 s[4:5], s[16:17], 2
	s_delay_alu instid0(SALU_CYCLE_1)
	s_add_nc_u64 s[6:7], s[0:1], s[4:5]
	s_add_co_i32 s4, s2, 1
	s_add_nc_u64 s[2:3], s[6:7], 8
.LBB25_3:                               ; =>This Inner Loop Header: Depth=1
	s_clause 0x1
	s_load_b32 s5, s[2:3], 0x0
	s_load_b32 s6, s[2:3], 0x64
	s_mov_b32 s11, s15
	s_wait_xcnt 0x0
	s_add_nc_u64 s[2:3], s[2:3], -4
	s_wait_kmcnt 0x0
	s_cvt_f32_u32 s7, s5
	s_sub_co_i32 s10, 0, s5
	s_delay_alu instid0(SALU_CYCLE_2) | instskip(SKIP_1) | instid1(TRANS32_DEP_1)
	v_rcp_iflag_f32_e32 v1, s7
	v_nop
	v_readfirstlane_b32 s7, v1
	s_mul_f32 s7, s7, 0x4f7ffffe
	s_delay_alu instid0(SALU_CYCLE_3) | instskip(NEXT) | instid1(SALU_CYCLE_3)
	s_cvt_u32_f32 s7, s7
	s_mul_i32 s10, s10, s7
	s_delay_alu instid0(SALU_CYCLE_1) | instskip(NEXT) | instid1(SALU_CYCLE_1)
	s_mul_hi_u32 s10, s7, s10
	s_add_co_i32 s7, s7, s10
	s_delay_alu instid0(SALU_CYCLE_1) | instskip(NEXT) | instid1(SALU_CYCLE_1)
	s_mul_hi_u32 s7, s15, s7
	s_mul_i32 s10, s7, s5
	s_delay_alu instid0(SALU_CYCLE_1)
	s_sub_co_i32 s10, s15, s10
	s_add_co_i32 s15, s7, 1
	s_sub_co_i32 s16, s10, s5
	s_cmp_ge_u32 s10, s5
	s_cselect_b32 s7, s15, s7
	s_cselect_b32 s10, s16, s10
	s_add_co_i32 s15, s7, 1
	s_cmp_ge_u32 s10, s5
	s_cselect_b32 s15, s15, s7
	s_add_co_i32 s4, s4, -1
	s_mul_i32 s5, s15, s5
	s_delay_alu instid0(SALU_CYCLE_1) | instskip(NEXT) | instid1(SALU_CYCLE_1)
	s_sub_co_i32 s5, s11, s5
	s_mul_i32 s5, s6, s5
	s_delay_alu instid0(SALU_CYCLE_1)
	s_add_co_i32 s17, s5, s17
	s_cmp_gt_u32 s4, 2
	s_cbranch_scc1 .LBB25_3
.LBB25_4:
	s_load_b32 s4, s[0:1], 0x1c0
	s_add_nc_u64 s[2:3], s[0:1], 0xf0
	s_mov_b32 s19, 0
	s_mov_b32 s16, s9
	s_wait_kmcnt 0x0
	s_cmp_lt_i32 s4, 2
	s_cbranch_scc1 .LBB25_7
; %bb.5:
	s_add_co_i32 s18, s4, -1
	s_mov_b32 s16, s9
	s_lshl_b64 s[6:7], s[18:19], 2
	s_delay_alu instid0(SALU_CYCLE_1)
	s_add_nc_u64 s[10:11], s[2:3], s[6:7]
	s_add_co_i32 s6, s4, 1
	s_add_nc_u64 s[4:5], s[10:11], 8
.LBB25_6:                               ; =>This Inner Loop Header: Depth=1
	s_clause 0x1
	s_load_b32 s7, s[4:5], 0x0
	s_load_b32 s10, s[4:5], 0x64
	s_mov_b32 s20, s16
	s_wait_xcnt 0x0
	s_add_nc_u64 s[4:5], s[4:5], -4
	s_wait_kmcnt 0x0
	s_cvt_f32_u32 s11, s7
	s_sub_co_i32 s18, 0, s7
	s_delay_alu instid0(SALU_CYCLE_2) | instskip(SKIP_1) | instid1(TRANS32_DEP_1)
	v_rcp_iflag_f32_e32 v1, s11
	v_nop
	v_readfirstlane_b32 s11, v1
	s_mul_f32 s11, s11, 0x4f7ffffe
	s_delay_alu instid0(SALU_CYCLE_3) | instskip(NEXT) | instid1(SALU_CYCLE_3)
	s_cvt_u32_f32 s11, s11
	s_mul_i32 s18, s18, s11
	s_delay_alu instid0(SALU_CYCLE_1) | instskip(NEXT) | instid1(SALU_CYCLE_1)
	s_mul_hi_u32 s18, s11, s18
	s_add_co_i32 s11, s11, s18
	s_delay_alu instid0(SALU_CYCLE_1) | instskip(NEXT) | instid1(SALU_CYCLE_1)
	s_mul_hi_u32 s11, s16, s11
	s_mul_i32 s16, s11, s7
	s_add_co_i32 s18, s11, 1
	s_sub_co_i32 s16, s20, s16
	s_delay_alu instid0(SALU_CYCLE_1)
	s_sub_co_i32 s21, s16, s7
	s_cmp_ge_u32 s16, s7
	s_cselect_b32 s11, s18, s11
	s_cselect_b32 s16, s21, s16
	s_add_co_i32 s18, s11, 1
	s_cmp_ge_u32 s16, s7
	s_cselect_b32 s16, s18, s11
	s_add_co_i32 s6, s6, -1
	s_mul_i32 s7, s16, s7
	s_delay_alu instid0(SALU_CYCLE_1) | instskip(NEXT) | instid1(SALU_CYCLE_1)
	s_sub_co_i32 s7, s20, s7
	s_mul_i32 s7, s10, s7
	s_delay_alu instid0(SALU_CYCLE_1)
	s_add_co_i32 s19, s7, s19
	s_cmp_gt_u32 s6, 2
	s_cbranch_scc1 .LBB25_6
.LBB25_7:
	s_clause 0x1
	s_load_b32 s18, s[0:1], 0x6c
	s_load_b32 s4, s[0:1], 0x2a0
	s_mov_b32 s21, 0
	s_mov_b32 s20, s9
	s_wait_kmcnt 0x0
	s_cmp_lt_i32 s4, 2
	s_cbranch_scc1 .LBB25_10
; %bb.8:
	s_add_co_i32 s20, s4, -1
	s_add_nc_u64 s[6:7], s[0:1], 0x1d0
	s_lshl_b64 s[10:11], s[20:21], 2
	s_mov_b32 s20, s9
	s_add_nc_u64 s[10:11], s[6:7], s[10:11]
	s_add_co_i32 s6, s4, 1
	s_add_nc_u64 s[4:5], s[10:11], 8
.LBB25_9:                               ; =>This Inner Loop Header: Depth=1
	s_clause 0x1
	s_load_b32 s7, s[4:5], 0x0
	s_load_b32 s10, s[4:5], 0x64
	s_mov_b32 s23, s20
	s_wait_xcnt 0x0
	s_add_nc_u64 s[4:5], s[4:5], -4
	s_wait_kmcnt 0x0
	s_cvt_f32_u32 s11, s7
	s_sub_co_i32 s22, 0, s7
	s_delay_alu instid0(SALU_CYCLE_2) | instskip(SKIP_1) | instid1(TRANS32_DEP_1)
	v_rcp_iflag_f32_e32 v1, s11
	v_nop
	v_readfirstlane_b32 s11, v1
	s_mul_f32 s11, s11, 0x4f7ffffe
	s_delay_alu instid0(SALU_CYCLE_3) | instskip(NEXT) | instid1(SALU_CYCLE_3)
	s_cvt_u32_f32 s11, s11
	s_mul_i32 s22, s22, s11
	s_delay_alu instid0(SALU_CYCLE_1) | instskip(NEXT) | instid1(SALU_CYCLE_1)
	s_mul_hi_u32 s22, s11, s22
	s_add_co_i32 s11, s11, s22
	s_delay_alu instid0(SALU_CYCLE_1) | instskip(NEXT) | instid1(SALU_CYCLE_1)
	s_mul_hi_u32 s11, s20, s11
	s_mul_i32 s20, s11, s7
	s_add_co_i32 s22, s11, 1
	s_sub_co_i32 s20, s23, s20
	s_delay_alu instid0(SALU_CYCLE_1)
	s_sub_co_i32 s24, s20, s7
	s_cmp_ge_u32 s20, s7
	s_cselect_b32 s11, s22, s11
	s_cselect_b32 s20, s24, s20
	s_add_co_i32 s22, s11, 1
	s_cmp_ge_u32 s20, s7
	s_cselect_b32 s20, s22, s11
	s_add_co_i32 s6, s6, -1
	s_mul_i32 s7, s20, s7
	s_delay_alu instid0(SALU_CYCLE_1) | instskip(NEXT) | instid1(SALU_CYCLE_1)
	s_sub_co_i32 s7, s23, s7
	s_mul_i32 s7, s10, s7
	s_delay_alu instid0(SALU_CYCLE_1)
	s_add_co_i32 s21, s7, s21
	s_cmp_gt_u32 s6, 2
	s_cbranch_scc1 .LBB25_9
.LBB25_10:
	s_clause 0x1
	s_load_b32 s30, s[2:3], 0x6c
	s_load_b128 s[4:7], s[0:1], 0x2b8
	v_mov_b32_e32 v1, s9
	s_wait_xcnt 0x0
	v_cmp_ne_u32_e64 s2, 0, v0
	v_cmp_eq_u32_e64 s3, 0, v0
	s_wait_kmcnt 0x0
	global_load_u8 v9, v1, s[4:5]
	s_wait_xcnt 0x0
	s_mul_i32 s4, s9, s14
	s_mov_b32 s5, 0
	s_sub_co_i32 s31, s8, s4
	s_and_saveexec_b32 s33, s3
	s_cbranch_execz .LBB25_26
; %bb.11:
	s_load_b64 s[24:25], s[0:1], 0x2c8
	s_lshl_b64 s[26:27], s[4:5], 2
	s_cmp_lt_u32 s14, 4
	s_cbranch_scc1 .LBB25_23
; %bb.12:
	s_mov_b64 s[22:23], 0
	s_mov_b32 s4, 0
.LBB25_13:                              ; =>This Inner Loop Header: Depth=1
	s_add_nc_u64 s[28:29], s[6:7], s[26:27]
	s_cmp_ge_u32 s4, s31
	s_load_b128 s[8:11], s[28:29], 0x0
	s_wait_kmcnt 0x0
	s_add_nc_u64 s[28:29], s[24:25], s[26:27]
	s_cbranch_scc0 .LBB25_20
; %bb.14:                               ;   in Loop: Header=BB25_13 Depth=1
	s_add_co_i32 s34, s4, 1
	s_delay_alu instid0(SALU_CYCLE_1)
	s_cmp_ge_u32 s34, s31
	s_cbranch_scc0 .LBB25_21
.LBB25_15:                              ;   in Loop: Header=BB25_13 Depth=1
	s_add_co_i32 s34, s34, 1
	s_delay_alu instid0(SALU_CYCLE_1)
	s_cmp_ge_u32 s34, s31
	s_cbranch_scc0 .LBB25_22
.LBB25_16:                              ;   in Loop: Header=BB25_13 Depth=1
	s_add_co_i32 s34, s34, 1
	s_delay_alu instid0(SALU_CYCLE_1)
	s_cmp_ge_u32 s34, s31
	s_cbranch_scc1 .LBB25_18
.LBB25_17:                              ;   in Loop: Header=BB25_13 Depth=1
	s_load_b32 s28, s[28:29], 0xc
	s_add_co_i32 s23, s11, s23
	s_wait_kmcnt 0x0
	s_add_co_i32 s22, s28, s22
.LBB25_18:                              ;   in Loop: Header=BB25_13 Depth=1
	s_add_co_i32 s5, s8, s5
	s_add_co_i32 s8, s34, 1
	;; [unrolled: 1-line block ×5, first 2 shown]
	s_add_nc_u64 s[6:7], s[6:7], 16
	s_add_co_i32 s5, s5, s11
	s_cmp_ge_u32 s9, s14
	s_add_nc_u64 s[24:25], s[24:25], 16
	s_cbranch_scc1 .LBB25_24
; %bb.19:                               ;   in Loop: Header=BB25_13 Depth=1
	s_mov_b32 s4, s8
	s_branch .LBB25_13
.LBB25_20:                              ;   in Loop: Header=BB25_13 Depth=1
	s_load_b32 s34, s[28:29], 0x0
	s_add_co_i32 s23, s8, s23
	s_wait_kmcnt 0x0
	s_add_co_i32 s22, s34, s22
	s_add_co_i32 s34, s4, 1
	s_delay_alu instid0(SALU_CYCLE_1)
	s_cmp_ge_u32 s34, s31
	s_cbranch_scc1 .LBB25_15
.LBB25_21:                              ;   in Loop: Header=BB25_13 Depth=1
	s_load_b32 s35, s[28:29], 0x4
	s_add_co_i32 s23, s9, s23
	s_wait_kmcnt 0x0
	s_add_co_i32 s22, s35, s22
	s_add_co_i32 s34, s34, 1
	s_delay_alu instid0(SALU_CYCLE_1)
	s_cmp_ge_u32 s34, s31
	s_cbranch_scc1 .LBB25_16
.LBB25_22:                              ;   in Loop: Header=BB25_13 Depth=1
	s_load_b32 s35, s[28:29], 0x8
	s_add_co_i32 s23, s10, s23
	s_wait_kmcnt 0x0
	s_add_co_i32 s22, s35, s22
	s_add_co_i32 s34, s34, 1
	s_delay_alu instid0(SALU_CYCLE_1)
	s_cmp_ge_u32 s34, s31
	s_cbranch_scc0 .LBB25_17
	s_branch .LBB25_18
.LBB25_23:
	s_mov_b64 s[22:23], 0
	s_add_nc_u64 s[6:7], s[6:7], s[26:27]
	s_wait_kmcnt 0x0
	s_add_nc_u64 s[8:9], s[24:25], s[26:27]
	s_mov_b32 s4, 0
	s_delay_alu instid0(SALU_CYCLE_1)
	s_cmp_ge_u32 s4, s14
	s_cbranch_scc0 .LBB25_47
	s_branch .LBB25_25
.LBB25_24:
	s_add_co_i32 s4, s4, 4
	s_add_nc_u64 s[8:9], s[24:25], s[26:27]
	s_add_nc_u64 s[6:7], s[6:7], s[26:27]
	s_cmp_ge_u32 s4, s14
	s_cbranch_scc0 .LBB25_47
.LBB25_25:
	v_dual_mov_b32 v2, s22 :: v_dual_mov_b32 v3, s5
	v_dual_mov_b32 v4, s23 :: v_dual_mov_b32 v1, 0
	ds_store_b96 v1, v[2:4] offset:1056
.LBB25_26:
	s_or_b32 exec_lo, exec_lo, s33
	s_clause 0x4
	s_load_b32 s26, s[0:1], 0x23c
	s_load_b64 s[8:9], s[0:1], 0x0
	s_load_b64 s[10:11], s[0:1], 0xf0
	;; [unrolled: 1-line block ×3, first 2 shown]
	s_load_b96 s[4:6], s[0:1], 0xd8
	s_mul_i32 s7, s13, s31
	s_mov_b32 s25, 0
	s_lshl_b32 s7, s7, 8
	s_add_co_i32 s31, s31, 1
	s_wait_loadcnt_dscnt 0x0
	s_barrier_signal -1
	s_barrier_wait -1
	s_wait_kmcnt 0x0
	s_sub_co_i32 s24, s4, s7
	s_delay_alu instid0(SALU_CYCLE_1) | instskip(NEXT) | instid1(SALU_CYCLE_1)
	s_add_nc_u64 s[28:29], s[24:25], 0xff
	s_lshr_b64 s[28:29], s[28:29], 8
	s_cmp_lt_u32 s31, s14
	s_cselect_b32 s13, s13, s28
	s_delay_alu instid0(SALU_CYCLE_1)
	s_cmp_eq_u32 s13, 0
	s_cbranch_scc1 .LBB25_49
; %bb.27:
	v_dual_mov_b32 v7, 0 :: v_dual_lshrrev_b32 v5, 3, v0
	s_mul_i32 s15, s18, s15
	s_mul_i32 s18, s26, s20
	v_dual_add_nc_u32 v8, -1, v0 :: v_dual_add_nc_u32 v6, s7, v0
	ds_load_b96 v[2:4], v7 offset:1056
	s_clause 0x1
	s_load_b32 s20, s[0:1], 0xe8
	s_load_b32 s14, s[0:1], 0x1c8
	v_dual_lshrrev_b32 v10, 3, v8 :: v_dual_bitop2_b32 v5, 28, v5 bitop3:0x40
	v_bfe_i32 v1, v9, 0, 8
	s_wait_xcnt 0x0
	v_cmp_gt_u32_e64 s0, 32, v0
	v_and_b32_e32 v11, 0xfc, v0
	v_lshl_add_u32 v5, v0, 2, v5
	v_and_b32_e32 v10, 0x1ffffffc, v10
	s_mul_i32 s16, s30, s16
	s_mov_b32 s29, s25
	s_add_co_i32 s28, s18, s21
	s_add_co_i32 s26, s16, s19
	;; [unrolled: 1-line block ×3, first 2 shown]
	s_lshl_b64 s[16:17], s[28:29], 3
	v_add_nc_u32_e32 v1, 0x80, v1
	v_lshl_add_u32 v8, v8, 2, v10
	v_and_b32_e32 v9, 0xff, v9
	s_mov_b32 s27, s25
	s_wait_dscnt 0x0
	v_dual_lshlrev_b32 v12, 5, v0 :: v_dual_add_nc_u32 v2, v2, v3
	s_wait_kmcnt 0x0
	v_mul_lo_u32 v3, s20, v6
	v_mbcnt_lo_u32_b32 v0, -1, 0
	s_bitcmp1_b32 s6, 0
	v_add_nc_u32_e32 v10, v11, v12
	s_add_nc_u64 s[8:9], s[8:9], s[24:25]
	s_add_nc_u64 s[10:11], s[10:11], s[26:27]
	v_dual_add_nc_u32 v13, -1, v0 :: v_dual_bitop2_b32 v11, 15, v0 bitop3:0x40
	v_bfe_i32 v12, v0, 4, 1
	s_add_nc_u64 s[6:7], s[22:23], s[16:17]
	s_cselect_b32 s1, -1, 0
	s_lshl_b32 s15, s20, 8
                                        ; implicit-def: $vgpr14
	s_branch .LBB25_30
.LBB25_28:                              ;   in Loop: Header=BB25_30 Depth=1
	s_wait_xcnt 0x0
	s_or_b32 exec_lo, exec_lo, s16
	v_add_nc_u32_e32 v2, v17, v2
.LBB25_29:                              ;   in Loop: Header=BB25_30 Depth=1
	v_dual_add_nc_u32 v4, v16, v4 :: v_dual_add_nc_u32 v3, s15, v3
	v_add_nc_u32_e32 v6, 0x100, v6
	s_add_co_i32 s13, s13, -1
	s_delay_alu instid0(SALU_CYCLE_1)
	s_cmp_lg_u32 s13, 0
	s_cbranch_scc0 .LBB25_49
.LBB25_30:                              ; =>This Inner Loop Header: Depth=1
	v_dual_mov_b32 v17, 0 :: v_dual_mov_b32 v15, 0
	s_mov_b32 s16, exec_lo
	v_cmpx_gt_u32_e64 s4, v6
	s_cbranch_execz .LBB25_32
; %bb.31:                               ;   in Loop: Header=BB25_30 Depth=1
	global_load_u8 v14, v3, s[8:9]
	s_wait_loadcnt 0x0
	v_bfe_i32 v15, v14, 0, 8
	s_delay_alu instid0(VALU_DEP_1) | instskip(NEXT) | instid1(VALU_DEP_1)
	v_add_nc_u32_e32 v15, 0x80, v15
	v_cmp_gt_u32_e32 vcc_lo, v15, v1
	v_cndmask_b32_e64 v16, 0, 1, vcc_lo
	v_cmp_lt_u32_e32 vcc_lo, v15, v1
	v_cndmask_b32_e64 v15, 0, 1, vcc_lo
	v_cmp_eq_u16_e32 vcc_lo, v14, v9
	s_delay_alu instid0(VALU_DEP_2) | instskip(NEXT) | instid1(VALU_DEP_1)
	v_cndmask_b32_e64 v15, v15, v16, s1
	v_and_b32_e32 v17, 1, v15
	v_cndmask_b32_e64 v15, 0, 1, vcc_lo
.LBB25_32:                              ;   in Loop: Header=BB25_30 Depth=1
	s_wait_xcnt 0x0
	s_or_b32 exec_lo, exec_lo, s16
	ds_store_b32 v5, v17
	s_wait_dscnt 0x0
	s_barrier_signal -1
	s_barrier_wait -1
	s_and_saveexec_b32 s16, s0
	s_cbranch_execz .LBB25_34
; %bb.33:                               ;   in Loop: Header=BB25_30 Depth=1
	ds_load_2addr_b32 v[18:19], v10 offset1:1
	ds_load_2addr_b32 v[20:21], v10 offset0:2 offset1:3
	ds_load_2addr_b32 v[22:23], v10 offset0:4 offset1:5
	;; [unrolled: 1-line block ×3, first 2 shown]
	v_cmp_ne_u32_e32 vcc_lo, 0, v11
	; wave barrier
	s_wait_dscnt 0x3
	v_add_nc_u32_e32 v16, v19, v18
	s_wait_dscnt 0x2
	s_delay_alu instid0(VALU_DEP_1) | instskip(SKIP_1) | instid1(VALU_DEP_1)
	v_add3_u32 v16, v16, v20, v21
	s_wait_dscnt 0x1
	v_add3_u32 v16, v16, v22, v23
	s_wait_dscnt 0x0
	s_delay_alu instid0(VALU_DEP_1) | instskip(NEXT) | instid1(VALU_DEP_1)
	v_add3_u32 v16, v16, v24, v25
	v_mov_b32_dpp v19, v16 row_shr:1 row_mask:0xf bank_mask:0xf
	s_delay_alu instid0(VALU_DEP_1) | instskip(SKIP_1) | instid1(VALU_DEP_2)
	v_cndmask_b32_e32 v19, 0, v19, vcc_lo
	v_cmp_lt_u32_e32 vcc_lo, 1, v11
	v_add_nc_u32_e32 v16, v19, v16
	s_delay_alu instid0(VALU_DEP_1) | instskip(NEXT) | instid1(VALU_DEP_1)
	v_mov_b32_dpp v19, v16 row_shr:2 row_mask:0xf bank_mask:0xf
	v_cndmask_b32_e32 v19, 0, v19, vcc_lo
	v_cmp_lt_u32_e32 vcc_lo, 3, v11
	s_delay_alu instid0(VALU_DEP_2) | instskip(NEXT) | instid1(VALU_DEP_1)
	v_add_nc_u32_e32 v16, v16, v19
	v_mov_b32_dpp v19, v16 row_shr:4 row_mask:0xf bank_mask:0xf
	s_delay_alu instid0(VALU_DEP_1) | instskip(SKIP_1) | instid1(VALU_DEP_2)
	v_cndmask_b32_e32 v19, 0, v19, vcc_lo
	v_cmp_lt_u32_e32 vcc_lo, 7, v11
	v_add_nc_u32_e32 v16, v16, v19
	s_delay_alu instid0(VALU_DEP_1) | instskip(NEXT) | instid1(VALU_DEP_1)
	v_mov_b32_dpp v19, v16 row_shr:8 row_mask:0xf bank_mask:0xf
	v_cndmask_b32_e32 v19, 0, v19, vcc_lo
	v_cmp_gt_i32_e32 vcc_lo, 0, v13
	s_delay_alu instid0(VALU_DEP_2) | instskip(SKIP_3) | instid1(VALU_DEP_1)
	v_dual_add_nc_u32 v16, v16, v19 :: v_dual_cndmask_b32 v20, v13, v0, vcc_lo
	ds_swizzle_b32 v19, v16 offset:swizzle(BROADCAST,32,15)
	s_wait_dscnt 0x0
	v_dual_lshlrev_b32 v20, 2, v20 :: v_dual_bitop2_b32 v19, v12, v19 bitop3:0x40
	v_add_nc_u32_e32 v16, v16, v19
	ds_bpermute_b32 v16, v20, v16
	s_wait_dscnt 0x0
	v_add_nc_u32_e32 v16, v16, v18
	s_delay_alu instid0(VALU_DEP_1)
	v_cndmask_b32_e64 v16, v16, v17, s3
	ds_store_b32 v10, v16
	; wave barrier
	ds_load_2addr_b32 v[18:19], v10 offset0:1 offset1:2
	ds_load_2addr_b32 v[20:21], v10 offset0:3 offset1:4
	;; [unrolled: 1-line block ×3, first 2 shown]
	ds_load_b32 v24, v10 offset:28
	s_wait_dscnt 0x3
	v_add_nc_u32_e32 v16, v18, v16
	s_delay_alu instid0(VALU_DEP_1) | instskip(SKIP_1) | instid1(VALU_DEP_1)
	v_add_nc_u32_e32 v18, v19, v16
	s_wait_dscnt 0x2
	v_add_nc_u32_e32 v19, v20, v18
	s_delay_alu instid0(VALU_DEP_1) | instskip(SKIP_1) | instid1(VALU_DEP_1)
	v_add_nc_u32_e32 v20, v21, v19
	;; [unrolled: 4-line block ×3, first 2 shown]
	s_wait_dscnt 0x0
	v_add_nc_u32_e32 v23, v24, v22
	ds_store_2addr_b32 v10, v16, v18 offset0:1 offset1:2
	ds_store_2addr_b32 v10, v19, v20 offset0:3 offset1:4
	;; [unrolled: 1-line block ×3, first 2 shown]
	ds_store_b32 v10, v23 offset:28
.LBB25_34:                              ;   in Loop: Header=BB25_30 Depth=1
	s_or_b32 exec_lo, exec_lo, s16
	v_mov_b32_e32 v18, 0
	s_wait_dscnt 0x0
	s_barrier_signal -1
	s_barrier_wait -1
	s_and_saveexec_b32 s16, s2
; %bb.35:                               ;   in Loop: Header=BB25_30 Depth=1
	ds_load_b32 v18, v8
; %bb.36:                               ;   in Loop: Header=BB25_30 Depth=1
	s_or_b32 exec_lo, exec_lo, s16
	ds_load_b32 v16, v7 offset:1048
	s_mov_b32 s16, exec_lo
	s_wait_dscnt 0x0
	s_barrier_signal -1
	s_barrier_wait -1
	v_cmpx_ne_u32_e32 0, v17
	s_cbranch_execz .LBB25_38
; %bb.37:                               ;   in Loop: Header=BB25_30 Depth=1
	v_add_nc_u32_e32 v17, v18, v4
	s_delay_alu instid0(VALU_DEP_1)
	v_mul_lo_u32 v18, v17, s14
	v_mul_lo_u32 v17, v17, s12
	global_store_b8 v18, v14, s[10:11]
	global_store_b64 v17, v[6:7], s[6:7] scale_offset
.LBB25_38:                              ;   in Loop: Header=BB25_30 Depth=1
	s_wait_xcnt 0x0
	s_or_b32 exec_lo, exec_lo, s16
	v_cmp_le_u32_e32 vcc_lo, s5, v2
	s_cbranch_vccnz .LBB25_29
; %bb.39:                               ;   in Loop: Header=BB25_30 Depth=1
	ds_store_b32 v5, v15
	s_wait_storecnt_dscnt 0x0
	s_barrier_signal -1
	s_barrier_wait -1
	s_and_saveexec_b32 s16, s0
	s_cbranch_execz .LBB25_41
; %bb.40:                               ;   in Loop: Header=BB25_30 Depth=1
	ds_load_2addr_b32 v[18:19], v10 offset1:1
	ds_load_2addr_b32 v[20:21], v10 offset0:2 offset1:3
	ds_load_2addr_b32 v[22:23], v10 offset0:4 offset1:5
	;; [unrolled: 1-line block ×3, first 2 shown]
	v_cmp_ne_u32_e32 vcc_lo, 0, v11
	; wave barrier
	s_wait_dscnt 0x3
	v_add_nc_u32_e32 v17, v19, v18
	s_wait_dscnt 0x2
	s_delay_alu instid0(VALU_DEP_1) | instskip(SKIP_1) | instid1(VALU_DEP_1)
	v_add3_u32 v17, v17, v20, v21
	s_wait_dscnt 0x1
	v_add3_u32 v17, v17, v22, v23
	s_wait_dscnt 0x0
	s_delay_alu instid0(VALU_DEP_1) | instskip(NEXT) | instid1(VALU_DEP_1)
	v_add3_u32 v17, v17, v24, v25
	v_mov_b32_dpp v19, v17 row_shr:1 row_mask:0xf bank_mask:0xf
	s_delay_alu instid0(VALU_DEP_1) | instskip(SKIP_1) | instid1(VALU_DEP_2)
	v_cndmask_b32_e32 v19, 0, v19, vcc_lo
	v_cmp_lt_u32_e32 vcc_lo, 1, v11
	v_add_nc_u32_e32 v17, v19, v17
	s_delay_alu instid0(VALU_DEP_1) | instskip(NEXT) | instid1(VALU_DEP_1)
	v_mov_b32_dpp v19, v17 row_shr:2 row_mask:0xf bank_mask:0xf
	v_cndmask_b32_e32 v19, 0, v19, vcc_lo
	v_cmp_lt_u32_e32 vcc_lo, 3, v11
	s_delay_alu instid0(VALU_DEP_2) | instskip(NEXT) | instid1(VALU_DEP_1)
	v_add_nc_u32_e32 v17, v17, v19
	v_mov_b32_dpp v19, v17 row_shr:4 row_mask:0xf bank_mask:0xf
	s_delay_alu instid0(VALU_DEP_1) | instskip(SKIP_1) | instid1(VALU_DEP_2)
	v_cndmask_b32_e32 v19, 0, v19, vcc_lo
	v_cmp_lt_u32_e32 vcc_lo, 7, v11
	v_add_nc_u32_e32 v17, v17, v19
	s_delay_alu instid0(VALU_DEP_1) | instskip(NEXT) | instid1(VALU_DEP_1)
	v_mov_b32_dpp v19, v17 row_shr:8 row_mask:0xf bank_mask:0xf
	v_cndmask_b32_e32 v19, 0, v19, vcc_lo
	v_cmp_gt_i32_e32 vcc_lo, 0, v13
	s_delay_alu instid0(VALU_DEP_2) | instskip(SKIP_4) | instid1(VALU_DEP_1)
	v_add_nc_u32_e32 v17, v17, v19
	v_cndmask_b32_e32 v20, v13, v0, vcc_lo
	ds_swizzle_b32 v19, v17 offset:swizzle(BROADCAST,32,15)
	s_wait_dscnt 0x0
	v_dual_lshlrev_b32 v20, 2, v20 :: v_dual_bitop2_b32 v19, v12, v19 bitop3:0x40
	v_add_nc_u32_e32 v17, v17, v19
	ds_bpermute_b32 v17, v20, v17
	s_wait_dscnt 0x0
	v_add_nc_u32_e32 v17, v17, v18
	s_delay_alu instid0(VALU_DEP_1)
	v_cndmask_b32_e64 v17, v17, v15, s3
	ds_store_b32 v10, v17
	; wave barrier
	ds_load_2addr_b32 v[18:19], v10 offset0:1 offset1:2
	ds_load_2addr_b32 v[20:21], v10 offset0:3 offset1:4
	;; [unrolled: 1-line block ×3, first 2 shown]
	ds_load_b32 v24, v10 offset:28
	s_wait_dscnt 0x3
	v_add_nc_u32_e32 v17, v18, v17
	s_delay_alu instid0(VALU_DEP_1) | instskip(SKIP_1) | instid1(VALU_DEP_1)
	v_add_nc_u32_e32 v18, v19, v17
	s_wait_dscnt 0x2
	v_add_nc_u32_e32 v19, v20, v18
	s_delay_alu instid0(VALU_DEP_1) | instskip(SKIP_1) | instid1(VALU_DEP_1)
	v_add_nc_u32_e32 v20, v21, v19
	;; [unrolled: 4-line block ×3, first 2 shown]
	s_wait_dscnt 0x0
	v_add_nc_u32_e32 v23, v24, v22
	ds_store_2addr_b32 v10, v17, v18 offset0:1 offset1:2
	ds_store_2addr_b32 v10, v19, v20 offset0:3 offset1:4
	;; [unrolled: 1-line block ×3, first 2 shown]
	ds_store_b32 v10, v23 offset:28
.LBB25_41:                              ;   in Loop: Header=BB25_30 Depth=1
	s_or_b32 exec_lo, exec_lo, s16
	v_mov_b32_e32 v18, 0
	s_wait_dscnt 0x0
	s_barrier_signal -1
	s_barrier_wait -1
	s_and_saveexec_b32 s16, s2
; %bb.42:                               ;   in Loop: Header=BB25_30 Depth=1
	ds_load_b32 v18, v8
; %bb.43:                               ;   in Loop: Header=BB25_30 Depth=1
	s_or_b32 exec_lo, exec_lo, s16
	ds_load_b32 v17, v7 offset:1048
	s_mov_b32 s16, exec_lo
	s_wait_dscnt 0x0
	s_barrier_signal -1
	s_barrier_wait -1
	v_cmpx_ne_u32_e32 0, v15
	s_cbranch_execz .LBB25_28
; %bb.44:                               ;   in Loop: Header=BB25_30 Depth=1
	v_add_nc_u32_e32 v15, v18, v2
	s_delay_alu instid0(VALU_DEP_1)
	v_cmp_gt_u32_e32 vcc_lo, s5, v15
	s_and_b32 exec_lo, exec_lo, vcc_lo
	s_cbranch_execz .LBB25_28
; %bb.45:                               ;   in Loop: Header=BB25_30 Depth=1
	v_mul_lo_u32 v18, v15, s14
	v_mul_lo_u32 v15, v15, s12
	global_store_b8 v18, v14, s[10:11]
	global_store_b64 v15, v[6:7], s[6:7] scale_offset
	s_branch .LBB25_28
.LBB25_46:                              ;   in Loop: Header=BB25_47 Depth=1
	s_add_co_i32 s4, s4, 1
	s_wait_kmcnt 0x0
	s_add_co_i32 s5, s10, s5
	s_add_nc_u64 s[6:7], s[6:7], 4
	s_cmp_lt_u32 s4, s14
	s_add_nc_u64 s[8:9], s[8:9], 4
	s_cbranch_scc0 .LBB25_25
.LBB25_47:                              ; =>This Inner Loop Header: Depth=1
	s_load_b32 s10, s[6:7], 0x0
	s_cmp_ge_u32 s4, s31
	s_cbranch_scc1 .LBB25_46
; %bb.48:                               ;   in Loop: Header=BB25_47 Depth=1
	s_load_b32 s11, s[8:9], 0x0
	s_wait_kmcnt 0x0
	s_add_co_i32 s23, s10, s23
	s_add_co_i32 s22, s11, s22
	s_branch .LBB25_46
.LBB25_49:
	s_endpgm
	.section	.rodata,"a",@progbits
	.p2align	6, 0x0
	.amdhsa_kernel _ZN2at6native6mbtopk10gatherTopKIajLin1EEEvNS_4cuda6detail10TensorInfoIKT_T0_EES8_S8_bjS8_NS5_IS6_S8_EES8_NS5_IlS8_EES8_jjPS6_PjSD_j
		.amdhsa_group_segment_fixed_size 1068
		.amdhsa_private_segment_fixed_size 0
		.amdhsa_kernarg_size 984
		.amdhsa_user_sgpr_count 2
		.amdhsa_user_sgpr_dispatch_ptr 0
		.amdhsa_user_sgpr_queue_ptr 0
		.amdhsa_user_sgpr_kernarg_segment_ptr 1
		.amdhsa_user_sgpr_dispatch_id 0
		.amdhsa_user_sgpr_kernarg_preload_length 0
		.amdhsa_user_sgpr_kernarg_preload_offset 0
		.amdhsa_user_sgpr_private_segment_size 0
		.amdhsa_wavefront_size32 1
		.amdhsa_uses_dynamic_stack 0
		.amdhsa_enable_private_segment 0
		.amdhsa_system_sgpr_workgroup_id_x 1
		.amdhsa_system_sgpr_workgroup_id_y 1
		.amdhsa_system_sgpr_workgroup_id_z 1
		.amdhsa_system_sgpr_workgroup_info 0
		.amdhsa_system_vgpr_workitem_id 0
		.amdhsa_next_free_vgpr 26
		.amdhsa_next_free_sgpr 36
		.amdhsa_named_barrier_count 0
		.amdhsa_reserve_vcc 1
		.amdhsa_float_round_mode_32 0
		.amdhsa_float_round_mode_16_64 0
		.amdhsa_float_denorm_mode_32 3
		.amdhsa_float_denorm_mode_16_64 3
		.amdhsa_fp16_overflow 0
		.amdhsa_memory_ordered 1
		.amdhsa_forward_progress 1
		.amdhsa_inst_pref_size 25
		.amdhsa_round_robin_scheduling 0
		.amdhsa_exception_fp_ieee_invalid_op 0
		.amdhsa_exception_fp_denorm_src 0
		.amdhsa_exception_fp_ieee_div_zero 0
		.amdhsa_exception_fp_ieee_overflow 0
		.amdhsa_exception_fp_ieee_underflow 0
		.amdhsa_exception_fp_ieee_inexact 0
		.amdhsa_exception_int_div_zero 0
	.end_amdhsa_kernel
	.section	.text._ZN2at6native6mbtopk10gatherTopKIajLin1EEEvNS_4cuda6detail10TensorInfoIKT_T0_EES8_S8_bjS8_NS5_IS6_S8_EES8_NS5_IlS8_EES8_jjPS6_PjSD_j,"axG",@progbits,_ZN2at6native6mbtopk10gatherTopKIajLin1EEEvNS_4cuda6detail10TensorInfoIKT_T0_EES8_S8_bjS8_NS5_IS6_S8_EES8_NS5_IlS8_EES8_jjPS6_PjSD_j,comdat
.Lfunc_end25:
	.size	_ZN2at6native6mbtopk10gatherTopKIajLin1EEEvNS_4cuda6detail10TensorInfoIKT_T0_EES8_S8_bjS8_NS5_IS6_S8_EES8_NS5_IlS8_EES8_jjPS6_PjSD_j, .Lfunc_end25-_ZN2at6native6mbtopk10gatherTopKIajLin1EEEvNS_4cuda6detail10TensorInfoIKT_T0_EES8_S8_bjS8_NS5_IS6_S8_EES8_NS5_IlS8_EES8_jjPS6_PjSD_j
                                        ; -- End function
	.set _ZN2at6native6mbtopk10gatherTopKIajLin1EEEvNS_4cuda6detail10TensorInfoIKT_T0_EES8_S8_bjS8_NS5_IS6_S8_EES8_NS5_IlS8_EES8_jjPS6_PjSD_j.num_vgpr, 26
	.set _ZN2at6native6mbtopk10gatherTopKIajLin1EEEvNS_4cuda6detail10TensorInfoIKT_T0_EES8_S8_bjS8_NS5_IS6_S8_EES8_NS5_IlS8_EES8_jjPS6_PjSD_j.num_agpr, 0
	.set _ZN2at6native6mbtopk10gatherTopKIajLin1EEEvNS_4cuda6detail10TensorInfoIKT_T0_EES8_S8_bjS8_NS5_IS6_S8_EES8_NS5_IlS8_EES8_jjPS6_PjSD_j.numbered_sgpr, 36
	.set _ZN2at6native6mbtopk10gatherTopKIajLin1EEEvNS_4cuda6detail10TensorInfoIKT_T0_EES8_S8_bjS8_NS5_IS6_S8_EES8_NS5_IlS8_EES8_jjPS6_PjSD_j.num_named_barrier, 0
	.set _ZN2at6native6mbtopk10gatherTopKIajLin1EEEvNS_4cuda6detail10TensorInfoIKT_T0_EES8_S8_bjS8_NS5_IS6_S8_EES8_NS5_IlS8_EES8_jjPS6_PjSD_j.private_seg_size, 0
	.set _ZN2at6native6mbtopk10gatherTopKIajLin1EEEvNS_4cuda6detail10TensorInfoIKT_T0_EES8_S8_bjS8_NS5_IS6_S8_EES8_NS5_IlS8_EES8_jjPS6_PjSD_j.uses_vcc, 1
	.set _ZN2at6native6mbtopk10gatherTopKIajLin1EEEvNS_4cuda6detail10TensorInfoIKT_T0_EES8_S8_bjS8_NS5_IS6_S8_EES8_NS5_IlS8_EES8_jjPS6_PjSD_j.uses_flat_scratch, 0
	.set _ZN2at6native6mbtopk10gatherTopKIajLin1EEEvNS_4cuda6detail10TensorInfoIKT_T0_EES8_S8_bjS8_NS5_IS6_S8_EES8_NS5_IlS8_EES8_jjPS6_PjSD_j.has_dyn_sized_stack, 0
	.set _ZN2at6native6mbtopk10gatherTopKIajLin1EEEvNS_4cuda6detail10TensorInfoIKT_T0_EES8_S8_bjS8_NS5_IS6_S8_EES8_NS5_IlS8_EES8_jjPS6_PjSD_j.has_recursion, 0
	.set _ZN2at6native6mbtopk10gatherTopKIajLin1EEEvNS_4cuda6detail10TensorInfoIKT_T0_EES8_S8_bjS8_NS5_IS6_S8_EES8_NS5_IlS8_EES8_jjPS6_PjSD_j.has_indirect_call, 0
	.section	.AMDGPU.csdata,"",@progbits
; Kernel info:
; codeLenInByte = 3172
; TotalNumSgprs: 38
; NumVgprs: 26
; ScratchSize: 0
; MemoryBound: 0
; FloatMode: 240
; IeeeMode: 1
; LDSByteSize: 1068 bytes/workgroup (compile time only)
; SGPRBlocks: 0
; VGPRBlocks: 1
; NumSGPRsForWavesPerEU: 38
; NumVGPRsForWavesPerEU: 26
; NamedBarCnt: 0
; Occupancy: 16
; WaveLimiterHint : 1
; COMPUTE_PGM_RSRC2:SCRATCH_EN: 0
; COMPUTE_PGM_RSRC2:USER_SGPR: 2
; COMPUTE_PGM_RSRC2:TRAP_HANDLER: 0
; COMPUTE_PGM_RSRC2:TGID_X_EN: 1
; COMPUTE_PGM_RSRC2:TGID_Y_EN: 1
; COMPUTE_PGM_RSRC2:TGID_Z_EN: 1
; COMPUTE_PGM_RSRC2:TIDIG_COMP_CNT: 0
	.section	.text._ZN2at6native6sbtopk10gatherTopKIajLin1ELb0EEEvNS_4cuda6detail10TensorInfoIKT_T0_EES8_S8_bS8_S8_NS5_IS6_S8_EES8_NS5_IlS8_EES8_PS6_,"axG",@progbits,_ZN2at6native6sbtopk10gatherTopKIajLin1ELb0EEEvNS_4cuda6detail10TensorInfoIKT_T0_EES8_S8_bS8_S8_NS5_IS6_S8_EES8_NS5_IlS8_EES8_PS6_,comdat
	.protected	_ZN2at6native6sbtopk10gatherTopKIajLin1ELb0EEEvNS_4cuda6detail10TensorInfoIKT_T0_EES8_S8_bS8_S8_NS5_IS6_S8_EES8_NS5_IlS8_EES8_PS6_ ; -- Begin function _ZN2at6native6sbtopk10gatherTopKIajLin1ELb0EEEvNS_4cuda6detail10TensorInfoIKT_T0_EES8_S8_bS8_S8_NS5_IS6_S8_EES8_NS5_IlS8_EES8_PS6_
	.globl	_ZN2at6native6sbtopk10gatherTopKIajLin1ELb0EEEvNS_4cuda6detail10TensorInfoIKT_T0_EES8_S8_bS8_S8_NS5_IS6_S8_EES8_NS5_IlS8_EES8_PS6_
	.p2align	8
	.type	_ZN2at6native6sbtopk10gatherTopKIajLin1ELb0EEEvNS_4cuda6detail10TensorInfoIKT_T0_EES8_S8_bS8_S8_NS5_IS6_S8_EES8_NS5_IlS8_EES8_PS6_,@function
_ZN2at6native6sbtopk10gatherTopKIajLin1ELb0EEEvNS_4cuda6detail10TensorInfoIKT_T0_EES8_S8_bS8_S8_NS5_IS6_S8_EES8_NS5_IlS8_EES8_PS6_: ; @_ZN2at6native6sbtopk10gatherTopKIajLin1ELb0EEEvNS_4cuda6detail10TensorInfoIKT_T0_EES8_S8_bS8_S8_NS5_IS6_S8_EES8_NS5_IlS8_EES8_PS6_
; %bb.0:
	s_clause 0x1
	s_load_b128 s[36:39], s[0:1], 0xd8
	s_load_b64 s[8:9], s[0:1], 0x2b8
	s_bfe_u32 s2, ttmp6, 0x40010
	s_and_b32 s3, ttmp7, 0xffff
	s_add_co_i32 s2, s2, 1
	s_bfe_u32 s5, ttmp6, 0x4000c
	s_mul_i32 s2, s3, s2
	s_bfe_u32 s4, ttmp6, 0x40004
	s_add_co_i32 s5, s5, 1
	s_bfe_u32 s6, ttmp6, 0x40014
	s_add_co_i32 s4, s4, s2
	s_and_b32 s2, ttmp6, 15
	s_mul_i32 s5, ttmp9, s5
	s_lshr_b32 s7, ttmp7, 16
	s_add_co_i32 s6, s6, 1
	s_add_co_i32 s2, s2, s5
	s_mul_i32 s5, s7, s6
	s_bfe_u32 s6, ttmp6, 0x40008
	s_getreg_b32 s10, hwreg(HW_REG_IB_STS2, 6, 4)
	s_add_co_i32 s6, s6, s5
	s_cmp_eq_u32 s10, 0
	s_cselect_b32 s5, s7, s6
	s_cselect_b32 s3, s3, s4
	s_wait_kmcnt 0x0
	s_mul_i32 s5, s9, s5
	s_cselect_b32 s9, ttmp9, s2
	s_add_co_i32 s2, s5, s3
	s_mov_b32 s3, 0
	s_mul_i32 s2, s2, s8
	s_delay_alu instid0(SALU_CYCLE_1) | instskip(NEXT) | instid1(SALU_CYCLE_1)
	s_add_co_i32 s55, s2, s9
	s_cmp_ge_u32 s55, s39
	s_cbranch_scc1 .LBB26_421
; %bb.1:
	s_clause 0x1
	s_load_b32 s4, s[0:1], 0xd0
	s_load_b32 s54, s[0:1], 0xe8
	s_mov_b32 s2, s55
	s_wait_kmcnt 0x0
	s_cmp_lt_i32 s4, 2
	s_cbranch_scc1 .LBB26_4
; %bb.2:
	s_add_co_i32 s2, s4, -1
	s_delay_alu instid0(SALU_CYCLE_1)
	s_lshl_b64 s[6:7], s[2:3], 2
	s_mov_b32 s2, s55
	s_add_nc_u64 s[10:11], s[0:1], s[6:7]
	s_add_co_i32 s6, s4, 1
	s_add_nc_u64 s[4:5], s[10:11], 8
.LBB26_3:                               ; =>This Inner Loop Header: Depth=1
	s_clause 0x1
	s_load_b32 s7, s[4:5], 0x0
	s_load_b32 s10, s[4:5], 0x64
	s_mov_b32 s13, s2
	s_wait_xcnt 0x0
	s_add_nc_u64 s[4:5], s[4:5], -4
	s_wait_kmcnt 0x0
	s_cvt_f32_u32 s11, s7
	s_sub_co_i32 s12, 0, s7
	s_delay_alu instid0(SALU_CYCLE_2) | instskip(SKIP_1) | instid1(TRANS32_DEP_1)
	v_rcp_iflag_f32_e32 v1, s11
	v_nop
	v_readfirstlane_b32 s11, v1
	s_mul_f32 s11, s11, 0x4f7ffffe
	s_delay_alu instid0(SALU_CYCLE_3) | instskip(NEXT) | instid1(SALU_CYCLE_3)
	s_cvt_u32_f32 s11, s11
	s_mul_i32 s12, s12, s11
	s_delay_alu instid0(SALU_CYCLE_1) | instskip(NEXT) | instid1(SALU_CYCLE_1)
	s_mul_hi_u32 s12, s11, s12
	s_add_co_i32 s11, s11, s12
	s_delay_alu instid0(SALU_CYCLE_1) | instskip(NEXT) | instid1(SALU_CYCLE_1)
	s_mul_hi_u32 s2, s2, s11
	s_mul_i32 s11, s2, s7
	s_add_co_i32 s12, s2, 1
	s_sub_co_i32 s11, s13, s11
	s_delay_alu instid0(SALU_CYCLE_1)
	s_sub_co_i32 s14, s11, s7
	s_cmp_ge_u32 s11, s7
	s_cselect_b32 s2, s12, s2
	s_cselect_b32 s11, s14, s11
	s_add_co_i32 s12, s2, 1
	s_cmp_ge_u32 s11, s7
	s_cselect_b32 s2, s12, s2
	s_add_co_i32 s6, s6, -1
	s_mul_i32 s7, s2, s7
	s_delay_alu instid0(SALU_CYCLE_1) | instskip(NEXT) | instid1(SALU_CYCLE_1)
	s_sub_co_i32 s7, s13, s7
	s_mul_i32 s7, s10, s7
	s_delay_alu instid0(SALU_CYCLE_1)
	s_add_co_i32 s3, s7, s3
	s_cmp_gt_u32 s6, 2
	s_cbranch_scc1 .LBB26_3
.LBB26_4:
	s_load_b32 s6, s[0:1], 0x1c0
	s_add_nc_u64 s[14:15], s[0:1], 0x2b8
	s_add_nc_u64 s[4:5], s[0:1], 0xf0
	s_mov_b32 s35, 0
	s_mov_b32 s57, s55
	s_wait_kmcnt 0x0
	s_cmp_lt_i32 s6, 2
	s_cbranch_scc1 .LBB26_7
; %bb.5:
	s_add_co_i32 s34, s6, -1
	s_mov_b32 s57, s55
	s_lshl_b64 s[10:11], s[34:35], 2
	s_delay_alu instid0(SALU_CYCLE_1)
	s_add_nc_u64 s[12:13], s[4:5], s[10:11]
	s_add_co_i32 s10, s6, 1
	s_add_nc_u64 s[6:7], s[12:13], 8
.LBB26_6:                               ; =>This Inner Loop Header: Depth=1
	s_clause 0x1
	s_load_b32 s11, s[6:7], 0x0
	s_load_b32 s12, s[6:7], 0x64
	s_mov_b32 s17, s57
	s_wait_xcnt 0x0
	s_add_nc_u64 s[6:7], s[6:7], -4
	s_wait_kmcnt 0x0
	s_cvt_f32_u32 s13, s11
	s_sub_co_i32 s16, 0, s11
	s_delay_alu instid0(SALU_CYCLE_2) | instskip(SKIP_1) | instid1(TRANS32_DEP_1)
	v_rcp_iflag_f32_e32 v1, s13
	v_nop
	v_readfirstlane_b32 s13, v1
	s_mul_f32 s13, s13, 0x4f7ffffe
	s_delay_alu instid0(SALU_CYCLE_3) | instskip(NEXT) | instid1(SALU_CYCLE_3)
	s_cvt_u32_f32 s13, s13
	s_mul_i32 s16, s16, s13
	s_delay_alu instid0(SALU_CYCLE_1) | instskip(NEXT) | instid1(SALU_CYCLE_1)
	s_mul_hi_u32 s16, s13, s16
	s_add_co_i32 s13, s13, s16
	s_delay_alu instid0(SALU_CYCLE_1) | instskip(NEXT) | instid1(SALU_CYCLE_1)
	s_mul_hi_u32 s13, s57, s13
	s_mul_i32 s16, s13, s11
	s_add_co_i32 s18, s13, 1
	s_sub_co_i32 s16, s57, s16
	s_delay_alu instid0(SALU_CYCLE_1)
	s_sub_co_i32 s19, s16, s11
	s_cmp_ge_u32 s16, s11
	s_cselect_b32 s13, s18, s13
	s_cselect_b32 s16, s19, s16
	s_add_co_i32 s18, s13, 1
	s_cmp_ge_u32 s16, s11
	s_cselect_b32 s57, s18, s13
	s_add_co_i32 s10, s10, -1
	s_mul_i32 s11, s57, s11
	s_delay_alu instid0(SALU_CYCLE_1) | instskip(NEXT) | instid1(SALU_CYCLE_1)
	s_sub_co_i32 s11, s17, s11
	s_mul_i32 s11, s12, s11
	s_delay_alu instid0(SALU_CYCLE_1)
	s_add_co_i32 s35, s11, s35
	s_cmp_gt_u32 s10, 2
	s_cbranch_scc1 .LBB26_6
.LBB26_7:
	s_clause 0x1
	s_load_b32 s10, s[0:1], 0x6c
	s_load_b32 s6, s[0:1], 0x2a0
	s_mov_b32 s41, 0
	s_wait_kmcnt 0x0
	s_cmp_lt_i32 s6, 2
	s_cbranch_scc1 .LBB26_10
; %bb.8:
	s_add_co_i32 s40, s6, -1
	s_add_nc_u64 s[12:13], s[0:1], 0x1d0
	s_lshl_b64 s[16:17], s[40:41], 2
	s_add_co_i32 s11, s6, 1
	s_add_nc_u64 s[12:13], s[12:13], s[16:17]
	s_delay_alu instid0(SALU_CYCLE_1)
	s_add_nc_u64 s[6:7], s[12:13], 8
.LBB26_9:                               ; =>This Inner Loop Header: Depth=1
	s_clause 0x1
	s_load_b32 s12, s[6:7], 0x0
	s_load_b32 s13, s[6:7], 0x64
	s_mov_b32 s18, s55
	s_wait_xcnt 0x0
	s_add_nc_u64 s[6:7], s[6:7], -4
	s_wait_kmcnt 0x0
	s_cvt_f32_u32 s16, s12
	s_sub_co_i32 s17, 0, s12
	s_delay_alu instid0(SALU_CYCLE_2) | instskip(SKIP_1) | instid1(TRANS32_DEP_1)
	v_rcp_iflag_f32_e32 v1, s16
	v_nop
	v_readfirstlane_b32 s16, v1
	s_mul_f32 s16, s16, 0x4f7ffffe
	s_delay_alu instid0(SALU_CYCLE_3) | instskip(NEXT) | instid1(SALU_CYCLE_3)
	s_cvt_u32_f32 s16, s16
	s_mul_i32 s17, s17, s16
	s_delay_alu instid0(SALU_CYCLE_1) | instskip(NEXT) | instid1(SALU_CYCLE_1)
	s_mul_hi_u32 s17, s16, s17
	s_add_co_i32 s16, s16, s17
	s_delay_alu instid0(SALU_CYCLE_1) | instskip(NEXT) | instid1(SALU_CYCLE_1)
	s_mul_hi_u32 s16, s55, s16
	s_mul_i32 s17, s16, s12
	s_add_co_i32 s19, s16, 1
	s_sub_co_i32 s17, s55, s17
	s_delay_alu instid0(SALU_CYCLE_1)
	s_sub_co_i32 s20, s17, s12
	s_cmp_ge_u32 s17, s12
	s_cselect_b32 s16, s19, s16
	s_cselect_b32 s17, s20, s17
	s_add_co_i32 s19, s16, 1
	s_cmp_ge_u32 s17, s12
	s_cselect_b32 s55, s19, s16
	s_add_co_i32 s11, s11, -1
	s_mul_i32 s12, s55, s12
	s_delay_alu instid0(SALU_CYCLE_1) | instskip(NEXT) | instid1(SALU_CYCLE_1)
	s_sub_co_i32 s12, s18, s12
	s_mul_i32 s12, s13, s12
	s_delay_alu instid0(SALU_CYCLE_1)
	s_add_co_i32 s41, s12, s41
	s_cmp_gt_u32 s11, 2
	s_cbranch_scc1 .LBB26_9
.LBB26_10:
	s_clause 0x1
	s_load_b32 s44, s[4:5], 0x6c
	s_load_b64 s[6:7], s[0:1], 0x0
	s_wait_xcnt 0x0
	v_cmp_eq_u32_e64 s5, 0, v0
	s_mov_b32 s47, 0
	s_and_saveexec_b32 s4, s5
; %bb.11:
	v_dual_mov_b32 v2, 0 :: v_dual_mov_b32 v3, s36
	s_delay_alu instid0(VALU_DEP_1)
	v_mov_b32_e32 v4, v2
	ds_store_b96 v2, v[2:4] offset:4096
; %bb.12:
	s_or_b32 exec_lo, exec_lo, s4
	s_wait_dscnt 0x0
	s_barrier_signal -1
	s_barrier_wait -1
	s_load_b32 s11, s[14:15], 0xc
	s_clause 0x1
	s_load_b32 s59, s[0:1], 0x23c
	s_load_b64 s[12:13], s[0:1], 0xf0
                                        ; implicit-def: $vgpr68 : SGPR spill to VGPR lane
	v_mbcnt_lo_u32_b32 v19, -1, 0
	s_mul_i32 s2, s10, s2
	v_add_max_u32_e64 v4, v0, 2, s36
	v_cmp_gt_u32_e32 vcc_lo, 32, v0
	s_add_co_i32 s46, s2, s3
	v_cmp_gt_i32_e64 s2, 4, v19
	s_bitcmp1_b32 s38, 0
	v_lshlrev_b64_e64 v[2:3], v19, -1
	s_cselect_b32 s4, -1, 0
	v_xad_u32 v3, v0, -1, v4
	s_xor_b32 s60, s4, -1
	s_and_b32 s62, vcc_lo, s2
	v_mul_lo_u32 v22, s54, v0
	v_dual_lshlrev_b32 v1, 2, v0 :: v_dual_mov_b32 v25, 0
	v_add_nc_u32_e32 v4, -8, v3
	v_not_b32_e32 v18, v2
	s_wait_kmcnt 0x0
	s_and_b32 s40, s11, 0xffff
	v_dual_mov_b32 v23, v25 :: v_dual_lshrrev_b32 v2, 1, v0
	v_writelane_b32 v68, s12, 0
	s_lshl_b32 s61, s40, 2
	s_cmp_gt_u32 s36, 0xc00
	v_dual_lshrrev_b32 v5, 3, v4 :: v_dual_bitop2_b32 v28, -8, v3 bitop3:0x40
	v_writelane_b32 v68, s13, 1
	s_load_b64 s[12:13], s[0:1], 0x1d0
	s_cselect_b32 s63, -1, 0
	s_cmp_gt_u32 s40, 31
	s_add_nc_u64 s[38:39], s[6:7], s[46:47]
	s_cselect_b32 s64, -1, 0
	s_add_co_i32 s65, s40, -1
	s_movk_i32 s7, 0x1f0
	v_add_nc_u64_e32 v[20:21], s[38:39], v[22:23]
	v_and_or_b32 v23, v2, s7, 0xc00
	v_dual_add_nc_u32 v2, 1, v5 :: v_dual_add_nc_u32 v29, v0, v28
	v_mad_u32 v33, s54, v1, s54
	v_cmp_eq_u32_e64 s2, 0, v19
	v_cmp_gt_u32_e64 s3, s36, v0
	s_delay_alu instid0(VALU_DEP_4)
	v_and_b32_e32 v31, 0x3ffffffe, v2
	v_add3_u32 v2, s40, s36, v0
	v_cmp_gt_u32_e64 s6, 2, v0
	v_lshl_or_b32 v38, v19, 2, 0xc00
	v_dual_mov_b32 v41, s37 :: v_dual_mov_b32 v40, 0
	s_wait_kmcnt 0x0
	v_writelane_b32 v68, s12, 2
	v_dual_mov_b32 v32, 0 :: v_dual_mov_b32 v39, 0
	s_mul_i32 s56, s54, s40
	s_mov_b32 s72, s54
	v_writelane_b32 v68, s13, 3
	s_add_co_i32 s13, s65, s36
	s_cmp_lt_u32 s9, s8
	s_cvt_f32_u32 s9, s61
	s_cselect_b32 s46, 12, 18
	s_bfe_u32 s66, s11, 0xb0005
	s_mov_b32 s75, s54
	s_add_co_i32 s8, s66, -2
	v_rcp_iflag_f32_e32 v5, s9
	s_lshr_b32 s7, s8, 1
	s_mov_b32 s76, s54
	s_add_co_i32 s10, s7, 1
	s_cmp_gt_u32 s40, 63
	v_cmp_lt_u32_e64 s7, 31, v3
	s_cselect_b32 s67, -1, 0
	s_and_b32 s68, s66, 0x7fe
	s_and_b32 s69, s10, 7
	s_cmp_gt_u32 s8, 13
	v_readfirstlane_b32 s8, v5
	s_cselect_b32 s70, -1, 0
	s_and_b32 s71, s10, -8
	s_cmp_lg_u32 s69, 0
	s_cvt_f32_u32 s10, s40
	s_mul_f32 s8, s8, 0x4f7ffffe
	s_cselect_b32 s73, -1, 0
	s_cmp_lg_u32 s68, s66
	v_rcp_iflag_f32_e32 v5, s10
	s_cvt_u32_f32 s8, s8
	s_cselect_b32 s74, -1, 0
	s_sub_co_i32 s9, 0, s61
	s_mov_b32 s77, s54
	s_mul_i32 s9, s9, s8
	s_mov_b32 s78, s54
	s_mul_hi_u32 s9, s8, s9
	s_mov_b32 s79, s54
	s_add_co_i32 s48, s8, s9
	v_nop
	v_readfirstlane_b32 s9, v5
	s_mul_hi_u32 s8, s36, s48
	v_lshlrev_b32_e32 v36, 2, v22
	s_mul_i32 s8, s8, s61
	s_mov_b32 s80, s54
	s_sub_co_i32 s8, s36, s8
	s_mul_f32 s9, s9, 0x4f7ffffe
	s_sub_co_i32 s10, s8, s61
	s_cmp_ge_u32 s8, s61
	s_mov_b32 s49, s47
	s_cselect_b32 s10, s10, s8
	s_cvt_u32_f32 s9, s9
	s_sub_co_i32 s11, s10, s61
	s_cmp_ge_u32 s10, s61
	v_cmp_lt_u32_e64 s8, 7, v4
	s_cselect_b32 s16, s11, s10
	s_sub_co_i32 s10, 0, s40
	s_sub_co_i32 s81, s36, s16
	s_mul_i32 s10, s10, s9
	v_and_b32_e32 v4, 8, v4
	s_mul_hi_u32 s10, s9, s10
	v_add_nc_u32_e32 v30, s81, v0
	s_add_co_i32 s50, s9, s10
	v_subrev_nc_u32_e32 v2, s16, v2
	s_mul_hi_u32 s10, s13, s50
	v_cmp_eq_u32_e64 s9, 0, v4
	s_mul_i32 s10, s10, s40
	v_or_b32_e32 v4, 3, v1
	s_sub_co_i32 s11, s13, s10
	v_mul_lo_u32 v24, v30, s54
	s_sub_co_i32 s12, s11, s40
	v_cmp_ne_u32_e64 s10, v3, v28
	s_cmp_ge_u32 s11, s40
	v_or_b32_e32 v3, 2, v1
	s_cselect_b32 s17, s12, s11
	v_mul_lo_u32 v35, s54, v4
	s_sub_co_i32 s18, s17, s40
	s_cmp_ge_u32 s17, s40
	v_mul_lo_u32 v34, s54, v3
	v_mul_lo_u32 v37, s54, v2
	s_cselect_b32 s17, s18, s17
	v_add_nc_u64_e32 v[26:27], s[38:39], v[24:25]
	s_sub_co_i32 s82, s13, s17
	v_cmp_gt_u32_e64 s11, s81, v1
	v_cmp_gt_u32_e64 s12, s36, v30
	;; [unrolled: 1-line block ×3, first 2 shown]
	s_mov_b32 s51, s47
	s_lshl_b32 s83, s56, 2
	s_mov_b32 s84, 6
	s_add_nc_u64 s[52:53], s[14:15], s[46:47]
	s_mov_b32 s85, 0
	s_mov_b32 s87, 0
                                        ; implicit-def: $sgpr86
                                        ; implicit-def: $sgpr90
                                        ; implicit-def: $sgpr89
                                        ; implicit-def: $sgpr91
                                        ; implicit-def: $sgpr88
                                        ; implicit-def: $sgpr95
                                        ; implicit-def: $sgpr96
                                        ; implicit-def: $sgpr92
                                        ; implicit-def: $sgpr94
                                        ; implicit-def: $sgpr93
	s_branch .LBB26_15
.LBB26_13:                              ;   in Loop: Header=BB26_15 Depth=1
	s_or_b32 exec_lo, exec_lo, s17
	v_mov_b32_e32 v41, v5
	s_and_not1_b32 s17, s93, exec_lo
	s_and_b32 s16, s16, exec_lo
	s_and_not1_b32 s94, s94, exec_lo
	s_or_b32 s93, s17, s16
	s_and_not1_b32 s92, s92, exec_lo
	s_and_not1_b32 s96, s96, exec_lo
	;; [unrolled: 1-line block ×3, first 2 shown]
	s_or_not1_b32 s17, s15, exec_lo
.LBB26_14:                              ;   in Loop: Header=BB26_15 Depth=1
	s_or_b32 exec_lo, exec_lo, s14
	s_delay_alu instid0(SALU_CYCLE_1) | instskip(NEXT) | instid1(SALU_CYCLE_1)
	s_and_b32 s14, exec_lo, s17
	s_or_b32 s85, s14, s85
	s_and_not1_b32 s14, s88, exec_lo
	s_and_b32 s15, s93, exec_lo
	s_and_not1_b32 s16, s91, exec_lo
	s_or_b32 s88, s14, s15
	s_and_b32 s14, s94, exec_lo
	s_and_not1_b32 s15, s89, exec_lo
	s_and_b32 s17, s92, exec_lo
	s_or_b32 s91, s16, s14
	s_or_b32 s89, s15, s17
	s_and_not1_b32 s14, s90, exec_lo
	s_and_b32 s15, s96, exec_lo
	s_and_not1_b32 s16, s86, exec_lo
	s_and_b32 s17, s95, exec_lo
	s_or_b32 s90, s14, s15
	s_or_b32 s86, s16, s17
	s_and_not1_b32 exec_lo, exec_lo, s85
	s_cbranch_execz .LBB26_417
.LBB26_15:                              ; =>This Loop Header: Depth=1
                                        ;     Child Loop BB26_20 Depth 2
                                        ;     Child Loop BB26_41 Depth 2
	;; [unrolled: 1-line block ×26, first 2 shown]
	ds_load_b64 v[2:3], v25 offset:4096
	s_wait_dscnt 0x0
	v_readfirstlane_b32 s46, v2
	s_cmp_lg_u32 s46, 0
	s_cbranch_scc1 .LBB26_58
; %bb.16:                               ;   in Loop: Header=BB26_15 Depth=1
	s_and_b32 vcc_lo, exec_lo, s63
	s_cbranch_vccz .LBB26_28
; %bb.17:                               ;   in Loop: Header=BB26_15 Depth=1
	v_cmp_gt_u32_e32 vcc_lo, 0xc01, v3
	s_mov_b32 s16, 0
	s_mov_b32 s14, 0
	s_cbranch_vccz .LBB26_29
; %bb.18:                               ;   in Loop: Header=BB26_15 Depth=1
	global_load_u8 v3, v[20:21], off
	s_load_u16 s17, s[52:53], 0x0
	s_mov_b32 s18, 0
	s_wait_kmcnt 0x0
	v_dual_mov_b32 v4, v0 :: v_dual_add_nc_u32 v2, s17, v0
	s_mul_i32 s19, s54, s17
	s_delay_alu instid0(VALU_DEP_1)
	v_mul_lo_u32 v2, s54, v2
	s_branch .LBB26_20
.LBB26_19:                              ;   in Loop: Header=BB26_20 Depth=2
	s_or_b32 exec_lo, exec_lo, s15
	v_dual_mov_b32 v3, v5 :: v_dual_add_nc_u32 v2, s19, v2
	s_and_not1_b32 exec_lo, exec_lo, s18
	s_cbranch_execz .LBB26_35
.LBB26_20:                              ;   Parent Loop BB26_15 Depth=1
                                        ; =>  This Inner Loop Header: Depth=2
	s_wait_dscnt 0x0
	v_dual_add_nc_u32 v4, s17, v4 :: v_dual_mov_b32 v6, 0
	v_mov_b32_e32 v5, 0
	s_mov_b32 s15, exec_lo
	s_delay_alu instid0(VALU_DEP_2)
	v_cmp_le_u32_e32 vcc_lo, s36, v4
	v_cmpx_gt_u32_e64 s36, v4
	s_cbranch_execz .LBB26_22
; %bb.21:                               ;   in Loop: Header=BB26_20 Depth=2
	global_load_u8 v5, v2, s[38:39]
.LBB26_22:                              ;   in Loop: Header=BB26_20 Depth=2
	s_wait_xcnt 0x0
	s_or_b32 exec_lo, exec_lo, s15
	s_wait_loadcnt 0x0
	v_bfe_i32 v7, v3, 0, 8
	s_delay_alu instid0(VALU_DEP_1) | instskip(NEXT) | instid1(VALU_DEP_1)
	v_add_nc_u32_e32 v7, 0x80, v7
	v_and_b32_e32 v7, v7, v39
	s_delay_alu instid0(VALU_DEP_1) | instskip(SKIP_2) | instid1(SALU_CYCLE_1)
	v_cmp_eq_u32_e64 s14, v7, v32
	s_cmp_lg_u32 s14, 0
	s_cselect_b32 s15, -1, 0
	s_and_b32 s15, s2, s15
	s_delay_alu instid0(SALU_CYCLE_1)
	s_and_saveexec_b32 s20, s15
	s_cbranch_execz .LBB26_26
; %bb.23:                               ;   in Loop: Header=BB26_20 Depth=2
	s_mov_b32 s23, exec_lo
	s_bcnt1_i32_b32 s21, s14
	v_mbcnt_lo_u32_b32 v6, s23, 0
	s_mov_b32 s22, exec_lo
                                        ; implicit-def: $vgpr7
	s_delay_alu instid0(VALU_DEP_1)
	v_cmpx_eq_u32_e32 0, v6
; %bb.24:                               ;   in Loop: Header=BB26_20 Depth=2
	s_bcnt1_i32_b32 s15, s23
	s_delay_alu instid0(SALU_CYCLE_1) | instskip(NEXT) | instid1(SALU_CYCLE_1)
	s_mul_i32 s15, s21, s15
	v_mov_b32_e32 v7, s15
	ds_add_rtn_u32 v7, v25, v7 offset:4104
; %bb.25:                               ;   in Loop: Header=BB26_20 Depth=2
	s_or_b32 exec_lo, exec_lo, s22
	s_wait_dscnt 0x0
	v_readfirstlane_b32 s15, v7
	s_delay_alu instid0(VALU_DEP_1)
	v_mad_u32_u24 v6, s21, v6, s15
.LBB26_26:                              ;   in Loop: Header=BB26_20 Depth=2
	s_or_b32 exec_lo, exec_lo, s20
	ds_bpermute_b32 v6, v25, v6
	s_and_b32 s15, exec_lo, vcc_lo
	s_delay_alu instid0(SALU_CYCLE_1)
	s_or_b32 s18, s15, s18
	s_and_saveexec_b32 s15, s14
	s_cbranch_execz .LBB26_19
; %bb.27:                               ;   in Loop: Header=BB26_20 Depth=2
	v_and_b32_e32 v7, s14, v18
	s_wait_dscnt 0x0
	s_delay_alu instid0(VALU_DEP_1)
	v_bcnt_u32_b32 v6, v7, v6
	ds_store_b8 v6, v3
	s_branch .LBB26_19
.LBB26_28:                              ;   in Loop: Header=BB26_15 Depth=1
	s_mov_b32 s16, -1
	s_mov_b32 s14, 0
.LBB26_29:                              ;   in Loop: Header=BB26_15 Depth=1
	s_and_b32 vcc_lo, exec_lo, s16
	s_cbranch_vccz .LBB26_56
.LBB26_30:                              ;   in Loop: Header=BB26_15 Depth=1
	s_and_saveexec_b32 s15, s3
	s_cbranch_execz .LBB26_53
; %bb.31:                               ;   in Loop: Header=BB26_15 Depth=1
	global_load_u8 v24, v[20:21], off
	s_load_u16 s17, s[52:53], 0x0
	s_mov_b32 s16, exec_lo
	s_wait_kmcnt 0x0
	v_dual_mov_b32 v3, v0 :: v_dual_add_nc_u32 v2, s17, v0
	s_delay_alu instid0(VALU_DEP_1)
	v_cmpx_gt_u32_e64 s36, v2
	s_cbranch_execz .LBB26_52
; %bb.32:                               ;   in Loop: Header=BB26_15 Depth=1
	s_mov_b32 s14, 0
	s_mul_i32 s18, s54, s17
                                        ; implicit-def: $vgpr3
                                        ; implicit-def: $vgpr4
                                        ; implicit-def: $vgpr5
	s_and_saveexec_b32 s19, s7
	s_delay_alu instid0(SALU_CYCLE_1)
	s_xor_b32 s19, exec_lo, s19
	s_cbranch_execnz .LBB26_38
; %bb.33:                               ;   in Loop: Header=BB26_15 Depth=1
	s_and_not1_saveexec_b32 s19, s19
	s_cbranch_execnz .LBB26_47
.LBB26_34:                              ;   in Loop: Header=BB26_15 Depth=1
	s_or_b32 exec_lo, exec_lo, s19
	s_and_saveexec_b32 s18, s14
	s_cbranch_execnz .LBB26_48
	s_branch .LBB26_51
.LBB26_35:                              ;   in Loop: Header=BB26_15 Depth=1
	s_or_b32 exec_lo, exec_lo, s18
	s_wait_dscnt 0x0
	s_barrier_signal -1
	s_barrier_wait -1
	s_and_saveexec_b32 s14, s5
	s_cbranch_execz .LBB26_37
; %bb.36:                               ;   in Loop: Header=BB26_15 Depth=1
	ds_load_b32 v2, v25 offset:4104
	s_wait_dscnt 0x0
	ds_store_b32 v25, v2 offset:4096
.LBB26_37:                              ;   in Loop: Header=BB26_15 Depth=1
	s_or_b32 exec_lo, exec_lo, s14
	s_wait_dscnt 0x0
	s_barrier_signal -1
	s_mov_b32 s14, -1
	s_barrier_wait -1
	s_and_b32 vcc_lo, exec_lo, s16
	s_cbranch_vccnz .LBB26_30
	s_branch .LBB26_56
.LBB26_38:                              ;   in Loop: Header=BB26_15 Depth=1
	s_cvt_f32_u32 s14, s17
	v_add_max_u32_e64 v3, v2, s17, s36
	s_delay_alu instid0(SALU_CYCLE_2) | instskip(SKIP_1) | instid1(VALU_DEP_1)
	v_rcp_iflag_f32_e32 v4, s14
	s_lshl_b32 s14, s17, 1
	v_sub_nc_u32_e32 v3, v3, v0
	s_delay_alu instid0(VALU_DEP_1) | instskip(NEXT) | instid1(TRANS32_DEP_1)
	v_cmp_ne_u32_e32 vcc_lo, s14, v3
	v_readfirstlane_b32 s20, v4
	v_cndmask_b32_e64 v4, 0, 1, vcc_lo
	s_mul_f32 s20, s20, 0x4f7ffffe
	s_delay_alu instid0(VALU_DEP_1) | instskip(NEXT) | instid1(SALU_CYCLE_2)
	v_or_b32_e32 v4, s14, v4
	s_cvt_u32_f32 s14, s20
	s_sub_co_i32 s20, 0, s17
	s_delay_alu instid0(SALU_CYCLE_2) | instskip(NEXT) | instid1(VALU_DEP_1)
	s_mul_i32 s20, s20, s14
	v_sub_nc_u32_e32 v3, v3, v4
	s_mul_hi_u32 s20, s14, s20
	s_delay_alu instid0(SALU_CYCLE_1)
	s_add_co_i32 s14, s14, s20
	s_delay_alu instid0(VALU_DEP_1) | instid1(SALU_CYCLE_1)
	v_mul_hi_u32 v4, v3, s14
	s_delay_alu instid0(VALU_DEP_1) | instskip(NEXT) | instid1(VALU_DEP_1)
	v_mul_lo_u32 v5, v4, s17
	v_dual_sub_nc_u32 v3, v3, v5 :: v_dual_add_nc_u32 v5, 1, v4
	s_delay_alu instid0(VALU_DEP_1) | instskip(SKIP_1) | instid1(VALU_DEP_1)
	v_subrev_nc_u32_e32 v6, s17, v3
	v_cmp_le_u32_e64 s14, s17, v3
	v_dual_cndmask_b32 v4, v4, v5, s14 :: v_dual_cndmask_b32 v3, v3, v6, s14
	s_delay_alu instid0(VALU_DEP_1) | instskip(NEXT) | instid1(VALU_DEP_2)
	v_add_nc_u32_e32 v5, 1, v4
	v_cmp_le_u32_e64 s14, s17, v3
	s_delay_alu instid0(VALU_DEP_1) | instskip(SKIP_2) | instid1(VALU_DEP_2)
	v_cndmask_b32_e64 v3, v4, v5, s14
	v_mul_lo_u32 v4, s54, v2
	s_abs_i32 s14, s18
	v_add_co_ci_u32_e64 v3, null, 0, v3, vcc_lo
	s_delay_alu instid0(VALU_DEP_1) | instskip(SKIP_2) | instid1(SALU_CYCLE_1)
	v_mul_hi_u32 v5, s14, v3
	v_mul_lo_u32 v3, s14, v3
	s_not_b32 s14, s18
	s_ashr_i32 s14, s14, 31
	s_cmp_eq_u32 s17, 1
	s_delay_alu instid0(VALU_DEP_4) | instskip(SKIP_1) | instid1(VALU_DEP_3)
	v_xor_b32_e32 v4, s14, v4
	s_cselect_b32 s20, -1, 0
	v_cmp_eq_u32_e32 vcc_lo, 0, v5
	s_delay_alu instid0(VALU_DEP_2) | instskip(SKIP_2) | instid1(SALU_CYCLE_1)
	v_cmp_le_u32_e64 s14, v3, v4
	v_mov_b32_e32 v4, v0
                                        ; implicit-def: $vgpr3
	s_and_b32 s20, vcc_lo, s20
	s_and_b32 s21, s20, s14
	s_mov_b32 s20, -1
	s_and_saveexec_b32 s14, s21
	s_cbranch_execz .LBB26_46
; %bb.39:                               ;   in Loop: Header=BB26_15 Depth=1
	v_dual_add_nc_u32 v9, 7, v2 :: v_dual_add_nc_u32 v8, 6, v2
	v_dual_add_nc_u32 v7, 5, v2 :: v_dual_add_nc_u32 v6, 4, v2
	;; [unrolled: 1-line block ×3, first 2 shown]
	s_wait_loadcnt 0x0
	v_dual_add_nc_u32 v3, 1, v2 :: v_dual_lshlrev_b32 v42, 24, v24
	v_mov_b64_e32 v[16:17], v[8:9]
	v_mov_b64_e32 v[14:15], v[6:7]
	;; [unrolled: 1-line block ×3, first 2 shown]
	s_delay_alu instid0(VALU_DEP_4)
	v_mov_b64_e32 v[10:11], v[2:3]
	v_mov_b32_e32 v44, 0
                                        ; implicit-def: $vgpr24
	s_and_saveexec_b32 s20, s8
	s_cbranch_execz .LBB26_43
; %bb.40:                               ;   in Loop: Header=BB26_15 Depth=1
	v_mov_b64_e32 v[16:17], v[8:9]
	v_mov_b64_e32 v[14:15], v[6:7]
	;; [unrolled: 1-line block ×4, first 2 shown]
	v_mov_b32_e32 v43, v31
	s_mov_b32 s21, 0
	s_mov_b32 s22, 0
.LBB26_41:                              ;   Parent Loop BB26_15 Depth=1
                                        ; =>  This Inner Loop Header: Depth=2
	s_delay_alu instid0(VALU_DEP_2) | instskip(NEXT) | instid1(VALU_DEP_4)
	v_mul_lo_u32 v24, v10, s54
	v_dual_add_nc_u32 v56, 8, v13 :: v_dual_add_nc_u32 v58, 8, v14
	v_dual_add_nc_u32 v60, 8, v15 :: v_dual_add_nc_u32 v62, 8, v16
	v_mul_lo_u32 v44, v14, s77
	v_dual_add_nc_u32 v52, 8, v11 :: v_dual_add_nc_u32 v54, 8, v12
	v_mul_lo_u32 v6, v16, s79
	v_mul_lo_u32 v56, v56, s76
	;; [unrolled: 1-line block ×3, first 2 shown]
	v_dual_mov_b32 v5, v25 :: v_dual_add_nc_u32 v3, 8, v10
	v_mul_lo_u32 v58, v58, s77
	v_mul_lo_u32 v8, v15, s78
	v_dual_mov_b32 v53, v25 :: v_dual_add_nc_u32 v64, 8, v17
	v_mul_lo_u32 v62, v62, s79
	v_mul_lo_u32 v46, v13, s76
	;; [unrolled: 1-line block ×6, first 2 shown]
	v_dual_mov_b32 v47, v25 :: v_dual_mov_b32 v45, v25
	v_mul_lo_u32 v52, v52, s72
	v_dual_mov_b32 v9, v25 :: v_dual_mov_b32 v7, v25
	v_dual_mov_b32 v55, v25 :: v_dual_mov_b32 v57, v25
	v_add_nc_u64_e32 v[66:67], s[38:39], v[24:25]
	v_mul_lo_u32 v24, v3, s54
	v_dual_mov_b32 v59, v25 :: v_dual_mov_b32 v61, v25
	v_mul_lo_u32 v64, v64, s80
	v_dual_mov_b32 v63, v25 :: v_dual_mov_b32 v65, v25
	v_dual_mov_b32 v51, v25 :: v_dual_mov_b32 v49, v25
	v_add_nc_u64_e32 v[44:45], s[38:39], v[44:45]
	v_add_nc_u64_e32 v[6:7], s[38:39], v[6:7]
	;; [unrolled: 1-line block ×13, first 2 shown]
	s_clause 0x7
	global_load_u8 v3, v[44:45], off
	global_load_u8 v6, v[6:7], off
	;; [unrolled: 1-line block ×8, first 2 shown]
	v_add_nc_u64_e32 v[4:5], s[38:39], v[24:25]
	v_add_nc_u64_e32 v[64:65], s[38:39], v[64:65]
	s_clause 0x7
	global_load_u8 v48, v[56:57], off
	global_load_u8 v49, v[58:59], off
	;; [unrolled: 1-line block ×8, first 2 shown]
	v_dual_add_nc_u32 v43, -2, v43 :: v_dual_add_nc_u32 v12, 16, v12
	s_wait_xcnt 0x2
	v_dual_add_nc_u32 v53, s22, v0 :: v_dual_add_nc_u32 v17, 16, v17
	s_add_co_i32 s22, s22, 16
	s_delay_alu instid0(VALU_DEP_2)
	v_cmp_eq_u32_e32 vcc_lo, 0, v43
	v_dual_add_nc_u32 v16, 16, v16 :: v_dual_add_nc_u32 v15, 16, v15
	v_dual_add_nc_u32 v14, 16, v14 :: v_dual_add_nc_u32 v13, 16, v13
	;; [unrolled: 1-line block ×3, first 2 shown]
	v_mov_b32_e32 v44, s22
	s_or_b32 s21, vcc_lo, s21
	s_wait_loadcnt 0xc
	s_wait_xcnt 0x1
	v_perm_b32 v5, v8, v6, 0xc0c0004
	s_wait_loadcnt 0xb
	v_perm_b32 v3, v9, v3, 0xc0c0004
	s_wait_loadcnt 0x6
	v_perm_b32 v9, v48, v49, 0xc0c0004
	v_perm_b32 v6, v46, v45, 0xc0c0004
	;; [unrolled: 1-line block ×3, first 2 shown]
	s_wait_loadcnt 0x4
	v_perm_b32 v42, v51, v50, 0xc0c0004
	v_perm_b32 v45, v49, v51, 0xc0c0004
	s_wait_loadcnt 0x2
	v_perm_b32 v46, v52, v54, 0xc0c0004
	s_wait_loadcnt 0x1
	;; [unrolled: 2-line block ×3, first 2 shown]
	v_perm_b32 v48, v50, v24, 0xc0c0004
	v_lshl_or_b32 v5, v5, 16, v3
	v_lshl_or_b32 v4, v6, 16, v8
	;; [unrolled: 1-line block ×5, first 2 shown]
	ds_store_b128 v53, v[4:7]
	s_wait_xcnt 0x0
	s_and_not1_b32 exec_lo, exec_lo, s21
	s_cbranch_execnz .LBB26_41
; %bb.42:                               ;   in Loop: Header=BB26_15 Depth=1
	s_or_b32 exec_lo, exec_lo, s21
.LBB26_43:                              ;   in Loop: Header=BB26_15 Depth=1
	s_delay_alu instid0(SALU_CYCLE_1)
	s_or_b32 exec_lo, exec_lo, s20
	s_and_saveexec_b32 s20, s9
	s_cbranch_execz .LBB26_45
; %bb.44:                               ;   in Loop: Header=BB26_15 Depth=1
	v_mul_lo_u32 v24, v10, s54
	v_mul_lo_u32 v10, v14, s77
	;; [unrolled: 1-line block ×8, first 2 shown]
	v_dual_mov_b32 v17, v25 :: v_dual_mov_b32 v11, v25
	v_dual_mov_b32 v7, v25 :: v_dual_mov_b32 v9, v25
	;; [unrolled: 1-line block ×3, first 2 shown]
	s_delay_alu instid0(VALU_DEP_3) | instskip(NEXT) | instid1(VALU_DEP_3)
	v_add_nc_u64_e32 v[10:11], s[38:39], v[10:11]
	v_add_nc_u64_e32 v[6:7], s[38:39], v[6:7]
	s_delay_alu instid0(VALU_DEP_4) | instskip(NEXT) | instid1(VALU_DEP_4)
	v_add_nc_u64_e32 v[8:9], s[38:39], v[8:9]
	v_add_nc_u64_e32 v[14:15], s[38:39], v[14:15]
	;; [unrolled: 1-line block ×4, first 2 shown]
	v_mov_b32_e32 v5, v25
	v_add_nc_u64_e32 v[46:47], s[38:39], v[24:25]
	s_clause 0x6
	global_load_u8 v3, v[10:11], off
	global_load_u8 v6, v[6:7], off
	;; [unrolled: 1-line block ×7, first 2 shown]
	v_add_nc_u64_e32 v[4:5], s[38:39], v[4:5]
	global_load_u8 v24, v[4:5], off
	s_wait_loadcnt 0x5
	s_wait_xcnt 0x0
	v_perm_b32 v4, v7, v6, 0xc0c0004
	s_wait_loadcnt 0x4
	v_perm_b32 v3, v8, v3, 0xc0c0004
	s_wait_loadcnt 0x2
	;; [unrolled: 2-line block ×3, first 2 shown]
	v_perm_b32 v7, v42, v11, 0xc0c0007
	v_lshl_or_b32 v5, v4, 16, v3
	v_add_nc_u32_e32 v3, v0, v44
	s_delay_alu instid0(VALU_DEP_3)
	v_lshl_or_b32 v4, v6, 16, v7
	ds_store_b64 v3, v[4:5]
.LBB26_45:                              ;   in Loop: Header=BB26_15 Depth=1
	s_or_b32 exec_lo, exec_lo, s20
	v_dual_add_nc_u32 v2, v2, v28 :: v_dual_mov_b32 v4, v29
	s_or_not1_b32 s20, s10, exec_lo
	s_delay_alu instid0(VALU_DEP_1)
	v_add_nc_u32_e32 v3, -1, v2
.LBB26_46:                              ;   in Loop: Header=BB26_15 Depth=1
	s_or_b32 exec_lo, exec_lo, s14
	v_mov_b32_e32 v5, s18
	s_and_b32 s14, s20, exec_lo
	s_and_not1_saveexec_b32 s19, s19
	s_cbranch_execz .LBB26_34
.LBB26_47:                              ;   in Loop: Header=BB26_15 Depth=1
	v_dual_mov_b32 v5, s18 :: v_dual_mov_b32 v4, v0
	s_or_b32 s14, s14, exec_lo
	s_or_b32 exec_lo, exec_lo, s19
	s_and_saveexec_b32 s18, s14
	s_cbranch_execz .LBB26_51
.LBB26_48:                              ;   in Loop: Header=BB26_15 Depth=1
	v_mul_lo_u32 v3, s54, v2
	s_mov_b32 s19, 0
	s_sub_co_i32 s14, 0, s17
.LBB26_49:                              ;   Parent Loop BB26_15 Depth=1
                                        ; =>  This Inner Loop Header: Depth=2
	global_load_u8 v6, v3, s[38:39]
	s_wait_xcnt 0x0
	v_dual_mov_b32 v7, v2 :: v_dual_add_nc_u32 v3, v3, v5
	s_wait_loadcnt 0x1
	ds_store_b8 v4, v24
	v_dual_add_nc_u32 v2, s17, v7 :: v_dual_mov_b32 v4, v7
	s_delay_alu instid0(VALU_DEP_1)
	v_cmp_le_u32_e32 vcc_lo, s36, v2
	s_or_b32 s19, vcc_lo, s19
	s_wait_loadcnt 0x0
	v_mov_b32_e32 v24, v6
	s_and_not1_b32 exec_lo, exec_lo, s19
	s_cbranch_execnz .LBB26_49
; %bb.50:                               ;   in Loop: Header=BB26_15 Depth=1
	s_or_b32 exec_lo, exec_lo, s19
	v_dual_mov_b32 v24, v6 :: v_dual_add_nc_u32 v3, s14, v2
.LBB26_51:                              ;   in Loop: Header=BB26_15 Depth=1
	s_or_b32 exec_lo, exec_lo, s18
.LBB26_52:                              ;   in Loop: Header=BB26_15 Depth=1
	s_delay_alu instid0(SALU_CYCLE_1)
	s_or_b32 exec_lo, exec_lo, s16
	s_wait_loadcnt 0x0
	ds_store_b8 v3, v24
.LBB26_53:                              ;   in Loop: Header=BB26_15 Depth=1
	s_or_b32 exec_lo, exec_lo, s15
	s_wait_dscnt 0x0
	s_barrier_signal -1
	s_barrier_wait -1
	s_and_saveexec_b32 s14, s5
; %bb.54:                               ;   in Loop: Header=BB26_15 Depth=1
	v_mov_b32_e32 v2, s36
	ds_store_b32 v25, v2 offset:4096
; %bb.55:                               ;   in Loop: Header=BB26_15 Depth=1
	s_or_b32 exec_lo, exec_lo, s14
	s_mov_b32 s14, -1
	s_wait_dscnt 0x0
	s_barrier_signal -1
	s_barrier_wait -1
.LBB26_56:                              ;   in Loop: Header=BB26_15 Depth=1
	s_and_b32 vcc_lo, exec_lo, s14
	s_mov_b32 s46, 0
	s_cbranch_vccz .LBB26_58
; %bb.57:                               ;   in Loop: Header=BB26_15 Depth=1
	ds_load_b32 v2, v25 offset:4096
	s_wait_dscnt 0x0
	v_readfirstlane_b32 s46, v2
.LBB26_58:                              ;   in Loop: Header=BB26_15 Depth=1
	s_delay_alu instid0(VALU_DEP_1)
	s_cmp_lt_i32 s46, 1
	s_mov_b32 s14, -1
                                        ; implicit-def: $vgpr5
	s_cbranch_scc1 .LBB26_71
; %bb.59:                               ;   in Loop: Header=BB26_15 Depth=1
	s_and_b32 vcc_lo, exec_lo, s14
	s_cbranch_vccnz .LBB26_82
.LBB26_60:                              ;   in Loop: Header=BB26_15 Depth=1
	s_lshl_b32 s16, s87, 7
	s_and_saveexec_b32 s14, s2
.LBB26_61:                              ;   in Loop: Header=BB26_15 Depth=1
	v_lshl_add_u32 v6, s16, 2, v23
	ds_store_b128 v6, v[2:5]
.LBB26_62:                              ;   in Loop: Header=BB26_15 Depth=1
	s_or_b32 exec_lo, exec_lo, s14
	s_wait_dscnt 0x0
	s_barrier_signal -1
	s_barrier_wait -1
	s_and_saveexec_b32 s17, s62
	s_cbranch_execz .LBB26_95
; %bb.63:                               ;   in Loop: Header=BB26_15 Depth=1
	v_dual_add_nc_u32 v4, s16, v19 :: v_dual_mov_b32 v2, 0
	s_and_not1_b32 vcc_lo, exec_lo, s64
	s_cbranch_vccnz .LBB26_94
; %bb.64:                               ;   in Loop: Header=BB26_15 Depth=1
	s_and_not1_b32 vcc_lo, exec_lo, s67
	s_cbranch_vccnz .LBB26_91
; %bb.65:                               ;   in Loop: Header=BB26_15 Depth=1
	v_lshl_add_u32 v5, v4, 2, 0xc00
	s_and_not1_b32 vcc_lo, exec_lo, s70
	s_cbranch_vccnz .LBB26_119
; %bb.66:                               ;   in Loop: Header=BB26_15 Depth=1
	v_dual_mov_b32 v2, 0 :: v_dual_mov_b32 v3, 0
	s_mov_b32 s15, 1
	s_mov_b32 s14, 0
	;; [unrolled: 1-line block ×3, first 2 shown]
.LBB26_67:                              ;   Parent Loop BB26_15 Depth=1
                                        ; =>  This Inner Loop Header: Depth=2
	v_lshl_add_u32 v24, s15, 4, v5
	v_lshl_add_u32 v44, s14, 4, v5
	s_add_co_i32 s18, s18, -8
	s_add_co_i32 s15, s15, 16
	s_add_co_i32 s14, s14, 16
	ds_load_2addr_b32 v[6:7], v24 offset1:8
	ds_load_2addr_b32 v[8:9], v44 offset1:8
	ds_load_2addr_b32 v[10:11], v24 offset0:16 offset1:24
	ds_load_2addr_b32 v[12:13], v44 offset0:16 offset1:24
	;; [unrolled: 1-line block ×6, first 2 shown]
	s_cmp_lg_u32 s18, 0
	s_wait_dscnt 0x7
	v_add3_u32 v3, v6, v3, v7
	s_wait_dscnt 0x6
	v_add3_u32 v2, v8, v2, v9
	s_wait_dscnt 0x5
	s_delay_alu instid0(VALU_DEP_2) | instskip(SKIP_1) | instid1(VALU_DEP_2)
	v_add3_u32 v3, v10, v3, v11
	s_wait_dscnt 0x4
	v_add3_u32 v2, v12, v2, v13
	s_wait_dscnt 0x3
	s_delay_alu instid0(VALU_DEP_2) | instskip(SKIP_1) | instid1(VALU_DEP_2)
	;; [unrolled: 5-line block ×3, first 2 shown]
	v_add3_u32 v3, v42, v3, v43
	s_wait_dscnt 0x0
	v_add3_u32 v2, v44, v2, v45
	s_cbranch_scc1 .LBB26_67
; %bb.68:                               ;   in Loop: Header=BB26_15 Depth=1
	s_and_not1_b32 vcc_lo, exec_lo, s73
	s_mov_b32 s18, s69
	s_cbranch_vccnz .LBB26_70
.LBB26_69:                              ;   Parent Loop BB26_15 Depth=1
                                        ; =>  This Inner Loop Header: Depth=2
	v_lshl_add_u32 v6, s15, 4, v5
	v_lshl_add_u32 v7, s14, 4, v5
	s_add_co_i32 s18, s18, -1
	s_add_co_i32 s15, s15, 2
	s_add_co_i32 s14, s14, 2
	ds_load_b32 v6, v6
	ds_load_b32 v7, v7
	s_cmp_lg_u32 s18, 0
	s_wait_dscnt 0x0
	v_dual_add_nc_u32 v3, v6, v3 :: v_dual_add_nc_u32 v2, v7, v2
	s_cbranch_scc1 .LBB26_69
.LBB26_70:                              ;   in Loop: Header=BB26_15 Depth=1
	s_delay_alu instid0(VALU_DEP_1) | instskip(SKIP_2) | instid1(SALU_CYCLE_1)
	v_add_nc_u32_e32 v2, v2, v3
	s_mov_b32 s14, s68
	s_mov_b32 s15, s74
	s_and_b32 vcc_lo, exec_lo, s15
	s_cbranch_vccnz .LBB26_92
	s_branch .LBB26_94
.LBB26_71:                              ;   in Loop: Header=BB26_15 Depth=1
	v_dual_mov_b32 v2, 0 :: v_dual_mov_b32 v3, 0
	v_dual_mov_b32 v4, 0 :: v_dual_mov_b32 v5, 0
	s_and_saveexec_b32 s97, s11
	s_cbranch_execz .LBB26_75
; %bb.72:                               ;   in Loop: Header=BB26_15 Depth=1
	v_mov_b32_e32 v6, v1
	s_mov_b32 s98, 0
	s_mov_b32 s99, 0
	;; [unrolled: 1-line block ×6, first 2 shown]
.LBB26_73:                              ;   Parent Loop BB26_15 Depth=1
                                        ; =>  This Inner Loop Header: Depth=2
	v_dual_add_nc_u32 v2, s99, v36 :: v_dual_add_nc_u32 v3, s99, v33
	v_dual_add_nc_u32 v4, s99, v34 :: v_dual_add_nc_u32 v5, s99, v35
	s_add_co_i32 s99, s99, s83
	s_clause 0x3
	global_load_i8 v2, v2, s[38:39]
	global_load_i8 v3, v3, s[38:39]
	;; [unrolled: 1-line block ×4, first 2 shown]
	s_wait_loadcnt 0x3
	s_wait_xcnt 0x3
	v_add_nc_u32_e32 v2, 0x80, v2
	s_wait_loadcnt 0x2
	s_wait_xcnt 0x2
	v_add_nc_u32_e32 v3, 0x80, v3
	;; [unrolled: 3-line block ×3, first 2 shown]
	v_add_nc_u32_e32 v6, s61, v6
	s_wait_loadcnt 0x0
	v_add_nc_u32_e32 v5, 0x80, v5
	v_and_b32_e32 v7, v2, v39
	v_bfe_u32 v2, v2, s84, 2
	v_and_b32_e32 v8, v3, v39
	v_bfe_u32 v3, v3, s84, 2
	;; [unrolled: 2-line block ×3, first 2 shown]
	v_cmp_eq_u32_e64 s14, v7, v32
	v_cmp_eq_u32_e64 s18, 0, v2
	v_and_b32_e32 v10, v5, v39
	v_bfe_u32 v5, v5, s84, 2
	v_cmp_eq_u32_e64 s15, v8, v32
	v_cmp_eq_u32_e64 s19, 0, v3
	;; [unrolled: 1-line block ×4, first 2 shown]
	s_and_b32 s18, s14, s18
	v_cmp_eq_u32_e64 s17, v10, v32
	v_cmp_eq_u32_e64 s21, 0, v5
	;; [unrolled: 1-line block ×5, first 2 shown]
	v_cndmask_b32_e64 v2, 0, 1, s18
	s_and_b32 s18, s15, s19
	v_cmp_eq_u32_e64 s23, 1, v3
	v_cmp_eq_u32_e64 s27, 2, v3
	v_cmp_eq_u32_e64 s31, 3, v3
	v_cndmask_b32_e64 v3, 0, 1, s18
	s_and_b32 s18, s16, s20
	v_cmp_eq_u32_e64 s24, 1, v4
	v_cmp_eq_u32_e64 s28, 2, v4
	v_cmp_eq_u32_e64 s33, 3, v4
	;; [unrolled: 5-line block ×3, first 2 shown]
	v_cndmask_b32_e64 v5, 0, 1, s18
	s_and_b32 s18, s14, s22
	v_cmp_le_u32_e32 vcc_lo, s81, v6
	v_cndmask_b32_e64 v7, 0, 1, s18
	s_and_b32 s18, s15, s23
	s_delay_alu instid0(SALU_CYCLE_1) | instskip(SKIP_1) | instid1(SALU_CYCLE_1)
	v_cndmask_b32_e64 v8, 0, 1, s18
	s_and_b32 s18, s16, s24
	v_cndmask_b32_e64 v9, 0, 1, s18
	s_and_b32 s18, s17, s25
	s_delay_alu instid0(VALU_DEP_2)
	v_cmp_ne_u32_e64 s19, 0, v8
	v_cndmask_b32_e64 v10, 0, 1, s18
	s_and_b32 s18, s14, s26
	s_and_b32 s14, s14, s30
	v_cndmask_b32_e64 v11, 0, 1, s18
	s_and_b32 s18, s15, s27
	v_cndmask_b32_e64 v15, 0, 1, s14
	;; [unrolled: 2-line block ×7, first 2 shown]
	v_cndmask_b32_e64 v24, 0, 1, s14
	v_cmp_ne_u32_e64 s14, 0, v2
	v_cmp_ne_u32_e64 s18, 0, v7
	;; [unrolled: 1-line block ×11, first 2 shown]
	s_bcnt1_i32_b32 s14, s14
	s_bcnt1_i32_b32 s18, s18
	;; [unrolled: 1-line block ×4, first 2 shown]
	v_cmp_ne_u32_e64 s17, 0, v5
	v_cmp_ne_u32_e64 s21, 0, v10
	v_cmp_ne_u32_e64 s25, 0, v14
	v_cmp_ne_u32_e64 s29, 0, v24
	s_bcnt1_i32_b32 s15, s15
	s_bcnt1_i32_b32 s19, s19
	s_bcnt1_i32_b32 s23, s23
	s_bcnt1_i32_b32 s27, s27
	s_add_co_i32 s14, s14, s103
	s_add_co_i32 s18, s18, s102
	s_add_co_i32 s22, s22, s101
	s_add_co_i32 s26, s26, s100
	s_bcnt1_i32_b32 s16, s16
	s_bcnt1_i32_b32 s20, s20
	s_bcnt1_i32_b32 s24, s24
	s_bcnt1_i32_b32 s28, s28
	s_add_co_i32 s14, s14, s15
	s_add_co_i32 s15, s18, s19
	s_add_co_i32 s18, s22, s23
	s_add_co_i32 s19, s26, s27
	;; [unrolled: 8-line block ×3, first 2 shown]
	s_add_co_i32 s103, s14, s17
	s_add_co_i32 s102, s15, s21
	;; [unrolled: 1-line block ×4, first 2 shown]
	v_dual_mov_b32 v2, s103 :: v_dual_mov_b32 v3, s102
	v_dual_mov_b32 v4, s101 :: v_dual_mov_b32 v5, s100
	s_or_b32 s98, vcc_lo, s98
	s_delay_alu instid0(SALU_CYCLE_1)
	s_and_not1_b32 exec_lo, exec_lo, s98
	s_cbranch_execnz .LBB26_73
; %bb.74:                               ;   in Loop: Header=BB26_15 Depth=1
	s_or_b32 exec_lo, exec_lo, s98
.LBB26_75:                              ;   in Loop: Header=BB26_15 Depth=1
	s_delay_alu instid0(SALU_CYCLE_1)
	s_or_b32 exec_lo, exec_lo, s97
	s_and_saveexec_b32 s18, s12
	s_cbranch_execz .LBB26_81
; %bb.76:                               ;   in Loop: Header=BB26_15 Depth=1
	global_load_u8 v9, v[26:27], off
	v_dual_mov_b32 v6, v37 :: v_dual_mov_b32 v7, v30
	s_mov_b32 s19, 0
	s_branch .LBB26_78
.LBB26_77:                              ;   in Loop: Header=BB26_78 Depth=2
	s_wait_xcnt 0x0
	s_or_b32 exec_lo, exec_lo, s15
	s_wait_loadcnt 0x0
	v_bfe_i32 v9, v9, 0, 8
	s_and_b32 s15, exec_lo, vcc_lo
	v_add_nc_u32_e32 v6, s56, v6
	s_or_b32 s19, s15, s19
	s_delay_alu instid0(VALU_DEP_2) | instskip(NEXT) | instid1(VALU_DEP_1)
	v_add_nc_u32_e32 v9, 0x80, v9
	v_and_b32_e32 v10, v9, v39
	v_bfe_u32 v9, v9, s84, 2
	s_delay_alu instid0(VALU_DEP_2) | instskip(NEXT) | instid1(VALU_DEP_2)
	v_cmp_eq_u32_e32 vcc_lo, v10, v32
	v_cmp_eq_u32_e64 s14, 0, v9
	v_cmp_eq_u32_e64 s15, 1, v9
	;; [unrolled: 1-line block ×4, first 2 shown]
	s_and_b32 s14, vcc_lo, s14
	s_delay_alu instid0(SALU_CYCLE_1) | instskip(SKIP_1) | instid1(SALU_CYCLE_1)
	v_cndmask_b32_e64 v9, 0, 1, s14
	s_and_b32 s14, vcc_lo, s15
	v_cndmask_b32_e64 v10, 0, 1, s14
	s_and_b32 s14, vcc_lo, s16
	s_delay_alu instid0(SALU_CYCLE_1)
	v_cndmask_b32_e64 v11, 0, 1, s14
	s_and_b32 s14, vcc_lo, s17
	v_cmp_ne_u32_e32 vcc_lo, 0, v9
	v_cndmask_b32_e64 v12, 0, 1, s14
	v_cmp_ne_u32_e64 s14, 0, v10
	v_cmp_ne_u32_e64 s15, 0, v11
	v_mov_b32_e32 v9, v8
	s_bcnt1_i32_b32 s17, vcc_lo
	v_cmp_ne_u32_e64 s16, 0, v12
	s_bcnt1_i32_b32 s14, s14
	s_bcnt1_i32_b32 s15, s15
	v_dual_add_nc_u32 v2, s17, v2 :: v_dual_add_nc_u32 v3, s14, v3
	s_bcnt1_i32_b32 s16, s16
	s_delay_alu instid0(SALU_CYCLE_1)
	v_dual_add_nc_u32 v4, s15, v4 :: v_dual_add_nc_u32 v5, s16, v5
	s_and_not1_b32 exec_lo, exec_lo, s19
	s_cbranch_execz .LBB26_80
.LBB26_78:                              ;   Parent Loop BB26_15 Depth=1
                                        ; =>  This Inner Loop Header: Depth=2
	s_delay_alu instid0(VALU_DEP_1) | instskip(SKIP_1) | instid1(VALU_DEP_1)
	v_dual_mov_b32 v8, 0 :: v_dual_add_nc_u32 v7, s40, v7
	s_mov_b32 s15, exec_lo
	v_cmp_le_u32_e32 vcc_lo, s36, v7
	s_wait_xcnt 0x0
	v_cmpx_gt_u32_e64 s36, v7
	s_cbranch_execz .LBB26_77
; %bb.79:                               ;   in Loop: Header=BB26_78 Depth=2
	global_load_u8 v8, v6, s[38:39]
	s_branch .LBB26_77
.LBB26_80:                              ;   in Loop: Header=BB26_15 Depth=1
	s_or_b32 exec_lo, exec_lo, s19
.LBB26_81:                              ;   in Loop: Header=BB26_15 Depth=1
	s_delay_alu instid0(SALU_CYCLE_1)
	s_or_b32 exec_lo, exec_lo, s18
	s_branch .LBB26_60
.LBB26_82:                              ;   in Loop: Header=BB26_15 Depth=1
	s_mul_u64 s[14:15], s[46:47], s[48:49]
	v_dual_mov_b32 v2, 0 :: v_dual_mov_b32 v3, 0
	s_mul_i32 s14, s15, s61
	v_dual_mov_b32 v4, 0 :: v_dual_mov_b32 v5, 0
	s_sub_co_i32 s14, s46, s14
	s_mov_b32 s98, exec_lo
	s_sub_co_i32 s15, s14, s61
	s_cmp_ge_u32 s14, s61
	s_cselect_b32 s14, s15, s14
	s_delay_alu instid0(SALU_CYCLE_1) | instskip(SKIP_2) | instid1(SALU_CYCLE_1)
	s_sub_co_i32 s15, s14, s61
	s_cmp_ge_u32 s14, s61
	s_cselect_b32 s14, s15, s14
	s_sub_co_i32 s97, s46, s14
	s_delay_alu instid0(SALU_CYCLE_1)
	v_cmpx_gt_u32_e64 s97, v1
	s_cbranch_execz .LBB26_86
; %bb.83:                               ;   in Loop: Header=BB26_15 Depth=1
	v_mov_b32_e32 v6, v1
	s_mov_b32 s99, 0
	s_mov_b32 s100, 0
	;; [unrolled: 1-line block ×5, first 2 shown]
.LBB26_84:                              ;   Parent Loop BB26_15 Depth=1
                                        ; =>  This Inner Loop Header: Depth=2
	ds_load_b32 v2, v6
	s_wait_dscnt 0x0
	v_bfe_i32 v3, v2, 0, 8
	v_bfe_i32 v4, v2, 8, 8
	;; [unrolled: 1-line block ×3, first 2 shown]
	s_delay_alu instid0(VALU_DEP_3) | instskip(NEXT) | instid1(VALU_DEP_3)
	v_add_nc_u32_e32 v3, 0x80, v3
	v_add_nc_u32_e32 v4, 0x80, v4
	v_ashrrev_i32_e32 v2, 24, v2
	s_delay_alu instid0(VALU_DEP_4) | instskip(NEXT) | instid1(VALU_DEP_4)
	v_add_nc_u32_e32 v5, 0x80, v5
	v_dual_add_nc_u32 v6, s61, v6 :: v_dual_bitop2_b32 v7, v3, v39 bitop3:0x40
	v_bfe_u32 v3, v3, s84, 2
	v_and_b32_e32 v8, v4, v39
	v_add_nc_u32_e32 v2, 0x80, v2
	v_bfe_u32 v4, v4, s84, 2
	v_and_b32_e32 v9, v5, v39
	v_bfe_u32 v5, v5, s84, 2
	v_cmp_eq_u32_e64 s14, v7, v32
	v_cmp_eq_u32_e64 s18, 0, v3
	v_and_b32_e32 v10, v2, v39
	v_bfe_u32 v2, v2, s84, 2
	v_cmp_eq_u32_e64 s15, v8, v32
	v_cmp_eq_u32_e64 s19, 0, v4
	;; [unrolled: 1-line block ×4, first 2 shown]
	s_and_b32 s18, s14, s18
	v_cmp_eq_u32_e64 s17, v10, v32
	v_cmp_eq_u32_e64 s21, 0, v2
	;; [unrolled: 1-line block ×5, first 2 shown]
	v_cndmask_b32_e64 v2, 0, 1, s18
	s_and_b32 s18, s15, s19
	v_cmp_eq_u32_e64 s22, 1, v3
	v_cmp_eq_u32_e64 s26, 2, v3
	v_cmp_eq_u32_e64 s30, 3, v3
	v_cndmask_b32_e64 v3, 0, 1, s18
	s_and_b32 s18, s16, s20
	v_cmp_eq_u32_e64 s23, 1, v4
	v_cmp_eq_u32_e64 s27, 2, v4
	v_cmp_eq_u32_e64 s31, 3, v4
	;; [unrolled: 5-line block ×3, first 2 shown]
	v_cndmask_b32_e64 v5, 0, 1, s18
	s_and_b32 s18, s14, s22
	v_cmp_le_u32_e32 vcc_lo, s97, v6
	v_cndmask_b32_e64 v7, 0, 1, s18
	s_and_b32 s18, s15, s23
	s_delay_alu instid0(SALU_CYCLE_1) | instskip(SKIP_1) | instid1(SALU_CYCLE_1)
	v_cndmask_b32_e64 v8, 0, 1, s18
	s_and_b32 s18, s16, s24
	v_cndmask_b32_e64 v9, 0, 1, s18
	s_and_b32 s18, s17, s25
	s_delay_alu instid0(VALU_DEP_2)
	v_cmp_ne_u32_e64 s19, 0, v8
	v_cndmask_b32_e64 v10, 0, 1, s18
	s_and_b32 s18, s14, s26
	s_and_b32 s14, s14, s30
	v_cndmask_b32_e64 v11, 0, 1, s18
	s_and_b32 s18, s15, s27
	v_cndmask_b32_e64 v15, 0, 1, s14
	;; [unrolled: 2-line block ×7, first 2 shown]
	v_cndmask_b32_e64 v24, 0, 1, s14
	v_cmp_ne_u32_e64 s14, 0, v2
	v_cmp_ne_u32_e64 s18, 0, v7
	;; [unrolled: 1-line block ×11, first 2 shown]
	s_bcnt1_i32_b32 s14, s14
	s_bcnt1_i32_b32 s18, s18
	;; [unrolled: 1-line block ×4, first 2 shown]
	v_cmp_ne_u32_e64 s17, 0, v5
	v_cmp_ne_u32_e64 s21, 0, v10
	;; [unrolled: 1-line block ×4, first 2 shown]
	s_bcnt1_i32_b32 s15, s15
	s_bcnt1_i32_b32 s19, s19
	s_bcnt1_i32_b32 s23, s23
	s_bcnt1_i32_b32 s27, s27
	s_add_co_i32 s14, s14, s103
	s_add_co_i32 s18, s18, s102
	s_add_co_i32 s22, s22, s101
	s_add_co_i32 s26, s26, s100
	s_bcnt1_i32_b32 s16, s16
	s_bcnt1_i32_b32 s20, s20
	s_bcnt1_i32_b32 s24, s24
	s_bcnt1_i32_b32 s28, s28
	s_add_co_i32 s14, s14, s15
	s_add_co_i32 s15, s18, s19
	s_add_co_i32 s18, s22, s23
	s_add_co_i32 s19, s26, s27
	s_bcnt1_i32_b32 s17, s17
	s_bcnt1_i32_b32 s21, s21
	s_bcnt1_i32_b32 s25, s25
	s_bcnt1_i32_b32 s29, s29
	s_add_co_i32 s14, s14, s16
	s_add_co_i32 s15, s15, s20
	s_add_co_i32 s16, s18, s24
	s_add_co_i32 s18, s19, s28
	s_add_co_i32 s103, s14, s17
	s_add_co_i32 s102, s15, s21
	;; [unrolled: 1-line block ×4, first 2 shown]
	v_dual_mov_b32 v2, s103 :: v_dual_mov_b32 v3, s102
	v_dual_mov_b32 v4, s101 :: v_dual_mov_b32 v5, s100
	s_or_b32 s99, vcc_lo, s99
	s_delay_alu instid0(SALU_CYCLE_1)
	s_and_not1_b32 exec_lo, exec_lo, s99
	s_cbranch_execnz .LBB26_84
; %bb.85:                               ;   in Loop: Header=BB26_15 Depth=1
	s_or_b32 exec_lo, exec_lo, s99
.LBB26_86:                              ;   in Loop: Header=BB26_15 Depth=1
	s_delay_alu instid0(SALU_CYCLE_1) | instskip(SKIP_2) | instid1(VALU_DEP_1)
	s_or_b32 exec_lo, exec_lo, s98
	v_add_nc_u32_e32 v6, s97, v0
	s_mov_b32 s19, exec_lo
	v_cmpx_gt_u32_e64 s46, v6
	s_cbranch_execz .LBB26_90
; %bb.87:                               ;   in Loop: Header=BB26_15 Depth=1
	s_mov_b32 s20, 0
.LBB26_88:                              ;   Parent Loop BB26_15 Depth=1
                                        ; =>  This Inner Loop Header: Depth=2
	ds_load_i8 v7, v6
	s_wait_dscnt 0x0
	v_add_nc_u32_e32 v7, 0x80, v7
	s_delay_alu instid0(VALU_DEP_1) | instskip(SKIP_1) | instid1(VALU_DEP_2)
	v_dual_add_nc_u32 v6, s40, v6 :: v_dual_bitop2_b32 v8, v7, v39 bitop3:0x40
	v_bfe_u32 v7, v7, s84, 2
	v_cmp_le_u32_e32 vcc_lo, s46, v6
	s_delay_alu instid0(VALU_DEP_3) | instskip(NEXT) | instid1(VALU_DEP_3)
	v_cmp_eq_u32_e64 s14, v8, v32
	v_cmp_eq_u32_e64 s15, 0, v7
	;; [unrolled: 1-line block ×5, first 2 shown]
	s_and_b32 s15, s14, s15
	s_delay_alu instid0(SALU_CYCLE_1) | instskip(SKIP_1) | instid1(SALU_CYCLE_1)
	v_cndmask_b32_e64 v7, 0, 1, s15
	s_and_b32 s15, s14, s16
	v_cndmask_b32_e64 v8, 0, 1, s15
	s_and_b32 s15, s14, s17
	s_and_b32 s14, s14, s18
	v_cndmask_b32_e64 v9, 0, 1, s15
	v_cndmask_b32_e64 v10, 0, 1, s14
	v_cmp_ne_u32_e64 s14, 0, v7
	v_cmp_ne_u32_e64 s15, 0, v8
	s_delay_alu instid0(VALU_DEP_4) | instskip(NEXT) | instid1(VALU_DEP_4)
	v_cmp_ne_u32_e64 s16, 0, v9
	v_cmp_ne_u32_e64 s17, 0, v10
	s_bcnt1_i32_b32 s14, s14
	s_bcnt1_i32_b32 s15, s15
	s_delay_alu instid0(SALU_CYCLE_1) | instskip(SKIP_2) | instid1(SALU_CYCLE_1)
	v_dual_add_nc_u32 v2, s14, v2 :: v_dual_add_nc_u32 v3, s15, v3
	s_bcnt1_i32_b32 s16, s16
	s_bcnt1_i32_b32 s17, s17
	v_dual_add_nc_u32 v4, s16, v4 :: v_dual_add_nc_u32 v5, s17, v5
	s_or_b32 s20, vcc_lo, s20
	s_delay_alu instid0(SALU_CYCLE_1)
	s_and_not1_b32 exec_lo, exec_lo, s20
	s_cbranch_execnz .LBB26_88
; %bb.89:                               ;   in Loop: Header=BB26_15 Depth=1
	s_or_b32 exec_lo, exec_lo, s20
.LBB26_90:                              ;   in Loop: Header=BB26_15 Depth=1
	s_delay_alu instid0(SALU_CYCLE_1)
	s_or_b32 exec_lo, exec_lo, s19
	s_lshl_b32 s16, s87, 7
	s_and_saveexec_b32 s14, s2
	s_cbranch_execnz .LBB26_61
	s_branch .LBB26_62
.LBB26_91:                              ;   in Loop: Header=BB26_15 Depth=1
	v_mov_b32_e32 v2, 0
	s_mov_b32 s14, 0
	s_cbranch_execz .LBB26_94
.LBB26_92:                              ;   in Loop: Header=BB26_15 Depth=1
	s_lshl_b32 s15, s87, 9
	s_lshl_b32 s18, s14, 4
	s_sub_co_i32 s14, s66, s14
	v_add3_u32 v3, s15, s18, v38
.LBB26_93:                              ;   Parent Loop BB26_15 Depth=1
                                        ; =>  This Inner Loop Header: Depth=2
	ds_load_b32 v5, v3
	v_add_nc_u32_e32 v3, 16, v3
	s_add_co_i32 s14, s14, -1
	s_delay_alu instid0(SALU_CYCLE_1)
	s_cmp_eq_u32 s14, 0
	s_wait_dscnt 0x0
	v_add_nc_u32_e32 v2, v5, v2
	s_cbranch_scc0 .LBB26_93
.LBB26_94:                              ;   in Loop: Header=BB26_15 Depth=1
	s_delay_alu instid0(VALU_DEP_1)
	v_lshlrev_b32_e32 v3, 2, v4
	ds_store_b32 v3, v2 offset:3072
.LBB26_95:                              ;   in Loop: Header=BB26_15 Depth=1
	s_or_b32 exec_lo, exec_lo, s17
	s_lshl_b32 s14, s16, 2
	s_wait_dscnt 0x0
	v_mov_b32_e32 v2, s14
	s_barrier_signal -1
	s_barrier_wait -1
	v_cmp_eq_u32_e64 s14, 1, v41
	ds_load_b128 v[2:5], v2 offset:3072
	s_lshl_b32 s18, 3, s84
	s_mov_b32 s26, -1
	s_not_b32 s19, s18
	s_mov_b32 s16, 0
	s_and_not1_b32 vcc_lo, exec_lo, s60
	s_mov_b32 s23, 0
	s_mov_b32 s15, 0
                                        ; implicit-def: $sgpr24
                                        ; implicit-def: $sgpr25
                                        ; implicit-def: $vgpr6
	s_wait_dscnt 0x0
	v_readfirstlane_b32 s17, v2
	v_readfirstlane_b32 s20, v3
	;; [unrolled: 1-line block ×4, first 2 shown]
                                        ; implicit-def: $vgpr5
                                        ; implicit-def: $vgpr2
                                        ; implicit-def: $vgpr3
                                        ; implicit-def: $vgpr4
	s_cbranch_vccnz .LBB26_254
; %bb.96:                               ;   in Loop: Header=BB26_15 Depth=1
	s_cmp_eq_u32 s17, 1
	v_dual_mov_b32 v3, v32 :: v_dual_mov_b32 v4, v39
	v_mov_b32_e32 v6, v40
	s_cselect_b32 s15, -1, 0
	s_mov_b32 s29, -1
	s_and_b32 s28, s15, s14
                                        ; implicit-def: $sgpr25
                                        ; implicit-def: $sgpr24
	s_delay_alu instid0(SALU_CYCLE_1)
	s_and_saveexec_b32 s15, s28
	s_cbranch_execz .LBB26_123
; %bb.97:                               ;   in Loop: Header=BB26_15 Depth=1
	ds_load_b32 v2, v25 offset:4096
	s_wait_dscnt 0x0
	s_barrier_signal -1
	s_barrier_wait -1
	v_readfirstlane_b32 s26, v2
	s_and_saveexec_b32 s23, s6
; %bb.98:                               ;   in Loop: Header=BB26_15 Depth=1
	ds_store_b8 v0, v25 offset:3072
; %bb.99:                               ;   in Loop: Header=BB26_15 Depth=1
	s_or_b32 exec_lo, exec_lo, s23
	v_and_b32_e32 v3, s19, v32
	v_or_b32_e32 v4, s18, v39
	s_mov_b32 s24, -1
	s_mov_b32 s25, 0
	s_cmp_eq_u32 s26, 0
	s_mov_b32 s23, 0
	s_mov_b32 s27, -1
	s_wait_dscnt 0x0
	s_barrier_signal -1
	s_barrier_wait -1
                                        ; implicit-def: $vgpr6
	s_cbranch_scc1 .LBB26_110
; %bb.100:                              ;   in Loop: Header=BB26_15 Depth=1
	s_add_co_i32 s46, s26, s65
	s_mov_b32 s29, exec_lo
	s_mul_u64 s[30:31], s[46:47], s[50:51]
                                        ; implicit-def: $vgpr6
	s_delay_alu instid0(SALU_CYCLE_1) | instskip(NEXT) | instid1(SALU_CYCLE_1)
	s_mul_i32 s23, s31, s40
	s_sub_co_i32 s23, s46, s23
	s_delay_alu instid0(SALU_CYCLE_1) | instskip(SKIP_2) | instid1(SALU_CYCLE_1)
	s_sub_co_i32 s27, s23, s40
	s_cmp_ge_u32 s23, s40
	s_cselect_b32 s23, s27, s23
	s_sub_co_i32 s27, s23, s40
	s_cmp_ge_u32 s23, s40
	s_cselect_b32 s23, s27, s23
	s_mov_b32 s27, 0
	s_sub_co_i32 s30, s46, s23
	s_mov_b32 s23, 0
	v_cmpx_gt_u32_e64 s30, v0
	s_cbranch_execz .LBB26_109
; %bb.101:                              ;   in Loop: Header=BB26_15 Depth=1
	v_mov_b32_e32 v2, v0
                                        ; implicit-def: $sgpr31
	s_branch .LBB26_104
.LBB26_102:                             ;   in Loop: Header=BB26_104 Depth=2
	s_or_b32 exec_lo, exec_lo, s33
	s_wait_dscnt 0x0
	s_barrier_signal -1
	s_barrier_wait -1
	ds_load_u16 v5, v25 offset:3072
	s_mov_b32 s34, -1
	s_mov_b32 s33, -1
	s_wait_dscnt 0x0
	s_barrier_signal -1
	s_barrier_wait -1
	v_and_b32_e32 v6, 0xff, v5
	s_delay_alu instid0(VALU_DEP_1)
	v_cmp_ne_u32_e32 vcc_lo, 0, v6
	s_cbranch_vccz .LBB26_107
.LBB26_103:                             ;   in Loop: Header=BB26_104 Depth=2
	s_and_b32 s34, exec_lo, s34
	s_delay_alu instid0(SALU_CYCLE_1) | instskip(SKIP_2) | instid1(SALU_CYCLE_1)
	s_or_b32 s23, s34, s23
	s_and_not1_b32 s31, s31, exec_lo
	s_and_b32 s33, s33, exec_lo
	s_or_b32 s31, s31, s33
	s_and_not1_b32 exec_lo, exec_lo, s23
	s_cbranch_execz .LBB26_108
.LBB26_104:                             ;   Parent Loop BB26_15 Depth=1
                                        ; =>  This Inner Loop Header: Depth=2
	s_mov_b32 s33, exec_lo
	s_delay_alu instid0(VALU_DEP_1)
	v_cmpx_gt_u32_e64 s26, v2
	s_cbranch_execz .LBB26_102
; %bb.105:                              ;   in Loop: Header=BB26_104 Depth=2
	ds_load_u8 v5, v2
	s_wait_dscnt 0x0
	v_bfe_i32 v6, v5, 0, 8
	s_delay_alu instid0(VALU_DEP_1) | instskip(NEXT) | instid1(VALU_DEP_1)
	v_add_nc_u32_e32 v6, 0x80, v6
	v_and_b32_e32 v6, v6, v4
	s_delay_alu instid0(VALU_DEP_1)
	v_cmp_eq_u32_e32 vcc_lo, v6, v3
	s_and_b32 exec_lo, exec_lo, vcc_lo
	s_cbranch_execz .LBB26_102
; %bb.106:                              ;   in Loop: Header=BB26_104 Depth=2
	v_lshlrev_b16 v5, 8, v5
	s_delay_alu instid0(VALU_DEP_1)
	v_or_b32_e32 v5, 1, v5
	ds_store_b16 v25, v5 offset:3072
	s_branch .LBB26_102
.LBB26_107:                             ;   in Loop: Header=BB26_104 Depth=2
	v_add_nc_u32_e32 v2, s40, v2
	s_mov_b32 s33, 0
	s_delay_alu instid0(VALU_DEP_1)
	v_cmp_le_u32_e32 vcc_lo, s30, v2
	s_or_not1_b32 s34, vcc_lo, exec_lo
	s_branch .LBB26_103
.LBB26_108:                             ;   in Loop: Header=BB26_15 Depth=1
	s_or_b32 exec_lo, exec_lo, s23
	v_and_b32_e32 v2, 0xffff, v5
	s_and_b32 s23, s31, exec_lo
	s_delay_alu instid0(VALU_DEP_1)
	v_lshrrev_b32_e32 v6, 8, v2
.LBB26_109:                             ;   in Loop: Header=BB26_15 Depth=1
	s_or_b32 exec_lo, exec_lo, s29
.LBB26_110:                             ;   in Loop: Header=BB26_15 Depth=1
	s_delay_alu instid0(SALU_CYCLE_1)
	s_and_b32 vcc_lo, exec_lo, s27
	s_cbranch_vccz .LBB26_122
; %bb.111:                              ;   in Loop: Header=BB26_15 Depth=1
                                        ; implicit-def: $vgpr6
	s_and_saveexec_b32 s24, s13
	s_cbranch_execz .LBB26_121
; %bb.112:                              ;   in Loop: Header=BB26_15 Depth=1
	v_dual_mov_b32 v2, v22 :: v_dual_mov_b32 v5, v0
	s_mov_b32 s26, 0
                                        ; implicit-def: $sgpr25
	s_branch .LBB26_115
.LBB26_113:                             ;   in Loop: Header=BB26_115 Depth=2
	s_or_b32 exec_lo, exec_lo, s27
	s_wait_dscnt 0x0
	s_barrier_signal -1
	s_barrier_wait -1
	ds_load_u16 v6, v25 offset:3072
	s_mov_b32 s27, -1
	s_mov_b32 s29, -1
	s_wait_dscnt 0x0
	s_barrier_signal -1
	s_barrier_wait -1
	v_and_b32_e32 v7, 0xff, v6
	s_delay_alu instid0(VALU_DEP_1)
	v_cmp_ne_u32_e32 vcc_lo, 0, v7
	s_cbranch_vccz .LBB26_118
.LBB26_114:                             ;   in Loop: Header=BB26_115 Depth=2
	s_and_b32 s27, exec_lo, s27
	s_delay_alu instid0(SALU_CYCLE_1) | instskip(SKIP_2) | instid1(SALU_CYCLE_1)
	s_or_b32 s26, s27, s26
	s_and_not1_b32 s25, s25, exec_lo
	s_and_b32 s27, s29, exec_lo
	s_or_b32 s25, s25, s27
	s_and_not1_b32 exec_lo, exec_lo, s26
	s_cbranch_execz .LBB26_120
.LBB26_115:                             ;   Parent Loop BB26_15 Depth=1
                                        ; =>  This Inner Loop Header: Depth=2
	s_mov_b32 s27, exec_lo
	s_delay_alu instid0(VALU_DEP_1)
	v_cmpx_gt_u32_e64 s36, v5
	s_cbranch_execz .LBB26_113
; %bb.116:                              ;   in Loop: Header=BB26_115 Depth=2
	global_load_u8 v6, v2, s[38:39]
	s_wait_loadcnt 0x0
	v_bfe_i32 v7, v6, 0, 8
	s_delay_alu instid0(VALU_DEP_1) | instskip(NEXT) | instid1(VALU_DEP_1)
	v_add_nc_u32_e32 v7, 0x80, v7
	v_and_b32_e32 v7, v7, v4
	s_delay_alu instid0(VALU_DEP_1)
	v_cmp_eq_u32_e32 vcc_lo, v7, v3
	s_and_b32 exec_lo, exec_lo, vcc_lo
	s_cbranch_execz .LBB26_113
; %bb.117:                              ;   in Loop: Header=BB26_115 Depth=2
	v_lshlrev_b16 v6, 8, v6
	s_delay_alu instid0(VALU_DEP_1)
	v_or_b32_e32 v6, 1, v6
	ds_store_b16 v25, v6 offset:3072
	s_branch .LBB26_113
.LBB26_118:                             ;   in Loop: Header=BB26_115 Depth=2
	v_dual_add_nc_u32 v5, s40, v5 :: v_dual_add_nc_u32 v2, s56, v2
	s_mov_b32 s29, 0
	s_delay_alu instid0(VALU_DEP_1)
	v_cmp_le_u32_e32 vcc_lo, s82, v5
	s_or_not1_b32 s27, vcc_lo, exec_lo
	s_branch .LBB26_114
.LBB26_119:                             ;   in Loop: Header=BB26_15 Depth=1
	s_mov_b64 s[14:15], 0x100000000
	v_mov_b64_e32 v[2:3], 0
	s_and_not1_b32 vcc_lo, exec_lo, s73
	s_mov_b32 s18, s69
	s_cbranch_vccz .LBB26_69
	s_branch .LBB26_70
.LBB26_120:                             ;   in Loop: Header=BB26_15 Depth=1
	s_or_b32 exec_lo, exec_lo, s26
	v_and_b32_e32 v2, 0xffff, v6
	s_and_not1_b32 s23, s23, exec_lo
	s_and_b32 s25, s25, exec_lo
	s_delay_alu instid0(SALU_CYCLE_1) | instskip(NEXT) | instid1(VALU_DEP_1)
	s_or_b32 s23, s23, s25
	v_lshrrev_b32_e32 v6, 8, v2
.LBB26_121:                             ;   in Loop: Header=BB26_15 Depth=1
	s_or_b32 exec_lo, exec_lo, s24
	s_mov_b32 s24, 0
	s_mov_b32 s25, -1
.LBB26_122:                             ;   in Loop: Header=BB26_15 Depth=1
	s_or_not1_b32 s29, s23, exec_lo
.LBB26_123:                             ;   in Loop: Header=BB26_15 Depth=1
	s_or_b32 exec_lo, exec_lo, s15
	s_mov_b32 s26, 0
	s_mov_b32 s23, 0
	;; [unrolled: 1-line block ×3, first 2 shown]
                                        ; implicit-def: $vgpr5
                                        ; implicit-def: $vgpr2
	s_and_saveexec_b32 s27, s29
	s_cbranch_execz .LBB26_253
; %bb.124:                              ;   in Loop: Header=BB26_15 Depth=1
	v_dual_mov_b32 v5, 1 :: v_dual_mov_b32 v2, 1
	s_xor_b32 s23, s28, -1
	s_mov_b32 s30, 0
	s_and_saveexec_b32 s15, s23
	s_cbranch_execz .LBB26_133
; %bb.125:                              ;   in Loop: Header=BB26_15 Depth=1
	s_mov_b32 s23, exec_lo
	v_cmpx_ge_u32_e64 s17, v41
	s_xor_b32 s23, exec_lo, s23
	s_cbranch_execz .LBB26_130
; %bb.126:                              ;   in Loop: Header=BB26_15 Depth=1
	ds_load_b32 v2, v25 offset:4096
	v_and_b32_e32 v3, s19, v3
	v_or_b32_e32 v4, s18, v4
	s_wait_dscnt 0x0
	v_cmp_ne_u32_e32 vcc_lo, 0, v2
	s_cbranch_vccnz .LBB26_130
; %bb.127:                              ;   in Loop: Header=BB26_15 Depth=1
	s_and_saveexec_b32 s28, s5
; %bb.128:                              ;   in Loop: Header=BB26_15 Depth=1
	v_mov_b32_e32 v2, s17
	ds_store_b32 v25, v2 offset:4100
; %bb.129:                              ;   in Loop: Header=BB26_15 Depth=1
	s_or_b32 exec_lo, exec_lo, s28
	s_wait_dscnt 0x0
	s_barrier_signal -1
	s_barrier_wait -1
.LBB26_130:                             ;   in Loop: Header=BB26_15 Depth=1
	s_or_saveexec_b32 s23, s23
	v_dual_mov_b32 v2, 8 :: v_dual_mov_b32 v5, v41
	s_mov_b32 s28, 0
	s_xor_b32 exec_lo, exec_lo, s23
; %bb.131:                              ;   in Loop: Header=BB26_15 Depth=1
	v_subrev_nc_u32_e32 v5, s17, v41
	v_mov_b32_e32 v2, 0
	s_mov_b32 s28, exec_lo
; %bb.132:                              ;   in Loop: Header=BB26_15 Depth=1
	s_or_b32 exec_lo, exec_lo, s23
	s_delay_alu instid0(SALU_CYCLE_1)
	s_and_b32 s30, s28, exec_lo
.LBB26_133:                             ;   in Loop: Header=BB26_15 Depth=1
	s_or_b32 exec_lo, exec_lo, s15
	s_mov_b32 s29, -1
                                        ; implicit-def: $sgpr23
                                        ; implicit-def: $sgpr28
	s_and_saveexec_b32 s15, s30
	s_delay_alu instid0(SALU_CYCLE_1)
	s_xor_b32 s15, exec_lo, s15
	s_cbranch_execz .LBB26_250
; %bb.134:                              ;   in Loop: Header=BB26_15 Depth=1
	v_cmp_eq_u32_e32 vcc_lo, 1, v5
	s_cmp_eq_u32 s20, 1
	s_mov_b32 s31, -1
	s_cselect_b32 s23, -1, 0
                                        ; implicit-def: $sgpr28
	s_delay_alu instid0(SALU_CYCLE_1) | instskip(NEXT) | instid1(SALU_CYCLE_1)
	s_and_b32 s30, s23, vcc_lo
                                        ; implicit-def: $sgpr23
	s_and_saveexec_b32 s29, s30
	s_cbranch_execz .LBB26_160
; %bb.135:                              ;   in Loop: Header=BB26_15 Depth=1
	ds_load_b32 v6, v25 offset:4096
	s_wait_dscnt 0x0
	s_barrier_signal -1
	s_barrier_wait -1
	v_readfirstlane_b32 s33, v6
	s_and_saveexec_b32 s23, s6
; %bb.136:                              ;   in Loop: Header=BB26_15 Depth=1
	ds_store_b8 v0, v25 offset:3072
; %bb.137:                              ;   in Loop: Header=BB26_15 Depth=1
	s_or_b32 exec_lo, exec_lo, s23
	s_lshl_b32 s23, 1, s84
	v_or_b32_e32 v4, s18, v4
	v_and_or_b32 v3, v3, s19, s23
	s_mov_b32 s23, -1
	s_mov_b32 s28, 0
	s_cmp_eq_u32 s33, 0
	s_mov_b32 s31, 0
	s_mov_b32 s34, -1
	s_wait_dscnt 0x0
	s_barrier_signal -1
	s_barrier_wait -1
                                        ; implicit-def: $vgpr6
	s_cbranch_scc1 .LBB26_148
; %bb.138:                              ;   in Loop: Header=BB26_15 Depth=1
	s_add_co_i32 s46, s33, s65
                                        ; implicit-def: $vgpr6
	s_delay_alu instid0(SALU_CYCLE_1) | instskip(NEXT) | instid1(SALU_CYCLE_1)
	s_mul_u64 s[42:43], s[46:47], s[50:51]
	s_mul_i32 s31, s43, s40
	s_delay_alu instid0(SALU_CYCLE_1) | instskip(NEXT) | instid1(SALU_CYCLE_1)
	s_sub_co_i32 s31, s46, s31
	s_sub_co_i32 s34, s31, s40
	s_cmp_ge_u32 s31, s40
	s_cselect_b32 s31, s34, s31
	s_delay_alu instid0(SALU_CYCLE_1)
	s_sub_co_i32 s34, s31, s40
	s_cmp_ge_u32 s31, s40
	s_cselect_b32 s31, s34, s31
	s_mov_b32 s34, 0
	s_sub_co_i32 s97, s46, s31
	s_mov_b32 s31, 0
	s_mov_b32 s46, exec_lo
	v_cmpx_gt_u32_e64 s97, v0
	s_cbranch_execz .LBB26_147
; %bb.139:                              ;   in Loop: Header=BB26_15 Depth=1
	v_mov_b32_e32 v6, v0
                                        ; implicit-def: $sgpr98
	s_branch .LBB26_142
.LBB26_140:                             ;   in Loop: Header=BB26_142 Depth=2
	s_or_b32 exec_lo, exec_lo, s58
	s_wait_dscnt 0x0
	s_barrier_signal -1
	s_barrier_wait -1
	ds_load_u16 v7, v25 offset:3072
	s_mov_b32 s43, -1
	s_mov_b32 s42, -1
	s_wait_dscnt 0x0
	s_barrier_signal -1
	s_barrier_wait -1
	v_and_b32_e32 v8, 0xff, v7
	s_delay_alu instid0(VALU_DEP_1)
	v_cmp_ne_u32_e32 vcc_lo, 0, v8
	s_cbranch_vccz .LBB26_145
.LBB26_141:                             ;   in Loop: Header=BB26_142 Depth=2
	s_and_b32 s43, exec_lo, s43
	s_delay_alu instid0(SALU_CYCLE_1) | instskip(SKIP_2) | instid1(SALU_CYCLE_1)
	s_or_b32 s31, s43, s31
	s_and_not1_b32 s43, s98, exec_lo
	s_and_b32 s42, s42, exec_lo
	s_or_b32 s98, s43, s42
	s_and_not1_b32 exec_lo, exec_lo, s31
	s_cbranch_execz .LBB26_146
.LBB26_142:                             ;   Parent Loop BB26_15 Depth=1
                                        ; =>  This Inner Loop Header: Depth=2
	s_mov_b32 s58, exec_lo
	s_delay_alu instid0(VALU_DEP_1)
	v_cmpx_gt_u32_e64 s33, v6
	s_cbranch_execz .LBB26_140
; %bb.143:                              ;   in Loop: Header=BB26_142 Depth=2
	ds_load_u8 v7, v6
	s_wait_dscnt 0x0
	v_bfe_i32 v8, v7, 0, 8
	s_delay_alu instid0(VALU_DEP_1) | instskip(NEXT) | instid1(VALU_DEP_1)
	v_add_nc_u32_e32 v8, 0x80, v8
	v_and_b32_e32 v8, v8, v4
	s_delay_alu instid0(VALU_DEP_1)
	v_cmp_eq_u32_e32 vcc_lo, v8, v3
	s_and_b32 exec_lo, exec_lo, vcc_lo
	s_cbranch_execz .LBB26_140
; %bb.144:                              ;   in Loop: Header=BB26_142 Depth=2
	v_lshlrev_b16 v7, 8, v7
	s_delay_alu instid0(VALU_DEP_1)
	v_or_b32_e32 v7, 1, v7
	ds_store_b16 v25, v7 offset:3072
	s_branch .LBB26_140
.LBB26_145:                             ;   in Loop: Header=BB26_142 Depth=2
	v_add_nc_u32_e32 v6, s40, v6
	s_mov_b32 s42, 0
	s_delay_alu instid0(VALU_DEP_1)
	v_cmp_le_u32_e32 vcc_lo, s97, v6
	s_or_not1_b32 s43, vcc_lo, exec_lo
	s_branch .LBB26_141
.LBB26_146:                             ;   in Loop: Header=BB26_15 Depth=1
	s_or_b32 exec_lo, exec_lo, s31
	v_and_b32_e32 v6, 0xffff, v7
	s_and_b32 s31, s98, exec_lo
	s_delay_alu instid0(VALU_DEP_1)
	v_lshrrev_b32_e32 v6, 8, v6
.LBB26_147:                             ;   in Loop: Header=BB26_15 Depth=1
	s_or_b32 exec_lo, exec_lo, s46
.LBB26_148:                             ;   in Loop: Header=BB26_15 Depth=1
	s_delay_alu instid0(SALU_CYCLE_1)
	s_and_b32 vcc_lo, exec_lo, s34
	s_cbranch_vccz .LBB26_159
; %bb.149:                              ;   in Loop: Header=BB26_15 Depth=1
                                        ; implicit-def: $vgpr6
	s_and_saveexec_b32 s23, s13
	s_cbranch_execz .LBB26_158
; %bb.150:                              ;   in Loop: Header=BB26_15 Depth=1
	v_dual_mov_b32 v6, v22 :: v_dual_mov_b32 v7, v0
	s_mov_b32 s28, 0
                                        ; implicit-def: $sgpr33
	s_branch .LBB26_153
.LBB26_151:                             ;   in Loop: Header=BB26_153 Depth=2
	s_or_b32 exec_lo, exec_lo, s34
	s_wait_dscnt 0x0
	s_barrier_signal -1
	s_barrier_wait -1
	ds_load_u16 v8, v25 offset:3072
	s_mov_b32 s34, -1
	s_mov_b32 s42, -1
	s_wait_dscnt 0x0
	s_barrier_signal -1
	s_barrier_wait -1
	v_and_b32_e32 v9, 0xff, v8
	s_delay_alu instid0(VALU_DEP_1)
	v_cmp_eq_u32_e32 vcc_lo, 0, v9
	s_cbranch_vccnz .LBB26_156
.LBB26_152:                             ;   in Loop: Header=BB26_153 Depth=2
	s_and_b32 s34, exec_lo, s34
	s_delay_alu instid0(SALU_CYCLE_1) | instskip(SKIP_2) | instid1(SALU_CYCLE_1)
	s_or_b32 s28, s34, s28
	s_and_not1_b32 s33, s33, exec_lo
	s_and_b32 s34, s42, exec_lo
	s_or_b32 s33, s33, s34
	s_and_not1_b32 exec_lo, exec_lo, s28
	s_cbranch_execz .LBB26_157
.LBB26_153:                             ;   Parent Loop BB26_15 Depth=1
                                        ; =>  This Inner Loop Header: Depth=2
	s_mov_b32 s34, exec_lo
	s_delay_alu instid0(VALU_DEP_1)
	v_cmpx_gt_u32_e64 s36, v7
	s_cbranch_execz .LBB26_151
; %bb.154:                              ;   in Loop: Header=BB26_153 Depth=2
	global_load_u8 v8, v6, s[38:39]
	s_wait_loadcnt 0x0
	v_bfe_i32 v9, v8, 0, 8
	s_delay_alu instid0(VALU_DEP_1) | instskip(NEXT) | instid1(VALU_DEP_1)
	v_add_nc_u32_e32 v9, 0x80, v9
	v_and_b32_e32 v9, v9, v4
	s_delay_alu instid0(VALU_DEP_1)
	v_cmp_eq_u32_e32 vcc_lo, v9, v3
	s_and_b32 exec_lo, exec_lo, vcc_lo
	s_cbranch_execz .LBB26_151
; %bb.155:                              ;   in Loop: Header=BB26_153 Depth=2
	v_lshlrev_b16 v8, 8, v8
	s_delay_alu instid0(VALU_DEP_1)
	v_or_b32_e32 v8, 1, v8
	ds_store_b16 v25, v8 offset:3072
	s_branch .LBB26_151
.LBB26_156:                             ;   in Loop: Header=BB26_153 Depth=2
	v_dual_add_nc_u32 v7, s40, v7 :: v_dual_add_nc_u32 v6, s56, v6
	s_mov_b32 s42, 0
	s_delay_alu instid0(VALU_DEP_1)
	v_cmp_le_u32_e32 vcc_lo, s82, v7
	s_or_not1_b32 s34, vcc_lo, exec_lo
	s_branch .LBB26_152
.LBB26_157:                             ;   in Loop: Header=BB26_15 Depth=1
	s_or_b32 exec_lo, exec_lo, s28
	v_and_b32_e32 v6, 0xffff, v8
	s_and_not1_b32 s28, s31, exec_lo
	s_and_b32 s31, s33, exec_lo
	s_delay_alu instid0(SALU_CYCLE_1) | instskip(NEXT) | instid1(VALU_DEP_1)
	s_or_b32 s31, s28, s31
	v_lshrrev_b32_e32 v6, 8, v6
.LBB26_158:                             ;   in Loop: Header=BB26_15 Depth=1
	s_or_b32 exec_lo, exec_lo, s23
	s_mov_b32 s23, 0
	s_mov_b32 s28, -1
.LBB26_159:                             ;   in Loop: Header=BB26_15 Depth=1
	s_or_not1_b32 s31, s31, exec_lo
.LBB26_160:                             ;   in Loop: Header=BB26_15 Depth=1
	s_or_b32 exec_lo, exec_lo, s29
	s_mov_b32 s33, 0
	s_and_saveexec_b32 s29, s31
	s_cbranch_execz .LBB26_249
; %bb.161:                              ;   in Loop: Header=BB26_15 Depth=1
	v_dual_mov_b32 v7, 1 :: v_dual_mov_b32 v2, 1
	s_xor_b32 s31, s30, -1
	s_mov_b32 s46, 0
	s_and_saveexec_b32 s30, s31
	s_cbranch_execz .LBB26_170
; %bb.162:                              ;   in Loop: Header=BB26_15 Depth=1
	s_mov_b32 s31, exec_lo
	v_cmpx_ge_u32_e64 s20, v5
	s_xor_b32 s31, exec_lo, s31
	s_cbranch_execz .LBB26_167
; %bb.163:                              ;   in Loop: Header=BB26_15 Depth=1
	ds_load_b32 v2, v25 offset:4096
	s_lshl_b32 s33, 1, s84
	v_or_b32_e32 v4, s18, v4
	v_and_or_b32 v3, v3, s19, s33
	s_wait_dscnt 0x0
	v_cmp_ne_u32_e32 vcc_lo, 0, v2
	s_cbranch_vccnz .LBB26_167
; %bb.164:                              ;   in Loop: Header=BB26_15 Depth=1
	s_and_saveexec_b32 s33, s5
; %bb.165:                              ;   in Loop: Header=BB26_15 Depth=1
	v_mov_b32_e32 v2, s20
	ds_store_b32 v25, v2 offset:4100
; %bb.166:                              ;   in Loop: Header=BB26_15 Depth=1
	s_or_b32 exec_lo, exec_lo, s33
	s_wait_dscnt 0x0
	s_barrier_signal -1
	s_barrier_wait -1
.LBB26_167:                             ;   in Loop: Header=BB26_15 Depth=1
	s_or_saveexec_b32 s31, s31
	v_mov_b32_e32 v2, 8
	s_mov_b32 s33, 0
	s_xor_b32 exec_lo, exec_lo, s31
; %bb.168:                              ;   in Loop: Header=BB26_15 Depth=1
	v_subrev_nc_u32_e32 v5, s20, v5
	v_mov_b32_e32 v2, 0
	s_mov_b32 s33, exec_lo
; %bb.169:                              ;   in Loop: Header=BB26_15 Depth=1
	s_or_b32 exec_lo, exec_lo, s31
	s_delay_alu instid0(VALU_DEP_2)
	v_mov_b32_e32 v7, v5
	s_and_b32 s46, s33, exec_lo
.LBB26_170:                             ;   in Loop: Header=BB26_15 Depth=1
	s_or_b32 exec_lo, exec_lo, s30
	s_mov_b32 s34, -1
                                        ; implicit-def: $sgpr31
                                        ; implicit-def: $sgpr33
	s_and_saveexec_b32 s30, s46
	s_cbranch_execz .LBB26_248
; %bb.171:                              ;   in Loop: Header=BB26_15 Depth=1
	v_cmp_eq_u32_e32 vcc_lo, 1, v7
	s_cmp_eq_u32 s21, 1
	s_mov_b32 s46, -1
	s_cselect_b32 s31, -1, 0
                                        ; implicit-def: $sgpr33
	s_delay_alu instid0(SALU_CYCLE_1) | instskip(NEXT) | instid1(SALU_CYCLE_1)
	s_and_b32 s97, s31, vcc_lo
                                        ; implicit-def: $sgpr31
	s_and_saveexec_b32 s34, s97
	s_cbranch_execz .LBB26_197
; %bb.172:                              ;   in Loop: Header=BB26_15 Depth=1
	ds_load_b32 v5, v25 offset:4096
	s_wait_dscnt 0x0
	s_barrier_signal -1
	s_barrier_wait -1
	v_readfirstlane_b32 s98, v5
	s_and_saveexec_b32 s31, s6
; %bb.173:                              ;   in Loop: Header=BB26_15 Depth=1
	ds_store_b8 v0, v25 offset:3072
; %bb.174:                              ;   in Loop: Header=BB26_15 Depth=1
	s_or_b32 exec_lo, exec_lo, s31
	s_lshl_b32 s31, 2, s84
	v_or_b32_e32 v4, s18, v4
	v_and_or_b32 v3, v3, s19, s31
	s_mov_b32 s31, -1
	s_mov_b32 s33, 0
	s_cmp_eq_u32 s98, 0
	s_mov_b32 s46, 0
	s_mov_b32 s99, -1
	s_wait_dscnt 0x0
	s_barrier_signal -1
	s_barrier_wait -1
                                        ; implicit-def: $vgpr6
	s_cbranch_scc1 .LBB26_185
; %bb.175:                              ;   in Loop: Header=BB26_15 Depth=1
	s_add_co_i32 s46, s98, s65
	s_mov_b32 s99, 0
	s_mul_u64 s[42:43], s[46:47], s[50:51]
	s_mov_b32 s100, exec_lo
	s_mul_i32 s42, s43, s40
                                        ; implicit-def: $vgpr6
	s_delay_alu instid0(SALU_CYCLE_1) | instskip(NEXT) | instid1(SALU_CYCLE_1)
	s_sub_co_i32 s42, s46, s42
	s_sub_co_i32 s43, s42, s40
	s_cmp_ge_u32 s42, s40
	s_cselect_b32 s42, s43, s42
	s_delay_alu instid0(SALU_CYCLE_1) | instskip(SKIP_2) | instid1(SALU_CYCLE_1)
	s_sub_co_i32 s43, s42, s40
	s_cmp_ge_u32 s42, s40
	s_cselect_b32 s42, s43, s42
	s_sub_co_i32 s101, s46, s42
	s_mov_b32 s46, 0
	v_cmpx_gt_u32_e64 s101, v0
	s_cbranch_execz .LBB26_184
; %bb.176:                              ;   in Loop: Header=BB26_15 Depth=1
	v_mov_b32_e32 v5, v0
                                        ; implicit-def: $sgpr102
	s_branch .LBB26_179
.LBB26_177:                             ;   in Loop: Header=BB26_179 Depth=2
	s_or_b32 exec_lo, exec_lo, s58
	s_wait_dscnt 0x0
	s_barrier_signal -1
	s_barrier_wait -1
	ds_load_u16 v6, v25 offset:3072
	s_mov_b32 s43, -1
	s_mov_b32 s42, -1
	s_wait_dscnt 0x0
	s_barrier_signal -1
	s_barrier_wait -1
	v_and_b32_e32 v8, 0xff, v6
	s_delay_alu instid0(VALU_DEP_1)
	v_cmp_ne_u32_e32 vcc_lo, 0, v8
	s_cbranch_vccz .LBB26_182
.LBB26_178:                             ;   in Loop: Header=BB26_179 Depth=2
	s_and_b32 s43, exec_lo, s43
	s_delay_alu instid0(SALU_CYCLE_1) | instskip(SKIP_2) | instid1(SALU_CYCLE_1)
	s_or_b32 s46, s43, s46
	s_and_not1_b32 s43, s102, exec_lo
	s_and_b32 s42, s42, exec_lo
	s_or_b32 s102, s43, s42
	s_and_not1_b32 exec_lo, exec_lo, s46
	s_cbranch_execz .LBB26_183
.LBB26_179:                             ;   Parent Loop BB26_15 Depth=1
                                        ; =>  This Inner Loop Header: Depth=2
	s_mov_b32 s58, exec_lo
	s_delay_alu instid0(VALU_DEP_1)
	v_cmpx_gt_u32_e64 s98, v5
	s_cbranch_execz .LBB26_177
; %bb.180:                              ;   in Loop: Header=BB26_179 Depth=2
	ds_load_u8 v6, v5
	s_wait_dscnt 0x0
	v_bfe_i32 v8, v6, 0, 8
	s_delay_alu instid0(VALU_DEP_1) | instskip(NEXT) | instid1(VALU_DEP_1)
	v_add_nc_u32_e32 v8, 0x80, v8
	v_and_b32_e32 v8, v8, v4
	s_delay_alu instid0(VALU_DEP_1)
	v_cmp_eq_u32_e32 vcc_lo, v8, v3
	s_and_b32 exec_lo, exec_lo, vcc_lo
	s_cbranch_execz .LBB26_177
; %bb.181:                              ;   in Loop: Header=BB26_179 Depth=2
	v_lshlrev_b16 v6, 8, v6
	s_delay_alu instid0(VALU_DEP_1)
	v_or_b32_e32 v6, 1, v6
	ds_store_b16 v25, v6 offset:3072
	s_branch .LBB26_177
.LBB26_182:                             ;   in Loop: Header=BB26_179 Depth=2
	v_add_nc_u32_e32 v5, s40, v5
	s_mov_b32 s42, 0
	s_delay_alu instid0(VALU_DEP_1)
	v_cmp_le_u32_e32 vcc_lo, s101, v5
	s_or_not1_b32 s43, vcc_lo, exec_lo
	s_branch .LBB26_178
.LBB26_183:                             ;   in Loop: Header=BB26_15 Depth=1
	s_or_b32 exec_lo, exec_lo, s46
	v_and_b32_e32 v5, 0xffff, v6
	s_and_b32 s46, s102, exec_lo
	s_delay_alu instid0(VALU_DEP_1)
	v_lshrrev_b32_e32 v6, 8, v5
.LBB26_184:                             ;   in Loop: Header=BB26_15 Depth=1
	s_or_b32 exec_lo, exec_lo, s100
.LBB26_185:                             ;   in Loop: Header=BB26_15 Depth=1
	s_delay_alu instid0(SALU_CYCLE_1)
	s_and_b32 vcc_lo, exec_lo, s99
	s_cbranch_vccz .LBB26_196
; %bb.186:                              ;   in Loop: Header=BB26_15 Depth=1
                                        ; implicit-def: $vgpr6
	s_and_saveexec_b32 s31, s13
	s_cbranch_execz .LBB26_195
; %bb.187:                              ;   in Loop: Header=BB26_15 Depth=1
	v_dual_mov_b32 v5, v22 :: v_dual_mov_b32 v6, v0
	s_mov_b32 s33, 0
                                        ; implicit-def: $sgpr98
	s_branch .LBB26_190
.LBB26_188:                             ;   in Loop: Header=BB26_190 Depth=2
	s_or_b32 exec_lo, exec_lo, s58
	s_wait_dscnt 0x0
	s_barrier_signal -1
	s_barrier_wait -1
	ds_load_u16 v8, v25 offset:3072
	s_mov_b32 s42, -1
	s_mov_b32 s43, -1
	s_wait_dscnt 0x0
	s_barrier_signal -1
	s_barrier_wait -1
	v_and_b32_e32 v9, 0xff, v8
	s_delay_alu instid0(VALU_DEP_1)
	v_cmp_eq_u32_e32 vcc_lo, 0, v9
	s_cbranch_vccnz .LBB26_193
.LBB26_189:                             ;   in Loop: Header=BB26_190 Depth=2
	s_and_b32 s42, exec_lo, s42
	s_delay_alu instid0(SALU_CYCLE_1) | instskip(SKIP_2) | instid1(SALU_CYCLE_1)
	s_or_b32 s33, s42, s33
	s_and_not1_b32 s42, s98, exec_lo
	s_and_b32 s43, s43, exec_lo
	s_or_b32 s98, s42, s43
	s_and_not1_b32 exec_lo, exec_lo, s33
	s_cbranch_execz .LBB26_194
.LBB26_190:                             ;   Parent Loop BB26_15 Depth=1
                                        ; =>  This Inner Loop Header: Depth=2
	s_mov_b32 s58, exec_lo
	s_delay_alu instid0(VALU_DEP_1)
	v_cmpx_gt_u32_e64 s36, v6
	s_cbranch_execz .LBB26_188
; %bb.191:                              ;   in Loop: Header=BB26_190 Depth=2
	global_load_u8 v8, v5, s[38:39]
	s_wait_loadcnt 0x0
	v_bfe_i32 v9, v8, 0, 8
	s_delay_alu instid0(VALU_DEP_1) | instskip(NEXT) | instid1(VALU_DEP_1)
	v_add_nc_u32_e32 v9, 0x80, v9
	v_and_b32_e32 v9, v9, v4
	s_delay_alu instid0(VALU_DEP_1)
	v_cmp_eq_u32_e32 vcc_lo, v9, v3
	s_and_b32 exec_lo, exec_lo, vcc_lo
	s_cbranch_execz .LBB26_188
; %bb.192:                              ;   in Loop: Header=BB26_190 Depth=2
	v_lshlrev_b16 v8, 8, v8
	s_delay_alu instid0(VALU_DEP_1)
	v_or_b32_e32 v8, 1, v8
	ds_store_b16 v25, v8 offset:3072
	s_branch .LBB26_188
.LBB26_193:                             ;   in Loop: Header=BB26_190 Depth=2
	v_dual_add_nc_u32 v6, s40, v6 :: v_dual_add_nc_u32 v5, s56, v5
	s_mov_b32 s43, 0
	s_delay_alu instid0(VALU_DEP_1)
	v_cmp_le_u32_e32 vcc_lo, s82, v6
	s_or_not1_b32 s42, vcc_lo, exec_lo
	s_branch .LBB26_189
.LBB26_194:                             ;   in Loop: Header=BB26_15 Depth=1
	s_or_b32 exec_lo, exec_lo, s33
	v_and_b32_e32 v5, 0xffff, v8
	s_and_not1_b32 s33, s46, exec_lo
	s_and_b32 s42, s98, exec_lo
	s_delay_alu instid0(SALU_CYCLE_1) | instskip(NEXT) | instid1(VALU_DEP_1)
	s_or_b32 s46, s33, s42
	v_lshrrev_b32_e32 v6, 8, v5
.LBB26_195:                             ;   in Loop: Header=BB26_15 Depth=1
	s_or_b32 exec_lo, exec_lo, s31
	s_mov_b32 s31, 0
	s_mov_b32 s33, -1
.LBB26_196:                             ;   in Loop: Header=BB26_15 Depth=1
	s_or_not1_b32 s46, s46, exec_lo
.LBB26_197:                             ;   in Loop: Header=BB26_15 Depth=1
	s_or_b32 exec_lo, exec_lo, s34
	s_mov_b32 s58, 0
	s_and_saveexec_b32 s34, s46
	s_cbranch_execz .LBB26_247
; %bb.198:                              ;   in Loop: Header=BB26_15 Depth=1
	v_dual_mov_b32 v5, 1 :: v_dual_mov_b32 v2, 1
	s_xor_b32 s42, s97, -1
	s_delay_alu instid0(SALU_CYCLE_1)
	s_and_saveexec_b32 s46, s42
	s_cbranch_execz .LBB26_207
; %bb.199:                              ;   in Loop: Header=BB26_15 Depth=1
	s_mov_b32 s42, exec_lo
	v_cmpx_ge_u32_e64 s21, v7
	s_xor_b32 s58, exec_lo, s42
	s_cbranch_execz .LBB26_204
; %bb.200:                              ;   in Loop: Header=BB26_15 Depth=1
	ds_load_b32 v2, v25 offset:4096
	s_lshl_b32 s42, 2, s84
	v_or_b32_e32 v4, s18, v4
	v_and_or_b32 v3, v3, s19, s42
	s_wait_dscnt 0x0
	v_cmp_ne_u32_e32 vcc_lo, 0, v2
	s_cbranch_vccnz .LBB26_204
; %bb.201:                              ;   in Loop: Header=BB26_15 Depth=1
	s_and_saveexec_b32 s42, s5
; %bb.202:                              ;   in Loop: Header=BB26_15 Depth=1
	v_mov_b32_e32 v2, s21
	ds_store_b32 v25, v2 offset:4100
; %bb.203:                              ;   in Loop: Header=BB26_15 Depth=1
	s_or_b32 exec_lo, exec_lo, s42
	s_wait_dscnt 0x0
	s_barrier_signal -1
	s_barrier_wait -1
.LBB26_204:                             ;   in Loop: Header=BB26_15 Depth=1
	s_or_saveexec_b32 s58, s58
	v_mov_b32_e32 v2, 8
	s_mov_b32 s97, 0
	s_xor_b32 exec_lo, exec_lo, s58
; %bb.205:                              ;   in Loop: Header=BB26_15 Depth=1
	v_subrev_nc_u32_e32 v7, s21, v7
	v_mov_b32_e32 v2, 0
	s_mov_b32 s97, exec_lo
; %bb.206:                              ;   in Loop: Header=BB26_15 Depth=1
	s_or_b32 exec_lo, exec_lo, s58
	s_delay_alu instid0(VALU_DEP_2)
	v_mov_b32_e32 v5, v7
	s_and_b32 s58, s97, exec_lo
.LBB26_207:                             ;   in Loop: Header=BB26_15 Depth=1
	s_or_b32 exec_lo, exec_lo, s46
	s_mov_b32 s46, -1
                                        ; implicit-def: $sgpr100
                                        ; implicit-def: $sgpr99
	s_and_saveexec_b32 s97, s58
	s_cbranch_execz .LBB26_246
; %bb.208:                              ;   in Loop: Header=BB26_15 Depth=1
	v_cmp_eq_u32_e32 vcc_lo, 1, v5
	s_cmp_eq_u32 s22, 1
	s_mov_b32 s58, -1
	s_cselect_b32 s42, -1, 0
                                        ; implicit-def: $sgpr100
                                        ; implicit-def: $sgpr99
	s_delay_alu instid0(SALU_CYCLE_1) | instskip(NEXT) | instid1(SALU_CYCLE_1)
	s_and_b32 s98, s42, vcc_lo
	s_and_saveexec_b32 s101, s98
	s_cbranch_execz .LBB26_234
; %bb.209:                              ;   in Loop: Header=BB26_15 Depth=1
	ds_load_b32 v6, v25 offset:4096
	s_wait_dscnt 0x0
	s_barrier_signal -1
	s_barrier_wait -1
	v_readfirstlane_b32 s102, v6
	s_and_saveexec_b32 s42, s6
; %bb.210:                              ;   in Loop: Header=BB26_15 Depth=1
	ds_store_b8 v0, v25 offset:3072
; %bb.211:                              ;   in Loop: Header=BB26_15 Depth=1
	s_or_b32 exec_lo, exec_lo, s42
	v_or_b32_e32 v3, s18, v3
	v_or_b32_e32 v4, s18, v4
	s_mov_b32 s99, -1
	s_mov_b32 s100, 0
	s_cmp_eq_u32 s102, 0
	s_mov_b32 s46, 0
	s_mov_b32 s103, -1
	s_wait_dscnt 0x0
	s_barrier_signal -1
	s_barrier_wait -1
                                        ; implicit-def: $vgpr6
	s_cbranch_scc1 .LBB26_222
; %bb.212:                              ;   in Loop: Header=BB26_15 Depth=1
	s_add_co_i32 s46, s102, s65
	s_mov_b32 s103, 0
	s_mul_u64 s[42:43], s[46:47], s[50:51]
	s_mov_b32 s104, exec_lo
	s_mul_i32 s42, s43, s40
                                        ; implicit-def: $vgpr6
	s_delay_alu instid0(SALU_CYCLE_1) | instskip(NEXT) | instid1(SALU_CYCLE_1)
	s_sub_co_i32 s42, s46, s42
	s_sub_co_i32 s43, s42, s40
	s_cmp_ge_u32 s42, s40
	s_cselect_b32 s42, s43, s42
	s_delay_alu instid0(SALU_CYCLE_1) | instskip(SKIP_2) | instid1(SALU_CYCLE_1)
	s_sub_co_i32 s43, s42, s40
	s_cmp_ge_u32 s42, s40
	s_cselect_b32 s42, s43, s42
	s_sub_co_i32 vcc_hi, s46, s42
	s_mov_b32 s46, 0
	v_cmpx_gt_u32_e64 vcc_hi, v0
	s_cbranch_execz .LBB26_221
; %bb.213:                              ;   in Loop: Header=BB26_15 Depth=1
	v_mov_b32_e32 v6, v0
                                        ; implicit-def: $sgpr58
	s_branch .LBB26_216
.LBB26_214:                             ;   in Loop: Header=BB26_216 Depth=2
	s_or_b32 exec_lo, exec_lo, s42
	s_wait_dscnt 0x0
	s_barrier_signal -1
	s_barrier_wait -1
	ds_load_u16 v7, v25 offset:3072
	s_mov_b32 s43, -1
	s_mov_b32 s42, -1
	s_wait_dscnt 0x0
	s_barrier_signal -1
	s_barrier_wait -1
	v_and_b32_e32 v8, 0xff, v7
	s_delay_alu instid0(VALU_DEP_1)
	v_cmp_ne_u32_e32 vcc_lo, 0, v8
	s_cbranch_vccz .LBB26_219
.LBB26_215:                             ;   in Loop: Header=BB26_216 Depth=2
	s_and_b32 s43, exec_lo, s43
	s_delay_alu instid0(SALU_CYCLE_1) | instskip(SKIP_2) | instid1(SALU_CYCLE_1)
	s_or_b32 s46, s43, s46
	s_and_not1_b32 s43, s58, exec_lo
	s_and_b32 s42, s42, exec_lo
	s_or_b32 s58, s43, s42
	s_and_not1_b32 exec_lo, exec_lo, s46
	s_cbranch_execz .LBB26_220
.LBB26_216:                             ;   Parent Loop BB26_15 Depth=1
                                        ; =>  This Inner Loop Header: Depth=2
	s_mov_b32 s42, exec_lo
	s_delay_alu instid0(VALU_DEP_1)
	v_cmpx_gt_u32_e64 s102, v6
	s_cbranch_execz .LBB26_214
; %bb.217:                              ;   in Loop: Header=BB26_216 Depth=2
	ds_load_u8 v7, v6
	s_wait_dscnt 0x0
	v_bfe_i32 v8, v7, 0, 8
	s_delay_alu instid0(VALU_DEP_1) | instskip(NEXT) | instid1(VALU_DEP_1)
	v_add_nc_u32_e32 v8, 0x80, v8
	v_and_b32_e32 v8, v8, v4
	s_delay_alu instid0(VALU_DEP_1)
	v_cmp_eq_u32_e32 vcc_lo, v8, v3
	s_and_b32 exec_lo, exec_lo, vcc_lo
	s_cbranch_execz .LBB26_214
; %bb.218:                              ;   in Loop: Header=BB26_216 Depth=2
	v_lshlrev_b16 v7, 8, v7
	s_delay_alu instid0(VALU_DEP_1)
	v_or_b32_e32 v7, 1, v7
	ds_store_b16 v25, v7 offset:3072
	s_branch .LBB26_214
.LBB26_219:                             ;   in Loop: Header=BB26_216 Depth=2
	v_add_nc_u32_e32 v6, s40, v6
	s_mov_b32 s42, 0
	s_delay_alu instid0(VALU_DEP_1)
	v_cmp_le_u32_e32 vcc_lo, vcc_hi, v6
	s_or_not1_b32 s43, vcc_lo, exec_lo
	s_branch .LBB26_215
.LBB26_220:                             ;   in Loop: Header=BB26_15 Depth=1
	s_or_b32 exec_lo, exec_lo, s46
	v_and_b32_e32 v6, 0xffff, v7
	s_and_b32 s46, s58, exec_lo
	s_delay_alu instid0(VALU_DEP_1)
	v_lshrrev_b32_e32 v6, 8, v6
.LBB26_221:                             ;   in Loop: Header=BB26_15 Depth=1
	s_or_b32 exec_lo, exec_lo, s104
.LBB26_222:                             ;   in Loop: Header=BB26_15 Depth=1
	s_delay_alu instid0(SALU_CYCLE_1)
	s_and_b32 vcc_lo, exec_lo, s103
	s_cbranch_vccz .LBB26_233
; %bb.223:                              ;   in Loop: Header=BB26_15 Depth=1
                                        ; implicit-def: $vgpr6
	s_and_saveexec_b32 s99, s13
	s_cbranch_execz .LBB26_232
; %bb.224:                              ;   in Loop: Header=BB26_15 Depth=1
	v_dual_mov_b32 v6, v22 :: v_dual_mov_b32 v7, v0
	s_mov_b32 s100, 0
                                        ; implicit-def: $sgpr102
	s_branch .LBB26_227
.LBB26_225:                             ;   in Loop: Header=BB26_227 Depth=2
	s_or_b32 exec_lo, exec_lo, s42
	s_wait_dscnt 0x0
	s_barrier_signal -1
	s_barrier_wait -1
	ds_load_u16 v8, v25 offset:3072
	s_mov_b32 s42, -1
	s_mov_b32 s43, -1
	s_wait_dscnt 0x0
	s_barrier_signal -1
	s_barrier_wait -1
	v_and_b32_e32 v9, 0xff, v8
	s_delay_alu instid0(VALU_DEP_1)
	v_cmp_eq_u32_e32 vcc_lo, 0, v9
	s_cbranch_vccnz .LBB26_230
.LBB26_226:                             ;   in Loop: Header=BB26_227 Depth=2
	s_and_b32 s42, exec_lo, s42
	s_delay_alu instid0(SALU_CYCLE_1) | instskip(SKIP_2) | instid1(SALU_CYCLE_1)
	s_or_b32 s100, s42, s100
	s_and_not1_b32 s42, s102, exec_lo
	s_and_b32 s43, s43, exec_lo
	s_or_b32 s102, s42, s43
	s_and_not1_b32 exec_lo, exec_lo, s100
	s_cbranch_execz .LBB26_231
.LBB26_227:                             ;   Parent Loop BB26_15 Depth=1
                                        ; =>  This Inner Loop Header: Depth=2
	s_mov_b32 s42, exec_lo
	s_delay_alu instid0(VALU_DEP_1)
	v_cmpx_gt_u32_e64 s36, v7
	s_cbranch_execz .LBB26_225
; %bb.228:                              ;   in Loop: Header=BB26_227 Depth=2
	global_load_u8 v8, v6, s[38:39]
	s_wait_loadcnt 0x0
	v_bfe_i32 v9, v8, 0, 8
	s_delay_alu instid0(VALU_DEP_1) | instskip(NEXT) | instid1(VALU_DEP_1)
	v_add_nc_u32_e32 v9, 0x80, v9
	v_and_b32_e32 v9, v9, v4
	s_delay_alu instid0(VALU_DEP_1)
	v_cmp_eq_u32_e32 vcc_lo, v9, v3
	s_and_b32 exec_lo, exec_lo, vcc_lo
	s_cbranch_execz .LBB26_225
; %bb.229:                              ;   in Loop: Header=BB26_227 Depth=2
	v_lshlrev_b16 v8, 8, v8
	s_delay_alu instid0(VALU_DEP_1)
	v_or_b32_e32 v8, 1, v8
	ds_store_b16 v25, v8 offset:3072
	s_branch .LBB26_225
.LBB26_230:                             ;   in Loop: Header=BB26_227 Depth=2
	v_dual_add_nc_u32 v7, s40, v7 :: v_dual_add_nc_u32 v6, s56, v6
	s_mov_b32 s43, 0
	s_delay_alu instid0(VALU_DEP_1)
	v_cmp_le_u32_e32 vcc_lo, s82, v7
	s_or_not1_b32 s42, vcc_lo, exec_lo
	s_branch .LBB26_226
.LBB26_231:                             ;   in Loop: Header=BB26_15 Depth=1
	s_or_b32 exec_lo, exec_lo, s100
	v_and_b32_e32 v6, 0xffff, v8
	s_and_not1_b32 s42, s46, exec_lo
	s_and_b32 s43, s102, exec_lo
	s_delay_alu instid0(SALU_CYCLE_1) | instskip(NEXT) | instid1(VALU_DEP_1)
	s_or_b32 s46, s42, s43
	v_lshrrev_b32_e32 v6, 8, v6
.LBB26_232:                             ;   in Loop: Header=BB26_15 Depth=1
	s_or_b32 exec_lo, exec_lo, s99
	s_mov_b32 s99, 0
	s_mov_b32 s100, -1
.LBB26_233:                             ;   in Loop: Header=BB26_15 Depth=1
	s_or_not1_b32 s58, s46, exec_lo
.LBB26_234:                             ;   in Loop: Header=BB26_15 Depth=1
	s_or_b32 exec_lo, exec_lo, s101
	s_mov_b32 s101, 0
	s_and_saveexec_b32 s46, s58
	s_cbranch_execz .LBB26_245
; %bb.235:                              ;   in Loop: Header=BB26_15 Depth=1
	v_dual_mov_b32 v2, 1 :: v_dual_mov_b32 v7, 1
	s_xor_b32 s42, s98, -1
	s_delay_alu instid0(SALU_CYCLE_1)
	s_and_saveexec_b32 s98, s42
	s_cbranch_execz .LBB26_244
; %bb.236:                              ;   in Loop: Header=BB26_15 Depth=1
	s_mov_b32 s42, exec_lo
	v_cmpx_ge_u32_e64 s22, v5
	s_xor_b32 s58, exec_lo, s42
	s_cbranch_execz .LBB26_241
; %bb.237:                              ;   in Loop: Header=BB26_15 Depth=1
	ds_load_b32 v2, v25 offset:4096
	v_or_b32_e32 v3, s18, v3
	v_or_b32_e32 v4, s18, v4
	s_wait_dscnt 0x0
	v_cmp_ne_u32_e32 vcc_lo, 0, v2
	s_cbranch_vccnz .LBB26_241
; %bb.238:                              ;   in Loop: Header=BB26_15 Depth=1
	s_and_saveexec_b32 s42, s5
; %bb.239:                              ;   in Loop: Header=BB26_15 Depth=1
	v_mov_b32_e32 v2, s22
	ds_store_b32 v25, v2 offset:4100
; %bb.240:                              ;   in Loop: Header=BB26_15 Depth=1
	s_or_b32 exec_lo, exec_lo, s42
	s_wait_dscnt 0x0
	s_barrier_signal -1
	s_barrier_wait -1
.LBB26_241:                             ;   in Loop: Header=BB26_15 Depth=1
	s_and_not1_saveexec_b32 s42, s58
; %bb.242:                              ;   in Loop: Header=BB26_15 Depth=1
	v_subrev_nc_u32_e32 v5, s22, v5
; %bb.243:                              ;   in Loop: Header=BB26_15 Depth=1
	s_or_b32 exec_lo, exec_lo, s42
	s_delay_alu instid0(VALU_DEP_1)
	v_dual_mov_b32 v2, 8 :: v_dual_mov_b32 v7, v5
.LBB26_244:                             ;   in Loop: Header=BB26_15 Depth=1
	s_or_b32 exec_lo, exec_lo, s98
	s_delay_alu instid0(VALU_DEP_1)
	v_mov_b32_e32 v5, v7
	s_mov_b32 s101, exec_lo
.LBB26_245:                             ;   in Loop: Header=BB26_15 Depth=1
	s_or_b32 exec_lo, exec_lo, s46
	s_delay_alu instid0(SALU_CYCLE_1)
	s_or_not1_b32 s46, s101, exec_lo
.LBB26_246:                             ;   in Loop: Header=BB26_15 Depth=1
	s_or_b32 exec_lo, exec_lo, s97
	v_mov_b32_e32 v7, v5
	s_and_not1_b32 s33, s33, exec_lo
	s_and_b32 s42, s100, exec_lo
	s_and_not1_b32 s31, s31, exec_lo
	s_and_b32 s43, s99, exec_lo
	s_or_b32 s33, s33, s42
	s_or_b32 s31, s31, s43
	s_and_b32 s58, s46, exec_lo
.LBB26_247:                             ;   in Loop: Header=BB26_15 Depth=1
	s_or_b32 exec_lo, exec_lo, s34
	s_delay_alu instid0(SALU_CYCLE_1)
	s_or_not1_b32 s34, s58, exec_lo
.LBB26_248:                             ;   in Loop: Header=BB26_15 Depth=1
	s_or_b32 exec_lo, exec_lo, s30
	v_mov_b32_e32 v5, v7
	s_and_not1_b32 s28, s28, exec_lo
	s_and_b32 s30, s33, exec_lo
	s_and_not1_b32 s23, s23, exec_lo
	s_and_b32 s31, s31, exec_lo
	s_or_b32 s28, s28, s30
	s_or_b32 s23, s23, s31
	s_and_b32 s33, s34, exec_lo
.LBB26_249:                             ;   in Loop: Header=BB26_15 Depth=1
	s_or_b32 exec_lo, exec_lo, s29
	s_delay_alu instid0(SALU_CYCLE_1)
	s_or_not1_b32 s29, s33, exec_lo
.LBB26_250:                             ;   in Loop: Header=BB26_15 Depth=1
	s_or_b32 exec_lo, exec_lo, s15
	s_mov_b32 s30, 0
	s_mov_b32 s31, 0
	s_and_saveexec_b32 s15, s29
	s_delay_alu instid0(SALU_CYCLE_1)
	s_xor_b32 s29, exec_lo, s15
; %bb.251:                              ;   in Loop: Header=BB26_15 Depth=1
	v_cmp_ne_u32_e32 vcc_lo, 8, v2
	v_cmp_eq_u32_e64 s15, 8, v2
	s_and_b32 s31, vcc_lo, exec_lo
	s_and_b32 s30, s15, exec_lo
; %bb.252:                              ;   in Loop: Header=BB26_15 Depth=1
	s_or_b32 exec_lo, exec_lo, s29
	s_delay_alu instid0(SALU_CYCLE_1)
	s_and_not1_b32 s15, s25, exec_lo
	s_and_b32 s25, s28, exec_lo
	s_and_not1_b32 s24, s24, exec_lo
	s_and_b32 s23, s23, exec_lo
	s_or_b32 s25, s15, s25
	s_or_b32 s24, s24, s23
	s_and_b32 s15, s31, exec_lo
	s_and_b32 s23, s30, exec_lo
.LBB26_253:                             ;   in Loop: Header=BB26_15 Depth=1
	s_or_b32 exec_lo, exec_lo, s27
.LBB26_254:                             ;   in Loop: Header=BB26_15 Depth=1
	s_delay_alu instid0(SALU_CYCLE_1)
	s_and_b32 vcc_lo, exec_lo, s26
	s_cbranch_vccz .LBB26_267
; %bb.255:                              ;   in Loop: Header=BB26_15 Depth=1
	s_cmp_eq_u32 s22, 1
	s_mov_b32 s25, -1
	s_cselect_b32 s16, -1, 0
                                        ; implicit-def: $sgpr26
	s_delay_alu instid0(SALU_CYCLE_1) | instskip(NEXT) | instid1(SALU_CYCLE_1)
	s_and_b32 s14, s16, s14
                                        ; implicit-def: $sgpr16
	s_and_saveexec_b32 s24, s14
	s_cbranch_execz .LBB26_282
; %bb.256:                              ;   in Loop: Header=BB26_15 Depth=1
	ds_load_b32 v2, v25 offset:4096
	s_wait_dscnt 0x0
	s_barrier_signal -1
	s_barrier_wait -1
	v_readfirstlane_b32 s27, v2
	s_and_saveexec_b32 s16, s6
; %bb.257:                              ;   in Loop: Header=BB26_15 Depth=1
	ds_store_b8 v0, v25 offset:3072
; %bb.258:                              ;   in Loop: Header=BB26_15 Depth=1
	s_or_b32 exec_lo, exec_lo, s16
	v_or_b32_e32 v32, s18, v32
	v_or_b32_e32 v39, s18, v39
	s_mov_b32 s16, -1
	s_mov_b32 s26, 0
	s_cmp_eq_u32 s27, 0
	s_mov_b32 s25, 0
	s_mov_b32 s28, -1
	s_wait_dscnt 0x0
	s_barrier_signal -1
	s_barrier_wait -1
                                        ; implicit-def: $vgpr40
	s_cbranch_scc1 .LBB26_270
; %bb.259:                              ;   in Loop: Header=BB26_15 Depth=1
	s_add_co_i32 s46, s27, s65
                                        ; implicit-def: $vgpr40
	s_delay_alu instid0(SALU_CYCLE_1) | instskip(NEXT) | instid1(SALU_CYCLE_1)
	s_mul_u64 s[28:29], s[46:47], s[50:51]
	s_mul_i32 s25, s29, s40
	s_mov_b32 s29, exec_lo
	s_sub_co_i32 s25, s46, s25
	s_delay_alu instid0(SALU_CYCLE_1) | instskip(SKIP_2) | instid1(SALU_CYCLE_1)
	s_sub_co_i32 s28, s25, s40
	s_cmp_ge_u32 s25, s40
	s_cselect_b32 s25, s28, s25
	s_sub_co_i32 s28, s25, s40
	s_cmp_ge_u32 s25, s40
	s_cselect_b32 s25, s28, s25
	s_mov_b32 s28, 0
	s_sub_co_i32 s30, s46, s25
	s_mov_b32 s25, 0
	v_cmpx_gt_u32_e64 s30, v0
	s_cbranch_execz .LBB26_269
; %bb.260:                              ;   in Loop: Header=BB26_15 Depth=1
	v_mov_b32_e32 v2, v0
                                        ; implicit-def: $sgpr31
	s_branch .LBB26_263
.LBB26_261:                             ;   in Loop: Header=BB26_263 Depth=2
	s_or_b32 exec_lo, exec_lo, s33
	s_wait_dscnt 0x0
	s_barrier_signal -1
	s_barrier_wait -1
	ds_load_u16 v3, v25 offset:3072
	s_mov_b32 s34, -1
	s_mov_b32 s33, -1
	s_wait_dscnt 0x0
	s_barrier_signal -1
	s_barrier_wait -1
	v_and_b32_e32 v4, 0xff, v3
	s_delay_alu instid0(VALU_DEP_1)
	v_cmp_ne_u32_e32 vcc_lo, 0, v4
	s_cbranch_vccz .LBB26_266
.LBB26_262:                             ;   in Loop: Header=BB26_263 Depth=2
	s_and_b32 s34, exec_lo, s34
	s_delay_alu instid0(SALU_CYCLE_1) | instskip(SKIP_2) | instid1(SALU_CYCLE_1)
	s_or_b32 s25, s34, s25
	s_and_not1_b32 s31, s31, exec_lo
	s_and_b32 s33, s33, exec_lo
	s_or_b32 s31, s31, s33
	s_and_not1_b32 exec_lo, exec_lo, s25
	s_cbranch_execz .LBB26_268
.LBB26_263:                             ;   Parent Loop BB26_15 Depth=1
                                        ; =>  This Inner Loop Header: Depth=2
	s_mov_b32 s33, exec_lo
	s_delay_alu instid0(VALU_DEP_1)
	v_cmpx_gt_u32_e64 s27, v2
	s_cbranch_execz .LBB26_261
; %bb.264:                              ;   in Loop: Header=BB26_263 Depth=2
	ds_load_u8 v3, v2
	s_wait_dscnt 0x0
	v_bfe_i32 v4, v3, 0, 8
	s_delay_alu instid0(VALU_DEP_1) | instskip(NEXT) | instid1(VALU_DEP_1)
	v_add_nc_u32_e32 v4, 0x80, v4
	v_and_b32_e32 v4, v4, v39
	s_delay_alu instid0(VALU_DEP_1)
	v_cmp_eq_u32_e32 vcc_lo, v4, v32
	s_and_b32 exec_lo, exec_lo, vcc_lo
	s_cbranch_execz .LBB26_261
; %bb.265:                              ;   in Loop: Header=BB26_263 Depth=2
	v_lshlrev_b16 v3, 8, v3
	s_delay_alu instid0(VALU_DEP_1)
	v_or_b32_e32 v3, 1, v3
	ds_store_b16 v25, v3 offset:3072
	s_branch .LBB26_261
.LBB26_266:                             ;   in Loop: Header=BB26_263 Depth=2
	v_add_nc_u32_e32 v2, s40, v2
	s_mov_b32 s33, 0
	s_delay_alu instid0(VALU_DEP_1)
	v_cmp_le_u32_e32 vcc_lo, s30, v2
	s_or_not1_b32 s34, vcc_lo, exec_lo
	s_branch .LBB26_262
.LBB26_267:                             ;   in Loop: Header=BB26_15 Depth=1
	v_dual_mov_b32 v32, v3 :: v_dual_mov_b32 v39, v4
	v_mov_b32_e32 v40, v6
	s_mov_b32 s26, 0
	s_and_saveexec_b32 s14, s23
	s_cbranch_execnz .LBB26_413
	s_branch .LBB26_414
.LBB26_268:                             ;   in Loop: Header=BB26_15 Depth=1
	s_or_b32 exec_lo, exec_lo, s25
	v_and_b32_e32 v2, 0xffff, v3
	s_and_b32 s25, s31, exec_lo
	s_delay_alu instid0(VALU_DEP_1)
	v_lshrrev_b32_e32 v40, 8, v2
.LBB26_269:                             ;   in Loop: Header=BB26_15 Depth=1
	s_or_b32 exec_lo, exec_lo, s29
.LBB26_270:                             ;   in Loop: Header=BB26_15 Depth=1
	s_delay_alu instid0(SALU_CYCLE_1)
	s_and_b32 vcc_lo, exec_lo, s28
	s_cbranch_vccz .LBB26_281
; %bb.271:                              ;   in Loop: Header=BB26_15 Depth=1
                                        ; implicit-def: $vgpr40
	s_and_saveexec_b32 s16, s13
	s_cbranch_execz .LBB26_280
; %bb.272:                              ;   in Loop: Header=BB26_15 Depth=1
	v_dual_mov_b32 v2, v22 :: v_dual_mov_b32 v3, v0
	s_mov_b32 s27, 0
                                        ; implicit-def: $sgpr26
	s_branch .LBB26_275
.LBB26_273:                             ;   in Loop: Header=BB26_275 Depth=2
	s_or_b32 exec_lo, exec_lo, s28
	s_wait_dscnt 0x0
	s_barrier_signal -1
	s_barrier_wait -1
	ds_load_u16 v4, v25 offset:3072
	s_mov_b32 s28, -1
	s_mov_b32 s29, -1
	s_wait_dscnt 0x0
	s_barrier_signal -1
	s_barrier_wait -1
	v_and_b32_e32 v5, 0xff, v4
	s_delay_alu instid0(VALU_DEP_1)
	v_cmp_ne_u32_e32 vcc_lo, 0, v5
	s_cbranch_vccz .LBB26_278
.LBB26_274:                             ;   in Loop: Header=BB26_275 Depth=2
	s_and_b32 s28, exec_lo, s28
	s_delay_alu instid0(SALU_CYCLE_1) | instskip(SKIP_2) | instid1(SALU_CYCLE_1)
	s_or_b32 s27, s28, s27
	s_and_not1_b32 s26, s26, exec_lo
	s_and_b32 s28, s29, exec_lo
	s_or_b32 s26, s26, s28
	s_and_not1_b32 exec_lo, exec_lo, s27
	s_cbranch_execz .LBB26_279
.LBB26_275:                             ;   Parent Loop BB26_15 Depth=1
                                        ; =>  This Inner Loop Header: Depth=2
	s_mov_b32 s28, exec_lo
	s_delay_alu instid0(VALU_DEP_1)
	v_cmpx_gt_u32_e64 s36, v3
	s_cbranch_execz .LBB26_273
; %bb.276:                              ;   in Loop: Header=BB26_275 Depth=2
	global_load_u8 v4, v2, s[38:39]
	s_wait_loadcnt 0x0
	v_bfe_i32 v5, v4, 0, 8
	s_delay_alu instid0(VALU_DEP_1) | instskip(NEXT) | instid1(VALU_DEP_1)
	v_add_nc_u32_e32 v5, 0x80, v5
	v_and_b32_e32 v5, v5, v39
	s_delay_alu instid0(VALU_DEP_1)
	v_cmp_eq_u32_e32 vcc_lo, v5, v32
	s_and_b32 exec_lo, exec_lo, vcc_lo
	s_cbranch_execz .LBB26_273
; %bb.277:                              ;   in Loop: Header=BB26_275 Depth=2
	v_lshlrev_b16 v4, 8, v4
	s_delay_alu instid0(VALU_DEP_1)
	v_or_b32_e32 v4, 1, v4
	ds_store_b16 v25, v4 offset:3072
	s_branch .LBB26_273
.LBB26_278:                             ;   in Loop: Header=BB26_275 Depth=2
	v_dual_add_nc_u32 v3, s40, v3 :: v_dual_add_nc_u32 v2, s56, v2
	s_mov_b32 s29, 0
	s_delay_alu instid0(VALU_DEP_1)
	v_cmp_le_u32_e32 vcc_lo, s82, v3
	s_or_not1_b32 s28, vcc_lo, exec_lo
	s_branch .LBB26_274
.LBB26_279:                             ;   in Loop: Header=BB26_15 Depth=1
	s_or_b32 exec_lo, exec_lo, s27
	v_and_b32_e32 v2, 0xffff, v4
	s_and_not1_b32 s25, s25, exec_lo
	s_and_b32 s26, s26, exec_lo
	s_delay_alu instid0(SALU_CYCLE_1) | instskip(NEXT) | instid1(VALU_DEP_1)
	s_or_b32 s25, s25, s26
	v_lshrrev_b32_e32 v40, 8, v2
.LBB26_280:                             ;   in Loop: Header=BB26_15 Depth=1
	s_or_b32 exec_lo, exec_lo, s16
	s_mov_b32 s16, 0
	s_mov_b32 s26, -1
.LBB26_281:                             ;   in Loop: Header=BB26_15 Depth=1
	s_or_not1_b32 s25, s25, exec_lo
.LBB26_282:                             ;   in Loop: Header=BB26_15 Depth=1
	s_or_b32 exec_lo, exec_lo, s24
                                        ; implicit-def: $vgpr5
                                        ; implicit-def: $vgpr2
	s_and_saveexec_b32 s24, s25
	s_cbranch_execz .LBB26_412
; %bb.283:                              ;   in Loop: Header=BB26_15 Depth=1
	v_dual_mov_b32 v5, 1 :: v_dual_mov_b32 v2, 1
	s_xor_b32 s25, s14, -1
	s_mov_b32 s28, 0
	s_and_saveexec_b32 s14, s25
	s_cbranch_execz .LBB26_292
; %bb.284:                              ;   in Loop: Header=BB26_15 Depth=1
	s_mov_b32 s25, exec_lo
	v_cmpx_ge_u32_e64 s22, v41
	s_xor_b32 s25, exec_lo, s25
	s_cbranch_execz .LBB26_289
; %bb.285:                              ;   in Loop: Header=BB26_15 Depth=1
	ds_load_b32 v2, v25 offset:4096
	v_or_b32_e32 v32, s18, v32
	v_or_b32_e32 v39, s18, v39
	s_wait_dscnt 0x0
	v_cmp_ne_u32_e32 vcc_lo, 0, v2
	s_cbranch_vccnz .LBB26_289
; %bb.286:                              ;   in Loop: Header=BB26_15 Depth=1
	s_and_saveexec_b32 s27, s5
; %bb.287:                              ;   in Loop: Header=BB26_15 Depth=1
	v_mov_b32_e32 v2, s22
	ds_store_b32 v25, v2 offset:4100
; %bb.288:                              ;   in Loop: Header=BB26_15 Depth=1
	s_or_b32 exec_lo, exec_lo, s27
	s_wait_dscnt 0x0
	s_barrier_signal -1
	s_barrier_wait -1
.LBB26_289:                             ;   in Loop: Header=BB26_15 Depth=1
	s_or_saveexec_b32 s25, s25
	v_mov_b32_e32 v2, 5
	s_mov_b32 s27, 0
	s_xor_b32 exec_lo, exec_lo, s25
; %bb.290:                              ;   in Loop: Header=BB26_15 Depth=1
	v_subrev_nc_u32_e32 v41, s22, v41
	v_mov_b32_e32 v2, 0
	s_mov_b32 s27, exec_lo
; %bb.291:                              ;   in Loop: Header=BB26_15 Depth=1
	s_or_b32 exec_lo, exec_lo, s25
	s_delay_alu instid0(VALU_DEP_2)
	v_mov_b32_e32 v5, v41
	s_and_b32 s28, s27, exec_lo
.LBB26_292:                             ;   in Loop: Header=BB26_15 Depth=1
	s_or_b32 exec_lo, exec_lo, s14
	s_mov_b32 s27, -1
                                        ; implicit-def: $sgpr22
                                        ; implicit-def: $sgpr25
	s_and_saveexec_b32 s14, s28
	s_delay_alu instid0(SALU_CYCLE_1)
	s_xor_b32 s14, exec_lo, s14
	s_cbranch_execz .LBB26_409
; %bb.293:                              ;   in Loop: Header=BB26_15 Depth=1
	v_cmp_eq_u32_e32 vcc_lo, 1, v5
	s_cmp_eq_u32 s21, 1
	s_mov_b32 s29, -1
	s_cselect_b32 s22, -1, 0
                                        ; implicit-def: $sgpr25
	s_delay_alu instid0(SALU_CYCLE_1) | instskip(NEXT) | instid1(SALU_CYCLE_1)
	s_and_b32 s28, s22, vcc_lo
                                        ; implicit-def: $sgpr22
	s_and_saveexec_b32 s27, s28
	s_cbranch_execz .LBB26_319
; %bb.294:                              ;   in Loop: Header=BB26_15 Depth=1
	ds_load_b32 v3, v25 offset:4096
	s_wait_dscnt 0x0
	s_barrier_signal -1
	s_barrier_wait -1
	v_readfirstlane_b32 s30, v3
	s_and_saveexec_b32 s22, s6
; %bb.295:                              ;   in Loop: Header=BB26_15 Depth=1
	ds_store_b8 v0, v25 offset:3072
; %bb.296:                              ;   in Loop: Header=BB26_15 Depth=1
	s_or_b32 exec_lo, exec_lo, s22
	s_lshl_b32 s22, 2, s84
	v_or_b32_e32 v39, s18, v39
	v_and_or_b32 v32, v32, s19, s22
	s_mov_b32 s22, -1
	s_mov_b32 s25, 0
	s_cmp_eq_u32 s30, 0
	s_mov_b32 s29, 0
	s_mov_b32 s31, -1
	s_wait_dscnt 0x0
	s_barrier_signal -1
	s_barrier_wait -1
                                        ; implicit-def: $vgpr40
	s_cbranch_scc1 .LBB26_307
; %bb.297:                              ;   in Loop: Header=BB26_15 Depth=1
	s_add_co_i32 s46, s30, s65
	s_mov_b32 s33, exec_lo
	s_mul_u64 s[42:43], s[46:47], s[50:51]
                                        ; implicit-def: $vgpr40
	s_delay_alu instid0(SALU_CYCLE_1) | instskip(NEXT) | instid1(SALU_CYCLE_1)
	s_mul_i32 s29, s43, s40
	s_sub_co_i32 s29, s46, s29
	s_delay_alu instid0(SALU_CYCLE_1) | instskip(SKIP_2) | instid1(SALU_CYCLE_1)
	s_sub_co_i32 s31, s29, s40
	s_cmp_ge_u32 s29, s40
	s_cselect_b32 s29, s31, s29
	s_sub_co_i32 s31, s29, s40
	s_cmp_ge_u32 s29, s40
	s_cselect_b32 s29, s31, s29
	s_mov_b32 s31, 0
	s_sub_co_i32 s34, s46, s29
	s_mov_b32 s29, 0
	v_cmpx_gt_u32_e64 s34, v0
	s_cbranch_execz .LBB26_306
; %bb.298:                              ;   in Loop: Header=BB26_15 Depth=1
	v_mov_b32_e32 v3, v0
                                        ; implicit-def: $sgpr46
	s_branch .LBB26_301
.LBB26_299:                             ;   in Loop: Header=BB26_301 Depth=2
	s_or_b32 exec_lo, exec_lo, s58
	s_wait_dscnt 0x0
	s_barrier_signal -1
	s_barrier_wait -1
	ds_load_u16 v4, v25 offset:3072
	s_mov_b32 s43, -1
	s_mov_b32 s42, -1
	s_wait_dscnt 0x0
	s_barrier_signal -1
	s_barrier_wait -1
	v_and_b32_e32 v6, 0xff, v4
	s_delay_alu instid0(VALU_DEP_1)
	v_cmp_ne_u32_e32 vcc_lo, 0, v6
	s_cbranch_vccz .LBB26_304
.LBB26_300:                             ;   in Loop: Header=BB26_301 Depth=2
	s_and_b32 s43, exec_lo, s43
	s_delay_alu instid0(SALU_CYCLE_1) | instskip(SKIP_2) | instid1(SALU_CYCLE_1)
	s_or_b32 s29, s43, s29
	s_and_not1_b32 s43, s46, exec_lo
	s_and_b32 s42, s42, exec_lo
	s_or_b32 s46, s43, s42
	s_and_not1_b32 exec_lo, exec_lo, s29
	s_cbranch_execz .LBB26_305
.LBB26_301:                             ;   Parent Loop BB26_15 Depth=1
                                        ; =>  This Inner Loop Header: Depth=2
	s_mov_b32 s58, exec_lo
	s_delay_alu instid0(VALU_DEP_1)
	v_cmpx_gt_u32_e64 s30, v3
	s_cbranch_execz .LBB26_299
; %bb.302:                              ;   in Loop: Header=BB26_301 Depth=2
	ds_load_u8 v4, v3
	s_wait_dscnt 0x0
	v_bfe_i32 v6, v4, 0, 8
	s_delay_alu instid0(VALU_DEP_1) | instskip(NEXT) | instid1(VALU_DEP_1)
	v_add_nc_u32_e32 v6, 0x80, v6
	v_and_b32_e32 v6, v6, v39
	s_delay_alu instid0(VALU_DEP_1)
	v_cmp_eq_u32_e32 vcc_lo, v6, v32
	s_and_b32 exec_lo, exec_lo, vcc_lo
	s_cbranch_execz .LBB26_299
; %bb.303:                              ;   in Loop: Header=BB26_301 Depth=2
	v_lshlrev_b16 v4, 8, v4
	s_delay_alu instid0(VALU_DEP_1)
	v_or_b32_e32 v4, 1, v4
	ds_store_b16 v25, v4 offset:3072
	s_branch .LBB26_299
.LBB26_304:                             ;   in Loop: Header=BB26_301 Depth=2
	v_add_nc_u32_e32 v3, s40, v3
	s_mov_b32 s42, 0
	s_delay_alu instid0(VALU_DEP_1)
	v_cmp_le_u32_e32 vcc_lo, s34, v3
	s_or_not1_b32 s43, vcc_lo, exec_lo
	s_branch .LBB26_300
.LBB26_305:                             ;   in Loop: Header=BB26_15 Depth=1
	s_or_b32 exec_lo, exec_lo, s29
	v_and_b32_e32 v3, 0xffff, v4
	s_and_b32 s29, s46, exec_lo
	s_delay_alu instid0(VALU_DEP_1)
	v_lshrrev_b32_e32 v40, 8, v3
.LBB26_306:                             ;   in Loop: Header=BB26_15 Depth=1
	s_or_b32 exec_lo, exec_lo, s33
.LBB26_307:                             ;   in Loop: Header=BB26_15 Depth=1
	s_delay_alu instid0(SALU_CYCLE_1)
	s_and_b32 vcc_lo, exec_lo, s31
	s_cbranch_vccz .LBB26_318
; %bb.308:                              ;   in Loop: Header=BB26_15 Depth=1
                                        ; implicit-def: $vgpr40
	s_and_saveexec_b32 s22, s13
	s_cbranch_execz .LBB26_317
; %bb.309:                              ;   in Loop: Header=BB26_15 Depth=1
	v_dual_mov_b32 v3, v22 :: v_dual_mov_b32 v4, v0
	s_mov_b32 s25, 0
                                        ; implicit-def: $sgpr30
	s_branch .LBB26_312
.LBB26_310:                             ;   in Loop: Header=BB26_312 Depth=2
	s_or_b32 exec_lo, exec_lo, s31
	s_wait_dscnt 0x0
	s_barrier_signal -1
	s_barrier_wait -1
	ds_load_u16 v6, v25 offset:3072
	s_mov_b32 s31, -1
	s_mov_b32 s33, -1
	s_wait_dscnt 0x0
	s_barrier_signal -1
	s_barrier_wait -1
	v_and_b32_e32 v7, 0xff, v6
	s_delay_alu instid0(VALU_DEP_1)
	v_cmp_eq_u32_e32 vcc_lo, 0, v7
	s_cbranch_vccnz .LBB26_315
.LBB26_311:                             ;   in Loop: Header=BB26_312 Depth=2
	s_and_b32 s31, exec_lo, s31
	s_delay_alu instid0(SALU_CYCLE_1) | instskip(SKIP_2) | instid1(SALU_CYCLE_1)
	s_or_b32 s25, s31, s25
	s_and_not1_b32 s30, s30, exec_lo
	s_and_b32 s31, s33, exec_lo
	s_or_b32 s30, s30, s31
	s_and_not1_b32 exec_lo, exec_lo, s25
	s_cbranch_execz .LBB26_316
.LBB26_312:                             ;   Parent Loop BB26_15 Depth=1
                                        ; =>  This Inner Loop Header: Depth=2
	s_mov_b32 s31, exec_lo
	s_delay_alu instid0(VALU_DEP_1)
	v_cmpx_gt_u32_e64 s36, v4
	s_cbranch_execz .LBB26_310
; %bb.313:                              ;   in Loop: Header=BB26_312 Depth=2
	global_load_u8 v6, v3, s[38:39]
	s_wait_loadcnt 0x0
	v_bfe_i32 v7, v6, 0, 8
	s_delay_alu instid0(VALU_DEP_1) | instskip(NEXT) | instid1(VALU_DEP_1)
	v_add_nc_u32_e32 v7, 0x80, v7
	v_and_b32_e32 v7, v7, v39
	s_delay_alu instid0(VALU_DEP_1)
	v_cmp_eq_u32_e32 vcc_lo, v7, v32
	s_and_b32 exec_lo, exec_lo, vcc_lo
	s_cbranch_execz .LBB26_310
; %bb.314:                              ;   in Loop: Header=BB26_312 Depth=2
	v_lshlrev_b16 v6, 8, v6
	s_delay_alu instid0(VALU_DEP_1)
	v_or_b32_e32 v6, 1, v6
	ds_store_b16 v25, v6 offset:3072
	s_branch .LBB26_310
.LBB26_315:                             ;   in Loop: Header=BB26_312 Depth=2
	v_dual_add_nc_u32 v4, s40, v4 :: v_dual_add_nc_u32 v3, s56, v3
	s_mov_b32 s33, 0
	s_delay_alu instid0(VALU_DEP_1)
	v_cmp_le_u32_e32 vcc_lo, s82, v4
	s_or_not1_b32 s31, vcc_lo, exec_lo
	s_branch .LBB26_311
.LBB26_316:                             ;   in Loop: Header=BB26_15 Depth=1
	s_or_b32 exec_lo, exec_lo, s25
	v_and_b32_e32 v3, 0xffff, v6
	s_and_not1_b32 s25, s29, exec_lo
	s_and_b32 s29, s30, exec_lo
	s_delay_alu instid0(SALU_CYCLE_1) | instskip(NEXT) | instid1(VALU_DEP_1)
	s_or_b32 s29, s25, s29
	v_lshrrev_b32_e32 v40, 8, v3
.LBB26_317:                             ;   in Loop: Header=BB26_15 Depth=1
	s_or_b32 exec_lo, exec_lo, s22
	s_mov_b32 s22, 0
	s_mov_b32 s25, -1
.LBB26_318:                             ;   in Loop: Header=BB26_15 Depth=1
	s_or_not1_b32 s29, s29, exec_lo
.LBB26_319:                             ;   in Loop: Header=BB26_15 Depth=1
	s_or_b32 exec_lo, exec_lo, s27
	s_mov_b32 s30, 0
	s_and_saveexec_b32 s27, s29
	s_cbranch_execz .LBB26_408
; %bb.320:                              ;   in Loop: Header=BB26_15 Depth=1
	v_dual_mov_b32 v3, 1 :: v_dual_mov_b32 v2, 1
	s_xor_b32 s29, s28, -1
	s_mov_b32 s31, 0
	s_and_saveexec_b32 s28, s29
	s_cbranch_execz .LBB26_329
; %bb.321:                              ;   in Loop: Header=BB26_15 Depth=1
	s_mov_b32 s29, exec_lo
	v_cmpx_ge_u32_e64 s21, v5
	s_xor_b32 s29, exec_lo, s29
	s_cbranch_execz .LBB26_326
; %bb.322:                              ;   in Loop: Header=BB26_15 Depth=1
	ds_load_b32 v2, v25 offset:4096
	s_lshl_b32 s30, 2, s84
	v_or_b32_e32 v39, s18, v39
	v_and_or_b32 v32, v32, s19, s30
	s_wait_dscnt 0x0
	v_cmp_ne_u32_e32 vcc_lo, 0, v2
	s_cbranch_vccnz .LBB26_326
; %bb.323:                              ;   in Loop: Header=BB26_15 Depth=1
	s_and_saveexec_b32 s30, s5
; %bb.324:                              ;   in Loop: Header=BB26_15 Depth=1
	v_mov_b32_e32 v2, s21
	ds_store_b32 v25, v2 offset:4100
; %bb.325:                              ;   in Loop: Header=BB26_15 Depth=1
	s_or_b32 exec_lo, exec_lo, s30
	s_wait_dscnt 0x0
	s_barrier_signal -1
	s_barrier_wait -1
.LBB26_326:                             ;   in Loop: Header=BB26_15 Depth=1
	s_or_saveexec_b32 s29, s29
	v_mov_b32_e32 v2, 5
	s_mov_b32 s30, 0
	s_xor_b32 exec_lo, exec_lo, s29
; %bb.327:                              ;   in Loop: Header=BB26_15 Depth=1
	v_subrev_nc_u32_e32 v5, s21, v5
	v_mov_b32_e32 v2, 0
	s_mov_b32 s30, exec_lo
; %bb.328:                              ;   in Loop: Header=BB26_15 Depth=1
	s_or_b32 exec_lo, exec_lo, s29
	s_delay_alu instid0(VALU_DEP_2)
	v_mov_b32_e32 v3, v5
	s_and_b32 s31, s30, exec_lo
.LBB26_329:                             ;   in Loop: Header=BB26_15 Depth=1
	s_or_b32 exec_lo, exec_lo, s28
	s_mov_b32 s30, -1
                                        ; implicit-def: $sgpr28
                                        ; implicit-def: $sgpr29
	s_and_saveexec_b32 s21, s31
	s_cbranch_execz .LBB26_407
; %bb.330:                              ;   in Loop: Header=BB26_15 Depth=1
	v_cmp_eq_u32_e32 vcc_lo, 1, v3
	s_cmp_eq_u32 s20, 1
	s_mov_b32 s33, -1
	s_cselect_b32 s28, -1, 0
                                        ; implicit-def: $sgpr29
	s_delay_alu instid0(SALU_CYCLE_1) | instskip(NEXT) | instid1(SALU_CYCLE_1)
	s_and_b32 s31, s28, vcc_lo
                                        ; implicit-def: $sgpr28
	s_and_saveexec_b32 s30, s31
	s_cbranch_execz .LBB26_356
; %bb.331:                              ;   in Loop: Header=BB26_15 Depth=1
	ds_load_b32 v4, v25 offset:4096
	s_wait_dscnt 0x0
	s_barrier_signal -1
	s_barrier_wait -1
	v_readfirstlane_b32 s34, v4
	s_and_saveexec_b32 s28, s6
; %bb.332:                              ;   in Loop: Header=BB26_15 Depth=1
	ds_store_b8 v0, v25 offset:3072
; %bb.333:                              ;   in Loop: Header=BB26_15 Depth=1
	s_or_b32 exec_lo, exec_lo, s28
	s_lshl_b32 s28, 1, s84
	v_or_b32_e32 v39, s18, v39
	v_and_or_b32 v32, v32, s19, s28
	s_mov_b32 s28, -1
	s_mov_b32 s29, 0
	s_cmp_eq_u32 s34, 0
	s_mov_b32 s33, 0
	s_mov_b32 s46, -1
	s_wait_dscnt 0x0
	s_barrier_signal -1
	s_barrier_wait -1
                                        ; implicit-def: $vgpr40
	s_cbranch_scc1 .LBB26_344
; %bb.334:                              ;   in Loop: Header=BB26_15 Depth=1
	s_add_co_i32 s46, s34, s65
	s_mov_b32 s97, exec_lo
	s_mul_u64 s[42:43], s[46:47], s[50:51]
                                        ; implicit-def: $vgpr40
	s_delay_alu instid0(SALU_CYCLE_1) | instskip(NEXT) | instid1(SALU_CYCLE_1)
	s_mul_i32 s33, s43, s40
	s_sub_co_i32 s33, s46, s33
	s_delay_alu instid0(SALU_CYCLE_1) | instskip(SKIP_2) | instid1(SALU_CYCLE_1)
	s_sub_co_i32 s42, s33, s40
	s_cmp_ge_u32 s33, s40
	s_cselect_b32 s33, s42, s33
	s_sub_co_i32 s42, s33, s40
	s_cmp_ge_u32 s33, s40
	s_cselect_b32 s33, s42, s33
	s_delay_alu instid0(SALU_CYCLE_1)
	s_sub_co_i32 s98, s46, s33
	s_mov_b32 s46, 0
	s_mov_b32 s33, 0
	v_cmpx_gt_u32_e64 s98, v0
	s_cbranch_execz .LBB26_343
; %bb.335:                              ;   in Loop: Header=BB26_15 Depth=1
	v_mov_b32_e32 v4, v0
                                        ; implicit-def: $sgpr99
	s_branch .LBB26_338
.LBB26_336:                             ;   in Loop: Header=BB26_338 Depth=2
	s_or_b32 exec_lo, exec_lo, s58
	s_wait_dscnt 0x0
	s_barrier_signal -1
	s_barrier_wait -1
	ds_load_u16 v5, v25 offset:3072
	s_mov_b32 s43, -1
	s_mov_b32 s42, -1
	s_wait_dscnt 0x0
	s_barrier_signal -1
	s_barrier_wait -1
	v_and_b32_e32 v6, 0xff, v5
	s_delay_alu instid0(VALU_DEP_1)
	v_cmp_ne_u32_e32 vcc_lo, 0, v6
	s_cbranch_vccz .LBB26_341
.LBB26_337:                             ;   in Loop: Header=BB26_338 Depth=2
	s_and_b32 s43, exec_lo, s43
	s_delay_alu instid0(SALU_CYCLE_1) | instskip(SKIP_2) | instid1(SALU_CYCLE_1)
	s_or_b32 s33, s43, s33
	s_and_not1_b32 s43, s99, exec_lo
	s_and_b32 s42, s42, exec_lo
	s_or_b32 s99, s43, s42
	s_and_not1_b32 exec_lo, exec_lo, s33
	s_cbranch_execz .LBB26_342
.LBB26_338:                             ;   Parent Loop BB26_15 Depth=1
                                        ; =>  This Inner Loop Header: Depth=2
	s_mov_b32 s58, exec_lo
	s_delay_alu instid0(VALU_DEP_1)
	v_cmpx_gt_u32_e64 s34, v4
	s_cbranch_execz .LBB26_336
; %bb.339:                              ;   in Loop: Header=BB26_338 Depth=2
	ds_load_u8 v5, v4
	s_wait_dscnt 0x0
	v_bfe_i32 v6, v5, 0, 8
	s_delay_alu instid0(VALU_DEP_1) | instskip(NEXT) | instid1(VALU_DEP_1)
	v_add_nc_u32_e32 v6, 0x80, v6
	v_and_b32_e32 v6, v6, v39
	s_delay_alu instid0(VALU_DEP_1)
	v_cmp_eq_u32_e32 vcc_lo, v6, v32
	s_and_b32 exec_lo, exec_lo, vcc_lo
	s_cbranch_execz .LBB26_336
; %bb.340:                              ;   in Loop: Header=BB26_338 Depth=2
	v_lshlrev_b16 v5, 8, v5
	s_delay_alu instid0(VALU_DEP_1)
	v_or_b32_e32 v5, 1, v5
	ds_store_b16 v25, v5 offset:3072
	s_branch .LBB26_336
.LBB26_341:                             ;   in Loop: Header=BB26_338 Depth=2
	v_add_nc_u32_e32 v4, s40, v4
	s_mov_b32 s42, 0
	s_delay_alu instid0(VALU_DEP_1)
	v_cmp_le_u32_e32 vcc_lo, s98, v4
	s_or_not1_b32 s43, vcc_lo, exec_lo
	s_branch .LBB26_337
.LBB26_342:                             ;   in Loop: Header=BB26_15 Depth=1
	s_or_b32 exec_lo, exec_lo, s33
	v_and_b32_e32 v4, 0xffff, v5
	s_and_b32 s33, s99, exec_lo
	s_delay_alu instid0(VALU_DEP_1)
	v_lshrrev_b32_e32 v40, 8, v4
.LBB26_343:                             ;   in Loop: Header=BB26_15 Depth=1
	s_or_b32 exec_lo, exec_lo, s97
.LBB26_344:                             ;   in Loop: Header=BB26_15 Depth=1
	s_delay_alu instid0(SALU_CYCLE_1)
	s_and_b32 vcc_lo, exec_lo, s46
	s_cbranch_vccz .LBB26_355
; %bb.345:                              ;   in Loop: Header=BB26_15 Depth=1
                                        ; implicit-def: $vgpr40
	s_and_saveexec_b32 s28, s13
	s_cbranch_execz .LBB26_354
; %bb.346:                              ;   in Loop: Header=BB26_15 Depth=1
	v_dual_mov_b32 v4, v22 :: v_dual_mov_b32 v5, v0
	s_mov_b32 s29, 0
                                        ; implicit-def: $sgpr34
	s_branch .LBB26_349
.LBB26_347:                             ;   in Loop: Header=BB26_349 Depth=2
	s_or_b32 exec_lo, exec_lo, s46
	s_wait_dscnt 0x0
	s_barrier_signal -1
	s_barrier_wait -1
	ds_load_u16 v6, v25 offset:3072
	s_mov_b32 s42, -1
	s_mov_b32 s43, -1
	s_wait_dscnt 0x0
	s_barrier_signal -1
	s_barrier_wait -1
	v_and_b32_e32 v7, 0xff, v6
	s_delay_alu instid0(VALU_DEP_1)
	v_cmp_eq_u32_e32 vcc_lo, 0, v7
	s_cbranch_vccnz .LBB26_352
.LBB26_348:                             ;   in Loop: Header=BB26_349 Depth=2
	s_and_b32 s42, exec_lo, s42
	s_delay_alu instid0(SALU_CYCLE_1) | instskip(SKIP_2) | instid1(SALU_CYCLE_1)
	s_or_b32 s29, s42, s29
	s_and_not1_b32 s34, s34, exec_lo
	s_and_b32 s42, s43, exec_lo
	s_or_b32 s34, s34, s42
	s_and_not1_b32 exec_lo, exec_lo, s29
	s_cbranch_execz .LBB26_353
.LBB26_349:                             ;   Parent Loop BB26_15 Depth=1
                                        ; =>  This Inner Loop Header: Depth=2
	s_mov_b32 s46, exec_lo
	s_delay_alu instid0(VALU_DEP_1)
	v_cmpx_gt_u32_e64 s36, v5
	s_cbranch_execz .LBB26_347
; %bb.350:                              ;   in Loop: Header=BB26_349 Depth=2
	global_load_u8 v6, v4, s[38:39]
	s_wait_loadcnt 0x0
	v_bfe_i32 v7, v6, 0, 8
	s_delay_alu instid0(VALU_DEP_1) | instskip(NEXT) | instid1(VALU_DEP_1)
	v_add_nc_u32_e32 v7, 0x80, v7
	v_and_b32_e32 v7, v7, v39
	s_delay_alu instid0(VALU_DEP_1)
	v_cmp_eq_u32_e32 vcc_lo, v7, v32
	s_and_b32 exec_lo, exec_lo, vcc_lo
	s_cbranch_execz .LBB26_347
; %bb.351:                              ;   in Loop: Header=BB26_349 Depth=2
	v_lshlrev_b16 v6, 8, v6
	s_delay_alu instid0(VALU_DEP_1)
	v_or_b32_e32 v6, 1, v6
	ds_store_b16 v25, v6 offset:3072
	s_branch .LBB26_347
.LBB26_352:                             ;   in Loop: Header=BB26_349 Depth=2
	v_dual_add_nc_u32 v5, s40, v5 :: v_dual_add_nc_u32 v4, s56, v4
	s_mov_b32 s43, 0
	s_delay_alu instid0(VALU_DEP_1)
	v_cmp_le_u32_e32 vcc_lo, s82, v5
	s_or_not1_b32 s42, vcc_lo, exec_lo
	s_branch .LBB26_348
.LBB26_353:                             ;   in Loop: Header=BB26_15 Depth=1
	s_or_b32 exec_lo, exec_lo, s29
	v_and_b32_e32 v4, 0xffff, v6
	s_and_not1_b32 s29, s33, exec_lo
	s_and_b32 s33, s34, exec_lo
	s_delay_alu instid0(SALU_CYCLE_1) | instskip(NEXT) | instid1(VALU_DEP_1)
	s_or_b32 s33, s29, s33
	v_lshrrev_b32_e32 v40, 8, v4
.LBB26_354:                             ;   in Loop: Header=BB26_15 Depth=1
	s_or_b32 exec_lo, exec_lo, s28
	s_mov_b32 s28, 0
	s_mov_b32 s29, -1
.LBB26_355:                             ;   in Loop: Header=BB26_15 Depth=1
	s_or_not1_b32 s33, s33, exec_lo
.LBB26_356:                             ;   in Loop: Header=BB26_15 Depth=1
	s_or_b32 exec_lo, exec_lo, s30
	s_mov_b32 s34, 0
	s_and_saveexec_b32 s30, s33
	s_cbranch_execz .LBB26_406
; %bb.357:                              ;   in Loop: Header=BB26_15 Depth=1
	v_dual_mov_b32 v4, 1 :: v_dual_mov_b32 v2, 1
	s_xor_b32 s33, s31, -1
	s_mov_b32 s46, 0
	s_and_saveexec_b32 s31, s33
	s_cbranch_execz .LBB26_366
; %bb.358:                              ;   in Loop: Header=BB26_15 Depth=1
	s_mov_b32 s33, exec_lo
	v_cmpx_ge_u32_e64 s20, v3
	s_xor_b32 s33, exec_lo, s33
	s_cbranch_execz .LBB26_363
; %bb.359:                              ;   in Loop: Header=BB26_15 Depth=1
	ds_load_b32 v2, v25 offset:4096
	s_lshl_b32 s34, 1, s84
	v_or_b32_e32 v39, s18, v39
	v_and_or_b32 v32, v32, s19, s34
	s_wait_dscnt 0x0
	v_cmp_ne_u32_e32 vcc_lo, 0, v2
	s_cbranch_vccnz .LBB26_363
; %bb.360:                              ;   in Loop: Header=BB26_15 Depth=1
	s_and_saveexec_b32 s34, s5
; %bb.361:                              ;   in Loop: Header=BB26_15 Depth=1
	v_mov_b32_e32 v2, s20
	ds_store_b32 v25, v2 offset:4100
; %bb.362:                              ;   in Loop: Header=BB26_15 Depth=1
	s_or_b32 exec_lo, exec_lo, s34
	s_wait_dscnt 0x0
	s_barrier_signal -1
	s_barrier_wait -1
.LBB26_363:                             ;   in Loop: Header=BB26_15 Depth=1
	s_or_saveexec_b32 s33, s33
	v_mov_b32_e32 v2, 5
	s_mov_b32 s34, 0
	s_xor_b32 exec_lo, exec_lo, s33
; %bb.364:                              ;   in Loop: Header=BB26_15 Depth=1
	v_subrev_nc_u32_e32 v3, s20, v3
	v_mov_b32_e32 v2, 0
	s_mov_b32 s34, exec_lo
; %bb.365:                              ;   in Loop: Header=BB26_15 Depth=1
	s_or_b32 exec_lo, exec_lo, s33
	s_delay_alu instid0(VALU_DEP_2)
	v_mov_b32_e32 v4, v3
	s_and_b32 s46, s34, exec_lo
.LBB26_366:                             ;   in Loop: Header=BB26_15 Depth=1
	s_or_b32 exec_lo, exec_lo, s31
	s_mov_b32 s31, -1
                                        ; implicit-def: $sgpr34
                                        ; implicit-def: $sgpr33
	s_and_saveexec_b32 s20, s46
	s_cbranch_execz .LBB26_405
; %bb.367:                              ;   in Loop: Header=BB26_15 Depth=1
	v_cmp_eq_u32_e32 vcc_lo, 1, v4
	s_cmp_eq_u32 s17, 1
	s_mov_b32 s58, -1
	s_cselect_b32 s31, -1, 0
                                        ; implicit-def: $sgpr34
                                        ; implicit-def: $sgpr33
	s_delay_alu instid0(SALU_CYCLE_1) | instskip(NEXT) | instid1(SALU_CYCLE_1)
	s_and_b32 s31, s31, vcc_lo
	s_and_saveexec_b32 s97, s31
	s_cbranch_execz .LBB26_393
; %bb.368:                              ;   in Loop: Header=BB26_15 Depth=1
	ds_load_b32 v3, v25 offset:4096
	s_wait_dscnt 0x0
	s_barrier_signal -1
	s_barrier_wait -1
	v_readfirstlane_b32 s98, v3
	s_and_saveexec_b32 s33, s6
; %bb.369:                              ;   in Loop: Header=BB26_15 Depth=1
	ds_store_b8 v0, v25 offset:3072
; %bb.370:                              ;   in Loop: Header=BB26_15 Depth=1
	s_or_b32 exec_lo, exec_lo, s33
	v_and_b32_e32 v32, s19, v32
	v_or_b32_e32 v39, s18, v39
	s_mov_b32 s33, -1
	s_mov_b32 s34, 0
	s_cmp_eq_u32 s98, 0
	s_mov_b32 s46, 0
	s_mov_b32 s99, -1
	s_wait_dscnt 0x0
	s_barrier_signal -1
	s_barrier_wait -1
                                        ; implicit-def: $vgpr40
	s_cbranch_scc1 .LBB26_381
; %bb.371:                              ;   in Loop: Header=BB26_15 Depth=1
	s_add_co_i32 s46, s98, s65
	s_mov_b32 s99, 0
	s_mul_u64 s[42:43], s[46:47], s[50:51]
	s_mov_b32 s100, exec_lo
	s_mul_i32 s42, s43, s40
                                        ; implicit-def: $vgpr40
	s_delay_alu instid0(SALU_CYCLE_1) | instskip(NEXT) | instid1(SALU_CYCLE_1)
	s_sub_co_i32 s42, s46, s42
	s_sub_co_i32 s43, s42, s40
	s_cmp_ge_u32 s42, s40
	s_cselect_b32 s42, s43, s42
	s_delay_alu instid0(SALU_CYCLE_1) | instskip(SKIP_2) | instid1(SALU_CYCLE_1)
	s_sub_co_i32 s43, s42, s40
	s_cmp_ge_u32 s42, s40
	s_cselect_b32 s42, s43, s42
	s_sub_co_i32 s101, s46, s42
	s_mov_b32 s46, 0
	v_cmpx_gt_u32_e64 s101, v0
	s_cbranch_execz .LBB26_380
; %bb.372:                              ;   in Loop: Header=BB26_15 Depth=1
	v_mov_b32_e32 v3, v0
                                        ; implicit-def: $sgpr102
	s_branch .LBB26_375
.LBB26_373:                             ;   in Loop: Header=BB26_375 Depth=2
	s_or_b32 exec_lo, exec_lo, s58
	s_wait_dscnt 0x0
	s_barrier_signal -1
	s_barrier_wait -1
	ds_load_u16 v5, v25 offset:3072
	s_mov_b32 s43, -1
	s_mov_b32 s42, -1
	s_wait_dscnt 0x0
	s_barrier_signal -1
	s_barrier_wait -1
	v_and_b32_e32 v6, 0xff, v5
	s_delay_alu instid0(VALU_DEP_1)
	v_cmp_ne_u32_e32 vcc_lo, 0, v6
	s_cbranch_vccz .LBB26_378
.LBB26_374:                             ;   in Loop: Header=BB26_375 Depth=2
	s_and_b32 s43, exec_lo, s43
	s_delay_alu instid0(SALU_CYCLE_1) | instskip(SKIP_2) | instid1(SALU_CYCLE_1)
	s_or_b32 s46, s43, s46
	s_and_not1_b32 s43, s102, exec_lo
	s_and_b32 s42, s42, exec_lo
	s_or_b32 s102, s43, s42
	s_and_not1_b32 exec_lo, exec_lo, s46
	s_cbranch_execz .LBB26_379
.LBB26_375:                             ;   Parent Loop BB26_15 Depth=1
                                        ; =>  This Inner Loop Header: Depth=2
	s_mov_b32 s58, exec_lo
	s_delay_alu instid0(VALU_DEP_1)
	v_cmpx_gt_u32_e64 s98, v3
	s_cbranch_execz .LBB26_373
; %bb.376:                              ;   in Loop: Header=BB26_375 Depth=2
	ds_load_u8 v5, v3
	s_wait_dscnt 0x0
	v_bfe_i32 v6, v5, 0, 8
	s_delay_alu instid0(VALU_DEP_1) | instskip(NEXT) | instid1(VALU_DEP_1)
	v_add_nc_u32_e32 v6, 0x80, v6
	v_and_b32_e32 v6, v6, v39
	s_delay_alu instid0(VALU_DEP_1)
	v_cmp_eq_u32_e32 vcc_lo, v6, v32
	s_and_b32 exec_lo, exec_lo, vcc_lo
	s_cbranch_execz .LBB26_373
; %bb.377:                              ;   in Loop: Header=BB26_375 Depth=2
	v_lshlrev_b16 v5, 8, v5
	s_delay_alu instid0(VALU_DEP_1)
	v_or_b32_e32 v5, 1, v5
	ds_store_b16 v25, v5 offset:3072
	s_branch .LBB26_373
.LBB26_378:                             ;   in Loop: Header=BB26_375 Depth=2
	v_add_nc_u32_e32 v3, s40, v3
	s_mov_b32 s42, 0
	s_delay_alu instid0(VALU_DEP_1)
	v_cmp_le_u32_e32 vcc_lo, s101, v3
	s_or_not1_b32 s43, vcc_lo, exec_lo
	s_branch .LBB26_374
.LBB26_379:                             ;   in Loop: Header=BB26_15 Depth=1
	s_or_b32 exec_lo, exec_lo, s46
	v_and_b32_e32 v3, 0xffff, v5
	s_and_b32 s46, s102, exec_lo
	s_delay_alu instid0(VALU_DEP_1)
	v_lshrrev_b32_e32 v40, 8, v3
.LBB26_380:                             ;   in Loop: Header=BB26_15 Depth=1
	s_or_b32 exec_lo, exec_lo, s100
.LBB26_381:                             ;   in Loop: Header=BB26_15 Depth=1
	s_delay_alu instid0(SALU_CYCLE_1)
	s_and_b32 vcc_lo, exec_lo, s99
	s_cbranch_vccz .LBB26_392
; %bb.382:                              ;   in Loop: Header=BB26_15 Depth=1
                                        ; implicit-def: $vgpr40
	s_and_saveexec_b32 s33, s13
	s_cbranch_execz .LBB26_391
; %bb.383:                              ;   in Loop: Header=BB26_15 Depth=1
	v_dual_mov_b32 v3, v22 :: v_dual_mov_b32 v5, v0
	s_mov_b32 s34, 0
                                        ; implicit-def: $sgpr98
	s_branch .LBB26_386
.LBB26_384:                             ;   in Loop: Header=BB26_386 Depth=2
	s_or_b32 exec_lo, exec_lo, s58
	s_wait_dscnt 0x0
	s_barrier_signal -1
	s_barrier_wait -1
	ds_load_u16 v6, v25 offset:3072
	s_mov_b32 s42, -1
	s_mov_b32 s43, -1
	s_wait_dscnt 0x0
	s_barrier_signal -1
	s_barrier_wait -1
	v_and_b32_e32 v7, 0xff, v6
	s_delay_alu instid0(VALU_DEP_1)
	v_cmp_eq_u32_e32 vcc_lo, 0, v7
	s_cbranch_vccnz .LBB26_389
.LBB26_385:                             ;   in Loop: Header=BB26_386 Depth=2
	s_and_b32 s42, exec_lo, s42
	s_delay_alu instid0(SALU_CYCLE_1) | instskip(SKIP_2) | instid1(SALU_CYCLE_1)
	s_or_b32 s34, s42, s34
	s_and_not1_b32 s42, s98, exec_lo
	s_and_b32 s43, s43, exec_lo
	s_or_b32 s98, s42, s43
	s_and_not1_b32 exec_lo, exec_lo, s34
	s_cbranch_execz .LBB26_390
.LBB26_386:                             ;   Parent Loop BB26_15 Depth=1
                                        ; =>  This Inner Loop Header: Depth=2
	s_mov_b32 s58, exec_lo
	s_delay_alu instid0(VALU_DEP_1)
	v_cmpx_gt_u32_e64 s36, v5
	s_cbranch_execz .LBB26_384
; %bb.387:                              ;   in Loop: Header=BB26_386 Depth=2
	global_load_u8 v6, v3, s[38:39]
	s_wait_loadcnt 0x0
	v_bfe_i32 v7, v6, 0, 8
	s_delay_alu instid0(VALU_DEP_1) | instskip(NEXT) | instid1(VALU_DEP_1)
	v_add_nc_u32_e32 v7, 0x80, v7
	v_and_b32_e32 v7, v7, v39
	s_delay_alu instid0(VALU_DEP_1)
	v_cmp_eq_u32_e32 vcc_lo, v7, v32
	s_and_b32 exec_lo, exec_lo, vcc_lo
	s_cbranch_execz .LBB26_384
; %bb.388:                              ;   in Loop: Header=BB26_386 Depth=2
	v_lshlrev_b16 v6, 8, v6
	s_delay_alu instid0(VALU_DEP_1)
	v_or_b32_e32 v6, 1, v6
	ds_store_b16 v25, v6 offset:3072
	s_branch .LBB26_384
.LBB26_389:                             ;   in Loop: Header=BB26_386 Depth=2
	v_dual_add_nc_u32 v5, s40, v5 :: v_dual_add_nc_u32 v3, s56, v3
	s_mov_b32 s43, 0
	s_delay_alu instid0(VALU_DEP_1)
	v_cmp_le_u32_e32 vcc_lo, s82, v5
	s_or_not1_b32 s42, vcc_lo, exec_lo
	s_branch .LBB26_385
.LBB26_390:                             ;   in Loop: Header=BB26_15 Depth=1
	s_or_b32 exec_lo, exec_lo, s34
	v_and_b32_e32 v3, 0xffff, v6
	s_and_not1_b32 s34, s46, exec_lo
	s_and_b32 s42, s98, exec_lo
	s_delay_alu instid0(SALU_CYCLE_1) | instskip(NEXT) | instid1(VALU_DEP_1)
	s_or_b32 s46, s34, s42
	v_lshrrev_b32_e32 v40, 8, v3
.LBB26_391:                             ;   in Loop: Header=BB26_15 Depth=1
	s_or_b32 exec_lo, exec_lo, s33
	s_mov_b32 s33, 0
	s_mov_b32 s34, -1
.LBB26_392:                             ;   in Loop: Header=BB26_15 Depth=1
	s_or_not1_b32 s58, s46, exec_lo
.LBB26_393:                             ;   in Loop: Header=BB26_15 Depth=1
	s_or_b32 exec_lo, exec_lo, s97
	s_mov_b32 s97, 0
	s_and_saveexec_b32 s46, s58
	s_cbranch_execz .LBB26_404
; %bb.394:                              ;   in Loop: Header=BB26_15 Depth=1
	v_dual_mov_b32 v2, 1 :: v_dual_mov_b32 v3, 1
	s_xor_b32 s42, s31, -1
	s_delay_alu instid0(SALU_CYCLE_1)
	s_and_saveexec_b32 s31, s42
	s_cbranch_execz .LBB26_403
; %bb.395:                              ;   in Loop: Header=BB26_15 Depth=1
	s_mov_b32 s42, exec_lo
	v_cmpx_ge_u32_e64 s17, v4
	s_xor_b32 s58, exec_lo, s42
	s_cbranch_execz .LBB26_400
; %bb.396:                              ;   in Loop: Header=BB26_15 Depth=1
	ds_load_b32 v2, v25 offset:4096
	v_and_b32_e32 v32, s19, v32
	v_or_b32_e32 v39, s18, v39
	s_wait_dscnt 0x0
	v_cmp_ne_u32_e32 vcc_lo, 0, v2
	s_cbranch_vccnz .LBB26_400
; %bb.397:                              ;   in Loop: Header=BB26_15 Depth=1
	s_and_saveexec_b32 s18, s5
; %bb.398:                              ;   in Loop: Header=BB26_15 Depth=1
	v_mov_b32_e32 v2, s17
	ds_store_b32 v25, v2 offset:4100
; %bb.399:                              ;   in Loop: Header=BB26_15 Depth=1
	s_or_b32 exec_lo, exec_lo, s18
	s_wait_dscnt 0x0
	s_barrier_signal -1
	s_barrier_wait -1
.LBB26_400:                             ;   in Loop: Header=BB26_15 Depth=1
	s_and_not1_saveexec_b32 s18, s58
; %bb.401:                              ;   in Loop: Header=BB26_15 Depth=1
	v_subrev_nc_u32_e32 v4, s17, v4
; %bb.402:                              ;   in Loop: Header=BB26_15 Depth=1
	s_or_b32 exec_lo, exec_lo, s18
	s_delay_alu instid0(VALU_DEP_1)
	v_dual_mov_b32 v2, 5 :: v_dual_mov_b32 v3, v4
.LBB26_403:                             ;   in Loop: Header=BB26_15 Depth=1
	s_or_b32 exec_lo, exec_lo, s31
	s_delay_alu instid0(VALU_DEP_1)
	v_mov_b32_e32 v4, v3
	s_mov_b32 s97, exec_lo
.LBB26_404:                             ;   in Loop: Header=BB26_15 Depth=1
	s_or_b32 exec_lo, exec_lo, s46
	s_delay_alu instid0(SALU_CYCLE_1)
	s_or_not1_b32 s31, s97, exec_lo
.LBB26_405:                             ;   in Loop: Header=BB26_15 Depth=1
	s_or_b32 exec_lo, exec_lo, s20
	v_mov_b32_e32 v3, v4
	s_and_not1_b32 s17, s29, exec_lo
	s_and_b32 s18, s34, exec_lo
	s_and_not1_b32 s19, s28, exec_lo
	s_and_b32 s20, s33, exec_lo
	s_or_b32 s29, s17, s18
	s_or_b32 s28, s19, s20
	s_and_b32 s34, s31, exec_lo
.LBB26_406:                             ;   in Loop: Header=BB26_15 Depth=1
	s_or_b32 exec_lo, exec_lo, s30
	s_delay_alu instid0(SALU_CYCLE_1)
	s_or_not1_b32 s30, s34, exec_lo
.LBB26_407:                             ;   in Loop: Header=BB26_15 Depth=1
	s_or_b32 exec_lo, exec_lo, s21
	v_mov_b32_e32 v5, v3
	s_and_not1_b32 s17, s25, exec_lo
	s_and_b32 s18, s29, exec_lo
	s_and_not1_b32 s19, s22, exec_lo
	s_and_b32 s20, s28, exec_lo
	s_or_b32 s25, s17, s18
	s_or_b32 s22, s19, s20
	s_and_b32 s30, s30, exec_lo
.LBB26_408:                             ;   in Loop: Header=BB26_15 Depth=1
	s_or_b32 exec_lo, exec_lo, s27
	s_delay_alu instid0(SALU_CYCLE_1)
	s_or_not1_b32 s27, s30, exec_lo
.LBB26_409:                             ;   in Loop: Header=BB26_15 Depth=1
	s_or_b32 exec_lo, exec_lo, s14
	s_mov_b32 s14, s23
	s_mov_b32 s17, s15
	s_and_saveexec_b32 s18, s27
; %bb.410:                              ;   in Loop: Header=BB26_15 Depth=1
	v_cmp_ne_u32_e32 vcc_lo, 5, v2
	v_cmp_eq_u32_e64 s14, 5, v2
	s_and_not1_b32 s17, s15, exec_lo
	s_and_not1_b32 s19, s23, exec_lo
	s_and_b32 s20, vcc_lo, exec_lo
	s_and_b32 s14, s14, exec_lo
	s_or_b32 s17, s17, s20
	s_or_b32 s14, s19, s14
; %bb.411:                              ;   in Loop: Header=BB26_15 Depth=1
	s_or_b32 exec_lo, exec_lo, s18
	s_delay_alu instid0(SALU_CYCLE_1)
	s_and_not1_b32 s18, s26, exec_lo
	s_and_b32 s19, s25, exec_lo
	s_and_not1_b32 s16, s16, exec_lo
	s_and_b32 s20, s22, exec_lo
	s_or_b32 s26, s18, s19
	s_and_not1_b32 s15, s15, exec_lo
	s_and_b32 s17, s17, exec_lo
	s_and_not1_b32 s18, s23, exec_lo
	s_and_b32 s14, s14, exec_lo
	s_or_b32 s16, s16, s20
	s_or_b32 s15, s15, s17
	;; [unrolled: 1-line block ×3, first 2 shown]
.LBB26_412:                             ;   in Loop: Header=BB26_15 Depth=1
	s_or_b32 exec_lo, exec_lo, s24
	s_mov_b32 s24, 0
	s_mov_b32 s25, 0
	s_and_saveexec_b32 s14, s23
.LBB26_413:                             ;   in Loop: Header=BB26_15 Depth=1
	v_mov_b32_e32 v2, 0
	s_or_b32 s15, s15, exec_lo
.LBB26_414:                             ;   in Loop: Header=BB26_15 Depth=1
	s_or_b32 exec_lo, exec_lo, s14
	s_delay_alu instid0(SALU_CYCLE_1)
	s_and_not1_b32 s14, s94, exec_lo
	s_and_b32 s18, s26, exec_lo
	s_and_not1_b32 s19, s92, exec_lo
	s_and_b32 s16, s16, exec_lo
	v_mov_b32_e32 v41, v5
	s_or_b32 s94, s14, s18
	s_or_b32 s92, s19, s16
	s_and_not1_b32 s14, s96, exec_lo
	s_and_b32 s16, s25, exec_lo
	s_and_not1_b32 s18, s95, exec_lo
	s_and_b32 s19, s24, exec_lo
	s_mov_b32 s17, -1
	s_and_not1_b32 s93, s93, exec_lo
	s_or_b32 s96, s14, s16
	s_or_b32 s95, s18, s19
	s_and_saveexec_b32 s14, s15
	s_delay_alu instid0(SALU_CYCLE_1)
	s_xor_b32 s14, exec_lo, s14
	s_cbranch_execz .LBB26_14
; %bb.415:                              ;   in Loop: Header=BB26_15 Depth=1
	s_mov_b32 s15, -1
	s_mov_b32 s16, -1
	s_mov_b32 s17, exec_lo
	v_cmpx_eq_u32_e32 0, v2
	s_cbranch_execz .LBB26_13
; %bb.416:                              ;   in Loop: Header=BB26_15 Depth=1
	s_xor_b32 s87, s87, 1
	s_add_co_i32 s18, s84, -2
	s_cmp_eq_u32 s84, 0
	s_mov_b32 s84, s18
	s_cselect_b32 s15, -1, 0
	s_xor_b32 s16, exec_lo, -1
	s_or_not1_b32 s15, s15, exec_lo
	s_branch .LBB26_13
.LBB26_417:
	s_or_b32 exec_lo, exec_lo, s85
	s_xor_b32 s7, s91, -1
	s_xor_b32 s9, s89, -1
	;; [unrolled: 1-line block ×5, first 2 shown]
	s_mov_b32 s8, 0
	s_and_saveexec_b32 s12, s11
	s_delay_alu instid0(SALU_CYCLE_1)
	s_xor_b32 s12, exec_lo, s12
	s_cbranch_execnz .LBB26_422
; %bb.418:
	s_and_not1_saveexec_b32 s0, s12
	s_cbranch_execnz .LBB26_441
.LBB26_419:
	s_or_b32 exec_lo, exec_lo, s0
	s_and_saveexec_b32 s0, s8
.LBB26_420:
	; divergent unreachable
.LBB26_421:
	s_sendmsg sendmsg(MSG_DEALLOC_VGPRS)
	s_endpgm
.LBB26_422:
	s_and_saveexec_b32 s11, s10
	s_delay_alu instid0(SALU_CYCLE_1)
	s_xor_b32 s13, exec_lo, s11
	s_cbranch_execz .LBB26_439
; %bb.423:
	s_and_saveexec_b32 s10, s9
	s_delay_alu instid0(SALU_CYCLE_1)
	s_xor_b32 s14, exec_lo, s10
	s_cbranch_execz .LBB26_437
; %bb.424:
	;; [unrolled: 5-line block ×3, first 2 shown]
	s_and_saveexec_b32 s7, s6
	s_delay_alu instid0(SALU_CYCLE_1)
	s_xor_b32 s6, exec_lo, s7
; %bb.426:
	v_xor_b32_e32 v40, 0xffffff80, v32
; %bb.427:
	s_or_b32 exec_lo, exec_lo, s6
	s_and_saveexec_b32 s6, s5
; %bb.428:
	v_mov_b32_e32 v1, 0
	ds_store_b32 v1, v1 offset:4108
; %bb.429:
	s_or_b32 exec_lo, exec_lo, s6
	v_mov_b32_e32 v1, 0
	s_wait_dscnt 0x0
	s_barrier_signal -1
	s_barrier_wait -1
	s_and_saveexec_b32 s5, s3
	s_cbranch_execz .LBB26_431
; %bb.430:
	global_load_u8 v1, v[20:21], off
.LBB26_431:
	s_wait_xcnt 0x0
	s_or_b32 exec_lo, exec_lo, s5
	s_clause 0x1
	s_load_b32 s5, s[0:1], 0x1c8
	s_load_b32 s16, s[0:1], 0x2a8
	s_wait_xcnt 0x0
	s_mul_i32 s0, s44, s57
	s_add_co_i32 s17, s36, 31
	s_add_co_i32 s10, s0, s35
	s_mul_i32 s0, s59, s55
	s_mov_b32 s11, 0
	v_readlane_b32 s6, v68, 0
	v_readlane_b32 s8, v68, 2
	s_and_not1_b32 s17, s17, 31
	v_readlane_b32 s7, v68, 1
	v_readlane_b32 s9, v68, 3
	s_add_co_i32 s0, s0, s41
	s_mov_b32 s1, s11
	v_cmp_gt_u32_e32 vcc_lo, s17, v0
	s_lshl_b64 s[0:1], s[0:1], 3
	s_add_nc_u64 s[6:7], s[6:7], s[10:11]
	s_add_nc_u64 s[8:9], s[8:9], s[0:1]
	s_mov_b32 s0, -1
	s_mov_b32 s1, 0
	s_and_saveexec_b32 s10, vcc_lo
	s_cbranch_execnz .LBB26_442
; %bb.432:
	s_or_b32 exec_lo, exec_lo, s10
	s_and_saveexec_b32 s4, s0
	s_cbranch_execnz .LBB26_457
.LBB26_433:
	s_or_b32 exec_lo, exec_lo, s4
	s_and_saveexec_b32 s0, s1
	s_delay_alu instid0(SALU_CYCLE_1)
	s_xor_b32 s0, exec_lo, s0
	s_cbranch_execnz .LBB26_480
.LBB26_434:
	s_or_b32 exec_lo, exec_lo, s0
	s_delay_alu instid0(SALU_CYCLE_1)
	s_and_b32 s8, s11, exec_lo
.LBB26_435:
	s_and_not1_saveexec_b32 s0, s15
	s_cbranch_execnz .LBB26_482
.LBB26_436:
	s_or_b32 exec_lo, exec_lo, s0
	s_delay_alu instid0(SALU_CYCLE_1)
	s_and_b32 s8, s8, exec_lo
.LBB26_437:
	s_and_not1_saveexec_b32 s0, s14
	s_cbranch_execnz .LBB26_481
.LBB26_438:
	s_or_b32 exec_lo, exec_lo, s0
	s_delay_alu instid0(SALU_CYCLE_1)
	s_and_b32 s8, s8, exec_lo
.LBB26_439:
	s_and_not1_saveexec_b32 s0, s13
	s_cbranch_execnz .LBB26_476
.LBB26_440:
	s_or_b32 exec_lo, exec_lo, s0
	s_delay_alu instid0(SALU_CYCLE_1)
	s_and_b32 s8, s8, exec_lo
	s_and_not1_saveexec_b32 s0, s12
	s_cbranch_execz .LBB26_419
.LBB26_441:
	s_or_b32 s8, s8, exec_lo
	s_trap 2
	s_or_b32 exec_lo, exec_lo, s0
	s_and_saveexec_b32 s0, s8
	s_cbranch_execnz .LBB26_420
	s_branch .LBB26_421
.LBB26_442:
	v_add_nc_u32_e32 v2, s40, v0
	v_bfe_i32 v3, v40, 0, 8
	s_mov_b32 s18, 0
                                        ; implicit-def: $sgpr19
                                        ; implicit-def: $vgpr8
	s_delay_alu instid0(VALU_DEP_1)
	v_add_nc_u32_e32 v5, 0x80, v3
	v_mov_b32_e32 v3, 0
	v_mul_lo_u32 v4, s54, v2
	v_mov_b32_e32 v2, v0
	s_branch .LBB26_444
.LBB26_443:                             ;   in Loop: Header=BB26_444 Depth=1
	s_or_b32 exec_lo, exec_lo, s21
	s_xor_b32 s0, s20, -1
	s_and_b32 s1, exec_lo, s1
	v_dual_mov_b32 v1, v7 :: v_dual_mov_b32 v2, v6
	s_or_b32 s18, s1, s18
	s_and_not1_b32 s1, s19, exec_lo
	s_and_b32 s0, s0, exec_lo
	s_delay_alu instid0(SALU_CYCLE_1)
	s_or_b32 s19, s1, s0
	s_and_not1_b32 exec_lo, exec_lo, s18
	s_cbranch_execz .LBB26_456
.LBB26_444:                             ; =>This Inner Loop Header: Depth=1
	s_delay_alu instid0(VALU_DEP_1) | instskip(SKIP_1) | instid1(VALU_DEP_1)
	v_dual_mov_b32 v7, 0 :: v_dual_add_nc_u32 v6, s40, v2
	s_mov_b32 s1, exec_lo
	v_cmpx_gt_u32_e64 s36, v6
	s_cbranch_execz .LBB26_446
; %bb.445:                              ;   in Loop: Header=BB26_444 Depth=1
	global_load_u8 v7, v4, s[38:39]
.LBB26_446:                             ;   in Loop: Header=BB26_444 Depth=1
	s_wait_xcnt 0x0
	s_or_b32 exec_lo, exec_lo, s1
	s_wait_loadcnt 0x0
	v_bfe_i32 v9, v1, 0, 8
	s_delay_alu instid0(VALU_DEP_1) | instskip(NEXT) | instid1(VALU_DEP_1)
	v_add_nc_u32_e32 v9, 0x80, v9
	v_cmp_gt_u32_e64 s0, v9, v5
	s_delay_alu instid0(VALU_DEP_1) | instskip(SKIP_1) | instid1(VALU_DEP_1)
	v_cndmask_b32_e64 v10, 0, 1, s0
	v_cmp_lt_u32_e64 s0, v9, v5
	v_cndmask_b32_e64 v9, 0, 1, s0
	v_cmp_gt_u32_e64 s0, s36, v2
	s_delay_alu instid0(VALU_DEP_2) | instskip(NEXT) | instid1(VALU_DEP_1)
	v_cndmask_b32_e64 v9, v9, v10, s4
	v_and_b32_e32 v9, 1, v9
	s_delay_alu instid0(VALU_DEP_1) | instskip(SKIP_1) | instid1(SALU_CYCLE_1)
	v_cmp_eq_u32_e64 s1, 1, v9
	s_and_b32 s20, s0, s1
	v_cndmask_b32_e64 v9, 0, 1, s20
	s_delay_alu instid0(VALU_DEP_1) | instskip(SKIP_2) | instid1(SALU_CYCLE_1)
	v_cmp_ne_u32_e64 s0, 0, v9
	s_cmp_lg_u32 s0, 0
	s_cselect_b32 s1, -1, 0
	s_and_b32 s1, s2, s1
	s_delay_alu instid0(SALU_CYCLE_1)
	s_and_saveexec_b32 s21, s1
	s_cbranch_execz .LBB26_450
; %bb.447:                              ;   in Loop: Header=BB26_444 Depth=1
	s_mov_b32 s24, exec_lo
	s_bcnt1_i32_b32 s22, s0
	s_wait_dscnt 0x0
	v_mbcnt_lo_u32_b32 v8, s24, 0
	s_mov_b32 s23, exec_lo
                                        ; implicit-def: $vgpr9
	s_delay_alu instid0(VALU_DEP_1)
	v_cmpx_eq_u32_e32 0, v8
; %bb.448:                              ;   in Loop: Header=BB26_444 Depth=1
	s_bcnt1_i32_b32 s1, s24
	s_delay_alu instid0(SALU_CYCLE_1) | instskip(NEXT) | instid1(SALU_CYCLE_1)
	s_mul_i32 s1, s22, s1
	v_mov_b32_e32 v9, s1
	ds_add_rtn_u32 v9, v3, v9 offset:4108
; %bb.449:                              ;   in Loop: Header=BB26_444 Depth=1
	s_or_b32 exec_lo, exec_lo, s23
	s_wait_dscnt 0x0
	v_readfirstlane_b32 s1, v9
	s_delay_alu instid0(VALU_DEP_1)
	v_mad_u32_u24 v8, s22, v8, s1
.LBB26_450:                             ;   in Loop: Header=BB26_444 Depth=1
	s_or_b32 exec_lo, exec_lo, s21
	s_wait_dscnt 0x0
	ds_bpermute_b32 v8, v3, v8
	s_mov_b32 s1, -1
	s_mov_b32 s22, -1
	s_and_saveexec_b32 s21, s20
	s_cbranch_execz .LBB26_454
; %bb.451:                              ;   in Loop: Header=BB26_444 Depth=1
	v_and_b32_e32 v9, s0, v18
	s_mov_b32 s20, 0
	s_mov_b32 s22, exec_lo
	s_wait_dscnt 0x0
	s_delay_alu instid0(VALU_DEP_1) | instskip(NEXT) | instid1(VALU_DEP_1)
	v_bcnt_u32_b32 v9, v9, v8
	v_cmpx_gt_u32_e64 s37, v9
	s_cbranch_execz .LBB26_453
; %bb.452:                              ;   in Loop: Header=BB26_444 Depth=1
	s_wait_kmcnt 0x0
	v_mul_lo_u32 v10, v9, s5
	v_mul_lo_u32 v9, v9, s16
	s_mov_b32 s20, exec_lo
	global_store_b8 v10, v1, s[6:7]
	global_store_b64 v9, v[2:3], s[8:9] scale_offset
.LBB26_453:                             ;   in Loop: Header=BB26_444 Depth=1
	s_wait_xcnt 0x0
	s_or_b32 exec_lo, exec_lo, s22
	s_delay_alu instid0(SALU_CYCLE_1)
	s_or_not1_b32 s22, s20, exec_lo
.LBB26_454:                             ;   in Loop: Header=BB26_444 Depth=1
	s_or_b32 exec_lo, exec_lo, s21
	s_mov_b32 s20, -1
	s_and_saveexec_b32 s21, s22
	s_cbranch_execz .LBB26_443
; %bb.455:                              ;   in Loop: Header=BB26_444 Depth=1
	v_cmp_le_u32_e64 s0, s17, v6
	v_add_nc_u32_e32 v4, s56, v4
	s_xor_b32 s20, exec_lo, -1
	s_or_not1_b32 s1, s0, exec_lo
	s_branch .LBB26_443
.LBB26_456:
	s_or_b32 exec_lo, exec_lo, s18
	s_delay_alu instid0(SALU_CYCLE_1)
	s_mov_b32 s1, exec_lo
	s_or_not1_b32 s0, s19, exec_lo
	s_or_b32 exec_lo, exec_lo, s10
	s_and_saveexec_b32 s4, s0
	s_cbranch_execz .LBB26_433
.LBB26_457:
	v_mov_b32_e32 v7, 0
	s_wait_storecnt 0x0
	s_wait_loadcnt_dscnt 0x0
	s_barrier_signal -1
	s_barrier_wait -1
	s_and_saveexec_b32 s0, s3
	s_cbranch_execz .LBB26_459
; %bb.458:
	global_load_u8 v7, v[20:21], off
.LBB26_459:
	s_wait_xcnt 0x0
	s_or_b32 exec_lo, exec_lo, s0
	s_mov_b32 s0, 0
	s_and_saveexec_b32 s3, vcc_lo
	s_cbranch_execz .LBB26_479
; %bb.460:
	v_add_nc_u32_e32 v1, s40, v0
	v_and_b32_e32 v3, 0xff, v40
	s_mov_b32 s10, 0
                                        ; implicit-def: $sgpr11
                                        ; implicit-def: $vgpr6
	s_delay_alu instid0(VALU_DEP_2)
	v_mul_lo_u32 v2, s54, v1
	v_mov_b32_e32 v1, 0
	s_branch .LBB26_463
.LBB26_461:                             ;   in Loop: Header=BB26_463 Depth=1
	s_or_b32 exec_lo, exec_lo, s20
	s_delay_alu instid0(SALU_CYCLE_1)
	s_or_not1_b32 s20, s18, exec_lo
	s_or_not1_b32 s19, s19, exec_lo
.LBB26_462:                             ;   in Loop: Header=BB26_463 Depth=1
	s_or_b32 exec_lo, exec_lo, s0
	s_xor_b32 s0, s20, -1
	s_and_b32 s18, exec_lo, s19
	v_dual_mov_b32 v0, v4 :: v_dual_mov_b32 v7, v5
	s_or_b32 s10, s18, s10
	s_and_not1_b32 s11, s11, exec_lo
	s_and_b32 s0, s0, exec_lo
	s_delay_alu instid0(SALU_CYCLE_1)
	s_or_b32 s11, s11, s0
	s_and_not1_b32 exec_lo, exec_lo, s10
	s_cbranch_execz .LBB26_477
.LBB26_463:                             ; =>This Inner Loop Header: Depth=1
	v_dual_mov_b32 v5, 0 :: v_dual_add_nc_u32 v4, s40, v0
	s_mov_b32 s0, exec_lo
	s_delay_alu instid0(VALU_DEP_1)
	v_cmpx_gt_u32_e64 s36, v4
	s_cbranch_execz .LBB26_465
; %bb.464:                              ;   in Loop: Header=BB26_463 Depth=1
	global_load_u8 v5, v2, s[38:39]
.LBB26_465:                             ;   in Loop: Header=BB26_463 Depth=1
	s_wait_xcnt 0x0
	s_or_b32 exec_lo, exec_lo, s0
	s_wait_loadcnt 0x0
	v_and_b32_e32 v7, 0xff, v7
	v_cmp_gt_u32_e32 vcc_lo, s36, v0
	s_delay_alu instid0(VALU_DEP_2) | instskip(SKIP_1) | instid1(SALU_CYCLE_1)
	v_cmp_eq_u16_e64 s0, v7, v3
	s_and_b32 s18, vcc_lo, s0
	v_cndmask_b32_e64 v7, 0, 1, s18
	s_delay_alu instid0(VALU_DEP_1) | instskip(SKIP_2) | instid1(SALU_CYCLE_1)
	v_cmp_ne_u32_e32 vcc_lo, 0, v7
	s_cmp_lg_u32 vcc_lo, 0
	s_cselect_b32 s0, -1, 0
	s_and_b32 s0, s2, s0
	s_delay_alu instid0(SALU_CYCLE_1)
	s_and_saveexec_b32 s19, s0
	s_cbranch_execz .LBB26_469
; %bb.466:                              ;   in Loop: Header=BB26_463 Depth=1
	s_mov_b32 s22, exec_lo
	s_bcnt1_i32_b32 s20, vcc_lo
	v_mbcnt_lo_u32_b32 v6, s22, 0
	s_mov_b32 s21, exec_lo
                                        ; implicit-def: $vgpr7
	s_delay_alu instid0(VALU_DEP_1)
	v_cmpx_eq_u32_e32 0, v6
; %bb.467:                              ;   in Loop: Header=BB26_463 Depth=1
	s_bcnt1_i32_b32 s0, s22
	s_delay_alu instid0(SALU_CYCLE_1) | instskip(NEXT) | instid1(SALU_CYCLE_1)
	s_mul_i32 s0, s20, s0
	v_mov_b32_e32 v7, s0
	ds_add_rtn_u32 v7, v1, v7 offset:4108
; %bb.468:                              ;   in Loop: Header=BB26_463 Depth=1
	s_or_b32 exec_lo, exec_lo, s21
	s_wait_dscnt 0x0
	v_readfirstlane_b32 s0, v7
	s_delay_alu instid0(VALU_DEP_1)
	v_mad_u32_u24 v6, s20, v6, s0
.LBB26_469:                             ;   in Loop: Header=BB26_463 Depth=1
	s_or_b32 exec_lo, exec_lo, s19
	ds_bpermute_b32 v6, v1, v6
	s_cmp_eq_u32 vcc_lo, 0
	s_mov_b32 s19, -1
	s_cselect_b32 s20, -1, 0
	s_wait_dscnt 0x0
	v_cmp_gt_u32_e64 s0, s37, v6
	s_or_b32 s21, s20, s0
	s_mov_b32 s20, -1
	s_and_saveexec_b32 s0, s21
	s_cbranch_execz .LBB26_462
; %bb.470:                              ;   in Loop: Header=BB26_463 Depth=1
	v_and_b32_e32 v7, vcc_lo, v18
	v_sub_nc_u32_e32 v8, s37, v6
	s_mov_b32 s21, -1
	s_delay_alu instid0(VALU_DEP_2) | instskip(NEXT) | instid1(VALU_DEP_1)
	v_bcnt_u32_b32 v7, v7, 0
	v_bcnt_u32_b32 v7, 0, v7
	s_delay_alu instid0(VALU_DEP_1)
	v_cmp_gt_u32_e32 vcc_lo, v8, v7
	s_and_b32 s22, s18, vcc_lo
	s_mov_b32 s18, -1
	s_and_saveexec_b32 s20, s22
	s_cbranch_execz .LBB26_474
; %bb.471:                              ;   in Loop: Header=BB26_463 Depth=1
	v_add_nc_u32_e32 v7, v6, v7
	s_mov_b32 s21, 0
	s_mov_b32 s18, exec_lo
	s_delay_alu instid0(VALU_DEP_1)
	v_cmpx_gt_u32_e64 s37, v7
	s_cbranch_execz .LBB26_473
; %bb.472:                              ;   in Loop: Header=BB26_463 Depth=1
	s_wait_kmcnt 0x0
	v_mul_lo_u32 v8, v7, s5
	v_mul_lo_u32 v7, v7, s16
	s_mov_b32 s21, exec_lo
	global_store_b8 v8, v40, s[6:7]
	global_store_b64 v7, v[0:1], s[8:9] scale_offset
.LBB26_473:                             ;   in Loop: Header=BB26_463 Depth=1
	s_wait_xcnt 0x0
	s_or_b32 exec_lo, exec_lo, s18
	s_delay_alu instid0(SALU_CYCLE_1)
	s_xor_b32 s18, exec_lo, -1
	s_or_not1_b32 s21, s21, exec_lo
.LBB26_474:                             ;   in Loop: Header=BB26_463 Depth=1
	s_or_b32 exec_lo, exec_lo, s20
	s_and_saveexec_b32 s20, s21
	s_cbranch_execz .LBB26_461
; %bb.475:                              ;   in Loop: Header=BB26_463 Depth=1
	v_cmp_le_u32_e32 vcc_lo, s17, v4
	v_add_nc_u32_e32 v2, s56, v2
	s_or_b32 s18, s18, exec_lo
	s_or_not1_b32 s19, vcc_lo, exec_lo
	s_branch .LBB26_461
.LBB26_476:
	s_or_b32 s8, s8, exec_lo
	s_trap 2
	s_branch .LBB26_440
.LBB26_477:
	s_or_b32 exec_lo, exec_lo, s10
	s_mov_b32 s0, 0
	s_and_saveexec_b32 s2, s11
	s_delay_alu instid0(SALU_CYCLE_1)
	s_xor_b32 s2, exec_lo, s2
	s_cbranch_execnz .LBB26_483
.LBB26_478:
	s_or_b32 exec_lo, exec_lo, s2
	s_delay_alu instid0(SALU_CYCLE_1)
	s_and_b32 s0, s0, exec_lo
.LBB26_479:
	s_or_b32 exec_lo, exec_lo, s3
	s_delay_alu instid0(SALU_CYCLE_1) | instskip(SKIP_3) | instid1(SALU_CYCLE_1)
	s_and_b32 s11, s0, exec_lo
	s_and_not1_b32 s1, s1, exec_lo
	s_or_b32 exec_lo, exec_lo, s4
	s_and_saveexec_b32 s0, s1
	s_xor_b32 s0, exec_lo, s0
	s_cbranch_execz .LBB26_434
.LBB26_480:
	s_or_b32 s11, s11, exec_lo
	s_trap 2
	s_branch .LBB26_434
.LBB26_481:
	s_or_b32 s8, s8, exec_lo
	s_trap 2
	s_branch .LBB26_438
.LBB26_482:
	s_or_b32 s8, s8, exec_lo
	s_trap 2
	s_branch .LBB26_436
.LBB26_483:
	s_mov_b32 s0, exec_lo
	s_trap 2
	s_branch .LBB26_478
	.section	.rodata,"a",@progbits
	.p2align	6, 0x0
	.amdhsa_kernel _ZN2at6native6sbtopk10gatherTopKIajLin1ELb0EEEvNS_4cuda6detail10TensorInfoIKT_T0_EES8_S8_bS8_S8_NS5_IS6_S8_EES8_NS5_IlS8_EES8_PS6_
		.amdhsa_group_segment_fixed_size 4112
		.amdhsa_private_segment_fixed_size 0
		.amdhsa_kernarg_size 952
		.amdhsa_user_sgpr_count 2
		.amdhsa_user_sgpr_dispatch_ptr 0
		.amdhsa_user_sgpr_queue_ptr 0
		.amdhsa_user_sgpr_kernarg_segment_ptr 1
		.amdhsa_user_sgpr_dispatch_id 0
		.amdhsa_user_sgpr_kernarg_preload_length 0
		.amdhsa_user_sgpr_kernarg_preload_offset 0
		.amdhsa_user_sgpr_private_segment_size 0
		.amdhsa_wavefront_size32 1
		.amdhsa_uses_dynamic_stack 0
		.amdhsa_enable_private_segment 0
		.amdhsa_system_sgpr_workgroup_id_x 1
		.amdhsa_system_sgpr_workgroup_id_y 1
		.amdhsa_system_sgpr_workgroup_id_z 1
		.amdhsa_system_sgpr_workgroup_info 0
		.amdhsa_system_vgpr_workitem_id 0
		.amdhsa_next_free_vgpr 69
		.amdhsa_next_free_sgpr 105
		.amdhsa_named_barrier_count 0
		.amdhsa_reserve_vcc 1
		.amdhsa_float_round_mode_32 0
		.amdhsa_float_round_mode_16_64 0
		.amdhsa_float_denorm_mode_32 3
		.amdhsa_float_denorm_mode_16_64 3
		.amdhsa_fp16_overflow 0
		.amdhsa_memory_ordered 1
		.amdhsa_forward_progress 1
		.amdhsa_inst_pref_size 137
		.amdhsa_round_robin_scheduling 0
		.amdhsa_exception_fp_ieee_invalid_op 0
		.amdhsa_exception_fp_denorm_src 0
		.amdhsa_exception_fp_ieee_div_zero 0
		.amdhsa_exception_fp_ieee_overflow 0
		.amdhsa_exception_fp_ieee_underflow 0
		.amdhsa_exception_fp_ieee_inexact 0
		.amdhsa_exception_int_div_zero 0
	.end_amdhsa_kernel
	.section	.text._ZN2at6native6sbtopk10gatherTopKIajLin1ELb0EEEvNS_4cuda6detail10TensorInfoIKT_T0_EES8_S8_bS8_S8_NS5_IS6_S8_EES8_NS5_IlS8_EES8_PS6_,"axG",@progbits,_ZN2at6native6sbtopk10gatherTopKIajLin1ELb0EEEvNS_4cuda6detail10TensorInfoIKT_T0_EES8_S8_bS8_S8_NS5_IS6_S8_EES8_NS5_IlS8_EES8_PS6_,comdat
.Lfunc_end26:
	.size	_ZN2at6native6sbtopk10gatherTopKIajLin1ELb0EEEvNS_4cuda6detail10TensorInfoIKT_T0_EES8_S8_bS8_S8_NS5_IS6_S8_EES8_NS5_IlS8_EES8_PS6_, .Lfunc_end26-_ZN2at6native6sbtopk10gatherTopKIajLin1ELb0EEEvNS_4cuda6detail10TensorInfoIKT_T0_EES8_S8_bS8_S8_NS5_IS6_S8_EES8_NS5_IlS8_EES8_PS6_
                                        ; -- End function
	.set _ZN2at6native6sbtopk10gatherTopKIajLin1ELb0EEEvNS_4cuda6detail10TensorInfoIKT_T0_EES8_S8_bS8_S8_NS5_IS6_S8_EES8_NS5_IlS8_EES8_PS6_.num_vgpr, 69
	.set _ZN2at6native6sbtopk10gatherTopKIajLin1ELb0EEEvNS_4cuda6detail10TensorInfoIKT_T0_EES8_S8_bS8_S8_NS5_IS6_S8_EES8_NS5_IlS8_EES8_PS6_.num_agpr, 0
	.set _ZN2at6native6sbtopk10gatherTopKIajLin1ELb0EEEvNS_4cuda6detail10TensorInfoIKT_T0_EES8_S8_bS8_S8_NS5_IS6_S8_EES8_NS5_IlS8_EES8_PS6_.numbered_sgpr, 105
	.set _ZN2at6native6sbtopk10gatherTopKIajLin1ELb0EEEvNS_4cuda6detail10TensorInfoIKT_T0_EES8_S8_bS8_S8_NS5_IS6_S8_EES8_NS5_IlS8_EES8_PS6_.num_named_barrier, 0
	.set _ZN2at6native6sbtopk10gatherTopKIajLin1ELb0EEEvNS_4cuda6detail10TensorInfoIKT_T0_EES8_S8_bS8_S8_NS5_IS6_S8_EES8_NS5_IlS8_EES8_PS6_.private_seg_size, 0
	.set _ZN2at6native6sbtopk10gatherTopKIajLin1ELb0EEEvNS_4cuda6detail10TensorInfoIKT_T0_EES8_S8_bS8_S8_NS5_IS6_S8_EES8_NS5_IlS8_EES8_PS6_.uses_vcc, 1
	.set _ZN2at6native6sbtopk10gatherTopKIajLin1ELb0EEEvNS_4cuda6detail10TensorInfoIKT_T0_EES8_S8_bS8_S8_NS5_IS6_S8_EES8_NS5_IlS8_EES8_PS6_.uses_flat_scratch, 0
	.set _ZN2at6native6sbtopk10gatherTopKIajLin1ELb0EEEvNS_4cuda6detail10TensorInfoIKT_T0_EES8_S8_bS8_S8_NS5_IS6_S8_EES8_NS5_IlS8_EES8_PS6_.has_dyn_sized_stack, 0
	.set _ZN2at6native6sbtopk10gatherTopKIajLin1ELb0EEEvNS_4cuda6detail10TensorInfoIKT_T0_EES8_S8_bS8_S8_NS5_IS6_S8_EES8_NS5_IlS8_EES8_PS6_.has_recursion, 0
	.set _ZN2at6native6sbtopk10gatherTopKIajLin1ELb0EEEvNS_4cuda6detail10TensorInfoIKT_T0_EES8_S8_bS8_S8_NS5_IS6_S8_EES8_NS5_IlS8_EES8_PS6_.has_indirect_call, 0
	.section	.AMDGPU.csdata,"",@progbits
; Kernel info:
; codeLenInByte = 17444
; TotalNumSgprs: 107
; NumVgprs: 69
; ScratchSize: 0
; MemoryBound: 0
; FloatMode: 240
; IeeeMode: 1
; LDSByteSize: 4112 bytes/workgroup (compile time only)
; SGPRBlocks: 0
; VGPRBlocks: 4
; NumSGPRsForWavesPerEU: 107
; NumVGPRsForWavesPerEU: 69
; NamedBarCnt: 0
; Occupancy: 12
; WaveLimiterHint : 1
; COMPUTE_PGM_RSRC2:SCRATCH_EN: 0
; COMPUTE_PGM_RSRC2:USER_SGPR: 2
; COMPUTE_PGM_RSRC2:TRAP_HANDLER: 0
; COMPUTE_PGM_RSRC2:TGID_X_EN: 1
; COMPUTE_PGM_RSRC2:TGID_Y_EN: 1
; COMPUTE_PGM_RSRC2:TGID_Z_EN: 1
; COMPUTE_PGM_RSRC2:TIDIG_COMP_CNT: 0
	.section	.text._ZN2at6native6mbtopk23computeBlockDigitCountsIijjLi1EEEvNS_4cuda6detail10TensorInfoIKT_T0_EEjPjjS8_iijT1_PSB_Ps,"axG",@progbits,_ZN2at6native6mbtopk23computeBlockDigitCountsIijjLi1EEEvNS_4cuda6detail10TensorInfoIKT_T0_EEjPjjS8_iijT1_PSB_Ps,comdat
	.protected	_ZN2at6native6mbtopk23computeBlockDigitCountsIijjLi1EEEvNS_4cuda6detail10TensorInfoIKT_T0_EEjPjjS8_iijT1_PSB_Ps ; -- Begin function _ZN2at6native6mbtopk23computeBlockDigitCountsIijjLi1EEEvNS_4cuda6detail10TensorInfoIKT_T0_EEjPjjS8_iijT1_PSB_Ps
	.globl	_ZN2at6native6mbtopk23computeBlockDigitCountsIijjLi1EEEvNS_4cuda6detail10TensorInfoIKT_T0_EEjPjjS8_iijT1_PSB_Ps
	.p2align	8
	.type	_ZN2at6native6mbtopk23computeBlockDigitCountsIijjLi1EEEvNS_4cuda6detail10TensorInfoIKT_T0_EEjPjjS8_iijT1_PSB_Ps,@function
_ZN2at6native6mbtopk23computeBlockDigitCountsIijjLi1EEEvNS_4cuda6detail10TensorInfoIKT_T0_EEjPjjS8_iijT1_PSB_Ps: ; @_ZN2at6native6mbtopk23computeBlockDigitCountsIijjLi1EEEvNS_4cuda6detail10TensorInfoIKT_T0_EEjPjjS8_iijT1_PSB_Ps
; %bb.0:
	s_load_b64 s[2:3], s[0:1], 0xf8
	s_bfe_u32 s4, ttmp6, 0x40010
	s_and_b32 s6, ttmp7, 0xffff
	s_add_co_i32 s7, s4, 1
	s_bfe_u32 s8, ttmp6, 0x40004
	s_mul_i32 s7, s6, s7
	s_load_b64 s[4:5], s[0:1], 0x110
	s_add_co_i32 s7, s8, s7
	s_bfe_u32 s9, ttmp6, 0x4000c
	s_bfe_u32 s11, ttmp6, 0x40014
	s_add_co_i32 s9, s9, 1
	s_and_b32 s10, ttmp6, 15
	s_mul_i32 s9, ttmp9, s9
	s_add_co_i32 s11, s11, 1
	s_add_co_i32 s12, s10, s9
	s_bfe_u32 s10, ttmp6, 0x40008
	s_wait_kmcnt 0x0
	s_cvt_f32_u32 s8, s2
	s_delay_alu instid0(SALU_CYCLE_3) | instskip(SKIP_1) | instid1(SALU_CYCLE_1)
	v_rcp_iflag_f32_e32 v1, s8
	s_lshr_b32 s8, ttmp7, 16
	s_mul_i32 s9, s8, s11
	s_getreg_b32 s11, hwreg(HW_REG_IB_STS2, 6, 4)
	s_add_co_i32 s10, s10, s9
	s_cmp_eq_u32 s11, 0
	v_nop
	v_readfirstlane_b32 s13, v1
	s_cselect_b32 s14, s8, s10
	s_load_b128 s[8:11], s[0:1], 0xe8
	s_mul_i32 s5, s5, s14
	s_cselect_b32 s12, ttmp9, s12
	s_mul_f32 s13, s13, 0x4f7ffffe
	s_cselect_b32 s6, s6, s7
	s_sub_co_i32 s7, 0, s2
	s_add_co_i32 s5, s5, s6
	s_cvt_u32_f32 s13, s13
	s_mul_i32 s14, s5, s4
	s_delay_alu instid0(SALU_CYCLE_1) | instskip(NEXT) | instid1(SALU_CYCLE_1)
	s_add_co_i32 s14, s14, s12
	s_mul_i32 s7, s7, s13
	s_delay_alu instid0(SALU_CYCLE_1) | instskip(NEXT) | instid1(SALU_CYCLE_1)
	s_mul_hi_u32 s4, s13, s7
	s_add_co_i32 s13, s13, s4
	s_delay_alu instid0(SALU_CYCLE_1) | instskip(NEXT) | instid1(SALU_CYCLE_1)
	s_mul_hi_u32 s4, s14, s13
	s_mul_i32 s5, s4, s2
	s_add_co_i32 s6, s4, 1
	s_sub_co_i32 s5, s14, s5
	s_delay_alu instid0(SALU_CYCLE_1)
	s_sub_co_i32 s7, s5, s2
	s_cmp_ge_u32 s5, s2
	s_cselect_b32 s4, s6, s4
	s_cselect_b32 s5, s7, s5
	s_add_co_i32 s6, s4, 1
	s_cmp_ge_u32 s5, s2
	s_cselect_b32 s16, s6, s4
	s_wait_kmcnt 0x0
	s_cmp_ge_u32 s16, s8
	s_cbranch_scc1 .LBB27_27
; %bb.1:
	v_cmp_gt_u32_e32 vcc_lo, 0x100, v0
	v_lshlrev_b32_e32 v1, 2, v0
	s_and_saveexec_b32 s4, vcc_lo
; %bb.2:
	v_mov_b32_e32 v2, 0
	ds_store_b32 v1, v2
; %bb.3:
	s_or_b32 exec_lo, exec_lo, s4
	s_clause 0x1
	s_load_b32 s8, s[0:1], 0xd8
	s_load_b128 s[4:7], s[0:1], 0x100
	s_mul_i32 s12, s16, s2
	s_mov_b32 s13, 0
	s_sub_co_i32 s17, s14, s12
	s_wait_dscnt 0x0
	s_mul_i32 s12, s11, s17
	s_add_co_i32 s17, s17, 1
	s_lshl_b32 s15, s12, 8
	s_barrier_signal -1
	s_barrier_wait -1
	s_wait_kmcnt 0x0
	s_sub_co_i32 s12, s8, s15
	s_delay_alu instid0(SALU_CYCLE_1) | instskip(NEXT) | instid1(SALU_CYCLE_1)
	s_add_nc_u64 s[18:19], s[12:13], 0xff
	s_lshr_b64 s[18:19], s[18:19], 8
	s_cmp_lt_u32 s17, s2
	s_cselect_b32 s11, s11, s18
	s_delay_alu instid0(SALU_CYCLE_1)
	s_cmp_lt_i32 s11, 1
	s_cbranch_scc1 .LBB27_25
; %bb.4:
	s_clause 0x1
	s_load_b32 s12, s[0:1], 0x6c
	s_load_b64 s[18:19], s[0:1], 0x0
	s_load_b32 s2, s[4:5], s16 offset:0x0 scale_offset
	s_wait_xcnt 0x0
	s_and_b32 s1, s10, 0xff
	s_wait_kmcnt 0x0
	s_mul_i32 s12, s12, s16
	s_delay_alu instid0(SALU_CYCLE_1)
	s_lshl_b64 s[4:5], s[12:13], 2
	s_cmp_lt_u32 s11, 4
	s_add_nc_u64 s[4:5], s[18:19], s[4:5]
	s_cbranch_scc1 .LBB27_19
; %bb.5:
	v_dual_mov_b32 v7, 1 :: v_dual_add_nc_u32 v6, s15, v0
	s_and_b32 s13, s11, 0x7ffffffc
	s_lshl_b32 s10, s9, 10
	s_mov_b32 s12, 0
	s_delay_alu instid0(VALU_DEP_1)
	v_add_nc_u32_e32 v2, 0x300, v6
	v_add_nc_u32_e32 v4, 0x200, v6
	;; [unrolled: 1-line block ×3, first 2 shown]
	v_mul_lo_u32 v6, s9, v6
	s_mov_b32 s16, 0
	v_mul_lo_u32 v3, s9, v2
	v_mul_lo_u32 v4, s9, v4
	v_mul_lo_u32 v5, s9, v5
	s_branch .LBB27_7
.LBB27_6:                               ;   in Loop: Header=BB27_7 Depth=1
	s_or_b32 exec_lo, exec_lo, s17
	v_add_nc_u32_e32 v2, 0x400, v2
	s_add_co_i32 s16, s16, 4
	s_add_co_i32 s12, s12, s10
	s_cmp_eq_u32 s13, s16
	s_cbranch_scc1 .LBB27_19
.LBB27_7:                               ; =>This Inner Loop Header: Depth=1
	v_add_nc_u32_e32 v8, 0xfffffd00, v2
	s_mov_b32 s17, exec_lo
	s_delay_alu instid0(VALU_DEP_1)
	v_cmpx_gt_u32_e64 s8, v8
	s_cbranch_execz .LBB27_10
; %bb.8:                                ;   in Loop: Header=BB27_7 Depth=1
	v_add_nc_u32_e32 v8, s12, v6
	global_load_b32 v8, v8, s[4:5] scale_offset
	s_wait_loadcnt 0x0
	s_wait_xcnt 0x0
	v_xor_b32_e32 v8, 0x80000000, v8
	s_delay_alu instid0(VALU_DEP_1) | instskip(NEXT) | instid1(VALU_DEP_1)
	v_bitop3_b32 v9, v8, s3, s2 bitop3:0x48
	v_cmp_eq_u32_e64 s0, 0, v9
	s_and_b32 exec_lo, exec_lo, s0
; %bb.9:                                ;   in Loop: Header=BB27_7 Depth=1
	v_bfe_u32 v8, v8, s1, 8
	s_delay_alu instid0(VALU_DEP_1)
	v_lshlrev_b32_e32 v8, 2, v8
	ds_add_u32 v8, v7
.LBB27_10:                              ;   in Loop: Header=BB27_7 Depth=1
	s_or_b32 exec_lo, exec_lo, s17
	v_add_nc_u32_e32 v8, 0xfffffe00, v2
	s_mov_b32 s17, exec_lo
	s_delay_alu instid0(VALU_DEP_1)
	v_cmpx_gt_u32_e64 s8, v8
	s_cbranch_execz .LBB27_13
; %bb.11:                               ;   in Loop: Header=BB27_7 Depth=1
	v_add_nc_u32_e32 v8, s12, v5
	global_load_b32 v8, v8, s[4:5] scale_offset
	s_wait_loadcnt 0x0
	v_xor_b32_e32 v8, 0x80000000, v8
	s_delay_alu instid0(VALU_DEP_1) | instskip(NEXT) | instid1(VALU_DEP_1)
	v_bitop3_b32 v9, v8, s3, s2 bitop3:0x48
	v_cmp_eq_u32_e64 s0, 0, v9
	s_and_b32 exec_lo, exec_lo, s0
; %bb.12:                               ;   in Loop: Header=BB27_7 Depth=1
	v_bfe_u32 v8, v8, s1, 8
	s_delay_alu instid0(VALU_DEP_1)
	v_lshlrev_b32_e32 v8, 2, v8
	ds_add_u32 v8, v7
.LBB27_13:                              ;   in Loop: Header=BB27_7 Depth=1
	s_or_b32 exec_lo, exec_lo, s17
	v_add_nc_u32_e32 v8, 0xffffff00, v2
	s_mov_b32 s17, exec_lo
	s_delay_alu instid0(VALU_DEP_1)
	v_cmpx_gt_u32_e64 s8, v8
	s_cbranch_execz .LBB27_16
; %bb.14:                               ;   in Loop: Header=BB27_7 Depth=1
	v_add_nc_u32_e32 v8, s12, v4
	global_load_b32 v8, v8, s[4:5] scale_offset
	s_wait_loadcnt 0x0
	v_xor_b32_e32 v8, 0x80000000, v8
	s_delay_alu instid0(VALU_DEP_1) | instskip(NEXT) | instid1(VALU_DEP_1)
	v_bitop3_b32 v9, v8, s3, s2 bitop3:0x48
	v_cmp_eq_u32_e64 s0, 0, v9
	s_and_b32 exec_lo, exec_lo, s0
; %bb.15:                               ;   in Loop: Header=BB27_7 Depth=1
	v_bfe_u32 v8, v8, s1, 8
	s_delay_alu instid0(VALU_DEP_1)
	v_lshlrev_b32_e32 v8, 2, v8
	ds_add_u32 v8, v7
.LBB27_16:                              ;   in Loop: Header=BB27_7 Depth=1
	s_or_b32 exec_lo, exec_lo, s17
	s_delay_alu instid0(SALU_CYCLE_1)
	s_mov_b32 s17, exec_lo
	v_cmpx_gt_u32_e64 s8, v2
	s_cbranch_execz .LBB27_6
; %bb.17:                               ;   in Loop: Header=BB27_7 Depth=1
	v_add_nc_u32_e32 v8, s12, v3
	global_load_b32 v8, v8, s[4:5] scale_offset
	s_wait_loadcnt 0x0
	v_xor_b32_e32 v8, 0x80000000, v8
	s_delay_alu instid0(VALU_DEP_1) | instskip(NEXT) | instid1(VALU_DEP_1)
	v_bitop3_b32 v9, v8, s3, s2 bitop3:0x48
	v_cmp_eq_u32_e64 s0, 0, v9
	s_and_b32 exec_lo, exec_lo, s0
	s_cbranch_execz .LBB27_6
; %bb.18:                               ;   in Loop: Header=BB27_7 Depth=1
	v_bfe_u32 v8, v8, s1, 8
	s_delay_alu instid0(VALU_DEP_1)
	v_lshlrev_b32_e32 v8, 2, v8
	ds_add_u32 v8, v7
	s_branch .LBB27_6
.LBB27_19:
	s_and_b32 s10, s11, 3
	s_delay_alu instid0(SALU_CYCLE_1)
	s_cmp_eq_u32 s10, 0
	s_cbranch_scc1 .LBB27_25
; %bb.20:
	s_lshl_b32 s0, s13, 8
	v_mov_b32_e32 v4, 1
	v_add3_u32 v2, s0, s15, v0
	s_delay_alu instid0(VALU_DEP_1)
	v_mul_lo_u32 v3, s9, v2
	s_lshl_b32 s9, s9, 8
	s_branch .LBB27_22
.LBB27_21:                              ;   in Loop: Header=BB27_22 Depth=1
	s_or_b32 exec_lo, exec_lo, s11
	s_delay_alu instid0(VALU_DEP_2) | instskip(SKIP_2) | instid1(SALU_CYCLE_1)
	v_add_nc_u32_e32 v3, s9, v3
	v_add_nc_u32_e32 v2, 0x100, v2
	s_add_co_i32 s10, s10, -1
	s_cmp_lg_u32 s10, 0
	s_cbranch_scc0 .LBB27_25
.LBB27_22:                              ; =>This Inner Loop Header: Depth=1
	s_mov_b32 s11, exec_lo
	v_cmpx_gt_u32_e64 s8, v2
	s_cbranch_execz .LBB27_21
; %bb.23:                               ;   in Loop: Header=BB27_22 Depth=1
	global_load_b32 v5, v3, s[4:5] scale_offset
	s_wait_loadcnt 0x0
	v_xor_b32_e32 v5, 0x80000000, v5
	s_delay_alu instid0(VALU_DEP_1) | instskip(NEXT) | instid1(VALU_DEP_1)
	v_bitop3_b32 v6, v5, s3, s2 bitop3:0x48
	v_cmp_eq_u32_e64 s0, 0, v6
	s_and_b32 exec_lo, exec_lo, s0
	s_cbranch_execz .LBB27_21
; %bb.24:                               ;   in Loop: Header=BB27_22 Depth=1
	v_bfe_u32 v5, v5, s1, 8
	s_delay_alu instid0(VALU_DEP_1)
	v_lshlrev_b32_e32 v5, 2, v5
	ds_add_u32 v5, v4
	s_branch .LBB27_21
.LBB27_25:
	s_wait_dscnt 0x0
	s_barrier_signal -1
	s_barrier_wait -1
	s_and_saveexec_b32 s0, vcc_lo
	s_cbranch_execz .LBB27_27
; %bb.26:
	ds_load_b32 v1, v1
	v_lshl_or_b32 v0, s14, 8, v0
	s_wait_dscnt 0x0
	global_store_b16 v0, v1, s[6:7] scale_offset
.LBB27_27:
	s_endpgm
	.section	.rodata,"a",@progbits
	.p2align	6, 0x0
	.amdhsa_kernel _ZN2at6native6mbtopk23computeBlockDigitCountsIijjLi1EEEvNS_4cuda6detail10TensorInfoIKT_T0_EEjPjjS8_iijT1_PSB_Ps
		.amdhsa_group_segment_fixed_size 1024
		.amdhsa_private_segment_fixed_size 0
		.amdhsa_kernarg_size 528
		.amdhsa_user_sgpr_count 2
		.amdhsa_user_sgpr_dispatch_ptr 0
		.amdhsa_user_sgpr_queue_ptr 0
		.amdhsa_user_sgpr_kernarg_segment_ptr 1
		.amdhsa_user_sgpr_dispatch_id 0
		.amdhsa_user_sgpr_kernarg_preload_length 0
		.amdhsa_user_sgpr_kernarg_preload_offset 0
		.amdhsa_user_sgpr_private_segment_size 0
		.amdhsa_wavefront_size32 1
		.amdhsa_uses_dynamic_stack 0
		.amdhsa_enable_private_segment 0
		.amdhsa_system_sgpr_workgroup_id_x 1
		.amdhsa_system_sgpr_workgroup_id_y 1
		.amdhsa_system_sgpr_workgroup_id_z 1
		.amdhsa_system_sgpr_workgroup_info 0
		.amdhsa_system_vgpr_workitem_id 0
		.amdhsa_next_free_vgpr 10
		.amdhsa_next_free_sgpr 20
		.amdhsa_named_barrier_count 0
		.amdhsa_reserve_vcc 1
		.amdhsa_float_round_mode_32 0
		.amdhsa_float_round_mode_16_64 0
		.amdhsa_float_denorm_mode_32 3
		.amdhsa_float_denorm_mode_16_64 3
		.amdhsa_fp16_overflow 0
		.amdhsa_memory_ordered 1
		.amdhsa_forward_progress 1
		.amdhsa_inst_pref_size 10
		.amdhsa_round_robin_scheduling 0
		.amdhsa_exception_fp_ieee_invalid_op 0
		.amdhsa_exception_fp_denorm_src 0
		.amdhsa_exception_fp_ieee_div_zero 0
		.amdhsa_exception_fp_ieee_overflow 0
		.amdhsa_exception_fp_ieee_underflow 0
		.amdhsa_exception_fp_ieee_inexact 0
		.amdhsa_exception_int_div_zero 0
	.end_amdhsa_kernel
	.section	.text._ZN2at6native6mbtopk23computeBlockDigitCountsIijjLi1EEEvNS_4cuda6detail10TensorInfoIKT_T0_EEjPjjS8_iijT1_PSB_Ps,"axG",@progbits,_ZN2at6native6mbtopk23computeBlockDigitCountsIijjLi1EEEvNS_4cuda6detail10TensorInfoIKT_T0_EEjPjjS8_iijT1_PSB_Ps,comdat
.Lfunc_end27:
	.size	_ZN2at6native6mbtopk23computeBlockDigitCountsIijjLi1EEEvNS_4cuda6detail10TensorInfoIKT_T0_EEjPjjS8_iijT1_PSB_Ps, .Lfunc_end27-_ZN2at6native6mbtopk23computeBlockDigitCountsIijjLi1EEEvNS_4cuda6detail10TensorInfoIKT_T0_EEjPjjS8_iijT1_PSB_Ps
                                        ; -- End function
	.set _ZN2at6native6mbtopk23computeBlockDigitCountsIijjLi1EEEvNS_4cuda6detail10TensorInfoIKT_T0_EEjPjjS8_iijT1_PSB_Ps.num_vgpr, 10
	.set _ZN2at6native6mbtopk23computeBlockDigitCountsIijjLi1EEEvNS_4cuda6detail10TensorInfoIKT_T0_EEjPjjS8_iijT1_PSB_Ps.num_agpr, 0
	.set _ZN2at6native6mbtopk23computeBlockDigitCountsIijjLi1EEEvNS_4cuda6detail10TensorInfoIKT_T0_EEjPjjS8_iijT1_PSB_Ps.numbered_sgpr, 20
	.set _ZN2at6native6mbtopk23computeBlockDigitCountsIijjLi1EEEvNS_4cuda6detail10TensorInfoIKT_T0_EEjPjjS8_iijT1_PSB_Ps.num_named_barrier, 0
	.set _ZN2at6native6mbtopk23computeBlockDigitCountsIijjLi1EEEvNS_4cuda6detail10TensorInfoIKT_T0_EEjPjjS8_iijT1_PSB_Ps.private_seg_size, 0
	.set _ZN2at6native6mbtopk23computeBlockDigitCountsIijjLi1EEEvNS_4cuda6detail10TensorInfoIKT_T0_EEjPjjS8_iijT1_PSB_Ps.uses_vcc, 1
	.set _ZN2at6native6mbtopk23computeBlockDigitCountsIijjLi1EEEvNS_4cuda6detail10TensorInfoIKT_T0_EEjPjjS8_iijT1_PSB_Ps.uses_flat_scratch, 0
	.set _ZN2at6native6mbtopk23computeBlockDigitCountsIijjLi1EEEvNS_4cuda6detail10TensorInfoIKT_T0_EEjPjjS8_iijT1_PSB_Ps.has_dyn_sized_stack, 0
	.set _ZN2at6native6mbtopk23computeBlockDigitCountsIijjLi1EEEvNS_4cuda6detail10TensorInfoIKT_T0_EEjPjjS8_iijT1_PSB_Ps.has_recursion, 0
	.set _ZN2at6native6mbtopk23computeBlockDigitCountsIijjLi1EEEvNS_4cuda6detail10TensorInfoIKT_T0_EEjPjjS8_iijT1_PSB_Ps.has_indirect_call, 0
	.section	.AMDGPU.csdata,"",@progbits
; Kernel info:
; codeLenInByte = 1264
; TotalNumSgprs: 22
; NumVgprs: 10
; ScratchSize: 0
; MemoryBound: 0
; FloatMode: 240
; IeeeMode: 1
; LDSByteSize: 1024 bytes/workgroup (compile time only)
; SGPRBlocks: 0
; VGPRBlocks: 0
; NumSGPRsForWavesPerEU: 22
; NumVGPRsForWavesPerEU: 10
; NamedBarCnt: 0
; Occupancy: 16
; WaveLimiterHint : 1
; COMPUTE_PGM_RSRC2:SCRATCH_EN: 0
; COMPUTE_PGM_RSRC2:USER_SGPR: 2
; COMPUTE_PGM_RSRC2:TRAP_HANDLER: 0
; COMPUTE_PGM_RSRC2:TGID_X_EN: 1
; COMPUTE_PGM_RSRC2:TGID_Y_EN: 1
; COMPUTE_PGM_RSRC2:TGID_Z_EN: 1
; COMPUTE_PGM_RSRC2:TIDIG_COMP_CNT: 0
	.section	.text._ZN2at6native6mbtopk29computeBlockwiseWithinKCountsIjiEEvPT_PsPjjibS6_PT0_S6_S4_S6_j,"axG",@progbits,_ZN2at6native6mbtopk29computeBlockwiseWithinKCountsIjiEEvPT_PsPjjibS6_PT0_S6_S4_S6_j,comdat
	.protected	_ZN2at6native6mbtopk29computeBlockwiseWithinKCountsIjiEEvPT_PsPjjibS6_PT0_S6_S4_S6_j ; -- Begin function _ZN2at6native6mbtopk29computeBlockwiseWithinKCountsIjiEEvPT_PsPjjibS6_PT0_S6_S4_S6_j
	.globl	_ZN2at6native6mbtopk29computeBlockwiseWithinKCountsIjiEEvPT_PsPjjibS6_PT0_S6_S4_S6_j
	.p2align	8
	.type	_ZN2at6native6mbtopk29computeBlockwiseWithinKCountsIjiEEvPT_PsPjjibS6_PT0_S6_S4_S6_j,@function
_ZN2at6native6mbtopk29computeBlockwiseWithinKCountsIjiEEvPT_PsPjjibS6_PT0_S6_S4_S6_j: ; @_ZN2at6native6mbtopk29computeBlockwiseWithinKCountsIjiEEvPT_PsPjjibS6_PT0_S6_S4_S6_j
; %bb.0:
	s_bfe_u32 s2, ttmp6, 0x40010
	s_and_b32 s4, ttmp7, 0xffff
	s_add_co_i32 s5, s2, 1
	s_clause 0x2
	s_load_b96 s[16:18], s[0:1], 0x18
	s_load_b32 s6, s[0:1], 0x50
	s_load_b64 s[2:3], s[0:1], 0x58
	s_bfe_u32 s8, ttmp6, 0x4000c
	s_mul_i32 s5, s4, s5
	s_bfe_u32 s7, ttmp6, 0x40004
	s_add_co_i32 s8, s8, 1
	s_bfe_u32 s9, ttmp6, 0x40014
	s_add_co_i32 s7, s7, s5
	s_and_b32 s5, ttmp6, 15
	s_mul_i32 s8, ttmp9, s8
	s_lshr_b32 s10, ttmp7, 16
	s_add_co_i32 s9, s9, 1
	s_add_co_i32 s5, s5, s8
	s_mul_i32 s8, s10, s9
	s_bfe_u32 s9, ttmp6, 0x40008
	s_getreg_b32 s11, hwreg(HW_REG_IB_STS2, 6, 4)
	s_add_co_i32 s9, s9, s8
	s_cmp_eq_u32 s11, 0
	s_mov_b32 s21, 0
	s_cselect_b32 s8, s10, s9
	s_wait_kmcnt 0x0
	s_cvt_f32_u32 s9, s16
	s_mul_i32 s3, s3, s8
	s_cselect_b32 s4, s4, s7
	s_cselect_b32 s5, ttmp9, s5
	v_rcp_iflag_f32_e32 v1, s9
	s_add_co_i32 s3, s3, s4
	s_delay_alu instid0(SALU_CYCLE_1) | instskip(NEXT) | instid1(SALU_CYCLE_1)
	s_mul_i32 s2, s3, s2
	s_add_co_i32 s20, s2, s5
	v_nop
	s_delay_alu instid0(TRANS32_DEP_1)
	v_readfirstlane_b32 s2, v1
	s_cmp_ge_u32 s20, s6
	s_cbranch_scc1 .LBB28_46
; %bb.1:
	s_mul_f32 s2, s2, 0x4f7ffffe
	s_delay_alu instid0(SALU_CYCLE_3) | instskip(SKIP_1) | instid1(SALU_CYCLE_2)
	s_cvt_u32_f32 s4, s2
	s_sub_co_i32 s2, 0, s16
	s_mul_i32 s2, s2, s4
	s_delay_alu instid0(SALU_CYCLE_1) | instskip(SKIP_3) | instid1(SALU_CYCLE_1)
	s_mul_hi_u32 s5, s4, s2
	s_load_b64 s[2:3], s[0:1], 0x10
	s_add_co_i32 s4, s4, s5
	s_mov_b32 s5, s21
	s_mul_u64 s[4:5], s[20:21], s[4:5]
	s_delay_alu instid0(SALU_CYCLE_1) | instskip(SKIP_2) | instid1(SALU_CYCLE_1)
	s_mul_i32 s4, s5, s16
	s_add_co_i32 s6, s5, 1
	s_sub_co_i32 s4, s20, s4
	s_sub_co_i32 s7, s4, s16
	s_cmp_ge_u32 s4, s16
	s_cselect_b32 s5, s6, s5
	s_cselect_b32 s4, s7, s4
	s_add_co_i32 s6, s5, 1
	s_cmp_ge_u32 s4, s16
	s_cselect_b32 s22, s6, s5
	s_load_b128 s[12:15], s[0:1], 0x0
	s_wait_kmcnt 0x0
	s_load_b32 s19, s[2:3], s22 offset:0x0 scale_offset
	s_wait_xcnt 0x0
	v_cmp_gt_u32_e64 s2, 0x100, v0
	s_and_saveexec_b32 s3, s2
	s_cbranch_execz .LBB28_17
; %bb.2:
	s_mul_i32 s4, s22, s16
	s_mov_b32 s5, 0
	s_lshl_b32 s4, s4, 8
	v_dual_mov_b32 v3, 0 :: v_dual_lshlrev_b32 v2, 1, v0
	s_lshl_b64 s[6:7], s[4:5], 1
	s_cmp_lt_u32 s16, 4
	s_add_nc_u64 s[6:7], s[14:15], s[6:7]
	s_delay_alu instid0(VALU_DEP_1) | instid1(SALU_CYCLE_1)
	v_add_nc_u64_e32 v[4:5], s[6:7], v[2:3]
	s_cbranch_scc1 .LBB28_10
; %bb.3:
	v_readfirstlane_b32 s5, v0
	v_mov_b32_e32 v3, 0
	s_add_co_i32 s4, s16, -4
	s_delay_alu instid0(SALU_CYCLE_1)
	s_cmp_lt_u32 s4, 4
	s_cbranch_scc1 .LBB28_7
; %bb.4:
	s_delay_alu instid0(VALU_DEP_1)
	v_add_nc_u64_e32 v[6:7], s[6:7], v[2:3]
	s_lshr_b32 s4, s4, 2
	s_mov_b32 s7, 0
	s_add_co_i32 s6, s4, 1
	v_mov_b32_e32 v1, v3
	s_and_b64 s[8:9], s[6:7], 0x7ffffffe
	s_delay_alu instid0(SALU_CYCLE_1)
	s_mov_b64 s[4:5], s[8:9]
	v_add_nc_u64_e32 v[6:7], 0x800, v[6:7]
.LBB28_5:                               ; =>This Inner Loop Header: Depth=1
	s_clause 0x7
	global_load_i16 v2, v[6:7], off offset:-2048
	global_load_i16 v8, v[6:7], off
	global_load_i16 v9, v[6:7], off offset:512
	global_load_i16 v10, v[6:7], off offset:-1536
	global_load_i16 v11, v[6:7], off offset:-1024
	global_load_i16 v12, v[6:7], off offset:1024
	global_load_i16 v13, v[6:7], off offset:1536
	global_load_i16 v14, v[6:7], off offset:-512
	s_wait_xcnt 0x0
	v_add_nc_u64_e32 v[6:7], 0x1000, v[6:7]
	s_add_nc_u64 s[4:5], s[4:5], -2
	s_delay_alu instid0(SALU_CYCLE_1)
	s_cmp_lg_u64 s[4:5], 0
	s_wait_loadcnt 0x5
	v_add3_u32 v1, v1, v8, v9
	s_wait_loadcnt 0x4
	v_add3_u32 v2, v3, v2, v10
	s_wait_loadcnt 0x1
	s_delay_alu instid0(VALU_DEP_2) | instskip(SKIP_1) | instid1(VALU_DEP_2)
	v_add3_u32 v1, v1, v12, v13
	s_wait_loadcnt 0x0
	v_add3_u32 v3, v2, v11, v14
	s_cbranch_scc1 .LBB28_5
; %bb.6:
	s_lshl_b64 s[4:5], s[8:9], 11
	s_delay_alu instid0(VALU_DEP_1)
	v_add_nc_u32_e32 v3, v3, v1
	v_add_nc_u64_e32 v[4:5], s[4:5], v[4:5]
	s_lshl_b32 s5, s8, 2
	s_cmp_lg_u64 s[8:9], s[6:7]
	s_mov_b32 s4, s5
	s_cselect_b32 s6, -1, 0
	s_delay_alu instid0(SALU_CYCLE_1)
	s_and_b32 vcc_lo, exec_lo, s6
	s_cbranch_vccnz .LBB28_8
	s_branch .LBB28_10
.LBB28_7:
	s_mov_b32 s4, 0
	s_cbranch_execz .LBB28_10
.LBB28_8:                               ; =>This Inner Loop Header: Depth=1
	s_clause 0x3
	global_load_i16 v1, v[4:5], off
	global_load_i16 v2, v[4:5], off offset:512
	global_load_i16 v6, v[4:5], off offset:1024
	;; [unrolled: 1-line block ×3, first 2 shown]
	s_wait_xcnt 0x0
	v_add_nc_u64_e32 v[4:5], 0x800, v[4:5]
	s_add_co_i32 s5, s4, 7
	s_add_co_i32 s4, s4, 4
	s_cmp_ge_u32 s5, s16
	s_wait_loadcnt 0x2
	v_add3_u32 v1, v3, v1, v2
	s_wait_loadcnt 0x0
	s_delay_alu instid0(VALU_DEP_1)
	v_add3_u32 v3, v1, v6, v7
	s_cbranch_scc0 .LBB28_8
; %bb.9:
	s_mov_b32 s5, s4
.LBB28_10:
	s_delay_alu instid0(SALU_CYCLE_1)
	s_cmp_ge_u32 s5, s16
	s_cbranch_scc1 .LBB28_16
; %bb.11:
	s_not_b32 s4, s5
	s_mov_b32 s7, 0
	s_add_co_i32 s6, s16, s4
	s_delay_alu instid0(SALU_CYCLE_1)
	s_cmp_eq_u32 s6, 0
	s_cbranch_scc1 .LBB28_47
; %bb.12:
	v_add_nc_u64_e32 v[6:7], 0x200, v[4:5]
	s_add_nc_u64 s[6:7], s[6:7], 1
	v_mov_b32_e32 v1, 0
	s_and_b64 s[8:9], s[6:7], 0x1fffffffe
	s_delay_alu instid0(SALU_CYCLE_1)
	s_mov_b64 s[10:11], s[8:9]
.LBB28_13:                              ; =>This Inner Loop Header: Depth=1
	s_clause 0x1
	global_load_i16 v2, v[6:7], off
	global_load_i16 v8, v[6:7], off offset:-512
	s_wait_xcnt 0x0
	v_add_nc_u64_e32 v[6:7], 0x400, v[6:7]
	s_add_nc_u64 s[10:11], s[10:11], -2
	s_delay_alu instid0(SALU_CYCLE_1)
	s_cmp_lg_u64 s[10:11], 0
	s_wait_loadcnt 0x0
	v_dual_add_nc_u32 v1, v1, v2 :: v_dual_add_nc_u32 v3, v3, v8
	s_cbranch_scc1 .LBB28_13
; %bb.14:
	s_lshl_b64 s[10:11], s[8:9], 9
	s_add_co_i32 s5, s5, s8
	v_add_nc_u64_e32 v[4:5], s[10:11], v[4:5]
	v_add_nc_u32_e32 v3, v3, v1
	s_cmp_lg_u64 s[6:7], s[8:9]
	s_cselect_b32 s4, -1, 0
	s_delay_alu instid0(SALU_CYCLE_1)
	s_and_b32 vcc_lo, exec_lo, s4
	s_cbranch_vccz .LBB28_16
.LBB28_15:                              ; =>This Inner Loop Header: Depth=1
	global_load_i16 v1, v[4:5], off
	s_wait_xcnt 0x0
	v_add_nc_u64_e32 v[4:5], 0x200, v[4:5]
	s_add_co_i32 s5, s5, 1
	s_delay_alu instid0(SALU_CYCLE_1)
	s_cmp_lt_u32 s5, s16
	s_wait_loadcnt 0x0
	v_add_nc_u32_e32 v3, v3, v1
	s_cbranch_scc1 .LBB28_15
.LBB28_16:
	v_lshlrev_b32_e32 v1, 2, v0
	ds_store_b32 v1, v3 offset:1056
.LBB28_17:
	s_or_b32 exec_lo, exec_lo, s3
	v_dual_mov_b32 v5, 0 :: v_dual_lshlrev_b32 v1, 2, v0
	s_mov_b32 s23, s21
	s_wait_dscnt 0x0
	s_barrier_signal -1
	s_barrier_wait -1
	s_and_saveexec_b32 s3, s2
; %bb.18:
	ds_load_b32 v5, v1 offset:1056
; %bb.19:
	s_or_b32 exec_lo, exec_lo, s3
	v_lshrrev_b32_e32 v3, 5, v0
	v_cmp_gt_u32_e64 s3, 32, v0
	v_mbcnt_lo_u32_b32 v2, -1, 0
	s_delay_alu instid0(VALU_DEP_3)
	v_lshl_add_u32 v4, v3, 2, v1
	s_wait_dscnt 0x0
	ds_store_b32 v4, v5
	s_wait_dscnt 0x0
	s_barrier_signal -1
	s_barrier_wait -1
	s_and_saveexec_b32 s4, s3
	s_cbranch_execz .LBB28_21
; %bb.20:
	v_and_b32_e32 v6, 0xfc, v0
	s_delay_alu instid0(VALU_DEP_1)
	v_lshl_add_u32 v14, v0, 5, v6
	ds_load_2addr_b32 v[6:7], v14 offset1:1
	ds_load_2addr_b32 v[8:9], v14 offset0:2 offset1:3
	ds_load_2addr_b32 v[10:11], v14 offset0:4 offset1:5
	;; [unrolled: 1-line block ×3, first 2 shown]
	; wave barrier
	s_wait_dscnt 0x3
	v_add_nc_u32_e32 v7, v7, v6
	s_wait_dscnt 0x2
	s_delay_alu instid0(VALU_DEP_1) | instskip(SKIP_1) | instid1(VALU_DEP_1)
	v_add3_u32 v7, v7, v8, v9
	s_wait_dscnt 0x1
	v_add3_u32 v7, v7, v10, v11
	v_bfe_i32 v10, v2, 4, 1
	s_wait_dscnt 0x0
	s_delay_alu instid0(VALU_DEP_2) | instskip(SKIP_1) | instid1(VALU_DEP_2)
	v_add3_u32 v7, v7, v12, v13
	v_and_b32_e32 v8, 15, v2
	v_mov_b32_dpp v9, v7 row_shr:1 row_mask:0xf bank_mask:0xf
	s_delay_alu instid0(VALU_DEP_2) | instskip(NEXT) | instid1(VALU_DEP_2)
	v_cmp_ne_u32_e32 vcc_lo, 0, v8
	v_cndmask_b32_e32 v9, 0, v9, vcc_lo
	s_delay_alu instid0(VALU_DEP_1) | instskip(SKIP_1) | instid1(VALU_DEP_2)
	v_add_nc_u32_e32 v7, v9, v7
	v_cmp_lt_u32_e32 vcc_lo, 1, v8
	v_mov_b32_dpp v9, v7 row_shr:2 row_mask:0xf bank_mask:0xf
	s_delay_alu instid0(VALU_DEP_1) | instskip(SKIP_1) | instid1(VALU_DEP_2)
	v_cndmask_b32_e32 v9, 0, v9, vcc_lo
	v_cmp_lt_u32_e32 vcc_lo, 3, v8
	v_add_nc_u32_e32 v7, v7, v9
	s_delay_alu instid0(VALU_DEP_1) | instskip(NEXT) | instid1(VALU_DEP_1)
	v_mov_b32_dpp v9, v7 row_shr:4 row_mask:0xf bank_mask:0xf
	v_cndmask_b32_e32 v9, 0, v9, vcc_lo
	v_cmp_lt_u32_e32 vcc_lo, 7, v8
	s_delay_alu instid0(VALU_DEP_2) | instskip(NEXT) | instid1(VALU_DEP_1)
	v_add_nc_u32_e32 v7, v7, v9
	v_mov_b32_dpp v9, v7 row_shr:8 row_mask:0xf bank_mask:0xf
	s_delay_alu instid0(VALU_DEP_1) | instskip(NEXT) | instid1(VALU_DEP_1)
	v_cndmask_b32_e32 v8, 0, v9, vcc_lo
	v_add_nc_u32_e32 v7, v7, v8
	ds_swizzle_b32 v8, v7 offset:swizzle(BROADCAST,32,15)
	s_wait_dscnt 0x0
	v_dual_add_nc_u32 v9, -1, v2 :: v_dual_bitop2_b32 v8, v10, v8 bitop3:0x40
	s_delay_alu instid0(VALU_DEP_1) | instskip(NEXT) | instid1(VALU_DEP_2)
	v_cmp_gt_i32_e32 vcc_lo, 0, v9
	v_dual_add_nc_u32 v7, v7, v8 :: v_dual_cndmask_b32 v9, v9, v2, vcc_lo
	v_cmp_eq_u32_e32 vcc_lo, 0, v0
	s_delay_alu instid0(VALU_DEP_2) | instskip(SKIP_3) | instid1(VALU_DEP_1)
	v_lshlrev_b32_e32 v9, 2, v9
	ds_bpermute_b32 v7, v9, v7
	s_wait_dscnt 0x0
	v_add_nc_u32_e32 v6, v7, v6
	v_cndmask_b32_e32 v5, v6, v5, vcc_lo
	ds_store_b32 v14, v5
	; wave barrier
	ds_load_2addr_b32 v[6:7], v14 offset0:1 offset1:2
	ds_load_2addr_b32 v[8:9], v14 offset0:3 offset1:4
	;; [unrolled: 1-line block ×3, first 2 shown]
	ds_load_b32 v12, v14 offset:28
	s_wait_dscnt 0x3
	v_add_nc_u32_e32 v5, v6, v5
	s_delay_alu instid0(VALU_DEP_1) | instskip(SKIP_1) | instid1(VALU_DEP_1)
	v_add_nc_u32_e32 v6, v7, v5
	s_wait_dscnt 0x2
	v_add_nc_u32_e32 v7, v8, v6
	s_delay_alu instid0(VALU_DEP_1) | instskip(SKIP_1) | instid1(VALU_DEP_1)
	v_add_nc_u32_e32 v8, v9, v7
	;; [unrolled: 4-line block ×3, first 2 shown]
	s_wait_dscnt 0x0
	v_add_nc_u32_e32 v11, v12, v10
	ds_store_2addr_b32 v14, v5, v6 offset0:1 offset1:2
	ds_store_2addr_b32 v14, v7, v8 offset0:3 offset1:4
	;; [unrolled: 1-line block ×3, first 2 shown]
	ds_store_b32 v14, v11 offset:28
.LBB28_21:
	s_or_b32 exec_lo, exec_lo, s4
	s_wait_dscnt 0x0
	s_barrier_signal -1
	s_barrier_wait -1
	ds_load_b32 v5, v4
	s_wait_dscnt 0x0
	s_barrier_signal -1
	s_barrier_wait -1
	s_and_saveexec_b32 s4, s2
; %bb.22:
	ds_store_b32 v1, v5 offset:1056
; %bb.23:
	s_or_b32 exec_lo, exec_lo, s4
	s_clause 0x1
	s_load_b256 s[4:11], s[0:1], 0x28
	s_load_b64 s[24:25], s[0:1], 0x48
	s_wait_dscnt 0x0
	s_barrier_signal -1
	s_barrier_wait -1
	s_and_saveexec_b32 s26, s2
	s_cbranch_execz .LBB28_29
; %bb.24:
	v_mov_b32_e32 v4, 0
	s_wait_xcnt 0x0
	s_mov_b32 s0, exec_lo
	v_cmpx_ne_u32_e32 0, v0
; %bb.25:
	ds_load_b32 v4, v1 offset:1052
; %bb.26:
	s_or_b32 exec_lo, exec_lo, s0
	s_wait_dscnt 0x0
	s_wait_kmcnt 0x0
	v_cmp_gt_u32_e32 vcc_lo, s19, v4
	v_cmp_le_u32_e64 s0, s19, v5
	s_and_b32 s0, vcc_lo, s0
	s_delay_alu instid0(SALU_CYCLE_1)
	s_and_b32 exec_lo, exec_lo, s0
	s_cbranch_execz .LBB28_29
; %bb.27:
	v_dual_mov_b32 v5, 0 :: v_dual_lshlrev_b32 v7, s17, v0
	s_lshl_b64 s[0:1], s[22:23], 2
	s_lshl_b32 s2, 0xff, s17
	s_add_nc_u64 s[12:13], s[12:13], s[0:1]
	global_load_b32 v6, v5, s[12:13]
	s_wait_loadcnt 0x0
	v_bitop3_b32 v6, v6, v7, s2 bitop3:0xdc
	s_mul_i32 s2, s22, s16
	s_delay_alu instid0(SALU_CYCLE_1)
	s_cmp_lg_u32 s20, s2
	ds_store_b32 v5, v6 offset:2112
	s_cbranch_scc1 .LBB28_29
; %bb.28:
	v_sub_nc_u32_e32 v4, s19, v4
	s_cmp_gt_i32 s17, 0
	s_cselect_b32 s2, -1, 0
	s_delay_alu instid0(VALU_DEP_1) | instid1(SALU_CYCLE_1)
	v_cndmask_b32_e64 v4, -v6, v4, s2
	s_and_b32 s2, s2, exec_lo
	s_cselect_b32 s7, s9, s7
	s_cselect_b32 s6, s8, s6
	s_add_nc_u64 s[8:9], s[10:11], s[0:1]
	s_add_nc_u64 s[0:1], s[6:7], s[0:1]
	s_clause 0x1
	global_store_b32 v5, v6, s[8:9]
	global_store_b32 v5, v4, s[0:1]
.LBB28_29:
	s_wait_xcnt 0x0
	s_or_b32 exec_lo, exec_lo, s26
	v_mov_b32_e32 v4, 0
	s_wait_storecnt_dscnt 0x0
	s_barrier_signal -1
	s_barrier_wait -1
	ds_load_b32 v4, v4 offset:2112
	s_bitcmp0_b32 s18, 0
	s_mov_b32 s0, 0
	s_wait_dscnt 0x0
	v_lshrrev_b32_e32 v4, s17, v4
	s_delay_alu instid0(VALU_DEP_1)
	v_and_b32_e32 v4, 0xff, v4
	s_cbranch_scc0 .LBB28_31
; %bb.30:
	v_and_b32_e32 v5, 0xe0, v0
	s_delay_alu instid0(VALU_DEP_2) | instskip(NEXT) | instid1(VALU_DEP_2)
	v_cmp_lt_u32_e64 s1, v0, v4
	v_cmp_lt_u32_e64 s2, v5, v4
	s_and_not1_b32 vcc_lo, exec_lo, s0
	s_cbranch_vccz .LBB28_32
	s_branch .LBB28_33
.LBB28_31:
                                        ; implicit-def: $sgpr1
                                        ; implicit-def: $sgpr2
.LBB28_32:
	v_or_b32_e32 v5, 31, v0
	s_delay_alu instid0(VALU_DEP_2) | instskip(SKIP_2) | instid1(VALU_DEP_2)
	v_cmp_gt_u32_e32 vcc_lo, v0, v4
	s_and_not1_b32 s1, s1, exec_lo
	s_and_not1_b32 s2, s2, exec_lo
	v_cmp_gt_u32_e64 s0, v5, v4
	s_wait_kmcnt 0x0
	s_and_b32 s6, vcc_lo, exec_lo
	s_delay_alu instid0(SALU_CYCLE_1) | instskip(SKIP_1) | instid1(SALU_CYCLE_1)
	s_or_b32 s1, s1, s6
	s_and_b32 s0, s0, exec_lo
	s_or_b32 s2, s2, s0
.LBB28_33:
	v_mov_b32_e32 v4, 0
	s_and_saveexec_b32 s0, s2
	s_cbranch_execz .LBB28_37
; %bb.34:
	v_mov_b32_e32 v4, 0
	s_and_saveexec_b32 s2, s1
	s_cbranch_execz .LBB28_36
; %bb.35:
	s_wait_kmcnt 0x0
	s_lshl_b32 s6, s20, 8
	s_mov_b32 s7, 0
	s_delay_alu instid0(SALU_CYCLE_1) | instskip(NEXT) | instid1(SALU_CYCLE_1)
	s_lshl_b64 s[6:7], s[6:7], 1
	s_add_nc_u64 s[6:7], s[14:15], s[6:7]
	global_load_i16 v4, v0, s[6:7] scale_offset
.LBB28_36:
	s_wait_xcnt 0x0
	s_or_b32 exec_lo, exec_lo, s2
	v_lshl_or_b32 v5, v2, 2, 64
	v_cmp_gt_u32_e32 vcc_lo, 24, v2
	s_wait_loadcnt 0x0
	ds_bpermute_b32 v5, v5, v4
	v_cndmask_b32_e64 v6, 0, 8, vcc_lo
	v_cmp_gt_u32_e32 vcc_lo, 28, v2
	s_delay_alu instid0(VALU_DEP_2)
	v_add_lshl_u32 v6, v6, v2, 2
	s_wait_dscnt 0x0
	v_add_nc_u32_e32 v4, v5, v4
	ds_bpermute_b32 v5, v6, v4
	v_cndmask_b32_e64 v6, 0, 4, vcc_lo
	v_cmp_gt_u32_e32 vcc_lo, 30, v2
	s_delay_alu instid0(VALU_DEP_2)
	v_add_lshl_u32 v6, v6, v2, 2
	s_wait_dscnt 0x0
	v_add_nc_u32_e32 v4, v5, v4
	ds_bpermute_b32 v5, v6, v4
	v_cndmask_b32_e64 v6, 0, 2, vcc_lo
	v_cmp_ne_u32_e32 vcc_lo, 31, v2
	s_delay_alu instid0(VALU_DEP_2)
	v_add_lshl_u32 v6, v6, v2, 2
	s_wait_dscnt 0x0
	v_add_nc_u32_e32 v4, v5, v4
	ds_bpermute_b32 v5, v6, v4
	v_add_co_ci_u32_e64 v6, null, 0, v2, vcc_lo
	s_wait_dscnt 0x0
	s_delay_alu instid0(VALU_DEP_1)
	v_dual_add_nc_u32 v4, v5, v4 :: v_dual_lshlrev_b32 v5, 2, v6
	ds_bpermute_b32 v5, v5, v4
	s_wait_dscnt 0x0
	v_add_nc_u32_e32 v4, v5, v4
.LBB28_37:
	s_or_b32 exec_lo, exec_lo, s0
	v_and_b32_e32 v5, 31, v0
	s_mov_b32 s0, exec_lo
	s_delay_alu instid0(VALU_DEP_1)
	v_cmpx_eq_u32_e32 0, v5
; %bb.38:
	v_lshlrev_b32_e32 v3, 2, v3
	ds_store_b32 v3, v4 offset:2080
; %bb.39:
	s_or_b32 exec_lo, exec_lo, s0
	s_wait_dscnt 0x0
	s_barrier_signal -1
	s_barrier_wait -1
	s_and_saveexec_b32 s0, s3
	s_cbranch_execz .LBB28_46
; %bb.40:
	v_mov_b32_e32 v3, 0
	s_mov_b32 s0, exec_lo
	v_cmpx_gt_u32_e32 8, v0
; %bb.41:
	ds_load_b32 v3, v1 offset:2080
; %bb.42:
	s_or_b32 exec_lo, exec_lo, s0
	v_cmp_gt_u32_e32 vcc_lo, 28, v2
	s_mov_b32 s0, exec_lo
	v_cndmask_b32_e64 v1, 0, 4, vcc_lo
	v_cmp_gt_u32_e32 vcc_lo, 30, v2
	s_delay_alu instid0(VALU_DEP_2)
	v_add_lshl_u32 v1, v1, v2, 2
	v_cndmask_b32_e64 v4, 0, 2, vcc_lo
	v_cmp_ne_u32_e32 vcc_lo, 31, v2
	s_wait_dscnt 0x0
	ds_bpermute_b32 v1, v1, v3
	v_add_lshl_u32 v4, v4, v2, 2
	v_add_co_ci_u32_e64 v2, null, 0, v2, vcc_lo
	s_wait_dscnt 0x0
	s_delay_alu instid0(VALU_DEP_1)
	v_dual_lshlrev_b32 v2, 2, v2 :: v_dual_add_nc_u32 v1, v1, v3
	ds_bpermute_b32 v3, v4, v1
	s_wait_dscnt 0x0
	v_add_nc_u32_e32 v1, v3, v1
	ds_bpermute_b32 v2, v2, v1
	v_cmpx_eq_u32_e32 0, v0
	s_cbranch_execz .LBB28_44
; %bb.43:
	v_mov_b32_e32 v3, 0
	s_lshl_b64 s[2:3], s[20:21], 2
	s_wait_kmcnt 0x0
	s_add_nc_u64 s[2:3], s[4:5], s[2:3]
	global_load_b32 v4, v3, s[2:3]
	s_wait_loadcnt_dscnt 0x0
	v_add3_u32 v1, v2, v1, v4
	global_store_b32 v3, v1, s[2:3]
.LBB28_44:
	s_wait_xcnt 0x0
	s_or_b32 exec_lo, exec_lo, s0
	v_or_b32_e32 v0, s17, v0
	s_delay_alu instid0(VALU_DEP_1)
	v_cmp_eq_u32_e32 vcc_lo, 0, v0
	s_and_b32 exec_lo, exec_lo, vcc_lo
	s_cbranch_execz .LBB28_46
; %bb.45:
	v_mov_b32_e32 v0, 0
	s_lshl_b32 s0, s20, 8
	s_mov_b32 s1, 0
	s_delay_alu instid0(SALU_CYCLE_1)
	s_lshl_b64 s[0:1], s[0:1], 1
	ds_load_b32 v1, v0 offset:2112
	s_add_nc_u64 s[0:1], s[14:15], s[0:1]
	s_wait_dscnt 0x0
	v_and_b32_e32 v1, 0xff, v1
	global_load_i16 v1, v1, s[0:1] scale_offset
	s_wait_xcnt 0x0
	s_lshl_b64 s[0:1], s[20:21], 2
	s_wait_kmcnt 0x0
	s_add_nc_u64 s[0:1], s[24:25], s[0:1]
	s_wait_loadcnt 0x0
	global_store_b32 v0, v1, s[0:1]
.LBB28_46:
	s_endpgm
.LBB28_47:
	s_cbranch_execnz .LBB28_15
	s_branch .LBB28_16
	.section	.rodata,"a",@progbits
	.p2align	6, 0x0
	.amdhsa_kernel _ZN2at6native6mbtopk29computeBlockwiseWithinKCountsIjiEEvPT_PsPjjibS6_PT0_S6_S4_S6_j
		.amdhsa_group_segment_fixed_size 2116
		.amdhsa_private_segment_fixed_size 0
		.amdhsa_kernarg_size 344
		.amdhsa_user_sgpr_count 2
		.amdhsa_user_sgpr_dispatch_ptr 0
		.amdhsa_user_sgpr_queue_ptr 0
		.amdhsa_user_sgpr_kernarg_segment_ptr 1
		.amdhsa_user_sgpr_dispatch_id 0
		.amdhsa_user_sgpr_kernarg_preload_length 0
		.amdhsa_user_sgpr_kernarg_preload_offset 0
		.amdhsa_user_sgpr_private_segment_size 0
		.amdhsa_wavefront_size32 1
		.amdhsa_uses_dynamic_stack 0
		.amdhsa_enable_private_segment 0
		.amdhsa_system_sgpr_workgroup_id_x 1
		.amdhsa_system_sgpr_workgroup_id_y 1
		.amdhsa_system_sgpr_workgroup_id_z 1
		.amdhsa_system_sgpr_workgroup_info 0
		.amdhsa_system_vgpr_workitem_id 0
		.amdhsa_next_free_vgpr 15
		.amdhsa_next_free_sgpr 27
		.amdhsa_named_barrier_count 0
		.amdhsa_reserve_vcc 1
		.amdhsa_float_round_mode_32 0
		.amdhsa_float_round_mode_16_64 0
		.amdhsa_float_denorm_mode_32 3
		.amdhsa_float_denorm_mode_16_64 3
		.amdhsa_fp16_overflow 0
		.amdhsa_memory_ordered 1
		.amdhsa_forward_progress 1
		.amdhsa_inst_pref_size 21
		.amdhsa_round_robin_scheduling 0
		.amdhsa_exception_fp_ieee_invalid_op 0
		.amdhsa_exception_fp_denorm_src 0
		.amdhsa_exception_fp_ieee_div_zero 0
		.amdhsa_exception_fp_ieee_overflow 0
		.amdhsa_exception_fp_ieee_underflow 0
		.amdhsa_exception_fp_ieee_inexact 0
		.amdhsa_exception_int_div_zero 0
	.end_amdhsa_kernel
	.section	.text._ZN2at6native6mbtopk29computeBlockwiseWithinKCountsIjiEEvPT_PsPjjibS6_PT0_S6_S4_S6_j,"axG",@progbits,_ZN2at6native6mbtopk29computeBlockwiseWithinKCountsIjiEEvPT_PsPjjibS6_PT0_S6_S4_S6_j,comdat
.Lfunc_end28:
	.size	_ZN2at6native6mbtopk29computeBlockwiseWithinKCountsIjiEEvPT_PsPjjibS6_PT0_S6_S4_S6_j, .Lfunc_end28-_ZN2at6native6mbtopk29computeBlockwiseWithinKCountsIjiEEvPT_PsPjjibS6_PT0_S6_S4_S6_j
                                        ; -- End function
	.set _ZN2at6native6mbtopk29computeBlockwiseWithinKCountsIjiEEvPT_PsPjjibS6_PT0_S6_S4_S6_j.num_vgpr, 15
	.set _ZN2at6native6mbtopk29computeBlockwiseWithinKCountsIjiEEvPT_PsPjjibS6_PT0_S6_S4_S6_j.num_agpr, 0
	.set _ZN2at6native6mbtopk29computeBlockwiseWithinKCountsIjiEEvPT_PsPjjibS6_PT0_S6_S4_S6_j.numbered_sgpr, 27
	.set _ZN2at6native6mbtopk29computeBlockwiseWithinKCountsIjiEEvPT_PsPjjibS6_PT0_S6_S4_S6_j.num_named_barrier, 0
	.set _ZN2at6native6mbtopk29computeBlockwiseWithinKCountsIjiEEvPT_PsPjjibS6_PT0_S6_S4_S6_j.private_seg_size, 0
	.set _ZN2at6native6mbtopk29computeBlockwiseWithinKCountsIjiEEvPT_PsPjjibS6_PT0_S6_S4_S6_j.uses_vcc, 1
	.set _ZN2at6native6mbtopk29computeBlockwiseWithinKCountsIjiEEvPT_PsPjjibS6_PT0_S6_S4_S6_j.uses_flat_scratch, 0
	.set _ZN2at6native6mbtopk29computeBlockwiseWithinKCountsIjiEEvPT_PsPjjibS6_PT0_S6_S4_S6_j.has_dyn_sized_stack, 0
	.set _ZN2at6native6mbtopk29computeBlockwiseWithinKCountsIjiEEvPT_PsPjjibS6_PT0_S6_S4_S6_j.has_recursion, 0
	.set _ZN2at6native6mbtopk29computeBlockwiseWithinKCountsIjiEEvPT_PsPjjibS6_PT0_S6_S4_S6_j.has_indirect_call, 0
	.section	.AMDGPU.csdata,"",@progbits
; Kernel info:
; codeLenInByte = 2676
; TotalNumSgprs: 29
; NumVgprs: 15
; ScratchSize: 0
; MemoryBound: 0
; FloatMode: 240
; IeeeMode: 1
; LDSByteSize: 2116 bytes/workgroup (compile time only)
; SGPRBlocks: 0
; VGPRBlocks: 0
; NumSGPRsForWavesPerEU: 29
; NumVGPRsForWavesPerEU: 15
; NamedBarCnt: 0
; Occupancy: 16
; WaveLimiterHint : 1
; COMPUTE_PGM_RSRC2:SCRATCH_EN: 0
; COMPUTE_PGM_RSRC2:USER_SGPR: 2
; COMPUTE_PGM_RSRC2:TRAP_HANDLER: 0
; COMPUTE_PGM_RSRC2:TGID_X_EN: 1
; COMPUTE_PGM_RSRC2:TGID_Y_EN: 1
; COMPUTE_PGM_RSRC2:TGID_Z_EN: 1
; COMPUTE_PGM_RSRC2:TIDIG_COMP_CNT: 0
	.section	.text._ZN2at6native6mbtopk10gatherTopKIijLi1EEEvNS_4cuda6detail10TensorInfoIKT_T0_EES8_S8_bjS8_NS5_IS6_S8_EES8_NS5_IlS8_EES8_jjPS6_PjSD_j,"axG",@progbits,_ZN2at6native6mbtopk10gatherTopKIijLi1EEEvNS_4cuda6detail10TensorInfoIKT_T0_EES8_S8_bjS8_NS5_IS6_S8_EES8_NS5_IlS8_EES8_jjPS6_PjSD_j,comdat
	.protected	_ZN2at6native6mbtopk10gatherTopKIijLi1EEEvNS_4cuda6detail10TensorInfoIKT_T0_EES8_S8_bjS8_NS5_IS6_S8_EES8_NS5_IlS8_EES8_jjPS6_PjSD_j ; -- Begin function _ZN2at6native6mbtopk10gatherTopKIijLi1EEEvNS_4cuda6detail10TensorInfoIKT_T0_EES8_S8_bjS8_NS5_IS6_S8_EES8_NS5_IlS8_EES8_jjPS6_PjSD_j
	.globl	_ZN2at6native6mbtopk10gatherTopKIijLi1EEEvNS_4cuda6detail10TensorInfoIKT_T0_EES8_S8_bjS8_NS5_IS6_S8_EES8_NS5_IlS8_EES8_jjPS6_PjSD_j
	.p2align	8
	.type	_ZN2at6native6mbtopk10gatherTopKIijLi1EEEvNS_4cuda6detail10TensorInfoIKT_T0_EES8_S8_bjS8_NS5_IS6_S8_EES8_NS5_IlS8_EES8_jjPS6_PjSD_j,@function
_ZN2at6native6mbtopk10gatherTopKIijLi1EEEvNS_4cuda6detail10TensorInfoIKT_T0_EES8_S8_bjS8_NS5_IS6_S8_EES8_NS5_IlS8_EES8_jjPS6_PjSD_j: ; @_ZN2at6native6mbtopk10gatherTopKIijLi1EEEvNS_4cuda6detail10TensorInfoIKT_T0_EES8_S8_bjS8_NS5_IS6_S8_EES8_NS5_IlS8_EES8_jjPS6_PjSD_j
; %bb.0:
	s_bfe_u32 s2, ttmp6, 0x40010
	s_and_b32 s4, ttmp7, 0xffff
	s_add_co_i32 s5, s2, 1
	s_clause 0x1
	s_load_b32 s6, s[0:1], 0x2d0
	s_load_b64 s[2:3], s[0:1], 0x2d8
	s_bfe_u32 s8, ttmp6, 0x4000c
	s_mul_i32 s5, s4, s5
	s_bfe_u32 s7, ttmp6, 0x40004
	s_add_co_i32 s8, s8, 1
	s_bfe_u32 s9, ttmp6, 0x40014
	s_add_co_i32 s7, s7, s5
	s_and_b32 s5, ttmp6, 15
	s_mul_i32 s8, ttmp9, s8
	s_lshr_b32 s10, ttmp7, 16
	s_add_co_i32 s9, s9, 1
	s_add_co_i32 s5, s5, s8
	s_mul_i32 s8, s10, s9
	s_bfe_u32 s9, ttmp6, 0x40008
	s_getreg_b32 s11, hwreg(HW_REG_IB_STS2, 6, 4)
	s_add_co_i32 s9, s9, s8
	s_cmp_eq_u32 s11, 0
	s_cselect_b32 s8, s10, s9
	s_cselect_b32 s4, s4, s7
	s_wait_kmcnt 0x0
	s_mul_i32 s3, s3, s8
	s_cselect_b32 s5, ttmp9, s5
	s_add_co_i32 s3, s3, s4
	s_delay_alu instid0(SALU_CYCLE_1) | instskip(NEXT) | instid1(SALU_CYCLE_1)
	s_mul_i32 s8, s3, s2
	s_add_co_i32 s8, s8, s5
	s_delay_alu instid0(SALU_CYCLE_1)
	s_cmp_ge_u32 s8, s6
	s_cbranch_scc1 .LBB29_40
; %bb.1:
	s_clause 0x1
	s_load_b96 s[12:14], s[0:1], 0x2a8
	s_load_b128 s[4:7], s[0:1], 0x2b8
	s_wait_kmcnt 0x0
	s_cvt_f32_u32 s2, s14
	s_sub_co_i32 s3, 0, s14
	s_delay_alu instid0(SALU_CYCLE_2) | instskip(SKIP_1) | instid1(TRANS32_DEP_1)
	v_rcp_iflag_f32_e32 v1, s2
	v_nop
	v_readfirstlane_b32 s2, v1
	s_mul_f32 s2, s2, 0x4f7ffffe
	s_delay_alu instid0(SALU_CYCLE_3) | instskip(NEXT) | instid1(SALU_CYCLE_3)
	s_cvt_u32_f32 s2, s2
	s_mul_i32 s3, s3, s2
	s_delay_alu instid0(SALU_CYCLE_1) | instskip(NEXT) | instid1(SALU_CYCLE_1)
	s_mul_hi_u32 s3, s2, s3
	s_add_co_i32 s2, s2, s3
	s_delay_alu instid0(SALU_CYCLE_1) | instskip(NEXT) | instid1(SALU_CYCLE_1)
	s_mul_hi_u32 s2, s8, s2
	s_mul_i32 s3, s2, s14
	s_add_co_i32 s9, s2, 1
	s_sub_co_i32 s3, s8, s3
	s_delay_alu instid0(SALU_CYCLE_1)
	s_sub_co_i32 s10, s3, s14
	s_cmp_ge_u32 s3, s14
	s_cselect_b32 s2, s9, s2
	s_cselect_b32 s3, s10, s3
	s_add_co_i32 s9, s2, 1
	s_cmp_ge_u32 s3, s14
	v_cmp_eq_u32_e64 s3, 0, v0
	s_cselect_b32 s24, s9, s2
	v_cmp_ne_u32_e64 s2, 0, v0
	s_load_b32 s15, s[4:5], s24 offset:0x0 scale_offset
	s_wait_xcnt 0x0
	s_mul_i32 s4, s24, s14
	s_delay_alu instid0(SALU_CYCLE_1)
	s_sub_co_i32 s25, s8, s4
	s_and_saveexec_b32 s26, s3
	s_cbranch_execz .LBB29_17
; %bb.2:
	s_load_b64 s[18:19], s[0:1], 0x2c8
	s_mov_b32 s5, 0
	s_delay_alu instid0(SALU_CYCLE_1)
	s_lshl_b64 s[20:21], s[4:5], 2
	s_cmp_lt_u32 s14, 4
	s_cbranch_scc1 .LBB29_14
; %bb.3:
	s_mov_b64 s[16:17], 0
	s_mov_b32 s4, 0
.LBB29_4:                               ; =>This Inner Loop Header: Depth=1
	s_add_nc_u64 s[22:23], s[6:7], s[20:21]
	s_cmp_ge_u32 s4, s25
	s_load_b128 s[8:11], s[22:23], 0x0
	s_wait_kmcnt 0x0
	s_add_nc_u64 s[22:23], s[18:19], s[20:21]
	s_cbranch_scc0 .LBB29_11
; %bb.5:                                ;   in Loop: Header=BB29_4 Depth=1
	s_add_co_i32 s27, s4, 1
	s_delay_alu instid0(SALU_CYCLE_1)
	s_cmp_ge_u32 s27, s25
	s_cbranch_scc0 .LBB29_12
.LBB29_6:                               ;   in Loop: Header=BB29_4 Depth=1
	s_add_co_i32 s27, s27, 1
	s_delay_alu instid0(SALU_CYCLE_1)
	s_cmp_ge_u32 s27, s25
	s_cbranch_scc0 .LBB29_13
.LBB29_7:                               ;   in Loop: Header=BB29_4 Depth=1
	s_add_co_i32 s27, s27, 1
	s_delay_alu instid0(SALU_CYCLE_1)
	s_cmp_ge_u32 s27, s25
	s_cbranch_scc1 .LBB29_9
.LBB29_8:                               ;   in Loop: Header=BB29_4 Depth=1
	s_load_b32 s22, s[22:23], 0xc
	s_add_co_i32 s17, s11, s17
	s_wait_kmcnt 0x0
	s_add_co_i32 s16, s22, s16
.LBB29_9:                               ;   in Loop: Header=BB29_4 Depth=1
	s_add_co_i32 s5, s8, s5
	s_add_co_i32 s8, s27, 1
	;; [unrolled: 1-line block ×5, first 2 shown]
	s_add_nc_u64 s[6:7], s[6:7], 16
	s_add_co_i32 s5, s5, s11
	s_cmp_ge_u32 s9, s14
	s_add_nc_u64 s[18:19], s[18:19], 16
	s_cbranch_scc1 .LBB29_15
; %bb.10:                               ;   in Loop: Header=BB29_4 Depth=1
	s_mov_b32 s4, s8
	s_branch .LBB29_4
.LBB29_11:                              ;   in Loop: Header=BB29_4 Depth=1
	s_load_b32 s27, s[22:23], 0x0
	s_add_co_i32 s17, s8, s17
	s_wait_kmcnt 0x0
	s_add_co_i32 s16, s27, s16
	s_add_co_i32 s27, s4, 1
	s_delay_alu instid0(SALU_CYCLE_1)
	s_cmp_ge_u32 s27, s25
	s_cbranch_scc1 .LBB29_6
.LBB29_12:                              ;   in Loop: Header=BB29_4 Depth=1
	s_load_b32 s28, s[22:23], 0x4
	s_add_co_i32 s17, s9, s17
	s_wait_kmcnt 0x0
	s_add_co_i32 s16, s28, s16
	s_add_co_i32 s27, s27, 1
	s_delay_alu instid0(SALU_CYCLE_1)
	s_cmp_ge_u32 s27, s25
	s_cbranch_scc1 .LBB29_7
.LBB29_13:                              ;   in Loop: Header=BB29_4 Depth=1
	s_load_b32 s28, s[22:23], 0x8
	s_add_co_i32 s17, s10, s17
	s_wait_kmcnt 0x0
	s_add_co_i32 s16, s28, s16
	s_add_co_i32 s27, s27, 1
	s_delay_alu instid0(SALU_CYCLE_1)
	s_cmp_ge_u32 s27, s25
	s_cbranch_scc0 .LBB29_8
	s_branch .LBB29_9
.LBB29_14:
	s_mov_b64 s[16:17], 0
	s_add_nc_u64 s[6:7], s[6:7], s[20:21]
	s_wait_kmcnt 0x0
	s_add_nc_u64 s[8:9], s[18:19], s[20:21]
	s_mov_b32 s4, 0
	s_delay_alu instid0(SALU_CYCLE_1)
	s_cmp_ge_u32 s4, s14
	s_cbranch_scc0 .LBB29_38
	s_branch .LBB29_16
.LBB29_15:
	s_add_co_i32 s4, s4, 4
	s_add_nc_u64 s[8:9], s[18:19], s[20:21]
	s_add_nc_u64 s[6:7], s[6:7], s[20:21]
	s_cmp_ge_u32 s4, s14
	s_cbranch_scc0 .LBB29_38
.LBB29_16:
	v_dual_mov_b32 v2, s16 :: v_dual_mov_b32 v3, s5
	v_dual_mov_b32 v4, s17 :: v_dual_mov_b32 v1, 0
	ds_store_b96 v1, v[2:4] offset:1056
.LBB29_17:
	s_or_b32 exec_lo, exec_lo, s26
	s_clause 0x6
	s_load_b32 s20, s[0:1], 0x23c
	s_load_b64 s[10:11], s[0:1], 0x1d0
	s_load_b32 s21, s[0:1], 0x15c
	s_load_b64 s[8:9], s[0:1], 0xf0
	s_load_b32 s22, s[0:1], 0x6c
	s_load_b64 s[16:17], s[0:1], 0x0
	s_load_b96 s[4:6], s[0:1], 0xd8
	s_mul_i32 s7, s13, s25
	s_mov_b32 s19, 0
	s_lshl_b32 s7, s7, 8
	s_add_co_i32 s25, s25, 1
	s_wait_dscnt 0x0
	s_barrier_signal -1
	s_barrier_wait -1
	s_wait_kmcnt 0x0
	s_sub_co_i32 s18, s4, s7
	s_delay_alu instid0(SALU_CYCLE_1) | instskip(NEXT) | instid1(SALU_CYCLE_1)
	s_add_nc_u64 s[26:27], s[18:19], 0xff
	s_lshr_b64 s[26:27], s[26:27], 8
	s_cmp_lt_u32 s25, s14
	s_cselect_b32 s13, s13, s26
	s_delay_alu instid0(SALU_CYCLE_1)
	s_cmp_eq_u32 s13, 0
	s_cbranch_scc1 .LBB29_40
; %bb.18:
	v_dual_mov_b32 v7, 0 :: v_dual_lshrrev_b32 v1, 3, v0
	s_mul_i32 s18, s24, s22
	s_mul_i32 s22, s24, s21
	s_load_b32 s21, s[0:1], 0xe8
	ds_load_b96 v[2:4], v7 offset:1056
	v_dual_lshlrev_b32 v9, 5, v0 :: v_dual_add_nc_u32 v10, -1, v0
	s_mul_i32 s24, s24, s20
	s_load_b32 s20, s[0:1], 0x1c8
	v_dual_add_nc_u32 v6, s7, v0 :: v_dual_bitop2_b32 v1, 28, v1 bitop3:0x40
	s_delay_alu instid0(VALU_DEP_2)
	v_lshrrev_b32_e32 v5, 3, v10
	v_and_b32_e32 v8, 0xfc, v0
	s_mov_b32 s23, s19
	s_mov_b32 s25, s19
	s_wait_xcnt 0x0
	s_lshl_b64 s[0:1], s[18:19], 2
	s_xor_b32 s14, s15, 0x80000000
	s_lshl_b64 s[18:19], s[22:23], 2
	s_lshl_b64 s[22:23], s[24:25], 3
	s_bitcmp1_b32 s6, 0
	s_add_nc_u64 s[6:7], s[16:17], s[0:1]
	v_lshl_add_u32 v1, v0, 2, v1
	v_cmp_gt_u32_e64 s0, 32, v0
	s_add_nc_u64 s[8:9], s[8:9], s[18:19]
	s_wait_dscnt 0x0
	v_add_nc_u32_e32 v2, v2, v3
	v_and_b32_e32 v11, 0x1ffffffc, v5
	s_wait_kmcnt 0x0
	v_mul_lo_u32 v5, s21, v6
	v_mbcnt_lo_u32_b32 v3, -1, 0
	v_add_nc_u32_e32 v8, v8, v9
	s_add_nc_u64 s[10:11], s[10:11], s[22:23]
	v_lshl_add_u32 v0, v10, 2, v11
	s_cselect_b32 s1, -1, 0
	v_and_b32_e32 v9, 15, v3
	v_bfe_i32 v10, v3, 4, 1
	v_add_nc_u32_e32 v11, -1, v3
	s_lshl_b32 s16, s21, 8
                                        ; implicit-def: $vgpr12
	s_branch .LBB29_21
.LBB29_19:                              ;   in Loop: Header=BB29_21 Depth=1
	s_wait_xcnt 0x0
	s_or_b32 exec_lo, exec_lo, s17
	v_add_nc_u32_e32 v2, v15, v2
.LBB29_20:                              ;   in Loop: Header=BB29_21 Depth=1
	v_dual_add_nc_u32 v4, v14, v4 :: v_dual_add_nc_u32 v5, s16, v5
	v_add_nc_u32_e32 v6, 0x100, v6
	s_add_co_i32 s13, s13, -1
	s_delay_alu instid0(SALU_CYCLE_1)
	s_cmp_lg_u32 s13, 0
	s_cbranch_scc0 .LBB29_40
.LBB29_21:                              ; =>This Inner Loop Header: Depth=1
	v_dual_mov_b32 v15, 0 :: v_dual_mov_b32 v13, 0
	s_mov_b32 s17, exec_lo
	v_cmpx_gt_u32_e64 s4, v6
	s_cbranch_execz .LBB29_23
; %bb.22:                               ;   in Loop: Header=BB29_21 Depth=1
	global_load_b32 v12, v5, s[6:7] scale_offset
	s_wait_loadcnt 0x0
	v_xor_b32_e32 v13, 0x80000000, v12
	s_delay_alu instid0(VALU_DEP_1) | instskip(SKIP_4) | instid1(VALU_DEP_2)
	v_cmp_lt_u32_e32 vcc_lo, s14, v13
	v_cndmask_b32_e64 v14, 0, 1, vcc_lo
	v_cmp_gt_u32_e32 vcc_lo, s14, v13
	v_cndmask_b32_e64 v13, 0, 1, vcc_lo
	v_cmp_eq_u32_e32 vcc_lo, s15, v12
	v_cndmask_b32_e64 v13, v13, v14, s1
	s_delay_alu instid0(VALU_DEP_1)
	v_and_b32_e32 v15, 1, v13
	v_cndmask_b32_e64 v13, 0, 1, vcc_lo
.LBB29_23:                              ;   in Loop: Header=BB29_21 Depth=1
	s_wait_xcnt 0x0
	s_or_b32 exec_lo, exec_lo, s17
	ds_store_b32 v1, v15
	s_wait_dscnt 0x0
	s_barrier_signal -1
	s_barrier_wait -1
	s_and_saveexec_b32 s17, s0
	s_cbranch_execz .LBB29_25
; %bb.24:                               ;   in Loop: Header=BB29_21 Depth=1
	ds_load_2addr_b32 v[16:17], v8 offset1:1
	ds_load_2addr_b32 v[18:19], v8 offset0:2 offset1:3
	ds_load_2addr_b32 v[20:21], v8 offset0:4 offset1:5
	;; [unrolled: 1-line block ×3, first 2 shown]
	v_cmp_ne_u32_e32 vcc_lo, 0, v9
	; wave barrier
	s_wait_dscnt 0x3
	v_add_nc_u32_e32 v14, v17, v16
	s_wait_dscnt 0x2
	s_delay_alu instid0(VALU_DEP_1) | instskip(SKIP_1) | instid1(VALU_DEP_1)
	v_add3_u32 v14, v14, v18, v19
	s_wait_dscnt 0x1
	v_add3_u32 v14, v14, v20, v21
	s_wait_dscnt 0x0
	s_delay_alu instid0(VALU_DEP_1) | instskip(NEXT) | instid1(VALU_DEP_1)
	v_add3_u32 v14, v14, v22, v23
	v_mov_b32_dpp v17, v14 row_shr:1 row_mask:0xf bank_mask:0xf
	s_delay_alu instid0(VALU_DEP_1) | instskip(SKIP_1) | instid1(VALU_DEP_2)
	v_cndmask_b32_e32 v17, 0, v17, vcc_lo
	v_cmp_lt_u32_e32 vcc_lo, 1, v9
	v_add_nc_u32_e32 v14, v17, v14
	s_delay_alu instid0(VALU_DEP_1) | instskip(NEXT) | instid1(VALU_DEP_1)
	v_mov_b32_dpp v17, v14 row_shr:2 row_mask:0xf bank_mask:0xf
	v_cndmask_b32_e32 v17, 0, v17, vcc_lo
	v_cmp_lt_u32_e32 vcc_lo, 3, v9
	s_delay_alu instid0(VALU_DEP_2) | instskip(NEXT) | instid1(VALU_DEP_1)
	v_add_nc_u32_e32 v14, v14, v17
	v_mov_b32_dpp v17, v14 row_shr:4 row_mask:0xf bank_mask:0xf
	s_delay_alu instid0(VALU_DEP_1) | instskip(SKIP_1) | instid1(VALU_DEP_2)
	v_cndmask_b32_e32 v17, 0, v17, vcc_lo
	v_cmp_lt_u32_e32 vcc_lo, 7, v9
	v_add_nc_u32_e32 v14, v14, v17
	s_delay_alu instid0(VALU_DEP_1) | instskip(NEXT) | instid1(VALU_DEP_1)
	v_mov_b32_dpp v17, v14 row_shr:8 row_mask:0xf bank_mask:0xf
	v_cndmask_b32_e32 v17, 0, v17, vcc_lo
	v_cmp_gt_i32_e32 vcc_lo, 0, v11
	s_delay_alu instid0(VALU_DEP_2) | instskip(SKIP_3) | instid1(VALU_DEP_1)
	v_dual_add_nc_u32 v14, v14, v17 :: v_dual_cndmask_b32 v18, v11, v3, vcc_lo
	ds_swizzle_b32 v17, v14 offset:swizzle(BROADCAST,32,15)
	s_wait_dscnt 0x0
	v_dual_lshlrev_b32 v18, 2, v18 :: v_dual_bitop2_b32 v17, v10, v17 bitop3:0x40
	v_add_nc_u32_e32 v14, v14, v17
	ds_bpermute_b32 v14, v18, v14
	s_wait_dscnt 0x0
	v_add_nc_u32_e32 v14, v14, v16
	s_delay_alu instid0(VALU_DEP_1)
	v_cndmask_b32_e64 v14, v14, v15, s3
	ds_store_b32 v8, v14
	; wave barrier
	ds_load_2addr_b32 v[16:17], v8 offset0:1 offset1:2
	ds_load_2addr_b32 v[18:19], v8 offset0:3 offset1:4
	;; [unrolled: 1-line block ×3, first 2 shown]
	ds_load_b32 v22, v8 offset:28
	s_wait_dscnt 0x3
	v_add_nc_u32_e32 v14, v16, v14
	s_delay_alu instid0(VALU_DEP_1) | instskip(SKIP_1) | instid1(VALU_DEP_1)
	v_add_nc_u32_e32 v16, v17, v14
	s_wait_dscnt 0x2
	v_add_nc_u32_e32 v17, v18, v16
	s_delay_alu instid0(VALU_DEP_1) | instskip(SKIP_1) | instid1(VALU_DEP_1)
	v_add_nc_u32_e32 v18, v19, v17
	;; [unrolled: 4-line block ×3, first 2 shown]
	s_wait_dscnt 0x0
	v_add_nc_u32_e32 v21, v22, v20
	ds_store_2addr_b32 v8, v14, v16 offset0:1 offset1:2
	ds_store_2addr_b32 v8, v17, v18 offset0:3 offset1:4
	;; [unrolled: 1-line block ×3, first 2 shown]
	ds_store_b32 v8, v21 offset:28
.LBB29_25:                              ;   in Loop: Header=BB29_21 Depth=1
	s_or_b32 exec_lo, exec_lo, s17
	v_mov_b32_e32 v16, 0
	s_wait_dscnt 0x0
	s_barrier_signal -1
	s_barrier_wait -1
	s_and_saveexec_b32 s17, s2
; %bb.26:                               ;   in Loop: Header=BB29_21 Depth=1
	ds_load_b32 v16, v0
; %bb.27:                               ;   in Loop: Header=BB29_21 Depth=1
	s_or_b32 exec_lo, exec_lo, s17
	ds_load_b32 v14, v7 offset:1048
	s_mov_b32 s17, exec_lo
	s_wait_dscnt 0x0
	s_barrier_signal -1
	s_barrier_wait -1
	v_cmpx_ne_u32_e32 0, v15
	s_cbranch_execz .LBB29_29
; %bb.28:                               ;   in Loop: Header=BB29_21 Depth=1
	v_add_nc_u32_e32 v15, v16, v4
	s_delay_alu instid0(VALU_DEP_1)
	v_mul_lo_u32 v16, v15, s20
	v_mul_lo_u32 v15, v15, s12
	global_store_b32 v16, v12, s[8:9] scale_offset
	global_store_b64 v15, v[6:7], s[10:11] scale_offset
.LBB29_29:                              ;   in Loop: Header=BB29_21 Depth=1
	s_wait_xcnt 0x0
	s_or_b32 exec_lo, exec_lo, s17
	v_cmp_le_u32_e32 vcc_lo, s5, v2
	s_cbranch_vccnz .LBB29_20
; %bb.30:                               ;   in Loop: Header=BB29_21 Depth=1
	ds_store_b32 v1, v13
	s_wait_storecnt_dscnt 0x0
	s_barrier_signal -1
	s_barrier_wait -1
	s_and_saveexec_b32 s17, s0
	s_cbranch_execz .LBB29_32
; %bb.31:                               ;   in Loop: Header=BB29_21 Depth=1
	ds_load_2addr_b32 v[16:17], v8 offset1:1
	ds_load_2addr_b32 v[18:19], v8 offset0:2 offset1:3
	ds_load_2addr_b32 v[20:21], v8 offset0:4 offset1:5
	;; [unrolled: 1-line block ×3, first 2 shown]
	v_cmp_ne_u32_e32 vcc_lo, 0, v9
	; wave barrier
	s_wait_dscnt 0x3
	v_add_nc_u32_e32 v15, v17, v16
	s_wait_dscnt 0x2
	s_delay_alu instid0(VALU_DEP_1) | instskip(SKIP_1) | instid1(VALU_DEP_1)
	v_add3_u32 v15, v15, v18, v19
	s_wait_dscnt 0x1
	v_add3_u32 v15, v15, v20, v21
	s_wait_dscnt 0x0
	s_delay_alu instid0(VALU_DEP_1) | instskip(NEXT) | instid1(VALU_DEP_1)
	v_add3_u32 v15, v15, v22, v23
	v_mov_b32_dpp v17, v15 row_shr:1 row_mask:0xf bank_mask:0xf
	s_delay_alu instid0(VALU_DEP_1) | instskip(SKIP_1) | instid1(VALU_DEP_2)
	v_cndmask_b32_e32 v17, 0, v17, vcc_lo
	v_cmp_lt_u32_e32 vcc_lo, 1, v9
	v_add_nc_u32_e32 v15, v17, v15
	s_delay_alu instid0(VALU_DEP_1) | instskip(NEXT) | instid1(VALU_DEP_1)
	v_mov_b32_dpp v17, v15 row_shr:2 row_mask:0xf bank_mask:0xf
	v_cndmask_b32_e32 v17, 0, v17, vcc_lo
	v_cmp_lt_u32_e32 vcc_lo, 3, v9
	s_delay_alu instid0(VALU_DEP_2) | instskip(NEXT) | instid1(VALU_DEP_1)
	v_add_nc_u32_e32 v15, v15, v17
	v_mov_b32_dpp v17, v15 row_shr:4 row_mask:0xf bank_mask:0xf
	s_delay_alu instid0(VALU_DEP_1) | instskip(SKIP_1) | instid1(VALU_DEP_2)
	v_cndmask_b32_e32 v17, 0, v17, vcc_lo
	v_cmp_lt_u32_e32 vcc_lo, 7, v9
	v_add_nc_u32_e32 v15, v15, v17
	s_delay_alu instid0(VALU_DEP_1) | instskip(NEXT) | instid1(VALU_DEP_1)
	v_mov_b32_dpp v17, v15 row_shr:8 row_mask:0xf bank_mask:0xf
	v_cndmask_b32_e32 v17, 0, v17, vcc_lo
	v_cmp_gt_i32_e32 vcc_lo, 0, v11
	s_delay_alu instid0(VALU_DEP_2) | instskip(SKIP_4) | instid1(VALU_DEP_1)
	v_add_nc_u32_e32 v15, v15, v17
	v_cndmask_b32_e32 v18, v11, v3, vcc_lo
	ds_swizzle_b32 v17, v15 offset:swizzle(BROADCAST,32,15)
	s_wait_dscnt 0x0
	v_dual_lshlrev_b32 v18, 2, v18 :: v_dual_bitop2_b32 v17, v10, v17 bitop3:0x40
	v_add_nc_u32_e32 v15, v15, v17
	ds_bpermute_b32 v15, v18, v15
	s_wait_dscnt 0x0
	v_add_nc_u32_e32 v15, v15, v16
	s_delay_alu instid0(VALU_DEP_1)
	v_cndmask_b32_e64 v15, v15, v13, s3
	ds_store_b32 v8, v15
	; wave barrier
	ds_load_2addr_b32 v[16:17], v8 offset0:1 offset1:2
	ds_load_2addr_b32 v[18:19], v8 offset0:3 offset1:4
	;; [unrolled: 1-line block ×3, first 2 shown]
	ds_load_b32 v22, v8 offset:28
	s_wait_dscnt 0x3
	v_add_nc_u32_e32 v15, v16, v15
	s_delay_alu instid0(VALU_DEP_1) | instskip(SKIP_1) | instid1(VALU_DEP_1)
	v_add_nc_u32_e32 v16, v17, v15
	s_wait_dscnt 0x2
	v_add_nc_u32_e32 v17, v18, v16
	s_delay_alu instid0(VALU_DEP_1) | instskip(SKIP_1) | instid1(VALU_DEP_1)
	v_add_nc_u32_e32 v18, v19, v17
	;; [unrolled: 4-line block ×3, first 2 shown]
	s_wait_dscnt 0x0
	v_add_nc_u32_e32 v21, v22, v20
	ds_store_2addr_b32 v8, v15, v16 offset0:1 offset1:2
	ds_store_2addr_b32 v8, v17, v18 offset0:3 offset1:4
	;; [unrolled: 1-line block ×3, first 2 shown]
	ds_store_b32 v8, v21 offset:28
.LBB29_32:                              ;   in Loop: Header=BB29_21 Depth=1
	s_or_b32 exec_lo, exec_lo, s17
	v_mov_b32_e32 v16, 0
	s_wait_dscnt 0x0
	s_barrier_signal -1
	s_barrier_wait -1
	s_and_saveexec_b32 s17, s2
; %bb.33:                               ;   in Loop: Header=BB29_21 Depth=1
	ds_load_b32 v16, v0
; %bb.34:                               ;   in Loop: Header=BB29_21 Depth=1
	s_or_b32 exec_lo, exec_lo, s17
	ds_load_b32 v15, v7 offset:1048
	s_mov_b32 s17, exec_lo
	s_wait_dscnt 0x0
	s_barrier_signal -1
	s_barrier_wait -1
	v_cmpx_ne_u32_e32 0, v13
	s_cbranch_execz .LBB29_19
; %bb.35:                               ;   in Loop: Header=BB29_21 Depth=1
	v_add_nc_u32_e32 v13, v16, v2
	s_delay_alu instid0(VALU_DEP_1)
	v_cmp_gt_u32_e32 vcc_lo, s5, v13
	s_and_b32 exec_lo, exec_lo, vcc_lo
	s_cbranch_execz .LBB29_19
; %bb.36:                               ;   in Loop: Header=BB29_21 Depth=1
	v_mul_lo_u32 v16, v13, s20
	v_mul_lo_u32 v13, v13, s12
	global_store_b32 v16, v12, s[8:9] scale_offset
	global_store_b64 v13, v[6:7], s[10:11] scale_offset
	s_branch .LBB29_19
.LBB29_37:                              ;   in Loop: Header=BB29_38 Depth=1
	s_add_co_i32 s4, s4, 1
	s_wait_kmcnt 0x0
	s_add_co_i32 s5, s10, s5
	s_add_nc_u64 s[6:7], s[6:7], 4
	s_cmp_lt_u32 s4, s14
	s_add_nc_u64 s[8:9], s[8:9], 4
	s_cbranch_scc0 .LBB29_16
.LBB29_38:                              ; =>This Inner Loop Header: Depth=1
	s_load_b32 s10, s[6:7], 0x0
	s_cmp_ge_u32 s4, s25
	s_cbranch_scc1 .LBB29_37
; %bb.39:                               ;   in Loop: Header=BB29_38 Depth=1
	s_load_b32 s11, s[8:9], 0x0
	s_wait_kmcnt 0x0
	s_add_co_i32 s17, s10, s17
	s_add_co_i32 s16, s11, s16
	s_branch .LBB29_37
.LBB29_40:
	s_endpgm
	.section	.rodata,"a",@progbits
	.p2align	6, 0x0
	.amdhsa_kernel _ZN2at6native6mbtopk10gatherTopKIijLi1EEEvNS_4cuda6detail10TensorInfoIKT_T0_EES8_S8_bjS8_NS5_IS6_S8_EES8_NS5_IlS8_EES8_jjPS6_PjSD_j
		.amdhsa_group_segment_fixed_size 1068
		.amdhsa_private_segment_fixed_size 0
		.amdhsa_kernarg_size 984
		.amdhsa_user_sgpr_count 2
		.amdhsa_user_sgpr_dispatch_ptr 0
		.amdhsa_user_sgpr_queue_ptr 0
		.amdhsa_user_sgpr_kernarg_segment_ptr 1
		.amdhsa_user_sgpr_dispatch_id 0
		.amdhsa_user_sgpr_kernarg_preload_length 0
		.amdhsa_user_sgpr_kernarg_preload_offset 0
		.amdhsa_user_sgpr_private_segment_size 0
		.amdhsa_wavefront_size32 1
		.amdhsa_uses_dynamic_stack 0
		.amdhsa_enable_private_segment 0
		.amdhsa_system_sgpr_workgroup_id_x 1
		.amdhsa_system_sgpr_workgroup_id_y 1
		.amdhsa_system_sgpr_workgroup_id_z 1
		.amdhsa_system_sgpr_workgroup_info 0
		.amdhsa_system_vgpr_workitem_id 0
		.amdhsa_next_free_vgpr 24
		.amdhsa_next_free_sgpr 29
		.amdhsa_named_barrier_count 0
		.amdhsa_reserve_vcc 1
		.amdhsa_float_round_mode_32 0
		.amdhsa_float_round_mode_16_64 0
		.amdhsa_float_denorm_mode_32 3
		.amdhsa_float_denorm_mode_16_64 3
		.amdhsa_fp16_overflow 0
		.amdhsa_memory_ordered 1
		.amdhsa_forward_progress 1
		.amdhsa_inst_pref_size 19
		.amdhsa_round_robin_scheduling 0
		.amdhsa_exception_fp_ieee_invalid_op 0
		.amdhsa_exception_fp_denorm_src 0
		.amdhsa_exception_fp_ieee_div_zero 0
		.amdhsa_exception_fp_ieee_overflow 0
		.amdhsa_exception_fp_ieee_underflow 0
		.amdhsa_exception_fp_ieee_inexact 0
		.amdhsa_exception_int_div_zero 0
	.end_amdhsa_kernel
	.section	.text._ZN2at6native6mbtopk10gatherTopKIijLi1EEEvNS_4cuda6detail10TensorInfoIKT_T0_EES8_S8_bjS8_NS5_IS6_S8_EES8_NS5_IlS8_EES8_jjPS6_PjSD_j,"axG",@progbits,_ZN2at6native6mbtopk10gatherTopKIijLi1EEEvNS_4cuda6detail10TensorInfoIKT_T0_EES8_S8_bjS8_NS5_IS6_S8_EES8_NS5_IlS8_EES8_jjPS6_PjSD_j,comdat
.Lfunc_end29:
	.size	_ZN2at6native6mbtopk10gatherTopKIijLi1EEEvNS_4cuda6detail10TensorInfoIKT_T0_EES8_S8_bjS8_NS5_IS6_S8_EES8_NS5_IlS8_EES8_jjPS6_PjSD_j, .Lfunc_end29-_ZN2at6native6mbtopk10gatherTopKIijLi1EEEvNS_4cuda6detail10TensorInfoIKT_T0_EES8_S8_bjS8_NS5_IS6_S8_EES8_NS5_IlS8_EES8_jjPS6_PjSD_j
                                        ; -- End function
	.set _ZN2at6native6mbtopk10gatherTopKIijLi1EEEvNS_4cuda6detail10TensorInfoIKT_T0_EES8_S8_bjS8_NS5_IS6_S8_EES8_NS5_IlS8_EES8_jjPS6_PjSD_j.num_vgpr, 24
	.set _ZN2at6native6mbtopk10gatherTopKIijLi1EEEvNS_4cuda6detail10TensorInfoIKT_T0_EES8_S8_bjS8_NS5_IS6_S8_EES8_NS5_IlS8_EES8_jjPS6_PjSD_j.num_agpr, 0
	.set _ZN2at6native6mbtopk10gatherTopKIijLi1EEEvNS_4cuda6detail10TensorInfoIKT_T0_EES8_S8_bjS8_NS5_IS6_S8_EES8_NS5_IlS8_EES8_jjPS6_PjSD_j.numbered_sgpr, 29
	.set _ZN2at6native6mbtopk10gatherTopKIijLi1EEEvNS_4cuda6detail10TensorInfoIKT_T0_EES8_S8_bjS8_NS5_IS6_S8_EES8_NS5_IlS8_EES8_jjPS6_PjSD_j.num_named_barrier, 0
	.set _ZN2at6native6mbtopk10gatherTopKIijLi1EEEvNS_4cuda6detail10TensorInfoIKT_T0_EES8_S8_bjS8_NS5_IS6_S8_EES8_NS5_IlS8_EES8_jjPS6_PjSD_j.private_seg_size, 0
	.set _ZN2at6native6mbtopk10gatherTopKIijLi1EEEvNS_4cuda6detail10TensorInfoIKT_T0_EES8_S8_bjS8_NS5_IS6_S8_EES8_NS5_IlS8_EES8_jjPS6_PjSD_j.uses_vcc, 1
	.set _ZN2at6native6mbtopk10gatherTopKIijLi1EEEvNS_4cuda6detail10TensorInfoIKT_T0_EES8_S8_bjS8_NS5_IS6_S8_EES8_NS5_IlS8_EES8_jjPS6_PjSD_j.uses_flat_scratch, 0
	.set _ZN2at6native6mbtopk10gatherTopKIijLi1EEEvNS_4cuda6detail10TensorInfoIKT_T0_EES8_S8_bjS8_NS5_IS6_S8_EES8_NS5_IlS8_EES8_jjPS6_PjSD_j.has_dyn_sized_stack, 0
	.set _ZN2at6native6mbtopk10gatherTopKIijLi1EEEvNS_4cuda6detail10TensorInfoIKT_T0_EES8_S8_bjS8_NS5_IS6_S8_EES8_NS5_IlS8_EES8_jjPS6_PjSD_j.has_recursion, 0
	.set _ZN2at6native6mbtopk10gatherTopKIijLi1EEEvNS_4cuda6detail10TensorInfoIKT_T0_EES8_S8_bjS8_NS5_IS6_S8_EES8_NS5_IlS8_EES8_jjPS6_PjSD_j.has_indirect_call, 0
	.section	.AMDGPU.csdata,"",@progbits
; Kernel info:
; codeLenInByte = 2404
; TotalNumSgprs: 31
; NumVgprs: 24
; ScratchSize: 0
; MemoryBound: 0
; FloatMode: 240
; IeeeMode: 1
; LDSByteSize: 1068 bytes/workgroup (compile time only)
; SGPRBlocks: 0
; VGPRBlocks: 1
; NumSGPRsForWavesPerEU: 31
; NumVGPRsForWavesPerEU: 24
; NamedBarCnt: 0
; Occupancy: 16
; WaveLimiterHint : 1
; COMPUTE_PGM_RSRC2:SCRATCH_EN: 0
; COMPUTE_PGM_RSRC2:USER_SGPR: 2
; COMPUTE_PGM_RSRC2:TRAP_HANDLER: 0
; COMPUTE_PGM_RSRC2:TGID_X_EN: 1
; COMPUTE_PGM_RSRC2:TGID_Y_EN: 1
; COMPUTE_PGM_RSRC2:TGID_Z_EN: 1
; COMPUTE_PGM_RSRC2:TIDIG_COMP_CNT: 0
	.section	.text._ZN2at6native6sbtopk10gatherTopKIijLi1ELb0EEEvNS_4cuda6detail10TensorInfoIKT_T0_EES8_S8_bS8_S8_NS5_IS6_S8_EES8_NS5_IlS8_EES8_PS6_,"axG",@progbits,_ZN2at6native6sbtopk10gatherTopKIijLi1ELb0EEEvNS_4cuda6detail10TensorInfoIKT_T0_EES8_S8_bS8_S8_NS5_IS6_S8_EES8_NS5_IlS8_EES8_PS6_,comdat
	.protected	_ZN2at6native6sbtopk10gatherTopKIijLi1ELb0EEEvNS_4cuda6detail10TensorInfoIKT_T0_EES8_S8_bS8_S8_NS5_IS6_S8_EES8_NS5_IlS8_EES8_PS6_ ; -- Begin function _ZN2at6native6sbtopk10gatherTopKIijLi1ELb0EEEvNS_4cuda6detail10TensorInfoIKT_T0_EES8_S8_bS8_S8_NS5_IS6_S8_EES8_NS5_IlS8_EES8_PS6_
	.globl	_ZN2at6native6sbtopk10gatherTopKIijLi1ELb0EEEvNS_4cuda6detail10TensorInfoIKT_T0_EES8_S8_bS8_S8_NS5_IS6_S8_EES8_NS5_IlS8_EES8_PS6_
	.p2align	8
	.type	_ZN2at6native6sbtopk10gatherTopKIijLi1ELb0EEEvNS_4cuda6detail10TensorInfoIKT_T0_EES8_S8_bS8_S8_NS5_IS6_S8_EES8_NS5_IlS8_EES8_PS6_,@function
_ZN2at6native6sbtopk10gatherTopKIijLi1ELb0EEEvNS_4cuda6detail10TensorInfoIKT_T0_EES8_S8_bS8_S8_NS5_IS6_S8_EES8_NS5_IlS8_EES8_PS6_: ; @_ZN2at6native6sbtopk10gatherTopKIijLi1ELb0EEEvNS_4cuda6detail10TensorInfoIKT_T0_EES8_S8_bS8_S8_NS5_IS6_S8_EES8_NS5_IlS8_EES8_PS6_
; %bb.0:
	s_clause 0x1
	s_load_b128 s[36:39], s[0:1], 0xd8
	s_load_b64 s[8:9], s[0:1], 0x2b8
	s_bfe_u32 s2, ttmp6, 0x40010
	s_and_b32 s3, ttmp7, 0xffff
	s_add_co_i32 s2, s2, 1
	s_bfe_u32 s5, ttmp6, 0x4000c
	s_mul_i32 s2, s3, s2
	s_bfe_u32 s4, ttmp6, 0x40004
	s_add_co_i32 s5, s5, 1
	s_bfe_u32 s6, ttmp6, 0x40014
	s_add_co_i32 s4, s4, s2
	s_and_b32 s2, ttmp6, 15
	s_mul_i32 s5, ttmp9, s5
	s_lshr_b32 s7, ttmp7, 16
	s_add_co_i32 s6, s6, 1
	s_add_co_i32 s2, s2, s5
	s_mul_i32 s5, s7, s6
	s_bfe_u32 s6, ttmp6, 0x40008
	s_getreg_b32 s10, hwreg(HW_REG_IB_STS2, 6, 4)
	s_add_co_i32 s6, s6, s5
	s_cmp_eq_u32 s10, 0
	s_cselect_b32 s5, s7, s6
	s_cselect_b32 s3, s3, s4
	s_wait_kmcnt 0x0
	s_mul_i32 s5, s9, s5
	s_cselect_b32 s7, ttmp9, s2
	s_add_co_i32 s2, s5, s3
	s_delay_alu instid0(SALU_CYCLE_1) | instskip(NEXT) | instid1(SALU_CYCLE_1)
	s_mul_i32 s54, s2, s8
	s_add_co_i32 s54, s54, s7
	s_delay_alu instid0(SALU_CYCLE_1)
	s_cmp_ge_u32 s54, s39
	s_cbranch_scc1 .LBB30_415
; %bb.1:
	s_clause 0x2
	s_load_b32 s52, s[0:1], 0xe8
	s_load_b32 s4, s[0:1], 0x6c
	s_load_b64 s[2:3], s[0:1], 0x0
	v_cmp_eq_u32_e64 s5, 0, v0
	s_add_nc_u64 s[14:15], s[0:1], 0x2b8
	s_and_saveexec_b32 s6, s5
; %bb.2:
	v_dual_mov_b32 v2, 0 :: v_dual_mov_b32 v3, s36
	s_delay_alu instid0(VALU_DEP_1)
	v_mov_b32_e32 v4, v2
	ds_store_b96 v2, v[2:4] offset:4096
; %bb.3:
	s_or_b32 exec_lo, exec_lo, s6
	s_wait_dscnt 0x0
	s_barrier_signal -1
	s_barrier_wait -1
	s_load_b32 s9, s[14:15], 0xc
	s_clause 0x3
	s_load_b32 s55, s[0:1], 0x23c
	s_load_b64 s[40:41], s[0:1], 0x1d0
	s_load_b32 s56, s[0:1], 0x15c
	s_load_b64 s[42:43], s[0:1], 0xf0
	v_mbcnt_lo_u32_b32 v1, -1, 0
	s_wait_kmcnt 0x0
	s_mul_i32 s44, s4, s54
	s_mov_b32 s45, 0
	v_cmp_gt_u32_e32 vcc_lo, 32, v0
	s_lshl_b64 s[10:11], s[44:45], 2
	s_bitcmp1_b32 s38, 0
	s_add_nc_u64 s[38:39], s[2:3], s[10:11]
	v_cmp_gt_i32_e64 s3, 4, v1
	s_cselect_b32 s4, -1, 0
	v_lshlrev_b64_e64 v[2:3], v1, -1
	s_xor_b32 s57, s4, -1
	v_dual_mov_b32 v13, 0 :: v_dual_lshlrev_b32 v7, 2, v0
	s_and_b32 s59, vcc_lo, s3
	v_add_max_u32_e64 v4, v0, 2, s36
	s_and_b32 s35, s9, 0xffff
	s_delay_alu instid0(VALU_DEP_2)
	v_mov_b32_e32 v11, v13
	s_lshl_b32 s58, s35, 2
	s_cmp_gt_u32 s36, 0x300
	v_not_b32_e32 v6, v2
	s_cselect_b32 s60, -1, 0
	s_cmp_gt_u32 s35, 31
	v_lshrrev_b32_e32 v2, 1, v0
	s_cselect_b32 s61, -1, 0
	s_add_co_i32 s62, s35, -1
	s_movk_i32 s10, 0x1f0
	s_add_co_i32 s13, s62, s36
	s_cmp_lt_u32 s7, s8
	s_cvt_f32_u32 s8, s58
	s_cselect_b32 s44, 12, 18
	s_bfe_u32 s63, s9, 0xb0005
	v_and_or_b32 v20, v2, s10, 0xc00
	s_add_co_i32 s7, s63, -2
	v_rcp_iflag_f32_e32 v3, s8
	s_lshr_b32 s9, s7, 1
	v_mul_lo_u32 v10, s52, v0
	s_add_co_i32 s9, s9, 1
	s_cmp_gt_u32 s35, 63
	v_mad_u32 v26, s52, v7, s52
	s_cselect_b32 s64, -1, 0
	s_and_b32 s65, s63, 0x7fe
	s_and_b32 s66, s9, 7
	s_cmp_gt_u32 s7, 13
	v_readfirstlane_b32 s7, v3
	s_cselect_b32 s67, -1, 0
	s_and_b32 s68, s9, -8
	s_cmp_lg_u32 s66, 0
	s_cvt_f32_u32 s9, s35
	s_mul_f32 s7, s7, 0x4f7ffffe
	s_cselect_b32 s69, -1, 0
	s_cmp_lg_u32 s65, s63
	v_rcp_iflag_f32_e32 v5, s9
	s_cvt_u32_f32 s7, s7
	s_cselect_b32 s70, -1, 0
	s_sub_co_i32 s8, 0, s58
	v_xad_u32 v3, v0, -1, v4
	s_mul_i32 s8, s8, s7
	v_cmp_eq_u32_e64 s2, 0, v1
	s_mul_hi_u32 s8, s7, s8
	v_readfirstlane_b32 s9, v5
	s_add_co_i32 s46, s7, s8
	v_dual_add_nc_u32 v4, -2, v3 :: v_dual_bitop2_b32 v21, -2, v3 bitop3:0x40
	s_mul_hi_u32 s7, s36, s46
	s_mul_f32 s9, s9, 0x4f7ffffe
	s_mul_i32 s8, s7, s58
	s_delay_alu instid0(VALU_DEP_1)
	v_lshrrev_b32_e32 v2, 1, v4
	s_sub_co_i32 s8, s36, s8
	s_cvt_u32_f32 s9, s9
	s_sub_co_i32 s10, s8, s58
	s_cmp_ge_u32 s8, s58
	v_cmp_lt_u32_e64 s7, 31, v3
	s_cselect_b32 s8, s10, s8
	v_mov_b32_e32 v17, 0
	s_sub_co_i32 s10, s8, s58
	s_cmp_ge_u32 s8, s58
	v_cmp_gt_u32_e64 s3, s36, v0
	s_cselect_b32 s16, s10, s8
	s_sub_co_i32 s10, 0, s35
	s_sub_co_i32 s72, s36, s16
	s_mul_i32 s10, s10, s9
	v_dual_add_nc_u32 v2, 1, v2 :: v_dual_add_nc_u32 v22, s72, v0
	s_mul_hi_u32 s10, s9, s10
	v_cmp_lt_u32_e64 s8, 13, v4
	s_add_co_i32 s48, s9, s10
	v_dual_lshlrev_b32 v31, 4, v0 :: v_dual_bitop2_b32 v5, 7, v2 bitop3:0x40
	s_mul_hi_u32 s10, s13, s48
	v_dual_mov_b32 v18, 1 :: v_dual_bitop2_b32 v23, -8, v2 bitop3:0x40
	s_mul_i32 s10, s10, s35
	v_add3_u32 v2, s35, s36, v0
	s_sub_co_i32 s11, s13, s10
	v_mul_lo_u32 v12, v22, s52
	s_sub_co_i32 s12, s11, s35
	v_cmp_ne_u32_e64 s10, v3, v21
	s_cmp_ge_u32 s11, s35
	v_dual_lshlrev_b32 v29, 2, v10 :: v_dual_bitop2_b32 v3, 2, v7 bitop3:0x54
	v_or_b32_e32 v4, 3, v7
	v_subrev_nc_u32_e32 v2, s16, v2
	s_cselect_b32 s17, s12, s11
	s_delay_alu instid0(VALU_DEP_3)
	v_mul_lo_u32 v27, s52, v3
	s_sub_co_i32 s18, s17, s35
	s_cmp_ge_u32 s17, s35
	v_mul_lo_u32 v28, s52, v4
	v_mul_lo_u32 v30, s52, v2
	s_cselect_b32 s17, s18, s17
	v_lshl_add_u64 v[8:9], v[10:11], 2, s[38:39]
	s_sub_co_i32 s73, s13, s17
	v_cmp_gt_u32_e64 s6, 2, v0
	v_dual_mov_b32 v34, s37 :: v_dual_add_nc_u32 v11, 0xc00, v7
	v_cmp_ne_u32_e64 s9, 0, v5
	v_cmp_gt_u32_e64 s11, s72, v7
	v_cmp_gt_u32_e64 s12, s36, v22
	v_lshl_add_u64 v[14:15], v[12:13], 2, s[38:39]
	v_cmp_gt_u32_e64 s13, s73, v0
	v_lshlrev_b32_e32 v24, 3, v5
	v_lshl_or_b32 v32, v1, 2, 0xc00
	v_dual_mov_b32 v25, 0 :: v_dual_mov_b32 v33, 0
	s_mul_i32 s53, s52, s35
	s_mov_b32 s71, s52
	s_mov_b32 s47, s45
	;; [unrolled: 1-line block ×3, first 2 shown]
	s_lshl_b32 s74, s53, 2
	s_lshl_b32 s75, s35, 4
	s_mov_b32 s76, 30
	s_add_nc_u64 s[50:51], s[14:15], s[44:45]
	s_mov_b32 s77, 0
	s_mov_b32 s79, 0
                                        ; implicit-def: $sgpr78
                                        ; implicit-def: $sgpr82
                                        ; implicit-def: $sgpr81
                                        ; implicit-def: $sgpr83
                                        ; implicit-def: $sgpr80
                                        ; implicit-def: $sgpr87
                                        ; implicit-def: $sgpr88
                                        ; implicit-def: $sgpr84
                                        ; implicit-def: $sgpr86
                                        ; implicit-def: $sgpr85
	s_branch .LBB30_6
.LBB30_4:                               ;   in Loop: Header=BB30_6 Depth=1
	s_or_b32 exec_lo, exec_lo, s17
	v_mov_b32_e32 v34, v35
	s_and_not1_b32 s17, s85, exec_lo
	s_and_b32 s16, s16, exec_lo
	s_and_not1_b32 s86, s86, exec_lo
	s_or_b32 s85, s17, s16
	s_and_not1_b32 s84, s84, exec_lo
	s_and_not1_b32 s88, s88, exec_lo
	;; [unrolled: 1-line block ×3, first 2 shown]
	s_or_not1_b32 s17, s15, exec_lo
.LBB30_5:                               ;   in Loop: Header=BB30_6 Depth=1
	s_or_b32 exec_lo, exec_lo, s14
	s_delay_alu instid0(SALU_CYCLE_1) | instskip(NEXT) | instid1(SALU_CYCLE_1)
	s_and_b32 s14, exec_lo, s17
	s_or_b32 s77, s14, s77
	s_and_not1_b32 s14, s80, exec_lo
	s_and_b32 s15, s85, exec_lo
	s_and_not1_b32 s16, s83, exec_lo
	s_or_b32 s80, s14, s15
	s_and_b32 s14, s86, exec_lo
	s_and_not1_b32 s15, s81, exec_lo
	s_and_b32 s17, s84, exec_lo
	s_or_b32 s83, s16, s14
	s_or_b32 s81, s15, s17
	s_and_not1_b32 s14, s82, exec_lo
	s_and_b32 s15, s88, exec_lo
	s_and_not1_b32 s16, s78, exec_lo
	s_and_b32 s17, s87, exec_lo
	s_or_b32 s82, s14, s15
	s_or_b32 s78, s16, s17
	s_and_not1_b32 exec_lo, exec_lo, s77
	s_cbranch_execz .LBB30_411
.LBB30_6:                               ; =>This Loop Header: Depth=1
                                        ;     Child Loop BB30_12 Depth 2
                                        ;     Child Loop BB30_33 Depth 2
	;; [unrolled: 1-line block ×27, first 2 shown]
	ds_load_b64 v[2:3], v13 offset:4096
	s_wait_dscnt 0x0
	v_readfirstlane_b32 s44, v2
	s_cmp_lg_u32 s44, 0
	s_cbranch_scc1 .LBB30_52
; %bb.7:                                ;   in Loop: Header=BB30_6 Depth=1
	s_and_b32 vcc_lo, exec_lo, s60
	s_cbranch_vccz .LBB30_20
; %bb.8:                                ;   in Loop: Header=BB30_6 Depth=1
	v_cmp_gt_u32_e32 vcc_lo, 0x301, v3
	s_mov_b32 s16, 0
	s_mov_b32 s14, 0
	s_cbranch_vccz .LBB30_21
; %bb.9:                                ;   in Loop: Header=BB30_6 Depth=1
	s_and_saveexec_b32 s17, s3
	s_cbranch_execz .LBB30_27
; %bb.10:                               ;   in Loop: Header=BB30_6 Depth=1
	global_load_b32 v3, v[8:9], off
	s_load_u16 s18, s[50:51], 0x0
	s_mov_b32 s20, 0
	s_wait_kmcnt 0x0
	v_dual_mov_b32 v4, v0 :: v_dual_add_nc_u32 v2, s18, v0
	s_mul_i32 s19, s52, s18
	s_delay_alu instid0(VALU_DEP_1)
	v_mul_lo_u32 v2, s52, v2
	s_branch .LBB30_12
.LBB30_11:                              ;   in Loop: Header=BB30_12 Depth=2
	s_or_b32 exec_lo, exec_lo, s15
	v_dual_mov_b32 v3, v5 :: v_dual_add_nc_u32 v2, s19, v2
	s_and_not1_b32 exec_lo, exec_lo, s20
	s_cbranch_execz .LBB30_27
.LBB30_12:                              ;   Parent Loop BB30_6 Depth=1
                                        ; =>  This Inner Loop Header: Depth=2
	s_wait_dscnt 0x0
	v_dual_add_nc_u32 v4, s18, v4 :: v_dual_mov_b32 v12, 0
	v_mov_b32_e32 v5, 0
	s_mov_b32 s15, exec_lo
	s_delay_alu instid0(VALU_DEP_2)
	v_cmp_le_u32_e32 vcc_lo, s36, v4
	v_cmpx_gt_u32_e64 s36, v4
	s_cbranch_execz .LBB30_14
; %bb.13:                               ;   in Loop: Header=BB30_12 Depth=2
	global_load_b32 v5, v2, s[38:39] scale_offset
.LBB30_14:                              ;   in Loop: Header=BB30_12 Depth=2
	s_wait_xcnt 0x0
	s_or_b32 exec_lo, exec_lo, s15
	s_wait_loadcnt 0x0
	v_bitop3_b32 v16, v3, v33, 0x80000000 bitop3:0x48
	s_delay_alu instid0(VALU_DEP_1) | instskip(SKIP_2) | instid1(SALU_CYCLE_1)
	v_cmp_eq_u32_e64 s14, v16, v25
	s_cmp_lg_u32 s14, 0
	s_cselect_b32 s15, -1, 0
	s_and_b32 s15, s2, s15
	s_delay_alu instid0(SALU_CYCLE_1)
	s_and_saveexec_b32 s21, s15
	s_cbranch_execz .LBB30_18
; %bb.15:                               ;   in Loop: Header=BB30_12 Depth=2
	s_mov_b32 s24, exec_lo
	s_bcnt1_i32_b32 s22, s14
	v_mbcnt_lo_u32_b32 v12, s24, 0
	s_mov_b32 s23, exec_lo
                                        ; implicit-def: $vgpr16
	s_delay_alu instid0(VALU_DEP_1)
	v_cmpx_eq_u32_e32 0, v12
; %bb.16:                               ;   in Loop: Header=BB30_12 Depth=2
	s_bcnt1_i32_b32 s15, s24
	s_delay_alu instid0(SALU_CYCLE_1) | instskip(NEXT) | instid1(SALU_CYCLE_1)
	s_mul_i32 s15, s22, s15
	v_mov_b32_e32 v16, s15
	ds_add_rtn_u32 v16, v13, v16 offset:4104
; %bb.17:                               ;   in Loop: Header=BB30_12 Depth=2
	s_or_b32 exec_lo, exec_lo, s23
	s_wait_dscnt 0x0
	v_readfirstlane_b32 s15, v16
	s_delay_alu instid0(VALU_DEP_1)
	v_mad_u32_u24 v12, s22, v12, s15
.LBB30_18:                              ;   in Loop: Header=BB30_12 Depth=2
	s_or_b32 exec_lo, exec_lo, s21
	ds_bpermute_b32 v12, v13, v12
	s_and_b32 s15, exec_lo, vcc_lo
	s_delay_alu instid0(SALU_CYCLE_1)
	s_or_b32 s20, s15, s20
	s_and_saveexec_b32 s15, s14
	s_cbranch_execz .LBB30_11
; %bb.19:                               ;   in Loop: Header=BB30_12 Depth=2
	v_and_b32_e32 v16, s14, v6
	s_delay_alu instid0(VALU_DEP_1) | instskip(NEXT) | instid1(VALU_DEP_1)
	v_bcnt_u32_b32 v16, v16, 0
	v_lshlrev_b32_e32 v16, 2, v16
	s_wait_dscnt 0x0
	s_delay_alu instid0(VALU_DEP_1)
	v_lshl_add_u32 v12, v12, 2, v16
	ds_store_b32 v12, v3
	s_branch .LBB30_11
.LBB30_20:                              ;   in Loop: Header=BB30_6 Depth=1
	s_mov_b32 s16, -1
	s_mov_b32 s14, 0
.LBB30_21:                              ;   in Loop: Header=BB30_6 Depth=1
	s_and_b32 vcc_lo, exec_lo, s16
	s_cbranch_vccz .LBB30_50
.LBB30_22:                              ;   in Loop: Header=BB30_6 Depth=1
	s_and_saveexec_b32 s15, s3
	s_cbranch_execz .LBB30_47
; %bb.23:                               ;   in Loop: Header=BB30_6 Depth=1
	global_load_b32 v16, v[8:9], off
	s_load_u16 s17, s[50:51], 0x0
	s_mov_b32 s16, exec_lo
	s_wait_kmcnt 0x0
	v_dual_mov_b32 v3, v0 :: v_dual_add_nc_u32 v2, s17, v0
	s_delay_alu instid0(VALU_DEP_1)
	v_cmpx_gt_u32_e64 s36, v2
	s_cbranch_execz .LBB30_46
; %bb.24:                               ;   in Loop: Header=BB30_6 Depth=1
	s_mov_b32 s14, 0
	s_mul_i32 s18, s52, s17
                                        ; implicit-def: $vgpr3
                                        ; implicit-def: $vgpr12
                                        ; implicit-def: $vgpr4
                                        ; implicit-def: $vgpr5
	s_and_saveexec_b32 s19, s7
	s_delay_alu instid0(SALU_CYCLE_1)
	s_xor_b32 s19, exec_lo, s19
	s_cbranch_execnz .LBB30_30
; %bb.25:                               ;   in Loop: Header=BB30_6 Depth=1
	s_and_not1_saveexec_b32 s19, s19
	s_cbranch_execnz .LBB30_41
.LBB30_26:                              ;   in Loop: Header=BB30_6 Depth=1
	s_or_b32 exec_lo, exec_lo, s19
	s_and_saveexec_b32 s18, s14
	s_cbranch_execnz .LBB30_42
	s_branch .LBB30_45
.LBB30_27:                              ;   in Loop: Header=BB30_6 Depth=1
	s_or_b32 exec_lo, exec_lo, s17
	s_wait_dscnt 0x0
	s_barrier_signal -1
	s_barrier_wait -1
	s_and_saveexec_b32 s14, s5
	s_cbranch_execz .LBB30_29
; %bb.28:                               ;   in Loop: Header=BB30_6 Depth=1
	ds_load_b32 v2, v13 offset:4104
	s_wait_dscnt 0x0
	ds_store_b32 v13, v2 offset:4096
.LBB30_29:                              ;   in Loop: Header=BB30_6 Depth=1
	s_or_b32 exec_lo, exec_lo, s14
	s_wait_dscnt 0x0
	s_barrier_signal -1
	s_mov_b32 s14, -1
	s_barrier_wait -1
	s_and_b32 vcc_lo, exec_lo, s16
	s_cbranch_vccnz .LBB30_22
	s_branch .LBB30_50
.LBB30_30:                              ;   in Loop: Header=BB30_6 Depth=1
	s_cvt_f32_u32 s14, s17
	v_add_max_u32_e64 v3, v2, s17, s36
	s_delay_alu instid0(SALU_CYCLE_2) | instskip(SKIP_1) | instid1(VALU_DEP_1)
	v_rcp_iflag_f32_e32 v4, s14
	s_lshl_b32 s14, s17, 1
	v_sub_nc_u32_e32 v3, v3, v0
	s_delay_alu instid0(VALU_DEP_1) | instskip(NEXT) | instid1(TRANS32_DEP_1)
	v_cmp_ne_u32_e32 vcc_lo, s14, v3
	v_readfirstlane_b32 s20, v4
	v_cndmask_b32_e64 v4, 0, 1, vcc_lo
	s_mul_f32 s20, s20, 0x4f7ffffe
	s_delay_alu instid0(VALU_DEP_1) | instskip(NEXT) | instid1(SALU_CYCLE_2)
	v_or_b32_e32 v4, s14, v4
	s_cvt_u32_f32 s14, s20
	s_sub_co_i32 s20, 0, s17
	s_delay_alu instid0(SALU_CYCLE_2) | instskip(NEXT) | instid1(VALU_DEP_1)
	s_mul_i32 s20, s20, s14
	v_sub_nc_u32_e32 v3, v3, v4
	s_mul_hi_u32 s20, s14, s20
	s_delay_alu instid0(SALU_CYCLE_1)
	s_add_co_i32 s14, s14, s20
	s_delay_alu instid0(VALU_DEP_1) | instid1(SALU_CYCLE_1)
	v_mul_hi_u32 v4, v3, s14
	s_delay_alu instid0(VALU_DEP_1) | instskip(NEXT) | instid1(VALU_DEP_1)
	v_mul_lo_u32 v5, v4, s17
	v_dual_sub_nc_u32 v3, v3, v5 :: v_dual_add_nc_u32 v5, 1, v4
	s_delay_alu instid0(VALU_DEP_1) | instskip(SKIP_1) | instid1(VALU_DEP_1)
	v_subrev_nc_u32_e32 v12, s17, v3
	v_cmp_le_u32_e64 s14, s17, v3
	v_dual_cndmask_b32 v4, v4, v5, s14 :: v_dual_cndmask_b32 v3, v3, v12, s14
	s_delay_alu instid0(VALU_DEP_1) | instskip(NEXT) | instid1(VALU_DEP_2)
	v_add_nc_u32_e32 v5, 1, v4
	v_cmp_le_u32_e64 s14, s17, v3
	s_delay_alu instid0(VALU_DEP_1) | instskip(SKIP_2) | instid1(VALU_DEP_2)
	v_cndmask_b32_e64 v3, v4, v5, s14
	v_mul_lo_u32 v4, s52, v2
	s_abs_i32 s14, s18
	v_add_co_ci_u32_e64 v3, null, 0, v3, vcc_lo
	s_delay_alu instid0(VALU_DEP_1) | instskip(SKIP_2) | instid1(SALU_CYCLE_1)
	v_mul_hi_u32 v5, s14, v3
	v_mul_lo_u32 v3, s14, v3
	s_not_b32 s14, s18
	s_ashr_i32 s14, s14, 31
	s_cmp_eq_u32 s17, 1
	s_delay_alu instid0(VALU_DEP_4) | instskip(SKIP_1) | instid1(VALU_DEP_3)
	v_xor_b32_e32 v4, s14, v4
	s_cselect_b32 s20, -1, 0
	v_cmp_eq_u32_e32 vcc_lo, 0, v5
	s_delay_alu instid0(VALU_DEP_2) | instskip(SKIP_2) | instid1(SALU_CYCLE_1)
	v_cmp_le_u32_e64 s14, v3, v4
	v_mov_b32_e32 v4, v0
                                        ; implicit-def: $vgpr3
	s_and_b32 s20, vcc_lo, s20
	s_and_b32 s21, s20, s14
	s_mov_b32 s20, -1
	s_and_saveexec_b32 s14, s21
	s_cbranch_execz .LBB30_40
; %bb.31:                               ;   in Loop: Header=BB30_6 Depth=1
	v_dual_mov_b32 v12, 0 :: v_dual_add_nc_u32 v3, 1, v2
	s_delay_alu instid0(VALU_DEP_1)
	v_mov_b64_e32 v[4:5], v[2:3]
	s_and_saveexec_b32 s20, s8
	s_cbranch_execz .LBB30_35
; %bb.32:                               ;   in Loop: Header=BB30_6 Depth=1
	v_mov_b64_e32 v[4:5], v[2:3]
	v_dual_mov_b32 v19, v23 :: v_dual_mov_b32 v35, v7
	s_mov_b32 s21, 0
	s_mov_b32 s22, 0
.LBB30_33:                              ;   Parent Loop BB30_6 Depth=1
                                        ; =>  This Inner Loop Header: Depth=2
	s_delay_alu instid0(VALU_DEP_2) | instskip(NEXT) | instid1(VALU_DEP_3)
	v_mul_lo_u32 v12, v4, s52
	v_dual_add_nc_u32 v40, 4, v4 :: v_dual_add_nc_u32 v44, 4, v5
	v_dual_mov_b32 v41, v13 :: v_dual_add_nc_u32 v48, 6, v4
	v_dual_mov_b32 v49, v13 :: v_dual_add_nc_u32 v38, 2, v5
	;; [unrolled: 1-line block ×4, first 2 shown]
	v_mov_b32_e32 v51, v13
	v_lshl_add_u64 v[36:37], v[12:13], 2, s[38:39]
	v_dual_add_nc_u32 v12, 2, v4 :: v_dual_add_nc_u32 v62, 12, v4
	v_dual_add_nc_u32 v60, 12, v5 :: v_dual_add_nc_u32 v61, 14, v5
	v_mov_b32_e32 v57, v13
	global_load_b32 v3, v[36:37], off
	s_wait_xcnt 0x0
	v_mov_b32_e32 v37, v13
	v_mul_lo_u32 v12, v12, s52
	v_mul_lo_u32 v36, v5, s71
	;; [unrolled: 1-line block ×3, first 2 shown]
	v_dual_mov_b32 v55, v13 :: v_dual_add_nc_u32 v63, 14, v4
	v_add_nc_u32_e32 v19, -8, v19
	s_add_co_i32 s22, s22, 16
	v_dual_add_nc_u32 v54, 8, v5 :: v_dual_add_nc_u32 v5, 16, v5
	s_delay_alu instid0(VALU_DEP_2)
	v_cmp_eq_u32_e32 vcc_lo, 0, v19
	v_lshl_add_u64 v[42:43], v[12:13], 2, s[38:39]
	v_mul_lo_u32 v12, v40, s52
	v_add_nc_u32_e32 v40, 8, v4
	v_lshl_add_u64 v[36:37], v[36:37], 2, s[38:39]
	s_or_b32 s21, vcc_lo, s21
	s_delay_alu instid0(VALU_DEP_3) | instskip(SKIP_2) | instid1(VALU_DEP_2)
	v_lshl_add_u64 v[46:47], v[12:13], 2, s[38:39]
	v_mul_lo_u32 v12, v48, s52
	v_dual_add_nc_u32 v48, 10, v4 :: v_dual_add_nc_u32 v4, 16, v4
	v_lshl_add_u64 v[52:53], v[12:13], 2, s[38:39]
	v_mul_lo_u32 v12, v40, s52
	v_mul_lo_u32 v40, v44, s71
	;; [unrolled: 1-line block ×5, first 2 shown]
	v_lshl_add_u64 v[58:59], v[12:13], 2, s[38:39]
	v_mul_lo_u32 v12, v48, s52
	v_mul_lo_u32 v48, v54, s71
	;; [unrolled: 1-line block ×3, first 2 shown]
	s_delay_alu instid0(VALU_DEP_3)
	v_lshl_add_u64 v[60:61], v[12:13], 2, s[38:39]
	v_mul_lo_u32 v12, v62, s52
	global_load_b32 v62, v[36:37], off
	s_wait_xcnt 0x0
	v_lshl_add_u64 v[36:37], v[38:39], 2, s[38:39]
	v_lshl_add_u64 v[38:39], v[40:41], 2, s[38:39]
	;; [unrolled: 1-line block ×7, first 2 shown]
	s_clause 0x8
	global_load_b32 v42, v[42:43], off
	global_load_b32 v43, v[36:37], off
	;; [unrolled: 1-line block ×9, first 2 shown]
	v_lshl_add_u64 v[56:57], v[12:13], 2, s[38:39]
	v_mul_lo_u32 v12, v63, s52
	s_delay_alu instid0(VALU_DEP_1)
	v_lshl_add_u64 v[36:37], v[12:13], 2, s[38:39]
	s_clause 0x3
	global_load_b32 v47, v[48:49], off
	global_load_b32 v48, v[56:57], off
	;; [unrolled: 1-line block ×4, first 2 shown]
	v_mov_b32_e32 v12, s22
	s_wait_loadcnt 0xe
	ds_store_2addr_b32 v35, v16, v3 offset1:1
	global_load_b32 v16, v[54:55], off
	s_wait_loadcnt 0xd
	ds_store_2addr_b32 v35, v62, v42 offset0:2 offset1:3
	s_wait_loadcnt 0xb
	ds_store_2addr_b32 v35, v43, v46 offset0:4 offset1:5
	;; [unrolled: 2-line block ×7, first 2 shown]
	v_add_nc_u32_e32 v35, 64, v35
	s_wait_xcnt 0x0
	s_and_not1_b32 exec_lo, exec_lo, s21
	s_cbranch_execnz .LBB30_33
; %bb.34:                               ;   in Loop: Header=BB30_6 Depth=1
	s_or_b32 exec_lo, exec_lo, s21
.LBB30_35:                              ;   in Loop: Header=BB30_6 Depth=1
	s_delay_alu instid0(SALU_CYCLE_1)
	s_or_b32 exec_lo, exec_lo, s20
	s_and_saveexec_b32 s20, s9
	s_cbranch_execz .LBB30_39
; %bb.36:                               ;   in Loop: Header=BB30_6 Depth=1
	v_lshl_add_u32 v3, v12, 2, v7
	v_mov_b32_e32 v19, v24
	s_mov_b32 s21, 0
.LBB30_37:                              ;   Parent Loop BB30_6 Depth=1
                                        ; =>  This Inner Loop Header: Depth=2
	v_mul_lo_u32 v12, v4, s52
	v_mul_lo_u32 v36, v5, s71
	s_delay_alu instid0(VALU_DEP_3) | instskip(SKIP_1) | instid1(VALU_DEP_2)
	v_dual_mov_b32 v37, v13 :: v_dual_add_nc_u32 v19, -8, v19
	v_dual_add_nc_u32 v5, 2, v5 :: v_dual_add_nc_u32 v4, 2, v4
	v_cmp_eq_u32_e32 vcc_lo, 0, v19
	v_lshl_add_u64 v[38:39], v[12:13], 2, s[38:39]
	s_delay_alu instid0(VALU_DEP_4)
	v_lshl_add_u64 v[36:37], v[36:37], 2, s[38:39]
	s_or_b32 s21, vcc_lo, s21
	s_clause 0x1
	global_load_b32 v35, v[38:39], off
	global_load_b32 v12, v[36:37], off
	s_wait_loadcnt 0x1
	ds_store_2addr_b32 v3, v16, v35 offset1:1
	s_wait_loadcnt 0x0
	v_dual_mov_b32 v16, v12 :: v_dual_add_nc_u32 v3, 8, v3
	s_and_not1_b32 exec_lo, exec_lo, s21
	s_cbranch_execnz .LBB30_37
; %bb.38:                               ;   in Loop: Header=BB30_6 Depth=1
	s_or_b32 exec_lo, exec_lo, s21
	v_mov_b32_e32 v16, v12
.LBB30_39:                              ;   in Loop: Header=BB30_6 Depth=1
	s_or_b32 exec_lo, exec_lo, s20
	v_dual_add_nc_u32 v2, v2, v21 :: v_dual_add_nc_u32 v4, v0, v21
	s_or_not1_b32 s20, s10, exec_lo
	s_delay_alu instid0(VALU_DEP_1)
	v_add_nc_u32_e32 v3, -1, v2
.LBB30_40:                              ;   in Loop: Header=BB30_6 Depth=1
	s_or_b32 exec_lo, exec_lo, s14
	s_wait_loadcnt 0x0
	v_dual_mov_b32 v5, s18 :: v_dual_mov_b32 v12, v16
	s_and_b32 s14, s20, exec_lo
	s_and_not1_saveexec_b32 s19, s19
	s_cbranch_execz .LBB30_26
.LBB30_41:                              ;   in Loop: Header=BB30_6 Depth=1
	s_wait_loadcnt 0x0
	v_dual_mov_b32 v5, s18 :: v_dual_mov_b32 v12, v16
	v_mov_b32_e32 v4, v0
	s_or_b32 s14, s14, exec_lo
	s_or_b32 exec_lo, exec_lo, s19
	s_and_saveexec_b32 s18, s14
	s_cbranch_execz .LBB30_45
.LBB30_42:                              ;   in Loop: Header=BB30_6 Depth=1
	v_mul_lo_u32 v3, s52, v2
	s_mov_b32 s19, 0
	s_sub_co_i32 s14, 0, s17
.LBB30_43:                              ;   Parent Loop BB30_6 Depth=1
                                        ; =>  This Inner Loop Header: Depth=2
	s_wait_loadcnt 0x0
	global_load_b32 v16, v3, s[38:39] scale_offset
	v_dual_mov_b32 v19, v2 :: v_dual_lshlrev_b32 v4, 2, v4
	s_wait_xcnt 0x0
	s_delay_alu instid0(VALU_DEP_1)
	v_dual_add_nc_u32 v3, v3, v5 :: v_dual_add_nc_u32 v2, s17, v19
	ds_store_b32 v4, v12
	v_mov_b32_e32 v4, v19
	v_cmp_le_u32_e32 vcc_lo, s36, v2
	s_or_b32 s19, vcc_lo, s19
	s_wait_loadcnt 0x0
	v_mov_b32_e32 v12, v16
	s_and_not1_b32 exec_lo, exec_lo, s19
	s_cbranch_execnz .LBB30_43
; %bb.44:                               ;   in Loop: Header=BB30_6 Depth=1
	s_or_b32 exec_lo, exec_lo, s19
	v_add_nc_u32_e32 v3, s14, v2
.LBB30_45:                              ;   in Loop: Header=BB30_6 Depth=1
	s_or_b32 exec_lo, exec_lo, s18
.LBB30_46:                              ;   in Loop: Header=BB30_6 Depth=1
	s_delay_alu instid0(SALU_CYCLE_1) | instskip(NEXT) | instid1(VALU_DEP_1)
	s_or_b32 exec_lo, exec_lo, s16
	v_lshlrev_b32_e32 v2, 2, v3
	s_wait_loadcnt 0x0
	ds_store_b32 v2, v16
.LBB30_47:                              ;   in Loop: Header=BB30_6 Depth=1
	s_or_b32 exec_lo, exec_lo, s15
	s_wait_dscnt 0x0
	s_barrier_signal -1
	s_barrier_wait -1
	s_and_saveexec_b32 s14, s5
; %bb.48:                               ;   in Loop: Header=BB30_6 Depth=1
	v_mov_b32_e32 v2, s36
	ds_store_b32 v13, v2 offset:4096
; %bb.49:                               ;   in Loop: Header=BB30_6 Depth=1
	s_or_b32 exec_lo, exec_lo, s14
	s_mov_b32 s14, -1
	s_wait_dscnt 0x0
	s_barrier_signal -1
	s_barrier_wait -1
.LBB30_50:                              ;   in Loop: Header=BB30_6 Depth=1
	s_and_b32 vcc_lo, exec_lo, s14
	s_mov_b32 s44, 0
	s_cbranch_vccz .LBB30_52
; %bb.51:                               ;   in Loop: Header=BB30_6 Depth=1
	ds_load_b32 v2, v13 offset:4096
	s_wait_dscnt 0x0
	v_readfirstlane_b32 s44, v2
.LBB30_52:                              ;   in Loop: Header=BB30_6 Depth=1
	s_delay_alu instid0(VALU_DEP_1)
	s_cmp_lt_i32 s44, 1
	s_mov_b32 s14, -1
                                        ; implicit-def: $vgpr5
	s_cbranch_scc1 .LBB30_65
; %bb.53:                               ;   in Loop: Header=BB30_6 Depth=1
	s_and_b32 vcc_lo, exec_lo, s14
	s_cbranch_vccnz .LBB30_76
.LBB30_54:                              ;   in Loop: Header=BB30_6 Depth=1
	s_lshl_b32 s16, s79, 7
	s_and_saveexec_b32 s14, s2
.LBB30_55:                              ;   in Loop: Header=BB30_6 Depth=1
	v_lshl_add_u32 v12, s16, 2, v20
	ds_store_b128 v12, v[2:5]
.LBB30_56:                              ;   in Loop: Header=BB30_6 Depth=1
	s_or_b32 exec_lo, exec_lo, s14
	s_wait_dscnt 0x0
	s_barrier_signal -1
	s_barrier_wait -1
	s_and_saveexec_b32 s17, s59
	s_cbranch_execz .LBB30_89
; %bb.57:                               ;   in Loop: Header=BB30_6 Depth=1
	v_dual_add_nc_u32 v4, s16, v1 :: v_dual_mov_b32 v2, 0
	s_and_not1_b32 vcc_lo, exec_lo, s61
	s_cbranch_vccnz .LBB30_88
; %bb.58:                               ;   in Loop: Header=BB30_6 Depth=1
	s_and_not1_b32 vcc_lo, exec_lo, s64
	s_cbranch_vccnz .LBB30_85
; %bb.59:                               ;   in Loop: Header=BB30_6 Depth=1
	v_lshl_add_u32 v5, v4, 2, 0xc00
	s_and_not1_b32 vcc_lo, exec_lo, s67
	s_cbranch_vccnz .LBB30_113
; %bb.60:                               ;   in Loop: Header=BB30_6 Depth=1
	v_dual_mov_b32 v2, 0 :: v_dual_mov_b32 v3, 0
	s_mov_b32 s15, 1
	s_mov_b32 s14, 0
	;; [unrolled: 1-line block ×3, first 2 shown]
.LBB30_61:                              ;   Parent Loop BB30_6 Depth=1
                                        ; =>  This Inner Loop Header: Depth=2
	v_lshl_add_u32 v12, s15, 4, v5
	v_lshl_add_u32 v16, s14, 4, v5
	s_add_co_i32 s18, s18, -8
	s_add_co_i32 s15, s15, 16
	s_add_co_i32 s14, s14, 16
	ds_load_2addr_b32 v[36:37], v12 offset1:8
	ds_load_2addr_b32 v[38:39], v16 offset1:8
	ds_load_2addr_b32 v[40:41], v12 offset0:16 offset1:24
	ds_load_2addr_b32 v[42:43], v16 offset0:16 offset1:24
	;; [unrolled: 1-line block ×6, first 2 shown]
	s_cmp_lg_u32 s18, 0
	s_wait_dscnt 0x7
	v_add3_u32 v3, v36, v3, v37
	s_wait_dscnt 0x6
	v_add3_u32 v2, v38, v2, v39
	s_wait_dscnt 0x5
	s_delay_alu instid0(VALU_DEP_2) | instskip(SKIP_1) | instid1(VALU_DEP_2)
	v_add3_u32 v3, v40, v3, v41
	s_wait_dscnt 0x4
	v_add3_u32 v2, v42, v2, v43
	s_wait_dscnt 0x3
	s_delay_alu instid0(VALU_DEP_2) | instskip(SKIP_1) | instid1(VALU_DEP_2)
	;; [unrolled: 5-line block ×3, first 2 shown]
	v_add3_u32 v3, v48, v3, v49
	s_wait_dscnt 0x0
	v_add3_u32 v2, v50, v2, v51
	s_cbranch_scc1 .LBB30_61
; %bb.62:                               ;   in Loop: Header=BB30_6 Depth=1
	s_and_not1_b32 vcc_lo, exec_lo, s69
	s_mov_b32 s18, s66
	s_cbranch_vccnz .LBB30_64
.LBB30_63:                              ;   Parent Loop BB30_6 Depth=1
                                        ; =>  This Inner Loop Header: Depth=2
	v_lshl_add_u32 v12, s15, 4, v5
	v_lshl_add_u32 v16, s14, 4, v5
	s_add_co_i32 s18, s18, -1
	s_add_co_i32 s15, s15, 2
	s_add_co_i32 s14, s14, 2
	ds_load_b32 v12, v12
	ds_load_b32 v16, v16
	s_cmp_lg_u32 s18, 0
	s_wait_dscnt 0x1
	v_add_nc_u32_e32 v3, v12, v3
	s_wait_dscnt 0x0
	v_add_nc_u32_e32 v2, v16, v2
	s_cbranch_scc1 .LBB30_63
.LBB30_64:                              ;   in Loop: Header=BB30_6 Depth=1
	s_delay_alu instid0(VALU_DEP_1) | instskip(SKIP_2) | instid1(SALU_CYCLE_1)
	v_add_nc_u32_e32 v2, v2, v3
	s_mov_b32 s14, s65
	s_mov_b32 s15, s70
	s_and_b32 vcc_lo, exec_lo, s15
	s_cbranch_vccnz .LBB30_86
	s_branch .LBB30_88
.LBB30_65:                              ;   in Loop: Header=BB30_6 Depth=1
	v_dual_mov_b32 v2, 0 :: v_dual_mov_b32 v3, 0
	v_dual_mov_b32 v4, 0 :: v_dual_mov_b32 v5, 0
	s_and_saveexec_b32 s89, s11
	s_cbranch_execz .LBB30_69
; %bb.66:                               ;   in Loop: Header=BB30_6 Depth=1
	v_mov_b32_e32 v12, v7
	s_mov_b32 s90, 0
	s_mov_b32 s91, 0
	;; [unrolled: 1-line block ×6, first 2 shown]
.LBB30_67:                              ;   Parent Loop BB30_6 Depth=1
                                        ; =>  This Inner Loop Header: Depth=2
	v_dual_add_nc_u32 v2, s91, v29 :: v_dual_add_nc_u32 v3, s91, v26
	v_dual_add_nc_u32 v4, s91, v27 :: v_dual_add_nc_u32 v5, s91, v28
	s_add_co_i32 s91, s91, s74
	s_clause 0x3
	global_load_b32 v2, v2, s[38:39] scale_offset
	global_load_b32 v3, v3, s[38:39] scale_offset
	;; [unrolled: 1-line block ×4, first 2 shown]
	s_wait_loadcnt 0x3
	v_xor_b32_e32 v16, 0x80000000, v2
	v_bitop3_b32 v2, v2, v33, 0x80000000 bitop3:0x48
	s_wait_loadcnt 0x2
	v_xor_b32_e32 v19, 0x80000000, v3
	v_bitop3_b32 v3, v3, v33, 0x80000000 bitop3:0x48
	;; [unrolled: 3-line block ×3, first 2 shown]
	v_cmp_eq_u32_e64 s14, v2, v25
	v_bfe_u32 v2, v16, s76, 2
	s_wait_loadcnt 0x0
	v_xor_b32_e32 v36, 0x80000000, v5
	v_cmp_eq_u32_e64 s15, v3, v25
	v_bfe_u32 v3, v19, s76, 2
	v_cmp_eq_u32_e64 s16, v4, v25
	v_bfe_u32 v4, v35, s76, 2
	v_cmp_eq_u32_e64 s18, 0, v2
	v_bitop3_b32 v5, v5, v33, 0x80000000 bitop3:0x48
	v_bfe_u32 v16, v36, s76, 2
	v_cmp_eq_u32_e64 s19, 0, v3
	v_cmp_eq_u32_e64 s20, 0, v4
	s_and_b32 s18, s14, s18
	v_cmp_eq_u32_e64 s17, v5, v25
	v_cmp_eq_u32_e64 s21, 0, v16
	;; [unrolled: 1-line block ×5, first 2 shown]
	v_cndmask_b32_e64 v2, 0, 1, s18
	s_and_b32 s18, s15, s19
	v_cmp_eq_u32_e64 s23, 1, v3
	v_cmp_eq_u32_e64 s27, 2, v3
	;; [unrolled: 1-line block ×3, first 2 shown]
	v_cndmask_b32_e64 v3, 0, 1, s18
	s_and_b32 s18, s16, s20
	v_cmp_eq_u32_e64 s24, 1, v4
	v_cmp_eq_u32_e64 s28, 2, v4
	;; [unrolled: 1-line block ×3, first 2 shown]
	v_cndmask_b32_e64 v4, 0, 1, s18
	s_and_b32 s18, s17, s21
	v_cmp_eq_u32_e64 s25, 1, v16
	v_cndmask_b32_e64 v5, 0, 1, s18
	s_and_b32 s18, s14, s22
	v_cmp_eq_u32_e64 s29, 2, v16
	v_cmp_eq_u32_e64 s34, 3, v16
	v_cndmask_b32_e64 v16, 0, 1, s18
	s_and_b32 s18, s15, s23
	s_delay_alu instid0(SALU_CYCLE_1) | instskip(SKIP_1) | instid1(SALU_CYCLE_1)
	v_cndmask_b32_e64 v19, 0, 1, s18
	s_and_b32 s18, s16, s24
	v_cndmask_b32_e64 v35, 0, 1, s18
	s_and_b32 s18, s17, s25
	s_delay_alu instid0(VALU_DEP_2)
	v_cmp_ne_u32_e64 s19, 0, v19
	v_cndmask_b32_e64 v36, 0, 1, s18
	s_and_b32 s18, s14, s26
	s_and_b32 s14, s14, s30
	v_cndmask_b32_e64 v37, 0, 1, s18
	v_cndmask_b32_e64 v41, 0, 1, s14
	s_and_b32 s14, s15, s31
	s_and_b32 s18, s15, s27
	v_cndmask_b32_e64 v42, 0, 1, s14
	s_and_b32 s14, s16, s33
	v_cndmask_b32_e64 v38, 0, 1, s18
	v_cndmask_b32_e64 v43, 0, 1, s14
	s_and_b32 s14, s17, s34
	s_and_b32 s18, s16, s28
	v_cndmask_b32_e64 v44, 0, 1, s14
	v_cmp_ne_u32_e64 s14, 0, v2
	v_cmp_ne_u32_e64 s15, 0, v3
	v_cndmask_b32_e64 v39, 0, 1, s18
	s_and_b32 s18, s17, s29
	v_cmp_ne_u32_e64 s16, 0, v4
	v_cndmask_b32_e64 v40, 0, 1, s18
	v_cmp_ne_u32_e64 s18, 0, v16
	v_cmp_ne_u32_e64 s22, 0, v37
	;; [unrolled: 1-line block ×3, first 2 shown]
	s_bcnt1_i32_b32 s14, s14
	v_cmp_ne_u32_e64 s17, 0, v5
	v_cmp_ne_u32_e64 s23, 0, v38
	;; [unrolled: 1-line block ×3, first 2 shown]
	s_bcnt1_i32_b32 s15, s15
	s_add_co_i32 s14, s14, s95
	v_cmp_ne_u32_e64 s20, 0, v35
	v_cmp_ne_u32_e64 s24, 0, v39
	v_cmp_ne_u32_e64 s28, 0, v43
	s_bcnt1_i32_b32 s16, s16
	s_add_co_i32 s14, s14, s15
	s_bcnt1_i32_b32 s18, s18
	s_bcnt1_i32_b32 s22, s22
	;; [unrolled: 1-line block ×3, first 2 shown]
	v_cmp_ne_u32_e64 s21, 0, v36
	v_cmp_ne_u32_e64 s25, 0, v40
	;; [unrolled: 1-line block ×3, first 2 shown]
	s_bcnt1_i32_b32 s17, s17
	s_add_co_i32 s14, s14, s16
	s_bcnt1_i32_b32 s19, s19
	s_bcnt1_i32_b32 s23, s23
	;; [unrolled: 1-line block ×3, first 2 shown]
	s_add_co_i32 s18, s18, s94
	s_add_co_i32 s22, s22, s93
	;; [unrolled: 1-line block ×4, first 2 shown]
	s_delay_alu instid0(SALU_CYCLE_1)
	v_dual_add_nc_u32 v12, s58, v12 :: v_dual_mov_b32 v2, s95
	s_bcnt1_i32_b32 s20, s20
	s_bcnt1_i32_b32 s24, s24
	;; [unrolled: 1-line block ×3, first 2 shown]
	s_add_co_i32 s15, s18, s19
	s_add_co_i32 s18, s22, s23
	;; [unrolled: 1-line block ×3, first 2 shown]
	s_bcnt1_i32_b32 s21, s21
	s_bcnt1_i32_b32 s25, s25
	;; [unrolled: 1-line block ×3, first 2 shown]
	s_add_co_i32 s15, s15, s20
	s_add_co_i32 s16, s18, s24
	;; [unrolled: 1-line block ×3, first 2 shown]
	v_cmp_le_u32_e32 vcc_lo, s72, v12
	s_add_co_i32 s94, s15, s21
	s_add_co_i32 s93, s16, s25
	s_add_co_i32 s92, s18, s29
	v_dual_mov_b32 v3, s94 :: v_dual_mov_b32 v4, s93
	v_mov_b32_e32 v5, s92
	s_or_b32 s90, vcc_lo, s90
	s_delay_alu instid0(SALU_CYCLE_1)
	s_and_not1_b32 exec_lo, exec_lo, s90
	s_cbranch_execnz .LBB30_67
; %bb.68:                               ;   in Loop: Header=BB30_6 Depth=1
	s_or_b32 exec_lo, exec_lo, s90
.LBB30_69:                              ;   in Loop: Header=BB30_6 Depth=1
	s_delay_alu instid0(SALU_CYCLE_1)
	s_or_b32 exec_lo, exec_lo, s89
	s_and_saveexec_b32 s18, s12
	s_cbranch_execz .LBB30_75
; %bb.70:                               ;   in Loop: Header=BB30_6 Depth=1
	global_load_b32 v35, v[14:15], off
	v_dual_mov_b32 v12, v30 :: v_dual_mov_b32 v16, v22
	s_mov_b32 s19, 0
	s_branch .LBB30_72
.LBB30_71:                              ;   in Loop: Header=BB30_72 Depth=2
	s_wait_xcnt 0x0
	s_or_b32 exec_lo, exec_lo, s15
	s_wait_loadcnt 0x0
	v_xor_b32_e32 v36, 0x80000000, v35
	v_bitop3_b32 v35, v35, v33, 0x80000000 bitop3:0x48
	s_and_b32 s15, exec_lo, vcc_lo
	v_add_nc_u32_e32 v12, s53, v12
	s_or_b32 s19, s15, s19
	v_bfe_u32 v36, v36, s76, 2
	v_cmp_eq_u32_e32 vcc_lo, v35, v25
	s_delay_alu instid0(VALU_DEP_2) | instskip(SKIP_4) | instid1(SALU_CYCLE_1)
	v_cmp_eq_u32_e64 s14, 0, v36
	v_cmp_eq_u32_e64 s15, 1, v36
	;; [unrolled: 1-line block ×4, first 2 shown]
	s_and_b32 s14, vcc_lo, s14
	v_cndmask_b32_e64 v35, 0, 1, s14
	s_and_b32 s14, vcc_lo, s15
	s_delay_alu instid0(SALU_CYCLE_1) | instskip(SKIP_1) | instid1(SALU_CYCLE_1)
	v_cndmask_b32_e64 v36, 0, 1, s14
	s_and_b32 s14, vcc_lo, s16
	v_cndmask_b32_e64 v37, 0, 1, s14
	s_and_b32 s14, vcc_lo, s17
	v_cmp_ne_u32_e32 vcc_lo, 0, v35
	v_cndmask_b32_e64 v38, 0, 1, s14
	v_cmp_ne_u32_e64 s14, 0, v36
	v_cmp_ne_u32_e64 s15, 0, v37
	v_mov_b32_e32 v35, v19
	s_bcnt1_i32_b32 s17, vcc_lo
	v_cmp_ne_u32_e64 s16, 0, v38
	s_bcnt1_i32_b32 s14, s14
	s_bcnt1_i32_b32 s15, s15
	v_dual_add_nc_u32 v2, s17, v2 :: v_dual_add_nc_u32 v3, s14, v3
	s_bcnt1_i32_b32 s16, s16
	s_delay_alu instid0(SALU_CYCLE_1)
	v_dual_add_nc_u32 v4, s15, v4 :: v_dual_add_nc_u32 v5, s16, v5
	s_and_not1_b32 exec_lo, exec_lo, s19
	s_cbranch_execz .LBB30_74
.LBB30_72:                              ;   Parent Loop BB30_6 Depth=1
                                        ; =>  This Inner Loop Header: Depth=2
	s_delay_alu instid0(VALU_DEP_1) | instskip(SKIP_1) | instid1(VALU_DEP_1)
	v_dual_mov_b32 v19, 0 :: v_dual_add_nc_u32 v16, s35, v16
	s_mov_b32 s15, exec_lo
	v_cmp_le_u32_e32 vcc_lo, s36, v16
	s_wait_xcnt 0x0
	v_cmpx_gt_u32_e64 s36, v16
	s_cbranch_execz .LBB30_71
; %bb.73:                               ;   in Loop: Header=BB30_72 Depth=2
	global_load_b32 v19, v12, s[38:39] scale_offset
	s_branch .LBB30_71
.LBB30_74:                              ;   in Loop: Header=BB30_6 Depth=1
	s_or_b32 exec_lo, exec_lo, s19
.LBB30_75:                              ;   in Loop: Header=BB30_6 Depth=1
	s_delay_alu instid0(SALU_CYCLE_1)
	s_or_b32 exec_lo, exec_lo, s18
	s_branch .LBB30_54
.LBB30_76:                              ;   in Loop: Header=BB30_6 Depth=1
	s_mul_u64 s[14:15], s[44:45], s[46:47]
	v_dual_mov_b32 v2, 0 :: v_dual_mov_b32 v3, 0
	s_mul_i32 s14, s15, s58
	v_dual_mov_b32 v4, 0 :: v_dual_mov_b32 v5, 0
	s_sub_co_i32 s14, s44, s14
	s_mov_b32 s90, exec_lo
	s_sub_co_i32 s15, s14, s58
	s_cmp_ge_u32 s14, s58
	s_cselect_b32 s14, s15, s14
	s_delay_alu instid0(SALU_CYCLE_1) | instskip(SKIP_2) | instid1(SALU_CYCLE_1)
	s_sub_co_i32 s15, s14, s58
	s_cmp_ge_u32 s14, s58
	s_cselect_b32 s14, s15, s14
	s_sub_co_i32 s89, s44, s14
	s_delay_alu instid0(SALU_CYCLE_1)
	v_cmpx_gt_u32_e64 s89, v7
	s_cbranch_execz .LBB30_80
; %bb.77:                               ;   in Loop: Header=BB30_6 Depth=1
	v_dual_mov_b32 v12, v31 :: v_dual_mov_b32 v16, v7
	s_mov_b32 s91, 0
	s_mov_b32 s92, 0
	;; [unrolled: 1-line block ×5, first 2 shown]
.LBB30_78:                              ;   Parent Loop BB30_6 Depth=1
                                        ; =>  This Inner Loop Header: Depth=2
	ds_load_b128 v[2:5], v12
	s_wait_dscnt 0x0
	v_xor_b32_e32 v19, 0x80000000, v2
	v_bitop3_b32 v2, v2, v33, 0x80000000 bitop3:0x48
	v_xor_b32_e32 v35, 0x80000000, v3
	v_bitop3_b32 v3, v3, v33, 0x80000000 bitop3:0x48
	;; [unrolled: 2-line block ×3, first 2 shown]
	v_cmp_eq_u32_e64 s14, v2, v25
	v_bfe_u32 v2, v19, s76, 2
	v_xor_b32_e32 v37, 0x80000000, v5
	v_cmp_eq_u32_e64 s15, v3, v25
	v_bfe_u32 v3, v35, s76, 2
	v_cmp_eq_u32_e64 s16, v4, v25
	v_bfe_u32 v4, v36, s76, 2
	v_cmp_eq_u32_e64 s18, 0, v2
	v_bitop3_b32 v5, v5, v33, 0x80000000 bitop3:0x48
	v_bfe_u32 v19, v37, s76, 2
	v_cmp_eq_u32_e64 s19, 0, v3
	v_cmp_eq_u32_e64 s20, 0, v4
	s_and_b32 s18, s14, s18
	v_cmp_eq_u32_e64 s17, v5, v25
	v_cmp_eq_u32_e64 s21, 0, v19
	;; [unrolled: 1-line block ×5, first 2 shown]
	v_cndmask_b32_e64 v2, 0, 1, s18
	s_and_b32 s18, s15, s19
	v_cmp_eq_u32_e64 s23, 1, v3
	v_cmp_eq_u32_e64 s27, 2, v3
	;; [unrolled: 1-line block ×3, first 2 shown]
	v_cndmask_b32_e64 v3, 0, 1, s18
	s_and_b32 s18, s16, s20
	v_cmp_eq_u32_e64 s24, 1, v4
	v_cmp_eq_u32_e64 s28, 2, v4
	;; [unrolled: 1-line block ×3, first 2 shown]
	v_cndmask_b32_e64 v4, 0, 1, s18
	s_and_b32 s18, s17, s21
	v_cmp_eq_u32_e64 s25, 1, v19
	v_cndmask_b32_e64 v5, 0, 1, s18
	s_and_b32 s18, s14, s22
	v_cmp_eq_u32_e64 s29, 2, v19
	v_cmp_eq_u32_e64 s34, 3, v19
	v_cndmask_b32_e64 v19, 0, 1, s18
	s_and_b32 s18, s15, s23
	s_delay_alu instid0(SALU_CYCLE_1) | instskip(SKIP_1) | instid1(SALU_CYCLE_1)
	v_cndmask_b32_e64 v35, 0, 1, s18
	s_and_b32 s18, s16, s24
	v_cndmask_b32_e64 v36, 0, 1, s18
	s_and_b32 s18, s17, s25
	s_delay_alu instid0(VALU_DEP_2)
	v_cmp_ne_u32_e64 s19, 0, v35
	v_cndmask_b32_e64 v37, 0, 1, s18
	s_and_b32 s18, s14, s26
	s_and_b32 s14, s14, s30
	v_cndmask_b32_e64 v38, 0, 1, s18
	v_cndmask_b32_e64 v42, 0, 1, s14
	s_and_b32 s14, s15, s31
	s_and_b32 s18, s15, s27
	v_cndmask_b32_e64 v43, 0, 1, s14
	s_and_b32 s14, s16, s33
	v_cndmask_b32_e64 v39, 0, 1, s18
	v_cndmask_b32_e64 v44, 0, 1, s14
	s_and_b32 s14, s17, s34
	s_and_b32 s18, s16, s28
	v_cndmask_b32_e64 v45, 0, 1, s14
	v_cmp_ne_u32_e64 s14, 0, v2
	v_cmp_ne_u32_e64 s15, 0, v3
	v_cndmask_b32_e64 v40, 0, 1, s18
	s_and_b32 s18, s17, s29
	v_cmp_ne_u32_e64 s16, 0, v4
	v_cndmask_b32_e64 v41, 0, 1, s18
	v_cmp_ne_u32_e64 s18, 0, v19
	v_cmp_ne_u32_e64 s22, 0, v38
	;; [unrolled: 1-line block ×3, first 2 shown]
	s_bcnt1_i32_b32 s14, s14
	v_cmp_ne_u32_e64 s17, 0, v5
	v_cmp_ne_u32_e64 s23, 0, v39
	;; [unrolled: 1-line block ×3, first 2 shown]
	s_bcnt1_i32_b32 s15, s15
	s_add_co_i32 s14, s14, s95
	v_cmp_ne_u32_e64 s20, 0, v36
	v_cmp_ne_u32_e64 s24, 0, v40
	;; [unrolled: 1-line block ×3, first 2 shown]
	s_bcnt1_i32_b32 s16, s16
	s_add_co_i32 s14, s14, s15
	s_bcnt1_i32_b32 s18, s18
	s_bcnt1_i32_b32 s22, s22
	;; [unrolled: 1-line block ×3, first 2 shown]
	v_cmp_ne_u32_e64 s21, 0, v37
	v_cmp_ne_u32_e64 s25, 0, v41
	;; [unrolled: 1-line block ×3, first 2 shown]
	s_bcnt1_i32_b32 s17, s17
	s_add_co_i32 s14, s14, s16
	s_bcnt1_i32_b32 s19, s19
	s_bcnt1_i32_b32 s23, s23
	s_bcnt1_i32_b32 s27, s27
	s_add_co_i32 s18, s18, s94
	s_add_co_i32 s22, s22, s93
	;; [unrolled: 1-line block ×4, first 2 shown]
	s_delay_alu instid0(SALU_CYCLE_1)
	v_dual_add_nc_u32 v16, s58, v16 :: v_dual_mov_b32 v2, s95
	s_bcnt1_i32_b32 s20, s20
	s_bcnt1_i32_b32 s24, s24
	;; [unrolled: 1-line block ×3, first 2 shown]
	s_add_co_i32 s15, s18, s19
	s_add_co_i32 s18, s22, s23
	;; [unrolled: 1-line block ×3, first 2 shown]
	s_bcnt1_i32_b32 s21, s21
	s_bcnt1_i32_b32 s25, s25
	;; [unrolled: 1-line block ×3, first 2 shown]
	s_add_co_i32 s15, s15, s20
	s_add_co_i32 s16, s18, s24
	;; [unrolled: 1-line block ×3, first 2 shown]
	v_cmp_le_u32_e32 vcc_lo, s89, v16
	s_add_co_i32 s94, s15, s21
	s_add_co_i32 s93, s16, s25
	;; [unrolled: 1-line block ×3, first 2 shown]
	v_dual_mov_b32 v3, s94 :: v_dual_add_nc_u32 v12, s75, v12
	v_dual_mov_b32 v4, s93 :: v_dual_mov_b32 v5, s92
	s_or_b32 s91, vcc_lo, s91
	s_delay_alu instid0(SALU_CYCLE_1)
	s_and_not1_b32 exec_lo, exec_lo, s91
	s_cbranch_execnz .LBB30_78
; %bb.79:                               ;   in Loop: Header=BB30_6 Depth=1
	s_or_b32 exec_lo, exec_lo, s91
.LBB30_80:                              ;   in Loop: Header=BB30_6 Depth=1
	s_delay_alu instid0(SALU_CYCLE_1) | instskip(SKIP_2) | instid1(VALU_DEP_1)
	s_or_b32 exec_lo, exec_lo, s90
	v_add_nc_u32_e32 v12, s89, v0
	s_mov_b32 s19, exec_lo
	v_cmpx_gt_u32_e64 s44, v12
	s_cbranch_execz .LBB30_84
; %bb.81:                               ;   in Loop: Header=BB30_6 Depth=1
	v_lshlrev_b32_e32 v16, 2, v12
	s_mov_b32 s20, 0
.LBB30_82:                              ;   Parent Loop BB30_6 Depth=1
                                        ; =>  This Inner Loop Header: Depth=2
	ds_load_b32 v19, v16
	s_wait_dscnt 0x0
	v_xor_b32_e32 v35, 0x80000000, v19
	v_bitop3_b32 v19, v19, v33, 0x80000000 bitop3:0x48
	s_delay_alu instid0(VALU_DEP_2) | instskip(NEXT) | instid1(VALU_DEP_2)
	v_bfe_u32 v35, v35, s76, 2
	v_cmp_eq_u32_e64 s14, v19, v25
	s_delay_alu instid0(VALU_DEP_2) | instskip(SKIP_4) | instid1(SALU_CYCLE_1)
	v_cmp_eq_u32_e64 s15, 0, v35
	v_cmp_eq_u32_e64 s16, 1, v35
	;; [unrolled: 1-line block ×4, first 2 shown]
	s_and_b32 s15, s14, s15
	v_cndmask_b32_e64 v19, 0, 1, s15
	s_and_b32 s15, s14, s16
	s_delay_alu instid0(SALU_CYCLE_1)
	v_cndmask_b32_e64 v35, 0, 1, s15
	s_and_b32 s15, s14, s17
	s_and_b32 s14, s14, s18
	v_cndmask_b32_e64 v36, 0, 1, s15
	v_cndmask_b32_e64 v37, 0, 1, s14
	v_cmp_ne_u32_e64 s14, 0, v19
	v_cmp_ne_u32_e64 s15, 0, v35
	s_delay_alu instid0(VALU_DEP_4) | instskip(NEXT) | instid1(VALU_DEP_4)
	v_cmp_ne_u32_e64 s16, 0, v36
	v_cmp_ne_u32_e64 s17, 0, v37
	s_bcnt1_i32_b32 s14, s14
	s_delay_alu instid0(SALU_CYCLE_1) | instskip(SKIP_3) | instid1(VALU_DEP_1)
	v_dual_add_nc_u32 v12, s35, v12 :: v_dual_add_nc_u32 v2, s14, v2
	s_bcnt1_i32_b32 s15, s15
	s_bcnt1_i32_b32 s16, s16
	s_bcnt1_i32_b32 s17, s17
	v_cmp_le_u32_e32 vcc_lo, s44, v12
	v_dual_add_nc_u32 v16, s58, v16 :: v_dual_add_nc_u32 v3, s15, v3
	v_dual_add_nc_u32 v4, s16, v4 :: v_dual_add_nc_u32 v5, s17, v5
	s_or_b32 s20, vcc_lo, s20
	s_delay_alu instid0(SALU_CYCLE_1)
	s_and_not1_b32 exec_lo, exec_lo, s20
	s_cbranch_execnz .LBB30_82
; %bb.83:                               ;   in Loop: Header=BB30_6 Depth=1
	s_or_b32 exec_lo, exec_lo, s20
.LBB30_84:                              ;   in Loop: Header=BB30_6 Depth=1
	s_delay_alu instid0(SALU_CYCLE_1)
	s_or_b32 exec_lo, exec_lo, s19
	s_lshl_b32 s16, s79, 7
	s_and_saveexec_b32 s14, s2
	s_cbranch_execnz .LBB30_55
	s_branch .LBB30_56
.LBB30_85:                              ;   in Loop: Header=BB30_6 Depth=1
	v_mov_b32_e32 v2, 0
	s_mov_b32 s14, 0
	s_cbranch_execz .LBB30_88
.LBB30_86:                              ;   in Loop: Header=BB30_6 Depth=1
	s_lshl_b32 s15, s79, 9
	s_lshl_b32 s18, s14, 4
	s_sub_co_i32 s14, s63, s14
	v_add3_u32 v3, s15, s18, v32
.LBB30_87:                              ;   Parent Loop BB30_6 Depth=1
                                        ; =>  This Inner Loop Header: Depth=2
	ds_load_b32 v5, v3
	v_add_nc_u32_e32 v3, 16, v3
	s_add_co_i32 s14, s14, -1
	s_delay_alu instid0(SALU_CYCLE_1)
	s_cmp_eq_u32 s14, 0
	s_wait_dscnt 0x0
	v_add_nc_u32_e32 v2, v5, v2
	s_cbranch_scc0 .LBB30_87
.LBB30_88:                              ;   in Loop: Header=BB30_6 Depth=1
	s_delay_alu instid0(VALU_DEP_1)
	v_lshlrev_b32_e32 v3, 2, v4
	ds_store_b32 v3, v2 offset:3072
.LBB30_89:                              ;   in Loop: Header=BB30_6 Depth=1
	s_or_b32 exec_lo, exec_lo, s17
	s_lshl_b32 s14, s16, 2
	s_wait_dscnt 0x0
	v_mov_b32_e32 v2, s14
	s_barrier_signal -1
	s_barrier_wait -1
	v_cmp_eq_u32_e64 s14, 1, v34
	ds_load_b128 v[2:5], v2 offset:3072
	s_lshl_b32 s18, 3, s76
	s_mov_b32 s26, -1
	s_not_b32 s19, s18
	s_mov_b32 s16, 0
	s_and_not1_b32 vcc_lo, exec_lo, s57
	s_mov_b32 s23, 0
	s_mov_b32 s15, 0
                                        ; implicit-def: $sgpr24
                                        ; implicit-def: $sgpr25
                                        ; implicit-def: $vgpr35
                                        ; implicit-def: $vgpr12
	s_wait_dscnt 0x0
	v_readfirstlane_b32 s17, v2
	v_readfirstlane_b32 s20, v3
	;; [unrolled: 1-line block ×4, first 2 shown]
                                        ; implicit-def: $vgpr4
                                        ; implicit-def: $vgpr5
                                        ; implicit-def: $vgpr3
	s_cbranch_vccnz .LBB30_248
; %bb.90:                               ;   in Loop: Header=BB30_6 Depth=1
	s_cmp_eq_u32 s17, 1
	v_dual_mov_b32 v5, v25 :: v_dual_mov_b32 v12, v33
	v_mov_b32_e32 v3, v17
	s_cselect_b32 s15, -1, 0
	s_mov_b32 s29, -1
	s_and_b32 s28, s15, s14
                                        ; implicit-def: $sgpr25
                                        ; implicit-def: $sgpr24
	s_delay_alu instid0(SALU_CYCLE_1)
	s_and_saveexec_b32 s15, s28
	s_cbranch_execz .LBB30_117
; %bb.91:                               ;   in Loop: Header=BB30_6 Depth=1
	ds_load_b32 v2, v13 offset:4096
	s_wait_dscnt 0x0
	s_barrier_signal -1
	s_barrier_wait -1
	v_readfirstlane_b32 s26, v2
	s_and_saveexec_b32 s23, s6
; %bb.92:                               ;   in Loop: Header=BB30_6 Depth=1
	ds_store_b32 v11, v13
; %bb.93:                               ;   in Loop: Header=BB30_6 Depth=1
	s_or_b32 exec_lo, exec_lo, s23
	v_and_b32_e32 v5, s19, v25
	v_or_b32_e32 v12, s18, v33
	s_mov_b32 s24, -1
	s_mov_b32 s25, 0
	s_cmp_eq_u32 s26, 0
	s_mov_b32 s23, 0
	s_mov_b32 s27, -1
	s_wait_dscnt 0x0
	s_barrier_signal -1
	s_barrier_wait -1
                                        ; implicit-def: $vgpr3
	s_cbranch_scc1 .LBB30_104
; %bb.94:                               ;   in Loop: Header=BB30_6 Depth=1
	s_add_co_i32 s44, s26, s62
	s_mov_b32 s29, exec_lo
	s_mul_u64 s[30:31], s[44:45], s[48:49]
                                        ; implicit-def: $vgpr3
	s_delay_alu instid0(SALU_CYCLE_1) | instskip(NEXT) | instid1(SALU_CYCLE_1)
	s_mul_i32 s23, s31, s35
	s_sub_co_i32 s23, s44, s23
	s_delay_alu instid0(SALU_CYCLE_1) | instskip(SKIP_2) | instid1(SALU_CYCLE_1)
	s_sub_co_i32 s27, s23, s35
	s_cmp_ge_u32 s23, s35
	s_cselect_b32 s23, s27, s23
	s_sub_co_i32 s27, s23, s35
	s_cmp_ge_u32 s23, s35
	s_cselect_b32 s23, s27, s23
	s_mov_b32 s27, 0
	s_sub_co_i32 s30, s44, s23
	s_mov_b32 s23, 0
	v_cmpx_gt_u32_e64 s30, v0
	s_cbranch_execz .LBB30_103
; %bb.95:                               ;   in Loop: Header=BB30_6 Depth=1
	v_dual_mov_b32 v4, v7 :: v_dual_mov_b32 v16, v0
                                        ; implicit-def: $sgpr31
	s_branch .LBB30_98
.LBB30_96:                              ;   in Loop: Header=BB30_98 Depth=2
	s_or_b32 exec_lo, exec_lo, s33
	s_wait_dscnt 0x0
	s_barrier_signal -1
	s_barrier_wait -1
	ds_load_b64 v[2:3], v13 offset:3072
	s_mov_b32 s33, -1
	s_mov_b32 s34, -1
	s_wait_dscnt 0x0
	s_barrier_signal -1
	s_barrier_wait -1
	v_cmp_ne_u32_e32 vcc_lo, 0, v2
	s_cbranch_vccz .LBB30_101
.LBB30_97:                              ;   in Loop: Header=BB30_98 Depth=2
	s_and_b32 s33, exec_lo, s33
	s_delay_alu instid0(SALU_CYCLE_1) | instskip(SKIP_2) | instid1(SALU_CYCLE_1)
	s_or_b32 s23, s33, s23
	s_and_not1_b32 s31, s31, exec_lo
	s_and_b32 s33, s34, exec_lo
	s_or_b32 s31, s31, s33
	s_and_not1_b32 exec_lo, exec_lo, s23
	s_cbranch_execz .LBB30_102
.LBB30_98:                              ;   Parent Loop BB30_6 Depth=1
                                        ; =>  This Inner Loop Header: Depth=2
	s_mov_b32 s33, exec_lo
	s_delay_alu instid0(VALU_DEP_1)
	v_cmpx_gt_u32_e64 s26, v16
	s_cbranch_execz .LBB30_96
; %bb.99:                               ;   in Loop: Header=BB30_98 Depth=2
	ds_load_b32 v19, v4
	s_wait_dscnt 0x0
	v_bitop3_b32 v2, v19, v12, 0x80000000 bitop3:0x48
	s_delay_alu instid0(VALU_DEP_1)
	v_cmp_eq_u32_e32 vcc_lo, v2, v5
	s_and_b32 exec_lo, exec_lo, vcc_lo
	s_cbranch_execz .LBB30_96
; %bb.100:                              ;   in Loop: Header=BB30_98 Depth=2
	ds_store_b64 v13, v[18:19] offset:3072
	s_branch .LBB30_96
.LBB30_101:                             ;   in Loop: Header=BB30_98 Depth=2
	v_add_nc_u32_e32 v16, s35, v16
	v_add_nc_u32_e32 v4, s58, v4
	s_mov_b32 s34, 0
	s_delay_alu instid0(VALU_DEP_2)
	v_cmp_le_u32_e32 vcc_lo, s30, v16
	s_or_not1_b32 s33, vcc_lo, exec_lo
	s_branch .LBB30_97
.LBB30_102:                             ;   in Loop: Header=BB30_6 Depth=1
	s_or_b32 exec_lo, exec_lo, s23
	s_delay_alu instid0(SALU_CYCLE_1)
	s_and_b32 s23, s31, exec_lo
.LBB30_103:                             ;   in Loop: Header=BB30_6 Depth=1
	s_or_b32 exec_lo, exec_lo, s29
.LBB30_104:                             ;   in Loop: Header=BB30_6 Depth=1
	s_delay_alu instid0(SALU_CYCLE_1)
	s_and_b32 vcc_lo, exec_lo, s27
	s_cbranch_vccz .LBB30_116
; %bb.105:                              ;   in Loop: Header=BB30_6 Depth=1
                                        ; implicit-def: $vgpr3
	s_and_saveexec_b32 s24, s13
	s_cbranch_execz .LBB30_115
; %bb.106:                              ;   in Loop: Header=BB30_6 Depth=1
	v_dual_mov_b32 v4, v10 :: v_dual_mov_b32 v16, v0
	s_mov_b32 s25, 0
                                        ; implicit-def: $sgpr26
	s_branch .LBB30_109
.LBB30_107:                             ;   in Loop: Header=BB30_109 Depth=2
	s_or_b32 exec_lo, exec_lo, s27
	s_wait_dscnt 0x0
	s_barrier_signal -1
	s_barrier_wait -1
	ds_load_b64 v[2:3], v13 offset:3072
	s_mov_b32 s27, -1
	s_mov_b32 s29, -1
	s_wait_dscnt 0x0
	s_barrier_signal -1
	s_barrier_wait -1
	v_cmp_ne_u32_e32 vcc_lo, 0, v2
	s_cbranch_vccz .LBB30_112
.LBB30_108:                             ;   in Loop: Header=BB30_109 Depth=2
	s_and_b32 s27, exec_lo, s27
	s_delay_alu instid0(SALU_CYCLE_1) | instskip(SKIP_2) | instid1(SALU_CYCLE_1)
	s_or_b32 s25, s27, s25
	s_and_not1_b32 s26, s26, exec_lo
	s_and_b32 s27, s29, exec_lo
	s_or_b32 s26, s26, s27
	s_and_not1_b32 exec_lo, exec_lo, s25
	s_cbranch_execz .LBB30_114
.LBB30_109:                             ;   Parent Loop BB30_6 Depth=1
                                        ; =>  This Inner Loop Header: Depth=2
	s_mov_b32 s27, exec_lo
	s_delay_alu instid0(VALU_DEP_1)
	v_cmpx_gt_u32_e64 s36, v16
	s_cbranch_execz .LBB30_107
; %bb.110:                              ;   in Loop: Header=BB30_109 Depth=2
	global_load_b32 v19, v4, s[38:39] scale_offset
	s_wait_loadcnt 0x0
	v_bitop3_b32 v2, v19, v12, 0x80000000 bitop3:0x48
	s_delay_alu instid0(VALU_DEP_1)
	v_cmp_eq_u32_e32 vcc_lo, v2, v5
	s_and_b32 exec_lo, exec_lo, vcc_lo
	s_cbranch_execz .LBB30_107
; %bb.111:                              ;   in Loop: Header=BB30_109 Depth=2
	ds_store_b64 v13, v[18:19] offset:3072
	s_branch .LBB30_107
.LBB30_112:                             ;   in Loop: Header=BB30_109 Depth=2
	v_add_nc_u32_e32 v16, s35, v16
	v_add_nc_u32_e32 v4, s53, v4
	s_mov_b32 s29, 0
	s_delay_alu instid0(VALU_DEP_2)
	v_cmp_le_u32_e32 vcc_lo, s73, v16
	s_or_not1_b32 s27, vcc_lo, exec_lo
	s_branch .LBB30_108
.LBB30_113:                             ;   in Loop: Header=BB30_6 Depth=1
	s_mov_b64 s[14:15], 0x100000000
	v_mov_b64_e32 v[2:3], 0
	s_and_not1_b32 vcc_lo, exec_lo, s69
	s_mov_b32 s18, s66
	s_cbranch_vccz .LBB30_63
	s_branch .LBB30_64
.LBB30_114:                             ;   in Loop: Header=BB30_6 Depth=1
	s_or_b32 exec_lo, exec_lo, s25
	s_delay_alu instid0(SALU_CYCLE_1) | instskip(SKIP_1) | instid1(SALU_CYCLE_1)
	s_and_not1_b32 s23, s23, exec_lo
	s_and_b32 s25, s26, exec_lo
	s_or_b32 s23, s23, s25
.LBB30_115:                             ;   in Loop: Header=BB30_6 Depth=1
	s_or_b32 exec_lo, exec_lo, s24
	s_mov_b32 s24, 0
	s_mov_b32 s25, -1
.LBB30_116:                             ;   in Loop: Header=BB30_6 Depth=1
	s_or_not1_b32 s29, s23, exec_lo
.LBB30_117:                             ;   in Loop: Header=BB30_6 Depth=1
	s_or_b32 exec_lo, exec_lo, s15
	s_mov_b32 s26, 0
	s_mov_b32 s23, 0
	;; [unrolled: 1-line block ×3, first 2 shown]
                                        ; implicit-def: $vgpr35
                                        ; implicit-def: $vgpr4
	s_and_saveexec_b32 s27, s29
	s_cbranch_execz .LBB30_247
; %bb.118:                              ;   in Loop: Header=BB30_6 Depth=1
	v_dual_mov_b32 v35, 1 :: v_dual_mov_b32 v4, 1
	s_xor_b32 s23, s28, -1
	s_mov_b32 s30, 0
	s_and_saveexec_b32 s15, s23
	s_cbranch_execz .LBB30_127
; %bb.119:                              ;   in Loop: Header=BB30_6 Depth=1
	s_mov_b32 s23, exec_lo
	v_cmpx_ge_u32_e64 s17, v34
	s_xor_b32 s23, exec_lo, s23
	s_cbranch_execz .LBB30_124
; %bb.120:                              ;   in Loop: Header=BB30_6 Depth=1
	ds_load_b32 v2, v13 offset:4096
	v_and_b32_e32 v5, s19, v5
	v_or_b32_e32 v12, s18, v12
	s_wait_dscnt 0x0
	v_cmp_ne_u32_e32 vcc_lo, 0, v2
	s_cbranch_vccnz .LBB30_124
; %bb.121:                              ;   in Loop: Header=BB30_6 Depth=1
	s_and_saveexec_b32 s28, s5
; %bb.122:                              ;   in Loop: Header=BB30_6 Depth=1
	v_mov_b32_e32 v2, s17
	ds_store_b32 v13, v2 offset:4100
; %bb.123:                              ;   in Loop: Header=BB30_6 Depth=1
	s_or_b32 exec_lo, exec_lo, s28
	s_wait_dscnt 0x0
	s_barrier_signal -1
	s_barrier_wait -1
.LBB30_124:                             ;   in Loop: Header=BB30_6 Depth=1
	s_or_saveexec_b32 s23, s23
	v_dual_mov_b32 v4, 8 :: v_dual_mov_b32 v35, v34
	s_mov_b32 s28, 0
	s_xor_b32 exec_lo, exec_lo, s23
; %bb.125:                              ;   in Loop: Header=BB30_6 Depth=1
	v_subrev_nc_u32_e32 v35, s17, v34
	v_mov_b32_e32 v4, 0
	s_mov_b32 s28, exec_lo
; %bb.126:                              ;   in Loop: Header=BB30_6 Depth=1
	s_or_b32 exec_lo, exec_lo, s23
	s_delay_alu instid0(SALU_CYCLE_1)
	s_and_b32 s30, s28, exec_lo
.LBB30_127:                             ;   in Loop: Header=BB30_6 Depth=1
	s_or_b32 exec_lo, exec_lo, s15
	s_mov_b32 s29, -1
                                        ; implicit-def: $sgpr23
                                        ; implicit-def: $sgpr28
	s_and_saveexec_b32 s15, s30
	s_delay_alu instid0(SALU_CYCLE_1)
	s_xor_b32 s15, exec_lo, s15
	s_cbranch_execz .LBB30_244
; %bb.128:                              ;   in Loop: Header=BB30_6 Depth=1
	v_cmp_eq_u32_e32 vcc_lo, 1, v35
	s_cmp_eq_u32 s20, 1
	s_mov_b32 s31, -1
	s_cselect_b32 s23, -1, 0
                                        ; implicit-def: $sgpr28
	s_delay_alu instid0(SALU_CYCLE_1) | instskip(NEXT) | instid1(SALU_CYCLE_1)
	s_and_b32 s30, s23, vcc_lo
                                        ; implicit-def: $sgpr23
	s_and_saveexec_b32 s29, s30
	s_cbranch_execz .LBB30_154
; %bb.129:                              ;   in Loop: Header=BB30_6 Depth=1
	ds_load_b32 v2, v13 offset:4096
	s_wait_dscnt 0x0
	s_barrier_signal -1
	s_barrier_wait -1
	v_readfirstlane_b32 s33, v2
	s_and_saveexec_b32 s23, s6
; %bb.130:                              ;   in Loop: Header=BB30_6 Depth=1
	ds_store_b32 v11, v13
; %bb.131:                              ;   in Loop: Header=BB30_6 Depth=1
	s_or_b32 exec_lo, exec_lo, s23
	s_lshl_b32 s23, 1, s76
	v_or_b32_e32 v12, s18, v12
	v_and_or_b32 v5, v5, s19, s23
	s_mov_b32 s23, -1
	s_mov_b32 s28, 0
	s_cmp_eq_u32 s33, 0
	s_mov_b32 s31, 0
	s_mov_b32 s34, -1
	s_wait_dscnt 0x0
	s_barrier_signal -1
	s_barrier_wait -1
                                        ; implicit-def: $vgpr3
	s_cbranch_scc1 .LBB30_142
; %bb.132:                              ;   in Loop: Header=BB30_6 Depth=1
	s_add_co_i32 s44, s33, s62
                                        ; implicit-def: $vgpr3
	s_delay_alu instid0(SALU_CYCLE_1) | instskip(NEXT) | instid1(SALU_CYCLE_1)
	s_mul_u64 s[90:91], s[44:45], s[48:49]
	s_mul_i32 s31, s91, s35
	s_delay_alu instid0(SALU_CYCLE_1) | instskip(NEXT) | instid1(SALU_CYCLE_1)
	s_sub_co_i32 s31, s44, s31
	s_sub_co_i32 s34, s31, s35
	s_cmp_ge_u32 s31, s35
	s_cselect_b32 s31, s34, s31
	s_delay_alu instid0(SALU_CYCLE_1)
	s_sub_co_i32 s34, s31, s35
	s_cmp_ge_u32 s31, s35
	s_cselect_b32 s31, s34, s31
	s_mov_b32 s34, 0
	s_sub_co_i32 s89, s44, s31
	s_mov_b32 s31, 0
	s_mov_b32 s44, exec_lo
	v_cmpx_gt_u32_e64 s89, v0
	s_cbranch_execz .LBB30_141
; %bb.133:                              ;   in Loop: Header=BB30_6 Depth=1
	v_dual_mov_b32 v16, v7 :: v_dual_mov_b32 v36, v0
                                        ; implicit-def: $sgpr90
	s_branch .LBB30_136
.LBB30_134:                             ;   in Loop: Header=BB30_136 Depth=2
	s_or_b32 exec_lo, exec_lo, s91
	s_wait_dscnt 0x0
	s_barrier_signal -1
	s_barrier_wait -1
	ds_load_b64 v[2:3], v13 offset:3072
	s_mov_b32 s91, -1
	s_mov_b32 s92, -1
	s_wait_dscnt 0x0
	s_barrier_signal -1
	s_barrier_wait -1
	v_cmp_ne_u32_e32 vcc_lo, 0, v2
	s_cbranch_vccz .LBB30_139
.LBB30_135:                             ;   in Loop: Header=BB30_136 Depth=2
	s_and_b32 s91, exec_lo, s91
	s_delay_alu instid0(SALU_CYCLE_1) | instskip(SKIP_2) | instid1(SALU_CYCLE_1)
	s_or_b32 s31, s91, s31
	s_and_not1_b32 s90, s90, exec_lo
	s_and_b32 s91, s92, exec_lo
	s_or_b32 s90, s90, s91
	s_and_not1_b32 exec_lo, exec_lo, s31
	s_cbranch_execz .LBB30_140
.LBB30_136:                             ;   Parent Loop BB30_6 Depth=1
                                        ; =>  This Inner Loop Header: Depth=2
	s_mov_b32 s91, exec_lo
	s_delay_alu instid0(VALU_DEP_1)
	v_cmpx_gt_u32_e64 s33, v36
	s_cbranch_execz .LBB30_134
; %bb.137:                              ;   in Loop: Header=BB30_136 Depth=2
	ds_load_b32 v19, v16
	s_wait_dscnt 0x0
	v_bitop3_b32 v2, v19, v12, 0x80000000 bitop3:0x48
	s_delay_alu instid0(VALU_DEP_1)
	v_cmp_eq_u32_e32 vcc_lo, v2, v5
	s_and_b32 exec_lo, exec_lo, vcc_lo
	s_cbranch_execz .LBB30_134
; %bb.138:                              ;   in Loop: Header=BB30_136 Depth=2
	ds_store_b64 v13, v[18:19] offset:3072
	s_branch .LBB30_134
.LBB30_139:                             ;   in Loop: Header=BB30_136 Depth=2
	v_add_nc_u32_e32 v36, s35, v36
	v_add_nc_u32_e32 v16, s58, v16
	s_mov_b32 s92, 0
	s_delay_alu instid0(VALU_DEP_2)
	v_cmp_le_u32_e32 vcc_lo, s89, v36
	s_or_not1_b32 s91, vcc_lo, exec_lo
	s_branch .LBB30_135
.LBB30_140:                             ;   in Loop: Header=BB30_6 Depth=1
	s_or_b32 exec_lo, exec_lo, s31
	s_delay_alu instid0(SALU_CYCLE_1)
	s_and_b32 s31, s90, exec_lo
.LBB30_141:                             ;   in Loop: Header=BB30_6 Depth=1
	s_or_b32 exec_lo, exec_lo, s44
.LBB30_142:                             ;   in Loop: Header=BB30_6 Depth=1
	s_delay_alu instid0(SALU_CYCLE_1)
	s_and_b32 vcc_lo, exec_lo, s34
	s_cbranch_vccz .LBB30_153
; %bb.143:                              ;   in Loop: Header=BB30_6 Depth=1
                                        ; implicit-def: $vgpr3
	s_and_saveexec_b32 s23, s13
	s_cbranch_execz .LBB30_152
; %bb.144:                              ;   in Loop: Header=BB30_6 Depth=1
	v_dual_mov_b32 v16, v10 :: v_dual_mov_b32 v36, v0
	s_mov_b32 s28, 0
                                        ; implicit-def: $sgpr33
	s_branch .LBB30_147
.LBB30_145:                             ;   in Loop: Header=BB30_147 Depth=2
	s_or_b32 exec_lo, exec_lo, s34
	s_wait_dscnt 0x0
	s_barrier_signal -1
	s_barrier_wait -1
	ds_load_b64 v[2:3], v13 offset:3072
	s_mov_b32 s34, -1
	s_mov_b32 s44, -1
	s_wait_dscnt 0x0
	s_barrier_signal -1
	s_barrier_wait -1
	v_cmp_eq_u32_e32 vcc_lo, 0, v2
	s_cbranch_vccnz .LBB30_150
.LBB30_146:                             ;   in Loop: Header=BB30_147 Depth=2
	s_and_b32 s34, exec_lo, s34
	s_delay_alu instid0(SALU_CYCLE_1) | instskip(SKIP_2) | instid1(SALU_CYCLE_1)
	s_or_b32 s28, s34, s28
	s_and_not1_b32 s33, s33, exec_lo
	s_and_b32 s34, s44, exec_lo
	s_or_b32 s33, s33, s34
	s_and_not1_b32 exec_lo, exec_lo, s28
	s_cbranch_execz .LBB30_151
.LBB30_147:                             ;   Parent Loop BB30_6 Depth=1
                                        ; =>  This Inner Loop Header: Depth=2
	s_mov_b32 s34, exec_lo
	s_delay_alu instid0(VALU_DEP_1)
	v_cmpx_gt_u32_e64 s36, v36
	s_cbranch_execz .LBB30_145
; %bb.148:                              ;   in Loop: Header=BB30_147 Depth=2
	global_load_b32 v19, v16, s[38:39] scale_offset
	s_wait_loadcnt 0x0
	v_bitop3_b32 v2, v19, v12, 0x80000000 bitop3:0x48
	s_delay_alu instid0(VALU_DEP_1)
	v_cmp_eq_u32_e32 vcc_lo, v2, v5
	s_and_b32 exec_lo, exec_lo, vcc_lo
	s_cbranch_execz .LBB30_145
; %bb.149:                              ;   in Loop: Header=BB30_147 Depth=2
	ds_store_b64 v13, v[18:19] offset:3072
	s_branch .LBB30_145
.LBB30_150:                             ;   in Loop: Header=BB30_147 Depth=2
	v_add_nc_u32_e32 v36, s35, v36
	v_add_nc_u32_e32 v16, s53, v16
	s_mov_b32 s44, 0
	s_delay_alu instid0(VALU_DEP_2)
	v_cmp_le_u32_e32 vcc_lo, s73, v36
	s_or_not1_b32 s34, vcc_lo, exec_lo
	s_branch .LBB30_146
.LBB30_151:                             ;   in Loop: Header=BB30_6 Depth=1
	s_or_b32 exec_lo, exec_lo, s28
	s_delay_alu instid0(SALU_CYCLE_1) | instskip(SKIP_1) | instid1(SALU_CYCLE_1)
	s_and_not1_b32 s28, s31, exec_lo
	s_and_b32 s31, s33, exec_lo
	s_or_b32 s31, s28, s31
.LBB30_152:                             ;   in Loop: Header=BB30_6 Depth=1
	s_or_b32 exec_lo, exec_lo, s23
	s_mov_b32 s23, 0
	s_mov_b32 s28, -1
.LBB30_153:                             ;   in Loop: Header=BB30_6 Depth=1
	s_or_not1_b32 s31, s31, exec_lo
.LBB30_154:                             ;   in Loop: Header=BB30_6 Depth=1
	s_or_b32 exec_lo, exec_lo, s29
	s_mov_b32 s33, 0
	s_and_saveexec_b32 s29, s31
	s_cbranch_execz .LBB30_243
; %bb.155:                              ;   in Loop: Header=BB30_6 Depth=1
	v_dual_mov_b32 v16, 1 :: v_dual_mov_b32 v4, 1
	s_xor_b32 s31, s30, -1
	s_mov_b32 s44, 0
	s_and_saveexec_b32 s30, s31
	s_cbranch_execz .LBB30_164
; %bb.156:                              ;   in Loop: Header=BB30_6 Depth=1
	s_mov_b32 s31, exec_lo
	v_cmpx_ge_u32_e64 s20, v35
	s_xor_b32 s31, exec_lo, s31
	s_cbranch_execz .LBB30_161
; %bb.157:                              ;   in Loop: Header=BB30_6 Depth=1
	ds_load_b32 v2, v13 offset:4096
	s_lshl_b32 s33, 1, s76
	v_or_b32_e32 v12, s18, v12
	v_and_or_b32 v5, v5, s19, s33
	s_wait_dscnt 0x0
	v_cmp_ne_u32_e32 vcc_lo, 0, v2
	s_cbranch_vccnz .LBB30_161
; %bb.158:                              ;   in Loop: Header=BB30_6 Depth=1
	s_and_saveexec_b32 s33, s5
; %bb.159:                              ;   in Loop: Header=BB30_6 Depth=1
	v_mov_b32_e32 v2, s20
	ds_store_b32 v13, v2 offset:4100
; %bb.160:                              ;   in Loop: Header=BB30_6 Depth=1
	s_or_b32 exec_lo, exec_lo, s33
	s_wait_dscnt 0x0
	s_barrier_signal -1
	s_barrier_wait -1
.LBB30_161:                             ;   in Loop: Header=BB30_6 Depth=1
	s_or_saveexec_b32 s31, s31
	v_mov_b32_e32 v4, 8
	s_mov_b32 s33, 0
	s_xor_b32 exec_lo, exec_lo, s31
; %bb.162:                              ;   in Loop: Header=BB30_6 Depth=1
	v_subrev_nc_u32_e32 v35, s20, v35
	v_mov_b32_e32 v4, 0
	s_mov_b32 s33, exec_lo
; %bb.163:                              ;   in Loop: Header=BB30_6 Depth=1
	s_or_b32 exec_lo, exec_lo, s31
	s_delay_alu instid0(VALU_DEP_2)
	v_mov_b32_e32 v16, v35
	s_and_b32 s44, s33, exec_lo
.LBB30_164:                             ;   in Loop: Header=BB30_6 Depth=1
	s_or_b32 exec_lo, exec_lo, s30
	s_mov_b32 s34, -1
                                        ; implicit-def: $sgpr31
                                        ; implicit-def: $sgpr33
	s_and_saveexec_b32 s30, s44
	s_cbranch_execz .LBB30_242
; %bb.165:                              ;   in Loop: Header=BB30_6 Depth=1
	v_cmp_eq_u32_e32 vcc_lo, 1, v16
	s_cmp_eq_u32 s21, 1
	s_mov_b32 s44, -1
	s_cselect_b32 s31, -1, 0
                                        ; implicit-def: $sgpr33
	s_delay_alu instid0(SALU_CYCLE_1) | instskip(NEXT) | instid1(SALU_CYCLE_1)
	s_and_b32 s89, s31, vcc_lo
                                        ; implicit-def: $sgpr31
	s_and_saveexec_b32 s34, s89
	s_cbranch_execz .LBB30_191
; %bb.166:                              ;   in Loop: Header=BB30_6 Depth=1
	ds_load_b32 v2, v13 offset:4096
	s_wait_dscnt 0x0
	s_barrier_signal -1
	s_barrier_wait -1
	v_readfirstlane_b32 s90, v2
	s_and_saveexec_b32 s31, s6
; %bb.167:                              ;   in Loop: Header=BB30_6 Depth=1
	ds_store_b32 v11, v13
; %bb.168:                              ;   in Loop: Header=BB30_6 Depth=1
	s_or_b32 exec_lo, exec_lo, s31
	s_lshl_b32 s31, 2, s76
	v_or_b32_e32 v12, s18, v12
	v_and_or_b32 v5, v5, s19, s31
	s_mov_b32 s31, -1
	s_mov_b32 s33, 0
	s_cmp_eq_u32 s90, 0
	s_mov_b32 s44, 0
	s_mov_b32 s91, -1
	s_wait_dscnt 0x0
	s_barrier_signal -1
	s_barrier_wait -1
                                        ; implicit-def: $vgpr3
	s_cbranch_scc1 .LBB30_179
; %bb.169:                              ;   in Loop: Header=BB30_6 Depth=1
	s_add_co_i32 s44, s90, s62
                                        ; implicit-def: $vgpr3
	s_delay_alu instid0(SALU_CYCLE_1) | instskip(NEXT) | instid1(SALU_CYCLE_1)
	s_mul_u64 s[92:93], s[44:45], s[48:49]
	s_mul_i32 s91, s93, s35
	s_delay_alu instid0(SALU_CYCLE_1) | instskip(NEXT) | instid1(SALU_CYCLE_1)
	s_sub_co_i32 s91, s44, s91
	s_sub_co_i32 s92, s91, s35
	s_cmp_ge_u32 s91, s35
	s_cselect_b32 s91, s92, s91
	s_delay_alu instid0(SALU_CYCLE_1)
	s_sub_co_i32 s92, s91, s35
	s_cmp_ge_u32 s91, s35
	s_cselect_b32 s91, s92, s91
	s_mov_b32 s92, exec_lo
	s_sub_co_i32 s93, s44, s91
	s_mov_b32 s91, 0
	s_mov_b32 s44, 0
	v_cmpx_gt_u32_e64 s93, v0
	s_cbranch_execz .LBB30_178
; %bb.170:                              ;   in Loop: Header=BB30_6 Depth=1
	v_dual_mov_b32 v35, v7 :: v_dual_mov_b32 v36, v0
                                        ; implicit-def: $sgpr94
	s_branch .LBB30_173
.LBB30_171:                             ;   in Loop: Header=BB30_173 Depth=2
	s_or_b32 exec_lo, exec_lo, s95
	s_wait_dscnt 0x0
	s_barrier_signal -1
	s_barrier_wait -1
	ds_load_b64 v[2:3], v13 offset:3072
	s_mov_b32 s95, -1
	s_mov_b32 s96, -1
	s_wait_dscnt 0x0
	s_barrier_signal -1
	s_barrier_wait -1
	v_cmp_ne_u32_e32 vcc_lo, 0, v2
	s_cbranch_vccz .LBB30_176
.LBB30_172:                             ;   in Loop: Header=BB30_173 Depth=2
	s_and_b32 s95, exec_lo, s95
	s_delay_alu instid0(SALU_CYCLE_1) | instskip(SKIP_2) | instid1(SALU_CYCLE_1)
	s_or_b32 s44, s95, s44
	s_and_not1_b32 s94, s94, exec_lo
	s_and_b32 s95, s96, exec_lo
	s_or_b32 s94, s94, s95
	s_and_not1_b32 exec_lo, exec_lo, s44
	s_cbranch_execz .LBB30_177
.LBB30_173:                             ;   Parent Loop BB30_6 Depth=1
                                        ; =>  This Inner Loop Header: Depth=2
	s_mov_b32 s95, exec_lo
	s_delay_alu instid0(VALU_DEP_1)
	v_cmpx_gt_u32_e64 s90, v36
	s_cbranch_execz .LBB30_171
; %bb.174:                              ;   in Loop: Header=BB30_173 Depth=2
	ds_load_b32 v19, v35
	s_wait_dscnt 0x0
	v_bitop3_b32 v2, v19, v12, 0x80000000 bitop3:0x48
	s_delay_alu instid0(VALU_DEP_1)
	v_cmp_eq_u32_e32 vcc_lo, v2, v5
	s_and_b32 exec_lo, exec_lo, vcc_lo
	s_cbranch_execz .LBB30_171
; %bb.175:                              ;   in Loop: Header=BB30_173 Depth=2
	ds_store_b64 v13, v[18:19] offset:3072
	s_branch .LBB30_171
.LBB30_176:                             ;   in Loop: Header=BB30_173 Depth=2
	v_dual_add_nc_u32 v36, s35, v36 :: v_dual_add_nc_u32 v35, s58, v35
	s_mov_b32 s96, 0
	s_delay_alu instid0(VALU_DEP_1)
	v_cmp_le_u32_e32 vcc_lo, s93, v36
	s_or_not1_b32 s95, vcc_lo, exec_lo
	s_branch .LBB30_172
.LBB30_177:                             ;   in Loop: Header=BB30_6 Depth=1
	s_or_b32 exec_lo, exec_lo, s44
	s_delay_alu instid0(SALU_CYCLE_1)
	s_and_b32 s44, s94, exec_lo
.LBB30_178:                             ;   in Loop: Header=BB30_6 Depth=1
	s_or_b32 exec_lo, exec_lo, s92
.LBB30_179:                             ;   in Loop: Header=BB30_6 Depth=1
	s_delay_alu instid0(SALU_CYCLE_1)
	s_and_b32 vcc_lo, exec_lo, s91
	s_cbranch_vccz .LBB30_190
; %bb.180:                              ;   in Loop: Header=BB30_6 Depth=1
                                        ; implicit-def: $vgpr3
	s_and_saveexec_b32 s31, s13
	s_cbranch_execz .LBB30_189
; %bb.181:                              ;   in Loop: Header=BB30_6 Depth=1
	v_dual_mov_b32 v35, v10 :: v_dual_mov_b32 v36, v0
	s_mov_b32 s33, 0
                                        ; implicit-def: $sgpr90
	s_branch .LBB30_184
.LBB30_182:                             ;   in Loop: Header=BB30_184 Depth=2
	s_or_b32 exec_lo, exec_lo, s91
	s_wait_dscnt 0x0
	s_barrier_signal -1
	s_barrier_wait -1
	ds_load_b64 v[2:3], v13 offset:3072
	s_mov_b32 s91, -1
	s_mov_b32 s92, -1
	s_wait_dscnt 0x0
	s_barrier_signal -1
	s_barrier_wait -1
	v_cmp_eq_u32_e32 vcc_lo, 0, v2
	s_cbranch_vccnz .LBB30_187
.LBB30_183:                             ;   in Loop: Header=BB30_184 Depth=2
	s_and_b32 s91, exec_lo, s91
	s_delay_alu instid0(SALU_CYCLE_1) | instskip(SKIP_2) | instid1(SALU_CYCLE_1)
	s_or_b32 s33, s91, s33
	s_and_not1_b32 s90, s90, exec_lo
	s_and_b32 s91, s92, exec_lo
	s_or_b32 s90, s90, s91
	s_and_not1_b32 exec_lo, exec_lo, s33
	s_cbranch_execz .LBB30_188
.LBB30_184:                             ;   Parent Loop BB30_6 Depth=1
                                        ; =>  This Inner Loop Header: Depth=2
	s_mov_b32 s91, exec_lo
	s_delay_alu instid0(VALU_DEP_1)
	v_cmpx_gt_u32_e64 s36, v36
	s_cbranch_execz .LBB30_182
; %bb.185:                              ;   in Loop: Header=BB30_184 Depth=2
	global_load_b32 v19, v35, s[38:39] scale_offset
	s_wait_loadcnt 0x0
	v_bitop3_b32 v2, v19, v12, 0x80000000 bitop3:0x48
	s_delay_alu instid0(VALU_DEP_1)
	v_cmp_eq_u32_e32 vcc_lo, v2, v5
	s_and_b32 exec_lo, exec_lo, vcc_lo
	s_cbranch_execz .LBB30_182
; %bb.186:                              ;   in Loop: Header=BB30_184 Depth=2
	ds_store_b64 v13, v[18:19] offset:3072
	s_branch .LBB30_182
.LBB30_187:                             ;   in Loop: Header=BB30_184 Depth=2
	v_dual_add_nc_u32 v36, s35, v36 :: v_dual_add_nc_u32 v35, s53, v35
	s_mov_b32 s92, 0
	s_delay_alu instid0(VALU_DEP_1)
	v_cmp_le_u32_e32 vcc_lo, s73, v36
	s_or_not1_b32 s91, vcc_lo, exec_lo
	s_branch .LBB30_183
.LBB30_188:                             ;   in Loop: Header=BB30_6 Depth=1
	s_or_b32 exec_lo, exec_lo, s33
	s_delay_alu instid0(SALU_CYCLE_1) | instskip(SKIP_1) | instid1(SALU_CYCLE_1)
	s_and_not1_b32 s33, s44, exec_lo
	s_and_b32 s44, s90, exec_lo
	s_or_b32 s44, s33, s44
.LBB30_189:                             ;   in Loop: Header=BB30_6 Depth=1
	s_or_b32 exec_lo, exec_lo, s31
	s_mov_b32 s31, 0
	s_mov_b32 s33, -1
.LBB30_190:                             ;   in Loop: Header=BB30_6 Depth=1
	s_or_not1_b32 s44, s44, exec_lo
.LBB30_191:                             ;   in Loop: Header=BB30_6 Depth=1
	s_or_b32 exec_lo, exec_lo, s34
	s_mov_b32 s90, 0
	s_and_saveexec_b32 s34, s44
	s_cbranch_execz .LBB30_241
; %bb.192:                              ;   in Loop: Header=BB30_6 Depth=1
	v_dual_mov_b32 v35, 1 :: v_dual_mov_b32 v4, 1
	s_xor_b32 s89, s89, -1
	s_mov_b32 s91, 0
	s_and_saveexec_b32 s44, s89
	s_cbranch_execz .LBB30_201
; %bb.193:                              ;   in Loop: Header=BB30_6 Depth=1
	s_mov_b32 s89, exec_lo
	v_cmpx_ge_u32_e64 s21, v16
	s_xor_b32 s89, exec_lo, s89
	s_cbranch_execz .LBB30_198
; %bb.194:                              ;   in Loop: Header=BB30_6 Depth=1
	ds_load_b32 v2, v13 offset:4096
	s_lshl_b32 s90, 2, s76
	v_or_b32_e32 v12, s18, v12
	v_and_or_b32 v5, v5, s19, s90
	s_wait_dscnt 0x0
	v_cmp_ne_u32_e32 vcc_lo, 0, v2
	s_cbranch_vccnz .LBB30_198
; %bb.195:                              ;   in Loop: Header=BB30_6 Depth=1
	s_and_saveexec_b32 s90, s5
; %bb.196:                              ;   in Loop: Header=BB30_6 Depth=1
	v_mov_b32_e32 v2, s21
	ds_store_b32 v13, v2 offset:4100
; %bb.197:                              ;   in Loop: Header=BB30_6 Depth=1
	s_or_b32 exec_lo, exec_lo, s90
	s_wait_dscnt 0x0
	s_barrier_signal -1
	s_barrier_wait -1
.LBB30_198:                             ;   in Loop: Header=BB30_6 Depth=1
	s_or_saveexec_b32 s89, s89
	v_mov_b32_e32 v4, 8
	s_mov_b32 s90, 0
	s_xor_b32 exec_lo, exec_lo, s89
; %bb.199:                              ;   in Loop: Header=BB30_6 Depth=1
	v_subrev_nc_u32_e32 v16, s21, v16
	v_mov_b32_e32 v4, 0
	s_mov_b32 s90, exec_lo
; %bb.200:                              ;   in Loop: Header=BB30_6 Depth=1
	s_or_b32 exec_lo, exec_lo, s89
	s_delay_alu instid0(VALU_DEP_2)
	v_mov_b32_e32 v35, v16
	s_and_b32 s91, s90, exec_lo
.LBB30_201:                             ;   in Loop: Header=BB30_6 Depth=1
	s_or_b32 exec_lo, exec_lo, s44
	s_mov_b32 s44, -1
                                        ; implicit-def: $sgpr92
                                        ; implicit-def: $sgpr90
	s_and_saveexec_b32 s89, s91
	s_cbranch_execz .LBB30_240
; %bb.202:                              ;   in Loop: Header=BB30_6 Depth=1
	v_cmp_eq_u32_e32 vcc_lo, 1, v35
	s_cmp_eq_u32 s22, 1
	s_mov_b32 s94, -1
	s_cselect_b32 s44, -1, 0
                                        ; implicit-def: $sgpr92
                                        ; implicit-def: $sgpr90
	s_delay_alu instid0(SALU_CYCLE_1) | instskip(NEXT) | instid1(SALU_CYCLE_1)
	s_and_b32 s91, s44, vcc_lo
	s_and_saveexec_b32 s93, s91
	s_cbranch_execz .LBB30_228
; %bb.203:                              ;   in Loop: Header=BB30_6 Depth=1
	ds_load_b32 v2, v13 offset:4096
	s_wait_dscnt 0x0
	s_barrier_signal -1
	s_barrier_wait -1
	v_readfirstlane_b32 s94, v2
	s_and_saveexec_b32 s44, s6
; %bb.204:                              ;   in Loop: Header=BB30_6 Depth=1
	ds_store_b32 v11, v13
; %bb.205:                              ;   in Loop: Header=BB30_6 Depth=1
	s_or_b32 exec_lo, exec_lo, s44
	v_or_b32_e32 v5, s18, v5
	v_or_b32_e32 v12, s18, v12
	s_mov_b32 s90, -1
	s_mov_b32 s92, 0
	s_cmp_eq_u32 s94, 0
	s_mov_b32 s44, 0
	s_mov_b32 s95, -1
	s_wait_dscnt 0x0
	s_barrier_signal -1
	s_barrier_wait -1
                                        ; implicit-def: $vgpr3
	s_cbranch_scc1 .LBB30_216
; %bb.206:                              ;   in Loop: Header=BB30_6 Depth=1
	s_add_co_i32 s44, s94, s62
                                        ; implicit-def: $vgpr3
	s_delay_alu instid0(SALU_CYCLE_1) | instskip(NEXT) | instid1(SALU_CYCLE_1)
	s_mul_u64 s[96:97], s[44:45], s[48:49]
	s_mul_i32 s95, s97, s35
	s_delay_alu instid0(SALU_CYCLE_1) | instskip(NEXT) | instid1(SALU_CYCLE_1)
	s_sub_co_i32 s95, s44, s95
	s_sub_co_i32 s96, s95, s35
	s_cmp_ge_u32 s95, s35
	s_cselect_b32 s95, s96, s95
	s_delay_alu instid0(SALU_CYCLE_1)
	s_sub_co_i32 s96, s95, s35
	s_cmp_ge_u32 s95, s35
	s_cselect_b32 s95, s96, s95
	s_mov_b32 s96, exec_lo
	s_sub_co_i32 s97, s44, s95
	s_mov_b32 s95, 0
	s_mov_b32 s44, 0
	v_cmpx_gt_u32_e64 s97, v0
	s_cbranch_execz .LBB30_215
; %bb.207:                              ;   in Loop: Header=BB30_6 Depth=1
	v_dual_mov_b32 v16, v7 :: v_dual_mov_b32 v36, v0
                                        ; implicit-def: $sgpr98
	s_branch .LBB30_210
.LBB30_208:                             ;   in Loop: Header=BB30_210 Depth=2
	s_or_b32 exec_lo, exec_lo, s99
	s_wait_dscnt 0x0
	s_barrier_signal -1
	s_barrier_wait -1
	ds_load_b64 v[2:3], v13 offset:3072
	s_mov_b32 s99, -1
	s_mov_b32 s100, -1
	s_wait_dscnt 0x0
	s_barrier_signal -1
	s_barrier_wait -1
	v_cmp_ne_u32_e32 vcc_lo, 0, v2
	s_cbranch_vccz .LBB30_213
.LBB30_209:                             ;   in Loop: Header=BB30_210 Depth=2
	s_and_b32 s99, exec_lo, s99
	s_delay_alu instid0(SALU_CYCLE_1) | instskip(SKIP_2) | instid1(SALU_CYCLE_1)
	s_or_b32 s44, s99, s44
	s_and_not1_b32 s98, s98, exec_lo
	s_and_b32 s99, s100, exec_lo
	s_or_b32 s98, s98, s99
	s_and_not1_b32 exec_lo, exec_lo, s44
	s_cbranch_execz .LBB30_214
.LBB30_210:                             ;   Parent Loop BB30_6 Depth=1
                                        ; =>  This Inner Loop Header: Depth=2
	s_mov_b32 s99, exec_lo
	s_delay_alu instid0(VALU_DEP_1)
	v_cmpx_gt_u32_e64 s94, v36
	s_cbranch_execz .LBB30_208
; %bb.211:                              ;   in Loop: Header=BB30_210 Depth=2
	ds_load_b32 v19, v16
	s_wait_dscnt 0x0
	v_bitop3_b32 v2, v19, v12, 0x80000000 bitop3:0x48
	s_delay_alu instid0(VALU_DEP_1)
	v_cmp_eq_u32_e32 vcc_lo, v2, v5
	s_and_b32 exec_lo, exec_lo, vcc_lo
	s_cbranch_execz .LBB30_208
; %bb.212:                              ;   in Loop: Header=BB30_210 Depth=2
	ds_store_b64 v13, v[18:19] offset:3072
	s_branch .LBB30_208
.LBB30_213:                             ;   in Loop: Header=BB30_210 Depth=2
	v_add_nc_u32_e32 v36, s35, v36
	v_add_nc_u32_e32 v16, s58, v16
	s_mov_b32 s100, 0
	s_delay_alu instid0(VALU_DEP_2)
	v_cmp_le_u32_e32 vcc_lo, s97, v36
	s_or_not1_b32 s99, vcc_lo, exec_lo
	s_branch .LBB30_209
.LBB30_214:                             ;   in Loop: Header=BB30_6 Depth=1
	s_or_b32 exec_lo, exec_lo, s44
	s_delay_alu instid0(SALU_CYCLE_1)
	s_and_b32 s44, s98, exec_lo
.LBB30_215:                             ;   in Loop: Header=BB30_6 Depth=1
	s_or_b32 exec_lo, exec_lo, s96
.LBB30_216:                             ;   in Loop: Header=BB30_6 Depth=1
	s_delay_alu instid0(SALU_CYCLE_1)
	s_and_b32 vcc_lo, exec_lo, s95
	s_cbranch_vccz .LBB30_227
; %bb.217:                              ;   in Loop: Header=BB30_6 Depth=1
                                        ; implicit-def: $vgpr3
	s_and_saveexec_b32 s90, s13
	s_cbranch_execz .LBB30_226
; %bb.218:                              ;   in Loop: Header=BB30_6 Depth=1
	v_dual_mov_b32 v16, v10 :: v_dual_mov_b32 v36, v0
	s_mov_b32 s92, 0
                                        ; implicit-def: $sgpr94
	s_branch .LBB30_221
.LBB30_219:                             ;   in Loop: Header=BB30_221 Depth=2
	s_or_b32 exec_lo, exec_lo, s95
	s_wait_dscnt 0x0
	s_barrier_signal -1
	s_barrier_wait -1
	ds_load_b64 v[2:3], v13 offset:3072
	s_mov_b32 s95, -1
	s_mov_b32 s96, -1
	s_wait_dscnt 0x0
	s_barrier_signal -1
	s_barrier_wait -1
	v_cmp_eq_u32_e32 vcc_lo, 0, v2
	s_cbranch_vccnz .LBB30_224
.LBB30_220:                             ;   in Loop: Header=BB30_221 Depth=2
	s_and_b32 s95, exec_lo, s95
	s_delay_alu instid0(SALU_CYCLE_1) | instskip(SKIP_2) | instid1(SALU_CYCLE_1)
	s_or_b32 s92, s95, s92
	s_and_not1_b32 s94, s94, exec_lo
	s_and_b32 s95, s96, exec_lo
	s_or_b32 s94, s94, s95
	s_and_not1_b32 exec_lo, exec_lo, s92
	s_cbranch_execz .LBB30_225
.LBB30_221:                             ;   Parent Loop BB30_6 Depth=1
                                        ; =>  This Inner Loop Header: Depth=2
	s_mov_b32 s95, exec_lo
	s_delay_alu instid0(VALU_DEP_1)
	v_cmpx_gt_u32_e64 s36, v36
	s_cbranch_execz .LBB30_219
; %bb.222:                              ;   in Loop: Header=BB30_221 Depth=2
	global_load_b32 v19, v16, s[38:39] scale_offset
	s_wait_loadcnt 0x0
	v_bitop3_b32 v2, v19, v12, 0x80000000 bitop3:0x48
	s_delay_alu instid0(VALU_DEP_1)
	v_cmp_eq_u32_e32 vcc_lo, v2, v5
	s_and_b32 exec_lo, exec_lo, vcc_lo
	s_cbranch_execz .LBB30_219
; %bb.223:                              ;   in Loop: Header=BB30_221 Depth=2
	ds_store_b64 v13, v[18:19] offset:3072
	s_branch .LBB30_219
.LBB30_224:                             ;   in Loop: Header=BB30_221 Depth=2
	v_add_nc_u32_e32 v36, s35, v36
	v_add_nc_u32_e32 v16, s53, v16
	s_mov_b32 s96, 0
	s_delay_alu instid0(VALU_DEP_2)
	v_cmp_le_u32_e32 vcc_lo, s73, v36
	s_or_not1_b32 s95, vcc_lo, exec_lo
	s_branch .LBB30_220
.LBB30_225:                             ;   in Loop: Header=BB30_6 Depth=1
	s_or_b32 exec_lo, exec_lo, s92
	s_delay_alu instid0(SALU_CYCLE_1) | instskip(SKIP_1) | instid1(SALU_CYCLE_1)
	s_and_not1_b32 s44, s44, exec_lo
	s_and_b32 s92, s94, exec_lo
	s_or_b32 s44, s44, s92
.LBB30_226:                             ;   in Loop: Header=BB30_6 Depth=1
	s_or_b32 exec_lo, exec_lo, s90
	s_mov_b32 s90, 0
	s_mov_b32 s92, -1
.LBB30_227:                             ;   in Loop: Header=BB30_6 Depth=1
	s_or_not1_b32 s94, s44, exec_lo
.LBB30_228:                             ;   in Loop: Header=BB30_6 Depth=1
	s_or_b32 exec_lo, exec_lo, s93
	s_mov_b32 s93, 0
	s_and_saveexec_b32 s44, s94
	s_cbranch_execz .LBB30_239
; %bb.229:                              ;   in Loop: Header=BB30_6 Depth=1
	v_dual_mov_b32 v4, 1 :: v_dual_mov_b32 v2, 1
	s_xor_b32 s93, s91, -1
	s_delay_alu instid0(SALU_CYCLE_1)
	s_and_saveexec_b32 s91, s93
	s_cbranch_execz .LBB30_238
; %bb.230:                              ;   in Loop: Header=BB30_6 Depth=1
	s_mov_b32 s93, exec_lo
	v_cmpx_ge_u32_e64 s22, v35
	s_xor_b32 s93, exec_lo, s93
	s_cbranch_execz .LBB30_235
; %bb.231:                              ;   in Loop: Header=BB30_6 Depth=1
	ds_load_b32 v2, v13 offset:4096
	v_or_b32_e32 v5, s18, v5
	v_or_b32_e32 v12, s18, v12
	s_wait_dscnt 0x0
	v_cmp_ne_u32_e32 vcc_lo, 0, v2
	s_cbranch_vccnz .LBB30_235
; %bb.232:                              ;   in Loop: Header=BB30_6 Depth=1
	s_and_saveexec_b32 s94, s5
; %bb.233:                              ;   in Loop: Header=BB30_6 Depth=1
	v_mov_b32_e32 v2, s22
	ds_store_b32 v13, v2 offset:4100
; %bb.234:                              ;   in Loop: Header=BB30_6 Depth=1
	s_or_b32 exec_lo, exec_lo, s94
	s_wait_dscnt 0x0
	s_barrier_signal -1
	s_barrier_wait -1
.LBB30_235:                             ;   in Loop: Header=BB30_6 Depth=1
	s_and_not1_saveexec_b32 s93, s93
; %bb.236:                              ;   in Loop: Header=BB30_6 Depth=1
	v_subrev_nc_u32_e32 v35, s22, v35
; %bb.237:                              ;   in Loop: Header=BB30_6 Depth=1
	s_or_b32 exec_lo, exec_lo, s93
	s_delay_alu instid0(VALU_DEP_1)
	v_dual_mov_b32 v4, 8 :: v_dual_mov_b32 v2, v35
.LBB30_238:                             ;   in Loop: Header=BB30_6 Depth=1
	s_or_b32 exec_lo, exec_lo, s91
	s_delay_alu instid0(VALU_DEP_1)
	v_mov_b32_e32 v35, v2
	s_mov_b32 s93, exec_lo
.LBB30_239:                             ;   in Loop: Header=BB30_6 Depth=1
	s_or_b32 exec_lo, exec_lo, s44
	s_delay_alu instid0(SALU_CYCLE_1)
	s_or_not1_b32 s44, s93, exec_lo
.LBB30_240:                             ;   in Loop: Header=BB30_6 Depth=1
	s_or_b32 exec_lo, exec_lo, s89
	v_mov_b32_e32 v16, v35
	s_and_not1_b32 s33, s33, exec_lo
	s_and_b32 s89, s92, exec_lo
	s_and_not1_b32 s31, s31, exec_lo
	s_and_b32 s90, s90, exec_lo
	s_or_b32 s33, s33, s89
	s_or_b32 s31, s31, s90
	s_and_b32 s90, s44, exec_lo
.LBB30_241:                             ;   in Loop: Header=BB30_6 Depth=1
	s_or_b32 exec_lo, exec_lo, s34
	s_delay_alu instid0(SALU_CYCLE_1)
	s_or_not1_b32 s34, s90, exec_lo
.LBB30_242:                             ;   in Loop: Header=BB30_6 Depth=1
	s_or_b32 exec_lo, exec_lo, s30
	v_mov_b32_e32 v35, v16
	s_and_not1_b32 s28, s28, exec_lo
	s_and_b32 s30, s33, exec_lo
	s_and_not1_b32 s23, s23, exec_lo
	s_and_b32 s31, s31, exec_lo
	s_or_b32 s28, s28, s30
	s_or_b32 s23, s23, s31
	s_and_b32 s33, s34, exec_lo
.LBB30_243:                             ;   in Loop: Header=BB30_6 Depth=1
	s_or_b32 exec_lo, exec_lo, s29
	s_delay_alu instid0(SALU_CYCLE_1)
	s_or_not1_b32 s29, s33, exec_lo
.LBB30_244:                             ;   in Loop: Header=BB30_6 Depth=1
	s_or_b32 exec_lo, exec_lo, s15
	s_mov_b32 s30, 0
	s_mov_b32 s31, 0
	s_and_saveexec_b32 s15, s29
	s_delay_alu instid0(SALU_CYCLE_1)
	s_xor_b32 s29, exec_lo, s15
; %bb.245:                              ;   in Loop: Header=BB30_6 Depth=1
	v_cmp_ne_u32_e32 vcc_lo, 8, v4
	v_cmp_eq_u32_e64 s15, 8, v4
	s_and_b32 s31, vcc_lo, exec_lo
	s_and_b32 s30, s15, exec_lo
; %bb.246:                              ;   in Loop: Header=BB30_6 Depth=1
	s_or_b32 exec_lo, exec_lo, s29
	s_delay_alu instid0(SALU_CYCLE_1)
	s_and_not1_b32 s15, s25, exec_lo
	s_and_b32 s25, s28, exec_lo
	s_and_not1_b32 s24, s24, exec_lo
	s_and_b32 s23, s23, exec_lo
	s_or_b32 s25, s15, s25
	s_or_b32 s24, s24, s23
	s_and_b32 s15, s31, exec_lo
	s_and_b32 s23, s30, exec_lo
.LBB30_247:                             ;   in Loop: Header=BB30_6 Depth=1
	s_or_b32 exec_lo, exec_lo, s27
.LBB30_248:                             ;   in Loop: Header=BB30_6 Depth=1
	s_delay_alu instid0(SALU_CYCLE_1)
	s_and_b32 vcc_lo, exec_lo, s26
	s_cbranch_vccz .LBB30_261
; %bb.249:                              ;   in Loop: Header=BB30_6 Depth=1
	s_cmp_eq_u32 s22, 1
	s_mov_b32 s25, -1
	s_cselect_b32 s16, -1, 0
                                        ; implicit-def: $sgpr26
	s_delay_alu instid0(SALU_CYCLE_1) | instskip(NEXT) | instid1(SALU_CYCLE_1)
	s_and_b32 s14, s16, s14
                                        ; implicit-def: $sgpr16
	s_and_saveexec_b32 s24, s14
	s_cbranch_execz .LBB30_276
; %bb.250:                              ;   in Loop: Header=BB30_6 Depth=1
	ds_load_b32 v2, v13 offset:4096
	s_wait_dscnt 0x0
	s_barrier_signal -1
	s_barrier_wait -1
	v_readfirstlane_b32 s27, v2
	s_and_saveexec_b32 s16, s6
; %bb.251:                              ;   in Loop: Header=BB30_6 Depth=1
	ds_store_b32 v11, v13
; %bb.252:                              ;   in Loop: Header=BB30_6 Depth=1
	s_or_b32 exec_lo, exec_lo, s16
	v_or_b32_e32 v25, s18, v25
	v_or_b32_e32 v33, s18, v33
	s_mov_b32 s16, -1
	s_mov_b32 s26, 0
	s_cmp_eq_u32 s27, 0
	s_mov_b32 s25, 0
	s_mov_b32 s28, -1
	s_wait_dscnt 0x0
	s_barrier_signal -1
	s_barrier_wait -1
                                        ; implicit-def: $vgpr17
	s_cbranch_scc1 .LBB30_264
; %bb.253:                              ;   in Loop: Header=BB30_6 Depth=1
	s_add_co_i32 s44, s27, s62
                                        ; implicit-def: $vgpr17
	s_delay_alu instid0(SALU_CYCLE_1) | instskip(NEXT) | instid1(SALU_CYCLE_1)
	s_mul_u64 s[28:29], s[44:45], s[48:49]
	s_mul_i32 s25, s29, s35
	s_mov_b32 s29, exec_lo
	s_sub_co_i32 s25, s44, s25
	s_delay_alu instid0(SALU_CYCLE_1) | instskip(SKIP_2) | instid1(SALU_CYCLE_1)
	s_sub_co_i32 s28, s25, s35
	s_cmp_ge_u32 s25, s35
	s_cselect_b32 s25, s28, s25
	s_sub_co_i32 s28, s25, s35
	s_cmp_ge_u32 s25, s35
	s_cselect_b32 s25, s28, s25
	s_mov_b32 s28, 0
	s_sub_co_i32 s30, s44, s25
	s_mov_b32 s25, 0
	v_cmpx_gt_u32_e64 s30, v0
	s_cbranch_execz .LBB30_263
; %bb.254:                              ;   in Loop: Header=BB30_6 Depth=1
	v_dual_mov_b32 v2, v7 :: v_dual_mov_b32 v3, v0
                                        ; implicit-def: $sgpr31
	s_branch .LBB30_257
.LBB30_255:                             ;   in Loop: Header=BB30_257 Depth=2
	s_or_b32 exec_lo, exec_lo, s33
	s_wait_dscnt 0x0
	s_barrier_signal -1
	s_barrier_wait -1
	ds_load_b64 v[16:17], v13 offset:3072
	s_mov_b32 s33, -1
	s_mov_b32 s34, -1
	s_wait_dscnt 0x0
	s_barrier_signal -1
	s_barrier_wait -1
	v_cmp_ne_u32_e32 vcc_lo, 0, v16
	s_cbranch_vccz .LBB30_260
.LBB30_256:                             ;   in Loop: Header=BB30_257 Depth=2
	s_and_b32 s33, exec_lo, s33
	s_delay_alu instid0(SALU_CYCLE_1) | instskip(SKIP_2) | instid1(SALU_CYCLE_1)
	s_or_b32 s25, s33, s25
	s_and_not1_b32 s31, s31, exec_lo
	s_and_b32 s33, s34, exec_lo
	s_or_b32 s31, s31, s33
	s_and_not1_b32 exec_lo, exec_lo, s25
	s_cbranch_execz .LBB30_262
.LBB30_257:                             ;   Parent Loop BB30_6 Depth=1
                                        ; =>  This Inner Loop Header: Depth=2
	s_mov_b32 s33, exec_lo
	s_delay_alu instid0(VALU_DEP_1)
	v_cmpx_gt_u32_e64 s27, v3
	s_cbranch_execz .LBB30_255
; %bb.258:                              ;   in Loop: Header=BB30_257 Depth=2
	ds_load_b32 v19, v2
	s_wait_dscnt 0x0
	v_bitop3_b32 v4, v19, v33, 0x80000000 bitop3:0x48
	s_delay_alu instid0(VALU_DEP_1)
	v_cmp_eq_u32_e32 vcc_lo, v4, v25
	s_and_b32 exec_lo, exec_lo, vcc_lo
	s_cbranch_execz .LBB30_255
; %bb.259:                              ;   in Loop: Header=BB30_257 Depth=2
	ds_store_b64 v13, v[18:19] offset:3072
	s_branch .LBB30_255
.LBB30_260:                             ;   in Loop: Header=BB30_257 Depth=2
	v_dual_add_nc_u32 v3, s35, v3 :: v_dual_add_nc_u32 v2, s58, v2
	s_mov_b32 s34, 0
	s_delay_alu instid0(VALU_DEP_1)
	v_cmp_le_u32_e32 vcc_lo, s30, v3
	s_or_not1_b32 s33, vcc_lo, exec_lo
	s_branch .LBB30_256
.LBB30_261:                             ;   in Loop: Header=BB30_6 Depth=1
	v_dual_mov_b32 v25, v5 :: v_dual_mov_b32 v33, v12
	v_mov_b32_e32 v17, v3
	s_mov_b32 s26, 0
	s_and_saveexec_b32 s14, s23
	s_cbranch_execnz .LBB30_407
	s_branch .LBB30_408
.LBB30_262:                             ;   in Loop: Header=BB30_6 Depth=1
	s_or_b32 exec_lo, exec_lo, s25
	s_delay_alu instid0(SALU_CYCLE_1)
	s_and_b32 s25, s31, exec_lo
.LBB30_263:                             ;   in Loop: Header=BB30_6 Depth=1
	s_or_b32 exec_lo, exec_lo, s29
.LBB30_264:                             ;   in Loop: Header=BB30_6 Depth=1
	s_delay_alu instid0(SALU_CYCLE_1)
	s_and_b32 vcc_lo, exec_lo, s28
	s_cbranch_vccz .LBB30_275
; %bb.265:                              ;   in Loop: Header=BB30_6 Depth=1
                                        ; implicit-def: $vgpr17
	s_and_saveexec_b32 s16, s13
	s_cbranch_execz .LBB30_274
; %bb.266:                              ;   in Loop: Header=BB30_6 Depth=1
	v_dual_mov_b32 v2, v10 :: v_dual_mov_b32 v3, v0
	s_mov_b32 s26, 0
                                        ; implicit-def: $sgpr27
	s_branch .LBB30_269
.LBB30_267:                             ;   in Loop: Header=BB30_269 Depth=2
	s_or_b32 exec_lo, exec_lo, s28
	s_wait_dscnt 0x0
	s_barrier_signal -1
	s_barrier_wait -1
	ds_load_b64 v[16:17], v13 offset:3072
	s_mov_b32 s28, -1
	s_mov_b32 s29, -1
	s_wait_dscnt 0x0
	s_barrier_signal -1
	s_barrier_wait -1
	v_cmp_ne_u32_e32 vcc_lo, 0, v16
	s_cbranch_vccz .LBB30_272
.LBB30_268:                             ;   in Loop: Header=BB30_269 Depth=2
	s_and_b32 s28, exec_lo, s28
	s_delay_alu instid0(SALU_CYCLE_1) | instskip(SKIP_2) | instid1(SALU_CYCLE_1)
	s_or_b32 s26, s28, s26
	s_and_not1_b32 s27, s27, exec_lo
	s_and_b32 s28, s29, exec_lo
	s_or_b32 s27, s27, s28
	s_and_not1_b32 exec_lo, exec_lo, s26
	s_cbranch_execz .LBB30_273
.LBB30_269:                             ;   Parent Loop BB30_6 Depth=1
                                        ; =>  This Inner Loop Header: Depth=2
	s_mov_b32 s28, exec_lo
	s_delay_alu instid0(VALU_DEP_1)
	v_cmpx_gt_u32_e64 s36, v3
	s_cbranch_execz .LBB30_267
; %bb.270:                              ;   in Loop: Header=BB30_269 Depth=2
	global_load_b32 v19, v2, s[38:39] scale_offset
	s_wait_loadcnt 0x0
	v_bitop3_b32 v4, v19, v33, 0x80000000 bitop3:0x48
	s_delay_alu instid0(VALU_DEP_1)
	v_cmp_eq_u32_e32 vcc_lo, v4, v25
	s_and_b32 exec_lo, exec_lo, vcc_lo
	s_cbranch_execz .LBB30_267
; %bb.271:                              ;   in Loop: Header=BB30_269 Depth=2
	ds_store_b64 v13, v[18:19] offset:3072
	s_branch .LBB30_267
.LBB30_272:                             ;   in Loop: Header=BB30_269 Depth=2
	v_dual_add_nc_u32 v3, s35, v3 :: v_dual_add_nc_u32 v2, s53, v2
	s_mov_b32 s29, 0
	s_delay_alu instid0(VALU_DEP_1)
	v_cmp_le_u32_e32 vcc_lo, s73, v3
	s_or_not1_b32 s28, vcc_lo, exec_lo
	s_branch .LBB30_268
.LBB30_273:                             ;   in Loop: Header=BB30_6 Depth=1
	s_or_b32 exec_lo, exec_lo, s26
	s_delay_alu instid0(SALU_CYCLE_1) | instskip(SKIP_1) | instid1(SALU_CYCLE_1)
	s_and_not1_b32 s25, s25, exec_lo
	s_and_b32 s26, s27, exec_lo
	s_or_b32 s25, s25, s26
.LBB30_274:                             ;   in Loop: Header=BB30_6 Depth=1
	s_or_b32 exec_lo, exec_lo, s16
	s_mov_b32 s16, 0
	s_mov_b32 s26, -1
.LBB30_275:                             ;   in Loop: Header=BB30_6 Depth=1
	s_or_not1_b32 s25, s25, exec_lo
.LBB30_276:                             ;   in Loop: Header=BB30_6 Depth=1
	s_or_b32 exec_lo, exec_lo, s24
                                        ; implicit-def: $vgpr35
                                        ; implicit-def: $vgpr4
	s_and_saveexec_b32 s24, s25
	s_cbranch_execz .LBB30_406
; %bb.277:                              ;   in Loop: Header=BB30_6 Depth=1
	v_dual_mov_b32 v35, 1 :: v_dual_mov_b32 v4, 1
	s_xor_b32 s25, s14, -1
	s_mov_b32 s28, 0
	s_and_saveexec_b32 s14, s25
	s_cbranch_execz .LBB30_286
; %bb.278:                              ;   in Loop: Header=BB30_6 Depth=1
	s_mov_b32 s25, exec_lo
	v_cmpx_ge_u32_e64 s22, v34
	s_xor_b32 s25, exec_lo, s25
	s_cbranch_execz .LBB30_283
; %bb.279:                              ;   in Loop: Header=BB30_6 Depth=1
	ds_load_b32 v2, v13 offset:4096
	v_or_b32_e32 v25, s18, v25
	v_or_b32_e32 v33, s18, v33
	s_wait_dscnt 0x0
	v_cmp_ne_u32_e32 vcc_lo, 0, v2
	s_cbranch_vccnz .LBB30_283
; %bb.280:                              ;   in Loop: Header=BB30_6 Depth=1
	s_and_saveexec_b32 s27, s5
; %bb.281:                              ;   in Loop: Header=BB30_6 Depth=1
	v_mov_b32_e32 v2, s22
	ds_store_b32 v13, v2 offset:4100
; %bb.282:                              ;   in Loop: Header=BB30_6 Depth=1
	s_or_b32 exec_lo, exec_lo, s27
	s_wait_dscnt 0x0
	s_barrier_signal -1
	s_barrier_wait -1
.LBB30_283:                             ;   in Loop: Header=BB30_6 Depth=1
	s_or_saveexec_b32 s25, s25
	v_mov_b32_e32 v4, 5
	s_mov_b32 s27, 0
	s_xor_b32 exec_lo, exec_lo, s25
; %bb.284:                              ;   in Loop: Header=BB30_6 Depth=1
	v_subrev_nc_u32_e32 v34, s22, v34
	v_mov_b32_e32 v4, 0
	s_mov_b32 s27, exec_lo
; %bb.285:                              ;   in Loop: Header=BB30_6 Depth=1
	s_or_b32 exec_lo, exec_lo, s25
	s_delay_alu instid0(VALU_DEP_2)
	v_mov_b32_e32 v35, v34
	s_and_b32 s28, s27, exec_lo
.LBB30_286:                             ;   in Loop: Header=BB30_6 Depth=1
	s_or_b32 exec_lo, exec_lo, s14
	s_mov_b32 s27, -1
                                        ; implicit-def: $sgpr22
                                        ; implicit-def: $sgpr25
	s_and_saveexec_b32 s14, s28
	s_delay_alu instid0(SALU_CYCLE_1)
	s_xor_b32 s14, exec_lo, s14
	s_cbranch_execz .LBB30_403
; %bb.287:                              ;   in Loop: Header=BB30_6 Depth=1
	v_cmp_eq_u32_e32 vcc_lo, 1, v35
	s_cmp_eq_u32 s21, 1
	s_mov_b32 s29, -1
	s_cselect_b32 s22, -1, 0
                                        ; implicit-def: $sgpr25
	s_delay_alu instid0(SALU_CYCLE_1) | instskip(NEXT) | instid1(SALU_CYCLE_1)
	s_and_b32 s28, s22, vcc_lo
                                        ; implicit-def: $sgpr22
	s_and_saveexec_b32 s27, s28
	s_cbranch_execz .LBB30_313
; %bb.288:                              ;   in Loop: Header=BB30_6 Depth=1
	ds_load_b32 v2, v13 offset:4096
	s_wait_dscnt 0x0
	s_barrier_signal -1
	s_barrier_wait -1
	v_readfirstlane_b32 s30, v2
	s_and_saveexec_b32 s22, s6
; %bb.289:                              ;   in Loop: Header=BB30_6 Depth=1
	ds_store_b32 v11, v13
; %bb.290:                              ;   in Loop: Header=BB30_6 Depth=1
	s_or_b32 exec_lo, exec_lo, s22
	s_lshl_b32 s22, 2, s76
	v_or_b32_e32 v33, s18, v33
	v_and_or_b32 v25, v25, s19, s22
	s_mov_b32 s22, -1
	s_mov_b32 s25, 0
	s_cmp_eq_u32 s30, 0
	s_mov_b32 s29, 0
	s_mov_b32 s31, -1
	s_wait_dscnt 0x0
	s_barrier_signal -1
	s_barrier_wait -1
                                        ; implicit-def: $vgpr17
	s_cbranch_scc1 .LBB30_301
; %bb.291:                              ;   in Loop: Header=BB30_6 Depth=1
	s_add_co_i32 s44, s30, s62
	s_mov_b32 s33, exec_lo
	s_mul_u64 s[90:91], s[44:45], s[48:49]
                                        ; implicit-def: $vgpr17
	s_delay_alu instid0(SALU_CYCLE_1) | instskip(NEXT) | instid1(SALU_CYCLE_1)
	s_mul_i32 s29, s91, s35
	s_sub_co_i32 s29, s44, s29
	s_delay_alu instid0(SALU_CYCLE_1) | instskip(SKIP_2) | instid1(SALU_CYCLE_1)
	s_sub_co_i32 s31, s29, s35
	s_cmp_ge_u32 s29, s35
	s_cselect_b32 s29, s31, s29
	s_sub_co_i32 s31, s29, s35
	s_cmp_ge_u32 s29, s35
	s_cselect_b32 s29, s31, s29
	s_mov_b32 s31, 0
	s_sub_co_i32 s34, s44, s29
	s_mov_b32 s29, 0
	v_cmpx_gt_u32_e64 s34, v0
	s_cbranch_execz .LBB30_300
; %bb.292:                              ;   in Loop: Header=BB30_6 Depth=1
	v_dual_mov_b32 v2, v7 :: v_dual_mov_b32 v3, v0
                                        ; implicit-def: $sgpr44
	s_branch .LBB30_295
.LBB30_293:                             ;   in Loop: Header=BB30_295 Depth=2
	s_or_b32 exec_lo, exec_lo, s89
	s_wait_dscnt 0x0
	s_barrier_signal -1
	s_barrier_wait -1
	ds_load_b64 v[16:17], v13 offset:3072
	s_mov_b32 s89, -1
	s_mov_b32 s90, -1
	s_wait_dscnt 0x0
	s_barrier_signal -1
	s_barrier_wait -1
	v_cmp_ne_u32_e32 vcc_lo, 0, v16
	s_cbranch_vccz .LBB30_298
.LBB30_294:                             ;   in Loop: Header=BB30_295 Depth=2
	s_and_b32 s89, exec_lo, s89
	s_delay_alu instid0(SALU_CYCLE_1) | instskip(SKIP_2) | instid1(SALU_CYCLE_1)
	s_or_b32 s29, s89, s29
	s_and_not1_b32 s44, s44, exec_lo
	s_and_b32 s89, s90, exec_lo
	s_or_b32 s44, s44, s89
	s_and_not1_b32 exec_lo, exec_lo, s29
	s_cbranch_execz .LBB30_299
.LBB30_295:                             ;   Parent Loop BB30_6 Depth=1
                                        ; =>  This Inner Loop Header: Depth=2
	s_mov_b32 s89, exec_lo
	s_delay_alu instid0(VALU_DEP_1)
	v_cmpx_gt_u32_e64 s30, v3
	s_cbranch_execz .LBB30_293
; %bb.296:                              ;   in Loop: Header=BB30_295 Depth=2
	ds_load_b32 v19, v2
	s_wait_dscnt 0x0
	v_bitop3_b32 v5, v19, v33, 0x80000000 bitop3:0x48
	s_delay_alu instid0(VALU_DEP_1)
	v_cmp_eq_u32_e32 vcc_lo, v5, v25
	s_and_b32 exec_lo, exec_lo, vcc_lo
	s_cbranch_execz .LBB30_293
; %bb.297:                              ;   in Loop: Header=BB30_295 Depth=2
	ds_store_b64 v13, v[18:19] offset:3072
	s_branch .LBB30_293
.LBB30_298:                             ;   in Loop: Header=BB30_295 Depth=2
	v_dual_add_nc_u32 v3, s35, v3 :: v_dual_add_nc_u32 v2, s58, v2
	s_mov_b32 s90, 0
	s_delay_alu instid0(VALU_DEP_1)
	v_cmp_le_u32_e32 vcc_lo, s34, v3
	s_or_not1_b32 s89, vcc_lo, exec_lo
	s_branch .LBB30_294
.LBB30_299:                             ;   in Loop: Header=BB30_6 Depth=1
	s_or_b32 exec_lo, exec_lo, s29
	s_delay_alu instid0(SALU_CYCLE_1)
	s_and_b32 s29, s44, exec_lo
.LBB30_300:                             ;   in Loop: Header=BB30_6 Depth=1
	s_or_b32 exec_lo, exec_lo, s33
.LBB30_301:                             ;   in Loop: Header=BB30_6 Depth=1
	s_delay_alu instid0(SALU_CYCLE_1)
	s_and_b32 vcc_lo, exec_lo, s31
	s_cbranch_vccz .LBB30_312
; %bb.302:                              ;   in Loop: Header=BB30_6 Depth=1
                                        ; implicit-def: $vgpr17
	s_and_saveexec_b32 s22, s13
	s_cbranch_execz .LBB30_311
; %bb.303:                              ;   in Loop: Header=BB30_6 Depth=1
	v_dual_mov_b32 v2, v10 :: v_dual_mov_b32 v3, v0
	s_mov_b32 s25, 0
                                        ; implicit-def: $sgpr30
	s_branch .LBB30_306
.LBB30_304:                             ;   in Loop: Header=BB30_306 Depth=2
	s_or_b32 exec_lo, exec_lo, s31
	s_wait_dscnt 0x0
	s_barrier_signal -1
	s_barrier_wait -1
	ds_load_b64 v[16:17], v13 offset:3072
	s_mov_b32 s31, -1
	s_mov_b32 s33, -1
	s_wait_dscnt 0x0
	s_barrier_signal -1
	s_barrier_wait -1
	v_cmp_eq_u32_e32 vcc_lo, 0, v16
	s_cbranch_vccnz .LBB30_309
.LBB30_305:                             ;   in Loop: Header=BB30_306 Depth=2
	s_and_b32 s31, exec_lo, s31
	s_delay_alu instid0(SALU_CYCLE_1) | instskip(SKIP_2) | instid1(SALU_CYCLE_1)
	s_or_b32 s25, s31, s25
	s_and_not1_b32 s30, s30, exec_lo
	s_and_b32 s31, s33, exec_lo
	s_or_b32 s30, s30, s31
	s_and_not1_b32 exec_lo, exec_lo, s25
	s_cbranch_execz .LBB30_310
.LBB30_306:                             ;   Parent Loop BB30_6 Depth=1
                                        ; =>  This Inner Loop Header: Depth=2
	s_mov_b32 s31, exec_lo
	s_delay_alu instid0(VALU_DEP_1)
	v_cmpx_gt_u32_e64 s36, v3
	s_cbranch_execz .LBB30_304
; %bb.307:                              ;   in Loop: Header=BB30_306 Depth=2
	global_load_b32 v19, v2, s[38:39] scale_offset
	s_wait_loadcnt 0x0
	v_bitop3_b32 v5, v19, v33, 0x80000000 bitop3:0x48
	s_delay_alu instid0(VALU_DEP_1)
	v_cmp_eq_u32_e32 vcc_lo, v5, v25
	s_and_b32 exec_lo, exec_lo, vcc_lo
	s_cbranch_execz .LBB30_304
; %bb.308:                              ;   in Loop: Header=BB30_306 Depth=2
	ds_store_b64 v13, v[18:19] offset:3072
	s_branch .LBB30_304
.LBB30_309:                             ;   in Loop: Header=BB30_306 Depth=2
	v_dual_add_nc_u32 v3, s35, v3 :: v_dual_add_nc_u32 v2, s53, v2
	s_mov_b32 s33, 0
	s_delay_alu instid0(VALU_DEP_1)
	v_cmp_le_u32_e32 vcc_lo, s73, v3
	s_or_not1_b32 s31, vcc_lo, exec_lo
	s_branch .LBB30_305
.LBB30_310:                             ;   in Loop: Header=BB30_6 Depth=1
	s_or_b32 exec_lo, exec_lo, s25
	s_delay_alu instid0(SALU_CYCLE_1) | instskip(SKIP_1) | instid1(SALU_CYCLE_1)
	s_and_not1_b32 s25, s29, exec_lo
	s_and_b32 s29, s30, exec_lo
	s_or_b32 s29, s25, s29
.LBB30_311:                             ;   in Loop: Header=BB30_6 Depth=1
	s_or_b32 exec_lo, exec_lo, s22
	s_mov_b32 s22, 0
	s_mov_b32 s25, -1
.LBB30_312:                             ;   in Loop: Header=BB30_6 Depth=1
	s_or_not1_b32 s29, s29, exec_lo
.LBB30_313:                             ;   in Loop: Header=BB30_6 Depth=1
	s_or_b32 exec_lo, exec_lo, s27
	s_mov_b32 s30, 0
	s_and_saveexec_b32 s27, s29
	s_cbranch_execz .LBB30_402
; %bb.314:                              ;   in Loop: Header=BB30_6 Depth=1
	v_dual_mov_b32 v2, 1 :: v_dual_mov_b32 v4, 1
	s_xor_b32 s29, s28, -1
	s_mov_b32 s31, 0
	s_and_saveexec_b32 s28, s29
	s_cbranch_execz .LBB30_323
; %bb.315:                              ;   in Loop: Header=BB30_6 Depth=1
	s_mov_b32 s29, exec_lo
	v_cmpx_ge_u32_e64 s21, v35
	s_xor_b32 s29, exec_lo, s29
	s_cbranch_execz .LBB30_320
; %bb.316:                              ;   in Loop: Header=BB30_6 Depth=1
	ds_load_b32 v2, v13 offset:4096
	s_lshl_b32 s30, 2, s76
	v_or_b32_e32 v33, s18, v33
	v_and_or_b32 v25, v25, s19, s30
	s_wait_dscnt 0x0
	v_cmp_ne_u32_e32 vcc_lo, 0, v2
	s_cbranch_vccnz .LBB30_320
; %bb.317:                              ;   in Loop: Header=BB30_6 Depth=1
	s_and_saveexec_b32 s30, s5
; %bb.318:                              ;   in Loop: Header=BB30_6 Depth=1
	v_mov_b32_e32 v2, s21
	ds_store_b32 v13, v2 offset:4100
; %bb.319:                              ;   in Loop: Header=BB30_6 Depth=1
	s_or_b32 exec_lo, exec_lo, s30
	s_wait_dscnt 0x0
	s_barrier_signal -1
	s_barrier_wait -1
.LBB30_320:                             ;   in Loop: Header=BB30_6 Depth=1
	s_or_saveexec_b32 s29, s29
	v_mov_b32_e32 v4, 5
	s_mov_b32 s30, 0
	s_xor_b32 exec_lo, exec_lo, s29
; %bb.321:                              ;   in Loop: Header=BB30_6 Depth=1
	v_subrev_nc_u32_e32 v35, s21, v35
	v_mov_b32_e32 v4, 0
	s_mov_b32 s30, exec_lo
; %bb.322:                              ;   in Loop: Header=BB30_6 Depth=1
	s_or_b32 exec_lo, exec_lo, s29
	s_delay_alu instid0(VALU_DEP_2)
	v_mov_b32_e32 v2, v35
	s_and_b32 s31, s30, exec_lo
.LBB30_323:                             ;   in Loop: Header=BB30_6 Depth=1
	s_or_b32 exec_lo, exec_lo, s28
	s_mov_b32 s30, -1
                                        ; implicit-def: $sgpr28
                                        ; implicit-def: $sgpr29
	s_and_saveexec_b32 s21, s31
	s_cbranch_execz .LBB30_401
; %bb.324:                              ;   in Loop: Header=BB30_6 Depth=1
	v_cmp_eq_u32_e32 vcc_lo, 1, v2
	s_cmp_eq_u32 s20, 1
	s_mov_b32 s33, -1
	s_cselect_b32 s28, -1, 0
                                        ; implicit-def: $sgpr29
	s_delay_alu instid0(SALU_CYCLE_1) | instskip(NEXT) | instid1(SALU_CYCLE_1)
	s_and_b32 s31, s28, vcc_lo
                                        ; implicit-def: $sgpr28
	s_and_saveexec_b32 s30, s31
	s_cbranch_execz .LBB30_350
; %bb.325:                              ;   in Loop: Header=BB30_6 Depth=1
	ds_load_b32 v3, v13 offset:4096
	s_wait_dscnt 0x0
	s_barrier_signal -1
	s_barrier_wait -1
	v_readfirstlane_b32 s34, v3
	s_and_saveexec_b32 s28, s6
; %bb.326:                              ;   in Loop: Header=BB30_6 Depth=1
	ds_store_b32 v11, v13
; %bb.327:                              ;   in Loop: Header=BB30_6 Depth=1
	s_or_b32 exec_lo, exec_lo, s28
	s_lshl_b32 s28, 1, s76
	v_or_b32_e32 v33, s18, v33
	v_and_or_b32 v25, v25, s19, s28
	s_mov_b32 s28, -1
	s_mov_b32 s29, 0
	s_cmp_eq_u32 s34, 0
	s_mov_b32 s33, 0
	s_mov_b32 s44, -1
	s_wait_dscnt 0x0
	s_barrier_signal -1
	s_barrier_wait -1
                                        ; implicit-def: $vgpr17
	s_cbranch_scc1 .LBB30_338
; %bb.328:                              ;   in Loop: Header=BB30_6 Depth=1
	s_add_co_i32 s44, s34, s62
                                        ; implicit-def: $vgpr17
	s_delay_alu instid0(SALU_CYCLE_1) | instskip(NEXT) | instid1(SALU_CYCLE_1)
	s_mul_u64 s[90:91], s[44:45], s[48:49]
	s_mul_i32 s33, s91, s35
	s_delay_alu instid0(SALU_CYCLE_1) | instskip(NEXT) | instid1(SALU_CYCLE_1)
	s_sub_co_i32 s33, s44, s33
	s_sub_co_i32 s89, s33, s35
	s_cmp_ge_u32 s33, s35
	s_cselect_b32 s33, s89, s33
	s_delay_alu instid0(SALU_CYCLE_1)
	s_sub_co_i32 s89, s33, s35
	s_cmp_ge_u32 s33, s35
	s_cselect_b32 s33, s89, s33
	s_mov_b32 s89, exec_lo
	s_sub_co_i32 s90, s44, s33
	s_mov_b32 s44, 0
	s_mov_b32 s33, 0
	v_cmpx_gt_u32_e64 s90, v0
	s_cbranch_execz .LBB30_337
; %bb.329:                              ;   in Loop: Header=BB30_6 Depth=1
	v_dual_mov_b32 v3, v7 :: v_dual_mov_b32 v5, v0
                                        ; implicit-def: $sgpr91
	s_branch .LBB30_332
.LBB30_330:                             ;   in Loop: Header=BB30_332 Depth=2
	s_or_b32 exec_lo, exec_lo, s92
	s_wait_dscnt 0x0
	s_barrier_signal -1
	s_barrier_wait -1
	ds_load_b64 v[16:17], v13 offset:3072
	s_mov_b32 s92, -1
	s_mov_b32 s93, -1
	s_wait_dscnt 0x0
	s_barrier_signal -1
	s_barrier_wait -1
	v_cmp_ne_u32_e32 vcc_lo, 0, v16
	s_cbranch_vccz .LBB30_335
.LBB30_331:                             ;   in Loop: Header=BB30_332 Depth=2
	s_and_b32 s92, exec_lo, s92
	s_delay_alu instid0(SALU_CYCLE_1) | instskip(SKIP_2) | instid1(SALU_CYCLE_1)
	s_or_b32 s33, s92, s33
	s_and_not1_b32 s91, s91, exec_lo
	s_and_b32 s92, s93, exec_lo
	s_or_b32 s91, s91, s92
	s_and_not1_b32 exec_lo, exec_lo, s33
	s_cbranch_execz .LBB30_336
.LBB30_332:                             ;   Parent Loop BB30_6 Depth=1
                                        ; =>  This Inner Loop Header: Depth=2
	s_mov_b32 s92, exec_lo
	s_delay_alu instid0(VALU_DEP_1)
	v_cmpx_gt_u32_e64 s34, v5
	s_cbranch_execz .LBB30_330
; %bb.333:                              ;   in Loop: Header=BB30_332 Depth=2
	ds_load_b32 v19, v3
	s_wait_dscnt 0x0
	v_bitop3_b32 v12, v19, v33, 0x80000000 bitop3:0x48
	s_delay_alu instid0(VALU_DEP_1)
	v_cmp_eq_u32_e32 vcc_lo, v12, v25
	s_and_b32 exec_lo, exec_lo, vcc_lo
	s_cbranch_execz .LBB30_330
; %bb.334:                              ;   in Loop: Header=BB30_332 Depth=2
	ds_store_b64 v13, v[18:19] offset:3072
	s_branch .LBB30_330
.LBB30_335:                             ;   in Loop: Header=BB30_332 Depth=2
	v_dual_add_nc_u32 v5, s35, v5 :: v_dual_add_nc_u32 v3, s58, v3
	s_mov_b32 s93, 0
	s_delay_alu instid0(VALU_DEP_1)
	v_cmp_le_u32_e32 vcc_lo, s90, v5
	s_or_not1_b32 s92, vcc_lo, exec_lo
	s_branch .LBB30_331
.LBB30_336:                             ;   in Loop: Header=BB30_6 Depth=1
	s_or_b32 exec_lo, exec_lo, s33
	s_delay_alu instid0(SALU_CYCLE_1)
	s_and_b32 s33, s91, exec_lo
.LBB30_337:                             ;   in Loop: Header=BB30_6 Depth=1
	s_or_b32 exec_lo, exec_lo, s89
.LBB30_338:                             ;   in Loop: Header=BB30_6 Depth=1
	s_delay_alu instid0(SALU_CYCLE_1)
	s_and_b32 vcc_lo, exec_lo, s44
	s_cbranch_vccz .LBB30_349
; %bb.339:                              ;   in Loop: Header=BB30_6 Depth=1
                                        ; implicit-def: $vgpr17
	s_and_saveexec_b32 s28, s13
	s_cbranch_execz .LBB30_348
; %bb.340:                              ;   in Loop: Header=BB30_6 Depth=1
	v_dual_mov_b32 v3, v10 :: v_dual_mov_b32 v5, v0
	s_mov_b32 s29, 0
                                        ; implicit-def: $sgpr34
	s_branch .LBB30_343
.LBB30_341:                             ;   in Loop: Header=BB30_343 Depth=2
	s_or_b32 exec_lo, exec_lo, s44
	s_wait_dscnt 0x0
	s_barrier_signal -1
	s_barrier_wait -1
	ds_load_b64 v[16:17], v13 offset:3072
	s_mov_b32 s44, -1
	s_mov_b32 s89, -1
	s_wait_dscnt 0x0
	s_barrier_signal -1
	s_barrier_wait -1
	v_cmp_eq_u32_e32 vcc_lo, 0, v16
	s_cbranch_vccnz .LBB30_346
.LBB30_342:                             ;   in Loop: Header=BB30_343 Depth=2
	s_and_b32 s44, exec_lo, s44
	s_delay_alu instid0(SALU_CYCLE_1) | instskip(SKIP_2) | instid1(SALU_CYCLE_1)
	s_or_b32 s29, s44, s29
	s_and_not1_b32 s34, s34, exec_lo
	s_and_b32 s44, s89, exec_lo
	s_or_b32 s34, s34, s44
	s_and_not1_b32 exec_lo, exec_lo, s29
	s_cbranch_execz .LBB30_347
.LBB30_343:                             ;   Parent Loop BB30_6 Depth=1
                                        ; =>  This Inner Loop Header: Depth=2
	s_mov_b32 s44, exec_lo
	s_delay_alu instid0(VALU_DEP_1)
	v_cmpx_gt_u32_e64 s36, v5
	s_cbranch_execz .LBB30_341
; %bb.344:                              ;   in Loop: Header=BB30_343 Depth=2
	global_load_b32 v19, v3, s[38:39] scale_offset
	s_wait_loadcnt 0x0
	v_bitop3_b32 v12, v19, v33, 0x80000000 bitop3:0x48
	s_delay_alu instid0(VALU_DEP_1)
	v_cmp_eq_u32_e32 vcc_lo, v12, v25
	s_and_b32 exec_lo, exec_lo, vcc_lo
	s_cbranch_execz .LBB30_341
; %bb.345:                              ;   in Loop: Header=BB30_343 Depth=2
	ds_store_b64 v13, v[18:19] offset:3072
	s_branch .LBB30_341
.LBB30_346:                             ;   in Loop: Header=BB30_343 Depth=2
	v_dual_add_nc_u32 v5, s35, v5 :: v_dual_add_nc_u32 v3, s53, v3
	s_mov_b32 s89, 0
	s_delay_alu instid0(VALU_DEP_1)
	v_cmp_le_u32_e32 vcc_lo, s73, v5
	s_or_not1_b32 s44, vcc_lo, exec_lo
	s_branch .LBB30_342
.LBB30_347:                             ;   in Loop: Header=BB30_6 Depth=1
	s_or_b32 exec_lo, exec_lo, s29
	s_delay_alu instid0(SALU_CYCLE_1) | instskip(SKIP_1) | instid1(SALU_CYCLE_1)
	s_and_not1_b32 s29, s33, exec_lo
	s_and_b32 s33, s34, exec_lo
	s_or_b32 s33, s29, s33
.LBB30_348:                             ;   in Loop: Header=BB30_6 Depth=1
	s_or_b32 exec_lo, exec_lo, s28
	s_mov_b32 s28, 0
	s_mov_b32 s29, -1
.LBB30_349:                             ;   in Loop: Header=BB30_6 Depth=1
	s_or_not1_b32 s33, s33, exec_lo
.LBB30_350:                             ;   in Loop: Header=BB30_6 Depth=1
	s_or_b32 exec_lo, exec_lo, s30
	s_mov_b32 s34, 0
	s_and_saveexec_b32 s30, s33
	s_cbranch_execz .LBB30_400
; %bb.351:                              ;   in Loop: Header=BB30_6 Depth=1
	v_dual_mov_b32 v3, 1 :: v_dual_mov_b32 v4, 1
	s_xor_b32 s33, s31, -1
	s_mov_b32 s44, 0
	s_and_saveexec_b32 s31, s33
	s_cbranch_execz .LBB30_360
; %bb.352:                              ;   in Loop: Header=BB30_6 Depth=1
	s_mov_b32 s33, exec_lo
	v_cmpx_ge_u32_e64 s20, v2
	s_xor_b32 s33, exec_lo, s33
	s_cbranch_execz .LBB30_357
; %bb.353:                              ;   in Loop: Header=BB30_6 Depth=1
	ds_load_b32 v3, v13 offset:4096
	s_lshl_b32 s34, 1, s76
	v_or_b32_e32 v33, s18, v33
	v_and_or_b32 v25, v25, s19, s34
	s_wait_dscnt 0x0
	v_cmp_ne_u32_e32 vcc_lo, 0, v3
	s_cbranch_vccnz .LBB30_357
; %bb.354:                              ;   in Loop: Header=BB30_6 Depth=1
	s_and_saveexec_b32 s34, s5
; %bb.355:                              ;   in Loop: Header=BB30_6 Depth=1
	v_mov_b32_e32 v3, s20
	ds_store_b32 v13, v3 offset:4100
; %bb.356:                              ;   in Loop: Header=BB30_6 Depth=1
	s_or_b32 exec_lo, exec_lo, s34
	s_wait_dscnt 0x0
	s_barrier_signal -1
	s_barrier_wait -1
.LBB30_357:                             ;   in Loop: Header=BB30_6 Depth=1
	s_or_saveexec_b32 s33, s33
	v_mov_b32_e32 v4, 5
	s_mov_b32 s34, 0
	s_xor_b32 exec_lo, exec_lo, s33
; %bb.358:                              ;   in Loop: Header=BB30_6 Depth=1
	v_subrev_nc_u32_e32 v2, s20, v2
	v_mov_b32_e32 v4, 0
	s_mov_b32 s34, exec_lo
; %bb.359:                              ;   in Loop: Header=BB30_6 Depth=1
	s_or_b32 exec_lo, exec_lo, s33
	s_delay_alu instid0(VALU_DEP_2)
	v_mov_b32_e32 v3, v2
	s_and_b32 s44, s34, exec_lo
.LBB30_360:                             ;   in Loop: Header=BB30_6 Depth=1
	s_or_b32 exec_lo, exec_lo, s31
	s_mov_b32 s33, -1
                                        ; implicit-def: $sgpr34
                                        ; implicit-def: $sgpr31
	s_and_saveexec_b32 s20, s44
	s_cbranch_execz .LBB30_399
; %bb.361:                              ;   in Loop: Header=BB30_6 Depth=1
	v_cmp_eq_u32_e32 vcc_lo, 1, v3
	s_cmp_eq_u32 s17, 1
	s_mov_b32 s90, -1
	s_cselect_b32 s31, -1, 0
                                        ; implicit-def: $sgpr34
	s_delay_alu instid0(SALU_CYCLE_1) | instskip(NEXT) | instid1(SALU_CYCLE_1)
	s_and_b32 s33, s31, vcc_lo
                                        ; implicit-def: $sgpr31
	s_and_saveexec_b32 s89, s33
	s_cbranch_execz .LBB30_387
; %bb.362:                              ;   in Loop: Header=BB30_6 Depth=1
	ds_load_b32 v2, v13 offset:4096
	s_wait_dscnt 0x0
	s_barrier_signal -1
	s_barrier_wait -1
	v_readfirstlane_b32 s90, v2
	s_and_saveexec_b32 s31, s6
; %bb.363:                              ;   in Loop: Header=BB30_6 Depth=1
	ds_store_b32 v11, v13
; %bb.364:                              ;   in Loop: Header=BB30_6 Depth=1
	s_or_b32 exec_lo, exec_lo, s31
	v_and_b32_e32 v25, s19, v25
	v_or_b32_e32 v33, s18, v33
	s_mov_b32 s31, -1
	s_mov_b32 s34, 0
	s_cmp_eq_u32 s90, 0
	s_mov_b32 s44, 0
	s_mov_b32 s91, -1
	s_wait_dscnt 0x0
	s_barrier_signal -1
	s_barrier_wait -1
                                        ; implicit-def: $vgpr17
	s_cbranch_scc1 .LBB30_375
; %bb.365:                              ;   in Loop: Header=BB30_6 Depth=1
	s_add_co_i32 s44, s90, s62
                                        ; implicit-def: $vgpr17
	s_delay_alu instid0(SALU_CYCLE_1) | instskip(NEXT) | instid1(SALU_CYCLE_1)
	s_mul_u64 s[92:93], s[44:45], s[48:49]
	s_mul_i32 s91, s93, s35
	s_delay_alu instid0(SALU_CYCLE_1) | instskip(NEXT) | instid1(SALU_CYCLE_1)
	s_sub_co_i32 s91, s44, s91
	s_sub_co_i32 s92, s91, s35
	s_cmp_ge_u32 s91, s35
	s_cselect_b32 s91, s92, s91
	s_delay_alu instid0(SALU_CYCLE_1)
	s_sub_co_i32 s92, s91, s35
	s_cmp_ge_u32 s91, s35
	s_cselect_b32 s91, s92, s91
	s_mov_b32 s92, exec_lo
	s_sub_co_i32 s93, s44, s91
	s_mov_b32 s91, 0
	s_mov_b32 s44, 0
	v_cmpx_gt_u32_e64 s93, v0
	s_cbranch_execz .LBB30_374
; %bb.366:                              ;   in Loop: Header=BB30_6 Depth=1
	v_dual_mov_b32 v2, v7 :: v_dual_mov_b32 v5, v0
                                        ; implicit-def: $sgpr94
	s_branch .LBB30_369
.LBB30_367:                             ;   in Loop: Header=BB30_369 Depth=2
	s_or_b32 exec_lo, exec_lo, s95
	s_wait_dscnt 0x0
	s_barrier_signal -1
	s_barrier_wait -1
	ds_load_b64 v[16:17], v13 offset:3072
	s_mov_b32 s95, -1
	s_mov_b32 s96, -1
	s_wait_dscnt 0x0
	s_barrier_signal -1
	s_barrier_wait -1
	v_cmp_ne_u32_e32 vcc_lo, 0, v16
	s_cbranch_vccz .LBB30_372
.LBB30_368:                             ;   in Loop: Header=BB30_369 Depth=2
	s_and_b32 s95, exec_lo, s95
	s_delay_alu instid0(SALU_CYCLE_1) | instskip(SKIP_2) | instid1(SALU_CYCLE_1)
	s_or_b32 s44, s95, s44
	s_and_not1_b32 s94, s94, exec_lo
	s_and_b32 s95, s96, exec_lo
	s_or_b32 s94, s94, s95
	s_and_not1_b32 exec_lo, exec_lo, s44
	s_cbranch_execz .LBB30_373
.LBB30_369:                             ;   Parent Loop BB30_6 Depth=1
                                        ; =>  This Inner Loop Header: Depth=2
	s_mov_b32 s95, exec_lo
	s_delay_alu instid0(VALU_DEP_1)
	v_cmpx_gt_u32_e64 s90, v5
	s_cbranch_execz .LBB30_367
; %bb.370:                              ;   in Loop: Header=BB30_369 Depth=2
	ds_load_b32 v19, v2
	s_wait_dscnt 0x0
	v_bitop3_b32 v12, v19, v33, 0x80000000 bitop3:0x48
	s_delay_alu instid0(VALU_DEP_1)
	v_cmp_eq_u32_e32 vcc_lo, v12, v25
	s_and_b32 exec_lo, exec_lo, vcc_lo
	s_cbranch_execz .LBB30_367
; %bb.371:                              ;   in Loop: Header=BB30_369 Depth=2
	ds_store_b64 v13, v[18:19] offset:3072
	s_branch .LBB30_367
.LBB30_372:                             ;   in Loop: Header=BB30_369 Depth=2
	v_dual_add_nc_u32 v5, s35, v5 :: v_dual_add_nc_u32 v2, s58, v2
	s_mov_b32 s96, 0
	s_delay_alu instid0(VALU_DEP_1)
	v_cmp_le_u32_e32 vcc_lo, s93, v5
	s_or_not1_b32 s95, vcc_lo, exec_lo
	s_branch .LBB30_368
.LBB30_373:                             ;   in Loop: Header=BB30_6 Depth=1
	s_or_b32 exec_lo, exec_lo, s44
	s_delay_alu instid0(SALU_CYCLE_1)
	s_and_b32 s44, s94, exec_lo
.LBB30_374:                             ;   in Loop: Header=BB30_6 Depth=1
	s_or_b32 exec_lo, exec_lo, s92
.LBB30_375:                             ;   in Loop: Header=BB30_6 Depth=1
	s_delay_alu instid0(SALU_CYCLE_1)
	s_and_b32 vcc_lo, exec_lo, s91
	s_cbranch_vccz .LBB30_386
; %bb.376:                              ;   in Loop: Header=BB30_6 Depth=1
                                        ; implicit-def: $vgpr17
	s_and_saveexec_b32 s31, s13
	s_cbranch_execz .LBB30_385
; %bb.377:                              ;   in Loop: Header=BB30_6 Depth=1
	v_dual_mov_b32 v2, v10 :: v_dual_mov_b32 v5, v0
	s_mov_b32 s34, 0
                                        ; implicit-def: $sgpr90
	s_branch .LBB30_380
.LBB30_378:                             ;   in Loop: Header=BB30_380 Depth=2
	s_or_b32 exec_lo, exec_lo, s91
	s_wait_dscnt 0x0
	s_barrier_signal -1
	s_barrier_wait -1
	ds_load_b64 v[16:17], v13 offset:3072
	s_mov_b32 s91, -1
	s_mov_b32 s92, -1
	s_wait_dscnt 0x0
	s_barrier_signal -1
	s_barrier_wait -1
	v_cmp_eq_u32_e32 vcc_lo, 0, v16
	s_cbranch_vccnz .LBB30_383
.LBB30_379:                             ;   in Loop: Header=BB30_380 Depth=2
	s_and_b32 s91, exec_lo, s91
	s_delay_alu instid0(SALU_CYCLE_1) | instskip(SKIP_2) | instid1(SALU_CYCLE_1)
	s_or_b32 s34, s91, s34
	s_and_not1_b32 s90, s90, exec_lo
	s_and_b32 s91, s92, exec_lo
	s_or_b32 s90, s90, s91
	s_and_not1_b32 exec_lo, exec_lo, s34
	s_cbranch_execz .LBB30_384
.LBB30_380:                             ;   Parent Loop BB30_6 Depth=1
                                        ; =>  This Inner Loop Header: Depth=2
	s_mov_b32 s91, exec_lo
	s_delay_alu instid0(VALU_DEP_1)
	v_cmpx_gt_u32_e64 s36, v5
	s_cbranch_execz .LBB30_378
; %bb.381:                              ;   in Loop: Header=BB30_380 Depth=2
	global_load_b32 v19, v2, s[38:39] scale_offset
	s_wait_loadcnt 0x0
	v_bitop3_b32 v12, v19, v33, 0x80000000 bitop3:0x48
	s_delay_alu instid0(VALU_DEP_1)
	v_cmp_eq_u32_e32 vcc_lo, v12, v25
	s_and_b32 exec_lo, exec_lo, vcc_lo
	s_cbranch_execz .LBB30_378
; %bb.382:                              ;   in Loop: Header=BB30_380 Depth=2
	ds_store_b64 v13, v[18:19] offset:3072
	s_branch .LBB30_378
.LBB30_383:                             ;   in Loop: Header=BB30_380 Depth=2
	v_dual_add_nc_u32 v5, s35, v5 :: v_dual_add_nc_u32 v2, s53, v2
	s_mov_b32 s92, 0
	s_delay_alu instid0(VALU_DEP_1)
	v_cmp_le_u32_e32 vcc_lo, s73, v5
	s_or_not1_b32 s91, vcc_lo, exec_lo
	s_branch .LBB30_379
.LBB30_384:                             ;   in Loop: Header=BB30_6 Depth=1
	s_or_b32 exec_lo, exec_lo, s34
	s_delay_alu instid0(SALU_CYCLE_1) | instskip(SKIP_1) | instid1(SALU_CYCLE_1)
	s_and_not1_b32 s34, s44, exec_lo
	s_and_b32 s44, s90, exec_lo
	s_or_b32 s44, s34, s44
.LBB30_385:                             ;   in Loop: Header=BB30_6 Depth=1
	s_or_b32 exec_lo, exec_lo, s31
	s_mov_b32 s31, 0
	s_mov_b32 s34, -1
.LBB30_386:                             ;   in Loop: Header=BB30_6 Depth=1
	s_or_not1_b32 s90, s44, exec_lo
.LBB30_387:                             ;   in Loop: Header=BB30_6 Depth=1
	s_or_b32 exec_lo, exec_lo, s89
	s_mov_b32 s89, 0
	s_and_saveexec_b32 s44, s90
	s_cbranch_execz .LBB30_398
; %bb.388:                              ;   in Loop: Header=BB30_6 Depth=1
	v_dual_mov_b32 v4, 1 :: v_dual_mov_b32 v2, 1
	s_xor_b32 s89, s33, -1
	s_delay_alu instid0(SALU_CYCLE_1)
	s_and_saveexec_b32 s33, s89
	s_cbranch_execz .LBB30_397
; %bb.389:                              ;   in Loop: Header=BB30_6 Depth=1
	s_mov_b32 s89, exec_lo
	v_cmpx_ge_u32_e64 s17, v3
	s_xor_b32 s89, exec_lo, s89
	s_cbranch_execz .LBB30_394
; %bb.390:                              ;   in Loop: Header=BB30_6 Depth=1
	ds_load_b32 v2, v13 offset:4096
	v_and_b32_e32 v25, s19, v25
	v_or_b32_e32 v33, s18, v33
	s_wait_dscnt 0x0
	v_cmp_ne_u32_e32 vcc_lo, 0, v2
	s_cbranch_vccnz .LBB30_394
; %bb.391:                              ;   in Loop: Header=BB30_6 Depth=1
	s_and_saveexec_b32 s18, s5
; %bb.392:                              ;   in Loop: Header=BB30_6 Depth=1
	v_mov_b32_e32 v2, s17
	ds_store_b32 v13, v2 offset:4100
; %bb.393:                              ;   in Loop: Header=BB30_6 Depth=1
	s_or_b32 exec_lo, exec_lo, s18
	s_wait_dscnt 0x0
	s_barrier_signal -1
	s_barrier_wait -1
.LBB30_394:                             ;   in Loop: Header=BB30_6 Depth=1
	s_and_not1_saveexec_b32 s18, s89
; %bb.395:                              ;   in Loop: Header=BB30_6 Depth=1
	v_subrev_nc_u32_e32 v3, s17, v3
; %bb.396:                              ;   in Loop: Header=BB30_6 Depth=1
	s_or_b32 exec_lo, exec_lo, s18
	s_delay_alu instid0(VALU_DEP_1)
	v_dual_mov_b32 v4, 5 :: v_dual_mov_b32 v2, v3
.LBB30_397:                             ;   in Loop: Header=BB30_6 Depth=1
	s_or_b32 exec_lo, exec_lo, s33
	s_delay_alu instid0(VALU_DEP_1)
	v_mov_b32_e32 v3, v2
	s_mov_b32 s89, exec_lo
.LBB30_398:                             ;   in Loop: Header=BB30_6 Depth=1
	s_or_b32 exec_lo, exec_lo, s44
	s_delay_alu instid0(SALU_CYCLE_1)
	s_or_not1_b32 s33, s89, exec_lo
.LBB30_399:                             ;   in Loop: Header=BB30_6 Depth=1
	s_or_b32 exec_lo, exec_lo, s20
	v_mov_b32_e32 v2, v3
	s_and_not1_b32 s17, s29, exec_lo
	s_and_b32 s18, s34, exec_lo
	s_and_not1_b32 s19, s28, exec_lo
	s_and_b32 s20, s31, exec_lo
	s_or_b32 s29, s17, s18
	s_or_b32 s28, s19, s20
	s_and_b32 s34, s33, exec_lo
.LBB30_400:                             ;   in Loop: Header=BB30_6 Depth=1
	s_or_b32 exec_lo, exec_lo, s30
	s_delay_alu instid0(SALU_CYCLE_1)
	s_or_not1_b32 s30, s34, exec_lo
.LBB30_401:                             ;   in Loop: Header=BB30_6 Depth=1
	s_or_b32 exec_lo, exec_lo, s21
	v_mov_b32_e32 v35, v2
	s_and_not1_b32 s17, s25, exec_lo
	s_and_b32 s18, s29, exec_lo
	s_and_not1_b32 s19, s22, exec_lo
	s_and_b32 s20, s28, exec_lo
	s_or_b32 s25, s17, s18
	s_or_b32 s22, s19, s20
	s_and_b32 s30, s30, exec_lo
.LBB30_402:                             ;   in Loop: Header=BB30_6 Depth=1
	s_or_b32 exec_lo, exec_lo, s27
	s_delay_alu instid0(SALU_CYCLE_1)
	s_or_not1_b32 s27, s30, exec_lo
.LBB30_403:                             ;   in Loop: Header=BB30_6 Depth=1
	s_or_b32 exec_lo, exec_lo, s14
	s_mov_b32 s14, s23
	s_mov_b32 s17, s15
	s_and_saveexec_b32 s18, s27
; %bb.404:                              ;   in Loop: Header=BB30_6 Depth=1
	v_cmp_ne_u32_e32 vcc_lo, 5, v4
	v_cmp_eq_u32_e64 s14, 5, v4
	s_and_not1_b32 s17, s15, exec_lo
	s_and_not1_b32 s19, s23, exec_lo
	s_and_b32 s20, vcc_lo, exec_lo
	s_and_b32 s14, s14, exec_lo
	s_or_b32 s17, s17, s20
	s_or_b32 s14, s19, s14
; %bb.405:                              ;   in Loop: Header=BB30_6 Depth=1
	s_or_b32 exec_lo, exec_lo, s18
	s_delay_alu instid0(SALU_CYCLE_1)
	s_and_not1_b32 s18, s26, exec_lo
	s_and_b32 s19, s25, exec_lo
	s_and_not1_b32 s16, s16, exec_lo
	s_and_b32 s20, s22, exec_lo
	s_or_b32 s26, s18, s19
	s_and_not1_b32 s15, s15, exec_lo
	s_and_b32 s17, s17, exec_lo
	s_and_not1_b32 s18, s23, exec_lo
	s_and_b32 s14, s14, exec_lo
	s_or_b32 s16, s16, s20
	s_or_b32 s15, s15, s17
	;; [unrolled: 1-line block ×3, first 2 shown]
.LBB30_406:                             ;   in Loop: Header=BB30_6 Depth=1
	s_or_b32 exec_lo, exec_lo, s24
	s_mov_b32 s24, 0
	s_mov_b32 s25, 0
	s_and_saveexec_b32 s14, s23
.LBB30_407:                             ;   in Loop: Header=BB30_6 Depth=1
	v_mov_b32_e32 v4, 0
	s_or_b32 s15, s15, exec_lo
.LBB30_408:                             ;   in Loop: Header=BB30_6 Depth=1
	s_or_b32 exec_lo, exec_lo, s14
	s_delay_alu instid0(SALU_CYCLE_1)
	s_and_not1_b32 s14, s86, exec_lo
	s_and_b32 s18, s26, exec_lo
	s_and_not1_b32 s19, s84, exec_lo
	s_and_b32 s16, s16, exec_lo
	v_mov_b32_e32 v34, v35
	s_or_b32 s86, s14, s18
	s_or_b32 s84, s19, s16
	s_and_not1_b32 s14, s88, exec_lo
	s_and_b32 s16, s25, exec_lo
	s_and_not1_b32 s18, s87, exec_lo
	s_and_b32 s19, s24, exec_lo
	s_mov_b32 s17, -1
	s_and_not1_b32 s85, s85, exec_lo
	s_or_b32 s88, s14, s16
	s_or_b32 s87, s18, s19
	s_and_saveexec_b32 s14, s15
	s_delay_alu instid0(SALU_CYCLE_1)
	s_xor_b32 s14, exec_lo, s14
	s_cbranch_execz .LBB30_5
; %bb.409:                              ;   in Loop: Header=BB30_6 Depth=1
	s_mov_b32 s15, -1
	s_mov_b32 s16, -1
	s_mov_b32 s17, exec_lo
	v_cmpx_eq_u32_e32 0, v4
	s_cbranch_execz .LBB30_4
; %bb.410:                              ;   in Loop: Header=BB30_6 Depth=1
	s_xor_b32 s79, s79, 1
	s_add_co_i32 s18, s76, -2
	s_cmp_eq_u32 s76, 0
	s_mov_b32 s76, s18
	s_cselect_b32 s15, -1, 0
	s_xor_b32 s16, exec_lo, -1
	s_or_not1_b32 s15, s15, exec_lo
	s_branch .LBB30_4
.LBB30_411:
	s_or_b32 exec_lo, exec_lo, s77
	s_xor_b32 s7, s83, -1
	s_xor_b32 s9, s81, -1
	;; [unrolled: 1-line block ×5, first 2 shown]
	s_mov_b32 s8, 0
	s_and_saveexec_b32 s12, s11
	s_delay_alu instid0(SALU_CYCLE_1)
	s_xor_b32 s12, exec_lo, s12
	s_cbranch_execnz .LBB30_416
; %bb.412:
	s_and_not1_saveexec_b32 s0, s12
	s_cbranch_execnz .LBB30_435
.LBB30_413:
	s_or_b32 exec_lo, exec_lo, s0
	s_and_saveexec_b32 s0, s8
.LBB30_414:
	; divergent unreachable
.LBB30_415:
	s_endpgm
.LBB30_416:
	s_and_saveexec_b32 s11, s10
	s_delay_alu instid0(SALU_CYCLE_1)
	s_xor_b32 s13, exec_lo, s11
	s_cbranch_execz .LBB30_433
; %bb.417:
	s_and_saveexec_b32 s10, s9
	s_delay_alu instid0(SALU_CYCLE_1)
	s_xor_b32 s14, exec_lo, s10
	s_cbranch_execz .LBB30_431
; %bb.418:
	;; [unrolled: 5-line block ×3, first 2 shown]
	s_and_saveexec_b32 s7, s6
	s_delay_alu instid0(SALU_CYCLE_1)
	s_xor_b32 s6, exec_lo, s7
; %bb.420:
	v_xor_b32_e32 v17, 0x80000000, v25
; %bb.421:
	s_or_b32 exec_lo, exec_lo, s6
	s_and_saveexec_b32 s6, s5
; %bb.422:
	v_mov_b32_e32 v1, 0
	ds_store_b32 v1, v1 offset:4108
; %bb.423:
	s_or_b32 exec_lo, exec_lo, s6
	v_mov_b32_e32 v1, 0
	s_wait_dscnt 0x0
	s_barrier_signal -1
	s_barrier_wait -1
	s_and_saveexec_b32 s5, s3
	s_cbranch_execz .LBB30_425
; %bb.424:
	global_load_b32 v1, v[8:9], off
.LBB30_425:
	s_wait_xcnt 0x0
	s_or_b32 exec_lo, exec_lo, s5
	s_clause 0x1
	s_load_b32 s5, s[0:1], 0x1c8
	s_load_b32 s16, s[0:1], 0x2a8
	s_add_co_i32 s17, s36, 31
	s_mov_b32 s11, 0
	s_and_not1_b32 s17, s17, 31
	s_mul_i32 s10, s56, s54
	s_wait_xcnt 0x0
	s_mul_i32 s0, s55, s54
	s_mov_b32 s1, s11
	v_cmp_gt_u32_e32 vcc_lo, s17, v0
	s_lshl_b64 s[6:7], s[10:11], 2
	s_lshl_b64 s[0:1], s[0:1], 3
	s_add_nc_u64 s[6:7], s[42:43], s[6:7]
	s_add_nc_u64 s[8:9], s[40:41], s[0:1]
	s_mov_b32 s0, -1
	s_mov_b32 s1, 0
	s_and_saveexec_b32 s10, vcc_lo
	s_cbranch_execnz .LBB30_436
; %bb.426:
	s_or_b32 exec_lo, exec_lo, s10
	s_and_saveexec_b32 s4, s0
	s_cbranch_execnz .LBB30_451
.LBB30_427:
	s_or_b32 exec_lo, exec_lo, s4
	s_and_saveexec_b32 s0, s1
	s_delay_alu instid0(SALU_CYCLE_1)
	s_xor_b32 s0, exec_lo, s0
	s_cbranch_execnz .LBB30_474
.LBB30_428:
	s_or_b32 exec_lo, exec_lo, s0
	s_delay_alu instid0(SALU_CYCLE_1)
	s_and_b32 s8, s11, exec_lo
.LBB30_429:
	s_and_not1_saveexec_b32 s0, s15
	s_cbranch_execnz .LBB30_476
.LBB30_430:
	s_or_b32 exec_lo, exec_lo, s0
	s_delay_alu instid0(SALU_CYCLE_1)
	s_and_b32 s8, s8, exec_lo
.LBB30_431:
	s_and_not1_saveexec_b32 s0, s14
	s_cbranch_execnz .LBB30_475
.LBB30_432:
	s_or_b32 exec_lo, exec_lo, s0
	s_delay_alu instid0(SALU_CYCLE_1)
	s_and_b32 s8, s8, exec_lo
.LBB30_433:
	s_and_not1_saveexec_b32 s0, s13
	s_cbranch_execnz .LBB30_470
.LBB30_434:
	s_or_b32 exec_lo, exec_lo, s0
	s_delay_alu instid0(SALU_CYCLE_1)
	s_and_b32 s8, s8, exec_lo
	s_and_not1_saveexec_b32 s0, s12
	s_cbranch_execz .LBB30_413
.LBB30_435:
	s_or_b32 s8, s8, exec_lo
	s_trap 2
	s_or_b32 exec_lo, exec_lo, s0
	s_and_saveexec_b32 s0, s8
	s_cbranch_execnz .LBB30_414
	s_branch .LBB30_415
.LBB30_436:
	v_dual_mov_b32 v3, 0 :: v_dual_add_nc_u32 v2, s35, v0
	v_xor_b32_e32 v5, 0x80000000, v17
	s_mov_b32 s18, 0
                                        ; implicit-def: $sgpr19
                                        ; implicit-def: $vgpr11
	s_delay_alu instid0(VALU_DEP_2)
	v_mul_lo_u32 v4, s52, v2
	v_mov_b32_e32 v2, v0
	s_branch .LBB30_438
.LBB30_437:                             ;   in Loop: Header=BB30_438 Depth=1
	s_or_b32 exec_lo, exec_lo, s21
	s_xor_b32 s0, s20, -1
	s_and_b32 s1, exec_lo, s1
	v_dual_mov_b32 v1, v10 :: v_dual_mov_b32 v2, v7
	s_or_b32 s18, s1, s18
	s_and_not1_b32 s1, s19, exec_lo
	s_and_b32 s0, s0, exec_lo
	s_delay_alu instid0(SALU_CYCLE_1)
	s_or_b32 s19, s1, s0
	s_and_not1_b32 exec_lo, exec_lo, s18
	s_cbranch_execz .LBB30_450
.LBB30_438:                             ; =>This Inner Loop Header: Depth=1
	s_delay_alu instid0(VALU_DEP_1) | instskip(SKIP_1) | instid1(VALU_DEP_1)
	v_dual_mov_b32 v10, 0 :: v_dual_add_nc_u32 v7, s35, v2
	s_mov_b32 s1, exec_lo
	v_cmpx_gt_u32_e64 s36, v7
	s_cbranch_execz .LBB30_440
; %bb.439:                              ;   in Loop: Header=BB30_438 Depth=1
	global_load_b32 v10, v4, s[38:39] scale_offset
.LBB30_440:                             ;   in Loop: Header=BB30_438 Depth=1
	s_wait_xcnt 0x0
	s_or_b32 exec_lo, exec_lo, s1
	s_wait_loadcnt 0x0
	v_xor_b32_e32 v12, 0x80000000, v1
	s_delay_alu instid0(VALU_DEP_1) | instskip(NEXT) | instid1(VALU_DEP_1)
	v_cmp_gt_u32_e64 s0, v12, v5
	v_cndmask_b32_e64 v13, 0, 1, s0
	v_cmp_lt_u32_e64 s0, v12, v5
	s_delay_alu instid0(VALU_DEP_1) | instskip(SKIP_1) | instid1(VALU_DEP_2)
	v_cndmask_b32_e64 v12, 0, 1, s0
	v_cmp_gt_u32_e64 s0, s36, v2
	v_cndmask_b32_e64 v12, v12, v13, s4
	s_delay_alu instid0(VALU_DEP_1) | instskip(NEXT) | instid1(VALU_DEP_1)
	v_and_b32_e32 v12, 1, v12
	v_cmp_eq_u32_e64 s1, 1, v12
	s_and_b32 s20, s0, s1
	s_delay_alu instid0(SALU_CYCLE_1) | instskip(NEXT) | instid1(VALU_DEP_1)
	v_cndmask_b32_e64 v12, 0, 1, s20
	v_cmp_ne_u32_e64 s0, 0, v12
	s_cmp_lg_u32 s0, 0
	s_cselect_b32 s1, -1, 0
	s_delay_alu instid0(SALU_CYCLE_1) | instskip(NEXT) | instid1(SALU_CYCLE_1)
	s_and_b32 s1, s2, s1
	s_and_saveexec_b32 s21, s1
	s_cbranch_execz .LBB30_444
; %bb.441:                              ;   in Loop: Header=BB30_438 Depth=1
	s_mov_b32 s24, exec_lo
	s_bcnt1_i32_b32 s22, s0
	s_wait_dscnt 0x0
	v_mbcnt_lo_u32_b32 v11, s24, 0
	s_mov_b32 s23, exec_lo
                                        ; implicit-def: $vgpr12
	s_delay_alu instid0(VALU_DEP_1)
	v_cmpx_eq_u32_e32 0, v11
; %bb.442:                              ;   in Loop: Header=BB30_438 Depth=1
	s_bcnt1_i32_b32 s1, s24
	s_delay_alu instid0(SALU_CYCLE_1) | instskip(NEXT) | instid1(SALU_CYCLE_1)
	s_mul_i32 s1, s22, s1
	v_mov_b32_e32 v12, s1
	ds_add_rtn_u32 v12, v3, v12 offset:4108
; %bb.443:                              ;   in Loop: Header=BB30_438 Depth=1
	s_or_b32 exec_lo, exec_lo, s23
	s_wait_dscnt 0x0
	v_readfirstlane_b32 s1, v12
	s_delay_alu instid0(VALU_DEP_1)
	v_mad_u32_u24 v11, s22, v11, s1
.LBB30_444:                             ;   in Loop: Header=BB30_438 Depth=1
	s_or_b32 exec_lo, exec_lo, s21
	s_wait_dscnt 0x0
	ds_bpermute_b32 v11, v3, v11
	s_mov_b32 s1, -1
	s_mov_b32 s22, -1
	s_and_saveexec_b32 s21, s20
	s_cbranch_execz .LBB30_448
; %bb.445:                              ;   in Loop: Header=BB30_438 Depth=1
	v_and_b32_e32 v12, s0, v6
	s_mov_b32 s20, 0
	s_mov_b32 s22, exec_lo
	s_wait_dscnt 0x0
	s_delay_alu instid0(VALU_DEP_1) | instskip(NEXT) | instid1(VALU_DEP_1)
	v_bcnt_u32_b32 v12, v12, v11
	v_cmpx_gt_u32_e64 s37, v12
	s_cbranch_execz .LBB30_447
; %bb.446:                              ;   in Loop: Header=BB30_438 Depth=1
	s_wait_kmcnt 0x0
	v_mul_lo_u32 v13, v12, s5
	v_mul_lo_u32 v12, v12, s16
	s_mov_b32 s20, exec_lo
	global_store_b32 v13, v1, s[6:7] scale_offset
	global_store_b64 v12, v[2:3], s[8:9] scale_offset
.LBB30_447:                             ;   in Loop: Header=BB30_438 Depth=1
	s_wait_xcnt 0x0
	s_or_b32 exec_lo, exec_lo, s22
	s_delay_alu instid0(SALU_CYCLE_1)
	s_or_not1_b32 s22, s20, exec_lo
.LBB30_448:                             ;   in Loop: Header=BB30_438 Depth=1
	s_or_b32 exec_lo, exec_lo, s21
	s_mov_b32 s20, -1
	s_and_saveexec_b32 s21, s22
	s_cbranch_execz .LBB30_437
; %bb.449:                              ;   in Loop: Header=BB30_438 Depth=1
	v_cmp_le_u32_e64 s0, s17, v7
	v_add_nc_u32_e32 v4, s53, v4
	s_xor_b32 s20, exec_lo, -1
	s_or_not1_b32 s1, s0, exec_lo
	s_branch .LBB30_437
.LBB30_450:
	s_or_b32 exec_lo, exec_lo, s18
	s_delay_alu instid0(SALU_CYCLE_1)
	s_mov_b32 s1, exec_lo
	s_or_not1_b32 s0, s19, exec_lo
	s_or_b32 exec_lo, exec_lo, s10
	s_and_saveexec_b32 s4, s0
	s_cbranch_execz .LBB30_427
.LBB30_451:
	v_mov_b32_e32 v7, 0
	s_wait_storecnt 0x0
	s_wait_loadcnt_dscnt 0x0
	s_barrier_signal -1
	s_barrier_wait -1
	s_and_saveexec_b32 s0, s3
	s_cbranch_execz .LBB30_453
; %bb.452:
	global_load_b32 v7, v[8:9], off
.LBB30_453:
	s_wait_xcnt 0x0
	s_or_b32 exec_lo, exec_lo, s0
	s_mov_b32 s0, 0
	s_and_saveexec_b32 s3, vcc_lo
	s_cbranch_execz .LBB30_473
; %bb.454:
	v_add_nc_u32_e32 v1, s35, v0
	s_mov_b32 s10, 0
                                        ; implicit-def: $sgpr11
                                        ; implicit-def: $vgpr5
	s_delay_alu instid0(VALU_DEP_1)
	v_mul_lo_u32 v2, s52, v1
	v_mov_b32_e32 v1, 0
	s_branch .LBB30_457
.LBB30_455:                             ;   in Loop: Header=BB30_457 Depth=1
	s_or_b32 exec_lo, exec_lo, s20
	s_delay_alu instid0(SALU_CYCLE_1)
	s_or_not1_b32 s20, s18, exec_lo
	s_or_not1_b32 s19, s19, exec_lo
.LBB30_456:                             ;   in Loop: Header=BB30_457 Depth=1
	s_or_b32 exec_lo, exec_lo, s0
	s_xor_b32 s0, s20, -1
	s_and_b32 s18, exec_lo, s19
	v_dual_mov_b32 v0, v3 :: v_dual_mov_b32 v7, v4
	s_or_b32 s10, s18, s10
	s_and_not1_b32 s11, s11, exec_lo
	s_and_b32 s0, s0, exec_lo
	s_delay_alu instid0(SALU_CYCLE_1)
	s_or_b32 s11, s11, s0
	s_and_not1_b32 exec_lo, exec_lo, s10
	s_cbranch_execz .LBB30_471
.LBB30_457:                             ; =>This Inner Loop Header: Depth=1
	v_dual_mov_b32 v4, 0 :: v_dual_add_nc_u32 v3, s35, v0
	s_mov_b32 s0, exec_lo
	s_delay_alu instid0(VALU_DEP_1)
	v_cmpx_gt_u32_e64 s36, v3
	s_cbranch_execz .LBB30_459
; %bb.458:                              ;   in Loop: Header=BB30_457 Depth=1
	global_load_b32 v4, v2, s[38:39] scale_offset
.LBB30_459:                             ;   in Loop: Header=BB30_457 Depth=1
	s_wait_xcnt 0x0
	s_or_b32 exec_lo, exec_lo, s0
	v_cmp_gt_u32_e32 vcc_lo, s36, v0
	s_wait_loadcnt 0x0
	v_cmp_eq_u32_e64 s0, v7, v17
	s_and_b32 s18, vcc_lo, s0
	s_delay_alu instid0(SALU_CYCLE_1) | instskip(NEXT) | instid1(VALU_DEP_1)
	v_cndmask_b32_e64 v7, 0, 1, s18
	v_cmp_ne_u32_e32 vcc_lo, 0, v7
	s_cmp_lg_u32 vcc_lo, 0
	s_cselect_b32 s0, -1, 0
	s_delay_alu instid0(SALU_CYCLE_1) | instskip(NEXT) | instid1(SALU_CYCLE_1)
	s_and_b32 s0, s2, s0
	s_and_saveexec_b32 s19, s0
	s_cbranch_execz .LBB30_463
; %bb.460:                              ;   in Loop: Header=BB30_457 Depth=1
	s_mov_b32 s22, exec_lo
	s_bcnt1_i32_b32 s20, vcc_lo
	v_mbcnt_lo_u32_b32 v5, s22, 0
	s_mov_b32 s21, exec_lo
                                        ; implicit-def: $vgpr7
	s_delay_alu instid0(VALU_DEP_1)
	v_cmpx_eq_u32_e32 0, v5
; %bb.461:                              ;   in Loop: Header=BB30_457 Depth=1
	s_bcnt1_i32_b32 s0, s22
	s_delay_alu instid0(SALU_CYCLE_1) | instskip(NEXT) | instid1(SALU_CYCLE_1)
	s_mul_i32 s0, s20, s0
	v_mov_b32_e32 v7, s0
	ds_add_rtn_u32 v7, v1, v7 offset:4108
; %bb.462:                              ;   in Loop: Header=BB30_457 Depth=1
	s_or_b32 exec_lo, exec_lo, s21
	s_wait_dscnt 0x0
	v_readfirstlane_b32 s0, v7
	s_delay_alu instid0(VALU_DEP_1)
	v_mad_u32_u24 v5, s20, v5, s0
.LBB30_463:                             ;   in Loop: Header=BB30_457 Depth=1
	s_or_b32 exec_lo, exec_lo, s19
	ds_bpermute_b32 v5, v1, v5
	s_cmp_eq_u32 vcc_lo, 0
	s_mov_b32 s19, -1
	s_cselect_b32 s20, -1, 0
	s_wait_dscnt 0x0
	v_cmp_gt_u32_e64 s0, s37, v5
	s_or_b32 s21, s20, s0
	s_mov_b32 s20, -1
	s_and_saveexec_b32 s0, s21
	s_cbranch_execz .LBB30_456
; %bb.464:                              ;   in Loop: Header=BB30_457 Depth=1
	v_dual_sub_nc_u32 v8, s37, v5 :: v_dual_bitop2_b32 v7, vcc_lo, v6 bitop3:0x40
	s_mov_b32 s21, -1
	s_delay_alu instid0(VALU_DEP_1) | instskip(NEXT) | instid1(VALU_DEP_1)
	v_bcnt_u32_b32 v7, v7, 0
	v_bcnt_u32_b32 v7, 0, v7
	s_delay_alu instid0(VALU_DEP_1)
	v_cmp_gt_u32_e32 vcc_lo, v8, v7
	s_and_b32 s22, s18, vcc_lo
	s_mov_b32 s18, -1
	s_and_saveexec_b32 s20, s22
	s_cbranch_execz .LBB30_468
; %bb.465:                              ;   in Loop: Header=BB30_457 Depth=1
	v_add_nc_u32_e32 v7, v5, v7
	s_mov_b32 s21, 0
	s_mov_b32 s18, exec_lo
	s_delay_alu instid0(VALU_DEP_1)
	v_cmpx_gt_u32_e64 s37, v7
	s_cbranch_execz .LBB30_467
; %bb.466:                              ;   in Loop: Header=BB30_457 Depth=1
	s_wait_kmcnt 0x0
	v_mul_lo_u32 v8, v7, s5
	v_mul_lo_u32 v7, v7, s16
	s_mov_b32 s21, exec_lo
	global_store_b32 v8, v17, s[6:7] scale_offset
	global_store_b64 v7, v[0:1], s[8:9] scale_offset
.LBB30_467:                             ;   in Loop: Header=BB30_457 Depth=1
	s_wait_xcnt 0x0
	s_or_b32 exec_lo, exec_lo, s18
	s_delay_alu instid0(SALU_CYCLE_1)
	s_xor_b32 s18, exec_lo, -1
	s_or_not1_b32 s21, s21, exec_lo
.LBB30_468:                             ;   in Loop: Header=BB30_457 Depth=1
	s_or_b32 exec_lo, exec_lo, s20
	s_and_saveexec_b32 s20, s21
	s_cbranch_execz .LBB30_455
; %bb.469:                              ;   in Loop: Header=BB30_457 Depth=1
	v_cmp_le_u32_e32 vcc_lo, s17, v3
	v_add_nc_u32_e32 v2, s53, v2
	s_or_b32 s18, s18, exec_lo
	s_or_not1_b32 s19, vcc_lo, exec_lo
	s_branch .LBB30_455
.LBB30_470:
	s_or_b32 s8, s8, exec_lo
	s_trap 2
	s_branch .LBB30_434
.LBB30_471:
	s_or_b32 exec_lo, exec_lo, s10
	s_mov_b32 s0, 0
	s_and_saveexec_b32 s2, s11
	s_delay_alu instid0(SALU_CYCLE_1)
	s_xor_b32 s2, exec_lo, s2
	s_cbranch_execnz .LBB30_477
.LBB30_472:
	s_or_b32 exec_lo, exec_lo, s2
	s_delay_alu instid0(SALU_CYCLE_1)
	s_and_b32 s0, s0, exec_lo
.LBB30_473:
	s_or_b32 exec_lo, exec_lo, s3
	s_delay_alu instid0(SALU_CYCLE_1) | instskip(SKIP_3) | instid1(SALU_CYCLE_1)
	s_and_b32 s11, s0, exec_lo
	s_and_not1_b32 s1, s1, exec_lo
	s_or_b32 exec_lo, exec_lo, s4
	s_and_saveexec_b32 s0, s1
	s_xor_b32 s0, exec_lo, s0
	s_cbranch_execz .LBB30_428
.LBB30_474:
	s_or_b32 s11, s11, exec_lo
	s_trap 2
	s_branch .LBB30_428
.LBB30_475:
	s_or_b32 s8, s8, exec_lo
	s_trap 2
	s_branch .LBB30_432
.LBB30_476:
	s_or_b32 s8, s8, exec_lo
	s_trap 2
	s_branch .LBB30_430
.LBB30_477:
	s_mov_b32 s0, exec_lo
	s_trap 2
	s_branch .LBB30_472
	.section	.rodata,"a",@progbits
	.p2align	6, 0x0
	.amdhsa_kernel _ZN2at6native6sbtopk10gatherTopKIijLi1ELb0EEEvNS_4cuda6detail10TensorInfoIKT_T0_EES8_S8_bS8_S8_NS5_IS6_S8_EES8_NS5_IlS8_EES8_PS6_
		.amdhsa_group_segment_fixed_size 4112
		.amdhsa_private_segment_fixed_size 0
		.amdhsa_kernarg_size 952
		.amdhsa_user_sgpr_count 2
		.amdhsa_user_sgpr_dispatch_ptr 0
		.amdhsa_user_sgpr_queue_ptr 0
		.amdhsa_user_sgpr_kernarg_segment_ptr 1
		.amdhsa_user_sgpr_dispatch_id 0
		.amdhsa_user_sgpr_kernarg_preload_length 0
		.amdhsa_user_sgpr_kernarg_preload_offset 0
		.amdhsa_user_sgpr_private_segment_size 0
		.amdhsa_wavefront_size32 1
		.amdhsa_uses_dynamic_stack 0
		.amdhsa_enable_private_segment 0
		.amdhsa_system_sgpr_workgroup_id_x 1
		.amdhsa_system_sgpr_workgroup_id_y 1
		.amdhsa_system_sgpr_workgroup_id_z 1
		.amdhsa_system_sgpr_workgroup_info 0
		.amdhsa_system_vgpr_workitem_id 0
		.amdhsa_next_free_vgpr 64
		.amdhsa_next_free_sgpr 101
		.amdhsa_named_barrier_count 0
		.amdhsa_reserve_vcc 1
		.amdhsa_float_round_mode_32 0
		.amdhsa_float_round_mode_16_64 0
		.amdhsa_float_denorm_mode_32 3
		.amdhsa_float_denorm_mode_16_64 3
		.amdhsa_fp16_overflow 0
		.amdhsa_memory_ordered 1
		.amdhsa_forward_progress 1
		.amdhsa_inst_pref_size 123
		.amdhsa_round_robin_scheduling 0
		.amdhsa_exception_fp_ieee_invalid_op 0
		.amdhsa_exception_fp_denorm_src 0
		.amdhsa_exception_fp_ieee_div_zero 0
		.amdhsa_exception_fp_ieee_overflow 0
		.amdhsa_exception_fp_ieee_underflow 0
		.amdhsa_exception_fp_ieee_inexact 0
		.amdhsa_exception_int_div_zero 0
	.end_amdhsa_kernel
	.section	.text._ZN2at6native6sbtopk10gatherTopKIijLi1ELb0EEEvNS_4cuda6detail10TensorInfoIKT_T0_EES8_S8_bS8_S8_NS5_IS6_S8_EES8_NS5_IlS8_EES8_PS6_,"axG",@progbits,_ZN2at6native6sbtopk10gatherTopKIijLi1ELb0EEEvNS_4cuda6detail10TensorInfoIKT_T0_EES8_S8_bS8_S8_NS5_IS6_S8_EES8_NS5_IlS8_EES8_PS6_,comdat
.Lfunc_end30:
	.size	_ZN2at6native6sbtopk10gatherTopKIijLi1ELb0EEEvNS_4cuda6detail10TensorInfoIKT_T0_EES8_S8_bS8_S8_NS5_IS6_S8_EES8_NS5_IlS8_EES8_PS6_, .Lfunc_end30-_ZN2at6native6sbtopk10gatherTopKIijLi1ELb0EEEvNS_4cuda6detail10TensorInfoIKT_T0_EES8_S8_bS8_S8_NS5_IS6_S8_EES8_NS5_IlS8_EES8_PS6_
                                        ; -- End function
	.set _ZN2at6native6sbtopk10gatherTopKIijLi1ELb0EEEvNS_4cuda6detail10TensorInfoIKT_T0_EES8_S8_bS8_S8_NS5_IS6_S8_EES8_NS5_IlS8_EES8_PS6_.num_vgpr, 64
	.set _ZN2at6native6sbtopk10gatherTopKIijLi1ELb0EEEvNS_4cuda6detail10TensorInfoIKT_T0_EES8_S8_bS8_S8_NS5_IS6_S8_EES8_NS5_IlS8_EES8_PS6_.num_agpr, 0
	.set _ZN2at6native6sbtopk10gatherTopKIijLi1ELb0EEEvNS_4cuda6detail10TensorInfoIKT_T0_EES8_S8_bS8_S8_NS5_IS6_S8_EES8_NS5_IlS8_EES8_PS6_.numbered_sgpr, 101
	.set _ZN2at6native6sbtopk10gatherTopKIijLi1ELb0EEEvNS_4cuda6detail10TensorInfoIKT_T0_EES8_S8_bS8_S8_NS5_IS6_S8_EES8_NS5_IlS8_EES8_PS6_.num_named_barrier, 0
	.set _ZN2at6native6sbtopk10gatherTopKIijLi1ELb0EEEvNS_4cuda6detail10TensorInfoIKT_T0_EES8_S8_bS8_S8_NS5_IS6_S8_EES8_NS5_IlS8_EES8_PS6_.private_seg_size, 0
	.set _ZN2at6native6sbtopk10gatherTopKIijLi1ELb0EEEvNS_4cuda6detail10TensorInfoIKT_T0_EES8_S8_bS8_S8_NS5_IS6_S8_EES8_NS5_IlS8_EES8_PS6_.uses_vcc, 1
	.set _ZN2at6native6sbtopk10gatherTopKIijLi1ELb0EEEvNS_4cuda6detail10TensorInfoIKT_T0_EES8_S8_bS8_S8_NS5_IS6_S8_EES8_NS5_IlS8_EES8_PS6_.uses_flat_scratch, 0
	.set _ZN2at6native6sbtopk10gatherTopKIijLi1ELb0EEEvNS_4cuda6detail10TensorInfoIKT_T0_EES8_S8_bS8_S8_NS5_IS6_S8_EES8_NS5_IlS8_EES8_PS6_.has_dyn_sized_stack, 0
	.set _ZN2at6native6sbtopk10gatherTopKIijLi1ELb0EEEvNS_4cuda6detail10TensorInfoIKT_T0_EES8_S8_bS8_S8_NS5_IS6_S8_EES8_NS5_IlS8_EES8_PS6_.has_recursion, 0
	.set _ZN2at6native6sbtopk10gatherTopKIijLi1ELb0EEEvNS_4cuda6detail10TensorInfoIKT_T0_EES8_S8_bS8_S8_NS5_IS6_S8_EES8_NS5_IlS8_EES8_PS6_.has_indirect_call, 0
	.section	.AMDGPU.csdata,"",@progbits
; Kernel info:
; codeLenInByte = 15676
; TotalNumSgprs: 103
; NumVgprs: 64
; ScratchSize: 0
; MemoryBound: 0
; FloatMode: 240
; IeeeMode: 1
; LDSByteSize: 4112 bytes/workgroup (compile time only)
; SGPRBlocks: 0
; VGPRBlocks: 3
; NumSGPRsForWavesPerEU: 103
; NumVGPRsForWavesPerEU: 64
; NamedBarCnt: 0
; Occupancy: 16
; WaveLimiterHint : 1
; COMPUTE_PGM_RSRC2:SCRATCH_EN: 0
; COMPUTE_PGM_RSRC2:USER_SGPR: 2
; COMPUTE_PGM_RSRC2:TRAP_HANDLER: 0
; COMPUTE_PGM_RSRC2:TGID_X_EN: 1
; COMPUTE_PGM_RSRC2:TGID_Y_EN: 1
; COMPUTE_PGM_RSRC2:TGID_Z_EN: 1
; COMPUTE_PGM_RSRC2:TIDIG_COMP_CNT: 0
	.section	.text._ZN2at6native6mbtopk23computeBlockDigitCountsIijjLi2EEEvNS_4cuda6detail10TensorInfoIKT_T0_EEjPjjS8_iijT1_PSB_Ps,"axG",@progbits,_ZN2at6native6mbtopk23computeBlockDigitCountsIijjLi2EEEvNS_4cuda6detail10TensorInfoIKT_T0_EEjPjjS8_iijT1_PSB_Ps,comdat
	.protected	_ZN2at6native6mbtopk23computeBlockDigitCountsIijjLi2EEEvNS_4cuda6detail10TensorInfoIKT_T0_EEjPjjS8_iijT1_PSB_Ps ; -- Begin function _ZN2at6native6mbtopk23computeBlockDigitCountsIijjLi2EEEvNS_4cuda6detail10TensorInfoIKT_T0_EEjPjjS8_iijT1_PSB_Ps
	.globl	_ZN2at6native6mbtopk23computeBlockDigitCountsIijjLi2EEEvNS_4cuda6detail10TensorInfoIKT_T0_EEjPjjS8_iijT1_PSB_Ps
	.p2align	8
	.type	_ZN2at6native6mbtopk23computeBlockDigitCountsIijjLi2EEEvNS_4cuda6detail10TensorInfoIKT_T0_EEjPjjS8_iijT1_PSB_Ps,@function
_ZN2at6native6mbtopk23computeBlockDigitCountsIijjLi2EEEvNS_4cuda6detail10TensorInfoIKT_T0_EEjPjjS8_iijT1_PSB_Ps: ; @_ZN2at6native6mbtopk23computeBlockDigitCountsIijjLi2EEEvNS_4cuda6detail10TensorInfoIKT_T0_EEjPjjS8_iijT1_PSB_Ps
; %bb.0:
	s_load_b64 s[2:3], s[0:1], 0xf8
	s_bfe_u32 s4, ttmp6, 0x40010
	s_and_b32 s6, ttmp7, 0xffff
	s_add_co_i32 s7, s4, 1
	s_bfe_u32 s8, ttmp6, 0x40004
	s_mul_i32 s7, s6, s7
	s_load_b64 s[4:5], s[0:1], 0x110
	s_add_co_i32 s7, s8, s7
	s_bfe_u32 s9, ttmp6, 0x4000c
	s_bfe_u32 s11, ttmp6, 0x40014
	s_add_co_i32 s9, s9, 1
	s_and_b32 s10, ttmp6, 15
	s_mul_i32 s9, ttmp9, s9
	s_add_co_i32 s11, s11, 1
	s_add_co_i32 s12, s10, s9
	s_bfe_u32 s10, ttmp6, 0x40008
	s_mov_b32 s15, 0
	s_wait_kmcnt 0x0
	s_cvt_f32_u32 s8, s2
	s_delay_alu instid0(SALU_CYCLE_3) | instskip(SKIP_1) | instid1(SALU_CYCLE_1)
	v_rcp_iflag_f32_e32 v1, s8
	s_lshr_b32 s8, ttmp7, 16
	s_mul_i32 s9, s8, s11
	s_getreg_b32 s11, hwreg(HW_REG_IB_STS2, 6, 4)
	s_add_co_i32 s10, s10, s9
	s_cmp_eq_u32 s11, 0
	v_nop
	v_readfirstlane_b32 s13, v1
	s_cselect_b32 s14, s8, s10
	s_load_b128 s[8:11], s[0:1], 0xe8
	s_mul_i32 s5, s5, s14
	s_cselect_b32 s12, ttmp9, s12
	s_mul_f32 s13, s13, 0x4f7ffffe
	s_cselect_b32 s6, s6, s7
	s_sub_co_i32 s7, 0, s2
	s_add_co_i32 s5, s5, s6
	s_cvt_u32_f32 s13, s13
	s_mul_i32 s16, s5, s4
	s_delay_alu instid0(SALU_CYCLE_1) | instskip(NEXT) | instid1(SALU_CYCLE_1)
	s_add_co_i32 s16, s16, s12
	s_mul_i32 s7, s7, s13
	s_delay_alu instid0(SALU_CYCLE_1) | instskip(NEXT) | instid1(SALU_CYCLE_1)
	s_mul_hi_u32 s4, s13, s7
	s_add_co_i32 s13, s13, s4
	s_delay_alu instid0(SALU_CYCLE_1) | instskip(NEXT) | instid1(SALU_CYCLE_1)
	s_mul_hi_u32 s4, s16, s13
	s_mul_i32 s5, s4, s2
	s_add_co_i32 s6, s4, 1
	s_sub_co_i32 s5, s16, s5
	s_delay_alu instid0(SALU_CYCLE_1)
	s_sub_co_i32 s7, s5, s2
	s_cmp_ge_u32 s5, s2
	s_cselect_b32 s4, s6, s4
	s_cselect_b32 s5, s7, s5
	s_add_co_i32 s6, s4, 1
	s_cmp_ge_u32 s5, s2
	s_cselect_b32 s14, s6, s4
	s_wait_kmcnt 0x0
	s_cmp_ge_u32 s14, s8
	s_cbranch_scc1 .LBB31_27
; %bb.1:
	s_load_b32 s18, s[0:1], 0xc
	v_cmp_gt_u32_e32 vcc_lo, 0x100, v0
	s_wait_kmcnt 0x0
	s_cvt_f32_u32 s4, s18
	s_delay_alu instid0(SALU_CYCLE_3) | instskip(SKIP_1) | instid1(TRANS32_DEP_1)
	v_rcp_iflag_f32_e32 v1, s4
	v_nop
	v_readfirstlane_b32 s19, v1
	v_lshlrev_b32_e32 v1, 2, v0
	s_and_saveexec_b32 s4, vcc_lo
; %bb.2:
	v_mov_b32_e32 v2, 0
	ds_store_b32 v1, v2
; %bb.3:
	s_or_b32 exec_lo, exec_lo, s4
	s_clause 0x1
	s_load_b32 s8, s[0:1], 0xd8
	s_load_b128 s[4:7], s[0:1], 0x100
	s_mul_i32 s12, s14, s2
	s_mov_b32 s13, 0
	s_sub_co_i32 s22, s16, s12
	s_wait_dscnt 0x0
	s_mul_i32 s12, s11, s22
	s_add_co_i32 s22, s22, 1
	s_lshl_b32 s17, s12, 8
	s_barrier_signal -1
	s_barrier_wait -1
	s_wait_kmcnt 0x0
	s_sub_co_i32 s12, s8, s17
	s_delay_alu instid0(SALU_CYCLE_1) | instskip(NEXT) | instid1(SALU_CYCLE_1)
	s_add_nc_u64 s[20:21], s[12:13], 0xff
	s_lshr_b64 s[20:21], s[20:21], 8
	s_cmp_lt_u32 s22, s2
	s_cselect_b32 s11, s11, s20
	s_delay_alu instid0(SALU_CYCLE_1)
	s_cmp_lt_i32 s11, 1
	s_cbranch_scc1 .LBB31_25
; %bb.4:
	s_mul_f32 s2, s19, 0x4f7ffffe
	s_sub_co_i32 s12, 0, s18
	s_mov_b32 s21, s15
	s_clause 0x1
	s_load_b64 s[22:23], s[0:1], 0x6c
	s_load_b64 s[24:25], s[0:1], 0x0
	s_cvt_u32_f32 s2, s2
	s_wait_xcnt 0x0
	s_load_b32 s1, s[4:5], s14 offset:0x0 scale_offset
	s_delay_alu instid0(SALU_CYCLE_1) | instskip(NEXT) | instid1(SALU_CYCLE_1)
	s_mul_i32 s12, s12, s2
	s_mul_hi_u32 s12, s2, s12
	s_delay_alu instid0(SALU_CYCLE_1) | instskip(NEXT) | instid1(SALU_CYCLE_1)
	s_add_co_i32 s20, s2, s12
	s_mul_u64 s[20:21], s[14:15], s[20:21]
	s_delay_alu instid0(SALU_CYCLE_1) | instskip(NEXT) | instid1(SALU_CYCLE_1)
	s_mul_i32 s2, s21, s18
	s_sub_co_i32 s0, s14, s2
	s_add_co_i32 s2, s21, 1
	s_sub_co_i32 s12, s0, s18
	s_cmp_ge_u32 s0, s18
	s_cselect_b32 s2, s2, s21
	s_cselect_b32 s0, s12, s0
	s_wait_xcnt 0x0
	s_add_co_i32 s4, s2, 1
	s_cmp_ge_u32 s0, s18
	s_cselect_b32 s0, s4, s2
	s_delay_alu instid0(SALU_CYCLE_1) | instskip(SKIP_3) | instid1(SALU_CYCLE_1)
	s_mul_i32 s2, s0, s18
	s_wait_kmcnt 0x0
	s_mul_i32 s0, s0, s22
	s_sub_co_i32 s2, s14, s2
	s_mul_i32 s2, s2, s23
	s_delay_alu instid0(SALU_CYCLE_1)
	s_add_co_i32 s12, s0, s2
	s_and_b32 s2, s10, 0xff
	s_lshl_b64 s[4:5], s[12:13], 2
	s_cmp_lt_u32 s11, 4
	s_add_nc_u64 s[4:5], s[24:25], s[4:5]
	s_cbranch_scc1 .LBB31_19
; %bb.5:
	v_dual_mov_b32 v7, 1 :: v_dual_add_nc_u32 v6, s17, v0
	s_and_b32 s13, s11, 0x7ffffffc
	s_lshl_b32 s10, s9, 10
	s_mov_b32 s12, 0
	s_delay_alu instid0(VALU_DEP_1)
	v_add_nc_u32_e32 v2, 0x300, v6
	v_add_nc_u32_e32 v4, 0x200, v6
	;; [unrolled: 1-line block ×3, first 2 shown]
	v_mul_lo_u32 v6, s9, v6
	s_mov_b32 s14, 0
	v_mul_lo_u32 v3, s9, v2
	v_mul_lo_u32 v4, s9, v4
	;; [unrolled: 1-line block ×3, first 2 shown]
	s_branch .LBB31_7
.LBB31_6:                               ;   in Loop: Header=BB31_7 Depth=1
	s_or_b32 exec_lo, exec_lo, s15
	v_add_nc_u32_e32 v2, 0x400, v2
	s_add_co_i32 s14, s14, 4
	s_add_co_i32 s12, s12, s10
	s_cmp_eq_u32 s13, s14
	s_cbranch_scc1 .LBB31_19
.LBB31_7:                               ; =>This Inner Loop Header: Depth=1
	v_add_nc_u32_e32 v8, 0xfffffd00, v2
	s_mov_b32 s15, exec_lo
	s_delay_alu instid0(VALU_DEP_1)
	v_cmpx_gt_u32_e64 s8, v8
	s_cbranch_execz .LBB31_10
; %bb.8:                                ;   in Loop: Header=BB31_7 Depth=1
	v_add_nc_u32_e32 v8, s12, v6
	global_load_b32 v8, v8, s[4:5] scale_offset
	s_wait_loadcnt 0x0
	s_wait_xcnt 0x0
	v_xor_b32_e32 v8, 0x80000000, v8
	s_delay_alu instid0(VALU_DEP_1) | instskip(NEXT) | instid1(VALU_DEP_1)
	v_bitop3_b32 v9, v8, s3, s1 bitop3:0x48
	v_cmp_eq_u32_e64 s0, 0, v9
	s_and_b32 exec_lo, exec_lo, s0
; %bb.9:                                ;   in Loop: Header=BB31_7 Depth=1
	v_bfe_u32 v8, v8, s2, 8
	s_delay_alu instid0(VALU_DEP_1)
	v_lshlrev_b32_e32 v8, 2, v8
	ds_add_u32 v8, v7
.LBB31_10:                              ;   in Loop: Header=BB31_7 Depth=1
	s_or_b32 exec_lo, exec_lo, s15
	v_add_nc_u32_e32 v8, 0xfffffe00, v2
	s_mov_b32 s15, exec_lo
	s_delay_alu instid0(VALU_DEP_1)
	v_cmpx_gt_u32_e64 s8, v8
	s_cbranch_execz .LBB31_13
; %bb.11:                               ;   in Loop: Header=BB31_7 Depth=1
	v_add_nc_u32_e32 v8, s12, v5
	global_load_b32 v8, v8, s[4:5] scale_offset
	s_wait_loadcnt 0x0
	v_xor_b32_e32 v8, 0x80000000, v8
	s_delay_alu instid0(VALU_DEP_1) | instskip(NEXT) | instid1(VALU_DEP_1)
	v_bitop3_b32 v9, v8, s3, s1 bitop3:0x48
	v_cmp_eq_u32_e64 s0, 0, v9
	s_and_b32 exec_lo, exec_lo, s0
; %bb.12:                               ;   in Loop: Header=BB31_7 Depth=1
	v_bfe_u32 v8, v8, s2, 8
	s_delay_alu instid0(VALU_DEP_1)
	v_lshlrev_b32_e32 v8, 2, v8
	ds_add_u32 v8, v7
.LBB31_13:                              ;   in Loop: Header=BB31_7 Depth=1
	s_or_b32 exec_lo, exec_lo, s15
	v_add_nc_u32_e32 v8, 0xffffff00, v2
	s_mov_b32 s15, exec_lo
	s_delay_alu instid0(VALU_DEP_1)
	v_cmpx_gt_u32_e64 s8, v8
	s_cbranch_execz .LBB31_16
; %bb.14:                               ;   in Loop: Header=BB31_7 Depth=1
	v_add_nc_u32_e32 v8, s12, v4
	global_load_b32 v8, v8, s[4:5] scale_offset
	s_wait_loadcnt 0x0
	v_xor_b32_e32 v8, 0x80000000, v8
	s_delay_alu instid0(VALU_DEP_1) | instskip(NEXT) | instid1(VALU_DEP_1)
	v_bitop3_b32 v9, v8, s3, s1 bitop3:0x48
	v_cmp_eq_u32_e64 s0, 0, v9
	s_and_b32 exec_lo, exec_lo, s0
; %bb.15:                               ;   in Loop: Header=BB31_7 Depth=1
	v_bfe_u32 v8, v8, s2, 8
	s_delay_alu instid0(VALU_DEP_1)
	v_lshlrev_b32_e32 v8, 2, v8
	ds_add_u32 v8, v7
.LBB31_16:                              ;   in Loop: Header=BB31_7 Depth=1
	s_or_b32 exec_lo, exec_lo, s15
	s_delay_alu instid0(SALU_CYCLE_1)
	s_mov_b32 s15, exec_lo
	v_cmpx_gt_u32_e64 s8, v2
	s_cbranch_execz .LBB31_6
; %bb.17:                               ;   in Loop: Header=BB31_7 Depth=1
	v_add_nc_u32_e32 v8, s12, v3
	global_load_b32 v8, v8, s[4:5] scale_offset
	s_wait_loadcnt 0x0
	v_xor_b32_e32 v8, 0x80000000, v8
	s_delay_alu instid0(VALU_DEP_1) | instskip(NEXT) | instid1(VALU_DEP_1)
	v_bitop3_b32 v9, v8, s3, s1 bitop3:0x48
	v_cmp_eq_u32_e64 s0, 0, v9
	s_and_b32 exec_lo, exec_lo, s0
	s_cbranch_execz .LBB31_6
; %bb.18:                               ;   in Loop: Header=BB31_7 Depth=1
	v_bfe_u32 v8, v8, s2, 8
	s_delay_alu instid0(VALU_DEP_1)
	v_lshlrev_b32_e32 v8, 2, v8
	ds_add_u32 v8, v7
	s_branch .LBB31_6
.LBB31_19:
	s_and_b32 s10, s11, 3
	s_delay_alu instid0(SALU_CYCLE_1)
	s_cmp_eq_u32 s10, 0
	s_cbranch_scc1 .LBB31_25
; %bb.20:
	s_lshl_b32 s0, s13, 8
	v_mov_b32_e32 v4, 1
	v_add3_u32 v2, s0, s17, v0
	s_delay_alu instid0(VALU_DEP_1)
	v_mul_lo_u32 v3, s9, v2
	s_lshl_b32 s9, s9, 8
	s_branch .LBB31_22
.LBB31_21:                              ;   in Loop: Header=BB31_22 Depth=1
	s_or_b32 exec_lo, exec_lo, s11
	s_delay_alu instid0(VALU_DEP_2) | instskip(SKIP_2) | instid1(SALU_CYCLE_1)
	v_add_nc_u32_e32 v3, s9, v3
	v_add_nc_u32_e32 v2, 0x100, v2
	s_add_co_i32 s10, s10, -1
	s_cmp_lg_u32 s10, 0
	s_cbranch_scc0 .LBB31_25
.LBB31_22:                              ; =>This Inner Loop Header: Depth=1
	s_mov_b32 s11, exec_lo
	v_cmpx_gt_u32_e64 s8, v2
	s_cbranch_execz .LBB31_21
; %bb.23:                               ;   in Loop: Header=BB31_22 Depth=1
	global_load_b32 v5, v3, s[4:5] scale_offset
	s_wait_loadcnt 0x0
	v_xor_b32_e32 v5, 0x80000000, v5
	s_delay_alu instid0(VALU_DEP_1) | instskip(NEXT) | instid1(VALU_DEP_1)
	v_bitop3_b32 v6, v5, s3, s1 bitop3:0x48
	v_cmp_eq_u32_e64 s0, 0, v6
	s_and_b32 exec_lo, exec_lo, s0
	s_cbranch_execz .LBB31_21
; %bb.24:                               ;   in Loop: Header=BB31_22 Depth=1
	v_bfe_u32 v5, v5, s2, 8
	s_delay_alu instid0(VALU_DEP_1)
	v_lshlrev_b32_e32 v5, 2, v5
	ds_add_u32 v5, v4
	s_branch .LBB31_21
.LBB31_25:
	s_wait_dscnt 0x0
	s_barrier_signal -1
	s_barrier_wait -1
	s_and_saveexec_b32 s0, vcc_lo
	s_cbranch_execz .LBB31_27
; %bb.26:
	ds_load_b32 v1, v1
	v_lshl_or_b32 v0, s16, 8, v0
	s_wait_dscnt 0x0
	global_store_b16 v0, v1, s[6:7] scale_offset
.LBB31_27:
	s_endpgm
	.section	.rodata,"a",@progbits
	.p2align	6, 0x0
	.amdhsa_kernel _ZN2at6native6mbtopk23computeBlockDigitCountsIijjLi2EEEvNS_4cuda6detail10TensorInfoIKT_T0_EEjPjjS8_iijT1_PSB_Ps
		.amdhsa_group_segment_fixed_size 1024
		.amdhsa_private_segment_fixed_size 0
		.amdhsa_kernarg_size 528
		.amdhsa_user_sgpr_count 2
		.amdhsa_user_sgpr_dispatch_ptr 0
		.amdhsa_user_sgpr_queue_ptr 0
		.amdhsa_user_sgpr_kernarg_segment_ptr 1
		.amdhsa_user_sgpr_dispatch_id 0
		.amdhsa_user_sgpr_kernarg_preload_length 0
		.amdhsa_user_sgpr_kernarg_preload_offset 0
		.amdhsa_user_sgpr_private_segment_size 0
		.amdhsa_wavefront_size32 1
		.amdhsa_uses_dynamic_stack 0
		.amdhsa_enable_private_segment 0
		.amdhsa_system_sgpr_workgroup_id_x 1
		.amdhsa_system_sgpr_workgroup_id_y 1
		.amdhsa_system_sgpr_workgroup_id_z 1
		.amdhsa_system_sgpr_workgroup_info 0
		.amdhsa_system_vgpr_workitem_id 0
		.amdhsa_next_free_vgpr 10
		.amdhsa_next_free_sgpr 26
		.amdhsa_named_barrier_count 0
		.amdhsa_reserve_vcc 1
		.amdhsa_float_round_mode_32 0
		.amdhsa_float_round_mode_16_64 0
		.amdhsa_float_denorm_mode_32 3
		.amdhsa_float_denorm_mode_16_64 3
		.amdhsa_fp16_overflow 0
		.amdhsa_memory_ordered 1
		.amdhsa_forward_progress 1
		.amdhsa_inst_pref_size 12
		.amdhsa_round_robin_scheduling 0
		.amdhsa_exception_fp_ieee_invalid_op 0
		.amdhsa_exception_fp_denorm_src 0
		.amdhsa_exception_fp_ieee_div_zero 0
		.amdhsa_exception_fp_ieee_overflow 0
		.amdhsa_exception_fp_ieee_underflow 0
		.amdhsa_exception_fp_ieee_inexact 0
		.amdhsa_exception_int_div_zero 0
	.end_amdhsa_kernel
	.section	.text._ZN2at6native6mbtopk23computeBlockDigitCountsIijjLi2EEEvNS_4cuda6detail10TensorInfoIKT_T0_EEjPjjS8_iijT1_PSB_Ps,"axG",@progbits,_ZN2at6native6mbtopk23computeBlockDigitCountsIijjLi2EEEvNS_4cuda6detail10TensorInfoIKT_T0_EEjPjjS8_iijT1_PSB_Ps,comdat
.Lfunc_end31:
	.size	_ZN2at6native6mbtopk23computeBlockDigitCountsIijjLi2EEEvNS_4cuda6detail10TensorInfoIKT_T0_EEjPjjS8_iijT1_PSB_Ps, .Lfunc_end31-_ZN2at6native6mbtopk23computeBlockDigitCountsIijjLi2EEEvNS_4cuda6detail10TensorInfoIKT_T0_EEjPjjS8_iijT1_PSB_Ps
                                        ; -- End function
	.set _ZN2at6native6mbtopk23computeBlockDigitCountsIijjLi2EEEvNS_4cuda6detail10TensorInfoIKT_T0_EEjPjjS8_iijT1_PSB_Ps.num_vgpr, 10
	.set _ZN2at6native6mbtopk23computeBlockDigitCountsIijjLi2EEEvNS_4cuda6detail10TensorInfoIKT_T0_EEjPjjS8_iijT1_PSB_Ps.num_agpr, 0
	.set _ZN2at6native6mbtopk23computeBlockDigitCountsIijjLi2EEEvNS_4cuda6detail10TensorInfoIKT_T0_EEjPjjS8_iijT1_PSB_Ps.numbered_sgpr, 26
	.set _ZN2at6native6mbtopk23computeBlockDigitCountsIijjLi2EEEvNS_4cuda6detail10TensorInfoIKT_T0_EEjPjjS8_iijT1_PSB_Ps.num_named_barrier, 0
	.set _ZN2at6native6mbtopk23computeBlockDigitCountsIijjLi2EEEvNS_4cuda6detail10TensorInfoIKT_T0_EEjPjjS8_iijT1_PSB_Ps.private_seg_size, 0
	.set _ZN2at6native6mbtopk23computeBlockDigitCountsIijjLi2EEEvNS_4cuda6detail10TensorInfoIKT_T0_EEjPjjS8_iijT1_PSB_Ps.uses_vcc, 1
	.set _ZN2at6native6mbtopk23computeBlockDigitCountsIijjLi2EEEvNS_4cuda6detail10TensorInfoIKT_T0_EEjPjjS8_iijT1_PSB_Ps.uses_flat_scratch, 0
	.set _ZN2at6native6mbtopk23computeBlockDigitCountsIijjLi2EEEvNS_4cuda6detail10TensorInfoIKT_T0_EEjPjjS8_iijT1_PSB_Ps.has_dyn_sized_stack, 0
	.set _ZN2at6native6mbtopk23computeBlockDigitCountsIijjLi2EEEvNS_4cuda6detail10TensorInfoIKT_T0_EEjPjjS8_iijT1_PSB_Ps.has_recursion, 0
	.set _ZN2at6native6mbtopk23computeBlockDigitCountsIijjLi2EEEvNS_4cuda6detail10TensorInfoIKT_T0_EEjPjjS8_iijT1_PSB_Ps.has_indirect_call, 0
	.section	.AMDGPU.csdata,"",@progbits
; Kernel info:
; codeLenInByte = 1412
; TotalNumSgprs: 28
; NumVgprs: 10
; ScratchSize: 0
; MemoryBound: 0
; FloatMode: 240
; IeeeMode: 1
; LDSByteSize: 1024 bytes/workgroup (compile time only)
; SGPRBlocks: 0
; VGPRBlocks: 0
; NumSGPRsForWavesPerEU: 28
; NumVGPRsForWavesPerEU: 10
; NamedBarCnt: 0
; Occupancy: 16
; WaveLimiterHint : 1
; COMPUTE_PGM_RSRC2:SCRATCH_EN: 0
; COMPUTE_PGM_RSRC2:USER_SGPR: 2
; COMPUTE_PGM_RSRC2:TRAP_HANDLER: 0
; COMPUTE_PGM_RSRC2:TGID_X_EN: 1
; COMPUTE_PGM_RSRC2:TGID_Y_EN: 1
; COMPUTE_PGM_RSRC2:TGID_Z_EN: 1
; COMPUTE_PGM_RSRC2:TIDIG_COMP_CNT: 0
	.section	.text._ZN2at6native6mbtopk10gatherTopKIijLi2EEEvNS_4cuda6detail10TensorInfoIKT_T0_EES8_S8_bjS8_NS5_IS6_S8_EES8_NS5_IlS8_EES8_jjPS6_PjSD_j,"axG",@progbits,_ZN2at6native6mbtopk10gatherTopKIijLi2EEEvNS_4cuda6detail10TensorInfoIKT_T0_EES8_S8_bjS8_NS5_IS6_S8_EES8_NS5_IlS8_EES8_jjPS6_PjSD_j,comdat
	.protected	_ZN2at6native6mbtopk10gatherTopKIijLi2EEEvNS_4cuda6detail10TensorInfoIKT_T0_EES8_S8_bjS8_NS5_IS6_S8_EES8_NS5_IlS8_EES8_jjPS6_PjSD_j ; -- Begin function _ZN2at6native6mbtopk10gatherTopKIijLi2EEEvNS_4cuda6detail10TensorInfoIKT_T0_EES8_S8_bjS8_NS5_IS6_S8_EES8_NS5_IlS8_EES8_jjPS6_PjSD_j
	.globl	_ZN2at6native6mbtopk10gatherTopKIijLi2EEEvNS_4cuda6detail10TensorInfoIKT_T0_EES8_S8_bjS8_NS5_IS6_S8_EES8_NS5_IlS8_EES8_jjPS6_PjSD_j
	.p2align	8
	.type	_ZN2at6native6mbtopk10gatherTopKIijLi2EEEvNS_4cuda6detail10TensorInfoIKT_T0_EES8_S8_bjS8_NS5_IS6_S8_EES8_NS5_IlS8_EES8_jjPS6_PjSD_j,@function
_ZN2at6native6mbtopk10gatherTopKIijLi2EEEvNS_4cuda6detail10TensorInfoIKT_T0_EES8_S8_bjS8_NS5_IS6_S8_EES8_NS5_IlS8_EES8_jjPS6_PjSD_j: ; @_ZN2at6native6mbtopk10gatherTopKIijLi2EEEvNS_4cuda6detail10TensorInfoIKT_T0_EES8_S8_bjS8_NS5_IS6_S8_EES8_NS5_IlS8_EES8_jjPS6_PjSD_j
; %bb.0:
	s_bfe_u32 s2, ttmp6, 0x40010
	s_and_b32 s4, ttmp7, 0xffff
	s_add_co_i32 s5, s2, 1
	s_clause 0x1
	s_load_b32 s6, s[0:1], 0x2d0
	s_load_b64 s[2:3], s[0:1], 0x2d8
	s_bfe_u32 s8, ttmp6, 0x4000c
	s_mul_i32 s5, s4, s5
	s_bfe_u32 s7, ttmp6, 0x40004
	s_add_co_i32 s8, s8, 1
	s_bfe_u32 s9, ttmp6, 0x40014
	s_add_co_i32 s7, s7, s5
	s_and_b32 s5, ttmp6, 15
	s_mul_i32 s8, ttmp9, s8
	s_lshr_b32 s10, ttmp7, 16
	s_add_co_i32 s9, s9, 1
	s_add_co_i32 s5, s5, s8
	s_mul_i32 s8, s10, s9
	s_bfe_u32 s9, ttmp6, 0x40008
	s_getreg_b32 s11, hwreg(HW_REG_IB_STS2, 6, 4)
	s_add_co_i32 s9, s9, s8
	s_cmp_eq_u32 s11, 0
	s_mov_b32 s17, 0
	s_cselect_b32 s8, s10, s9
	s_cselect_b32 s4, s4, s7
	s_wait_kmcnt 0x0
	s_mul_i32 s3, s3, s8
	s_cselect_b32 s5, ttmp9, s5
	s_add_co_i32 s3, s3, s4
	s_delay_alu instid0(SALU_CYCLE_1) | instskip(NEXT) | instid1(SALU_CYCLE_1)
	s_mul_i32 s2, s3, s2
	s_add_co_i32 s2, s2, s5
	s_delay_alu instid0(SALU_CYCLE_1)
	s_cmp_ge_u32 s2, s6
	s_cbranch_scc1 .LBB32_40
; %bb.1:
	s_clause 0x6
	s_load_b96 s[12:14], s[0:1], 0x2a8
	s_load_b32 s41, s[0:1], 0xc
	s_load_b32 s40, s[0:1], 0xfc
	;; [unrolled: 1-line block ×3, first 2 shown]
	s_load_b64 s[18:19], s[0:1], 0x23c
	s_load_b64 s[20:21], s[0:1], 0x15c
	;; [unrolled: 1-line block ×3, first 2 shown]
	s_mov_b32 s25, s17
	s_mov_b32 s27, s17
	s_wait_kmcnt 0x0
	s_cvt_f32_u32 s3, s14
	s_cvt_f32_u32 s4, s41
	;; [unrolled: 1-line block ×4, first 2 shown]
	v_rcp_iflag_f32_e32 v1, s3
	s_sub_co_i32 s8, 0, s14
	v_rcp_iflag_f32_e32 v2, s5
	v_rcp_iflag_f32_e32 v3, s6
	s_delay_alu instid0(TRANS32_DEP_3) | instskip(SKIP_2) | instid1(TRANS32_DEP_3)
	v_readfirstlane_b32 s3, v1
	v_rcp_iflag_f32_e32 v1, s4
	s_load_b128 s[4:7], s[0:1], 0x2b8
	v_readfirstlane_b32 s10, v2
	s_mul_f32 s3, s3, 0x4f7ffffe
	s_delay_alu instid0(TRANS32_DEP_1) | instskip(NEXT) | instid1(SALU_CYCLE_2)
	v_readfirstlane_b32 s9, v1
	s_cvt_u32_f32 s3, s3
	s_mul_f32 s10, s10, 0x4f7ffffe
	s_mul_f32 s9, s9, 0x4f7ffffe
	s_delay_alu instid0(SALU_CYCLE_1) | instskip(NEXT) | instid1(SALU_CYCLE_1)
	s_mul_i32 s8, s8, s3
	s_mul_hi_u32 s8, s3, s8
	s_delay_alu instid0(SALU_CYCLE_1) | instskip(SKIP_3) | instid1(SALU_CYCLE_1)
	s_cvt_u32_f32 s9, s9
	s_add_co_i32 s3, s3, s8
	v_readfirstlane_b32 s8, v3
	s_mul_hi_u32 s3, s2, s3
	s_mul_i32 s11, s3, s14
	s_add_co_i32 s15, s3, 1
	s_sub_co_i32 s11, s2, s11
	s_mul_f32 s8, s8, 0x4f7ffffe
	s_sub_co_i32 s16, s11, s14
	s_cmp_ge_u32 s11, s14
	s_cselect_b32 s3, s15, s3
	s_cselect_b32 s11, s16, s11
	s_add_co_i32 s15, s3, 1
	s_cmp_ge_u32 s11, s14
	s_cvt_u32_f32 s8, s8
	s_cselect_b32 s16, s15, s3
	s_sub_co_i32 s3, 0, s41
	s_wait_kmcnt 0x0
	s_load_b32 s15, s[4:5], s16 offset:0x0 scale_offset
	s_mul_i32 s28, s16, s14
	s_mul_i32 s3, s3, s9
	s_sub_co_i32 s42, s2, s28
	s_mul_hi_u32 s3, s9, s3
	s_cvt_u32_f32 s2, s10
	s_wait_xcnt 0x0
	s_add_co_i32 s4, s9, s3
	s_sub_co_i32 s3, 0, s40
	s_sub_co_i32 s9, 0, s33
	s_mul_i32 s3, s3, s2
	s_mul_i32 s9, s9, s8
	s_mul_hi_u32 s3, s2, s3
	s_mul_hi_u32 s9, s8, s9
	s_add_co_i32 s24, s2, s3
	v_cmp_ne_u32_e64 s2, 0, v0
	v_cmp_eq_u32_e64 s3, 0, v0
	s_mov_b32 s5, s17
	s_add_co_i32 s26, s8, s9
	s_and_saveexec_b32 s43, s3
	s_cbranch_execz .LBB32_17
; %bb.2:
	s_load_b64 s[34:35], s[0:1], 0x2c8
	s_mov_b32 s29, 0
	s_delay_alu instid0(SALU_CYCLE_1)
	s_lshl_b64 s[36:37], s[28:29], 2
	s_cmp_lt_u32 s14, 4
	s_cbranch_scc1 .LBB32_14
; %bb.3:
	s_mov_b64 s[30:31], 0
	s_mov_b32 s28, 0
.LBB32_4:                               ; =>This Inner Loop Header: Depth=1
	s_add_nc_u64 s[38:39], s[6:7], s[36:37]
	s_cmp_ge_u32 s28, s42
	s_load_b128 s[8:11], s[38:39], 0x0
	s_wait_kmcnt 0x0
	s_add_nc_u64 s[38:39], s[34:35], s[36:37]
	s_cbranch_scc0 .LBB32_11
; %bb.5:                                ;   in Loop: Header=BB32_4 Depth=1
	s_add_co_i32 s44, s28, 1
	s_delay_alu instid0(SALU_CYCLE_1)
	s_cmp_ge_u32 s44, s42
	s_cbranch_scc0 .LBB32_12
.LBB32_6:                               ;   in Loop: Header=BB32_4 Depth=1
	s_add_co_i32 s44, s44, 1
	s_delay_alu instid0(SALU_CYCLE_1)
	s_cmp_ge_u32 s44, s42
	s_cbranch_scc0 .LBB32_13
.LBB32_7:                               ;   in Loop: Header=BB32_4 Depth=1
	s_add_co_i32 s44, s44, 1
	s_delay_alu instid0(SALU_CYCLE_1)
	s_cmp_ge_u32 s44, s42
	s_cbranch_scc1 .LBB32_9
.LBB32_8:                               ;   in Loop: Header=BB32_4 Depth=1
	s_load_b32 s38, s[38:39], 0xc
	s_add_co_i32 s31, s11, s31
	s_wait_kmcnt 0x0
	s_add_co_i32 s30, s38, s30
.LBB32_9:                               ;   in Loop: Header=BB32_4 Depth=1
	s_add_co_i32 s8, s8, s29
	s_add_nc_u64 s[6:7], s[6:7], 16
	s_add_co_i32 s8, s8, s9
	s_add_co_i32 s9, s44, 4
	;; [unrolled: 1-line block ×3, first 2 shown]
	s_add_nc_u64 s[34:35], s[34:35], 16
	s_add_co_i32 s29, s8, s11
	s_add_co_i32 s8, s44, 1
	s_cmp_ge_u32 s9, s14
	s_cbranch_scc1 .LBB32_15
; %bb.10:                               ;   in Loop: Header=BB32_4 Depth=1
	s_mov_b32 s28, s8
	s_branch .LBB32_4
.LBB32_11:                              ;   in Loop: Header=BB32_4 Depth=1
	s_load_b32 s44, s[38:39], 0x0
	s_add_co_i32 s31, s8, s31
	s_wait_kmcnt 0x0
	s_add_co_i32 s30, s44, s30
	s_add_co_i32 s44, s28, 1
	s_delay_alu instid0(SALU_CYCLE_1)
	s_cmp_ge_u32 s44, s42
	s_cbranch_scc1 .LBB32_6
.LBB32_12:                              ;   in Loop: Header=BB32_4 Depth=1
	s_load_b32 s45, s[38:39], 0x4
	s_add_co_i32 s31, s9, s31
	s_wait_kmcnt 0x0
	s_add_co_i32 s30, s45, s30
	s_add_co_i32 s44, s44, 1
	s_delay_alu instid0(SALU_CYCLE_1)
	s_cmp_ge_u32 s44, s42
	s_cbranch_scc1 .LBB32_7
.LBB32_13:                              ;   in Loop: Header=BB32_4 Depth=1
	s_load_b32 s45, s[38:39], 0x8
	s_add_co_i32 s31, s10, s31
	s_wait_kmcnt 0x0
	s_add_co_i32 s30, s45, s30
	s_add_co_i32 s44, s44, 1
	s_delay_alu instid0(SALU_CYCLE_1)
	s_cmp_ge_u32 s44, s42
	s_cbranch_scc0 .LBB32_8
	s_branch .LBB32_9
.LBB32_14:
	s_mov_b64 s[30:31], 0
	s_add_nc_u64 s[6:7], s[6:7], s[36:37]
	s_wait_kmcnt 0x0
	s_add_nc_u64 s[8:9], s[34:35], s[36:37]
	s_mov_b32 s10, 0
	s_delay_alu instid0(SALU_CYCLE_1)
	s_cmp_ge_u32 s10, s14
	s_cbranch_scc0 .LBB32_38
	s_branch .LBB32_16
.LBB32_15:
	s_add_co_i32 s10, s28, 4
	s_add_nc_u64 s[8:9], s[34:35], s[36:37]
	s_add_nc_u64 s[6:7], s[6:7], s[36:37]
	s_cmp_ge_u32 s10, s14
	s_cbranch_scc0 .LBB32_38
.LBB32_16:
	v_dual_mov_b32 v2, s30 :: v_dual_mov_b32 v3, s29
	v_dual_mov_b32 v4, s31 :: v_dual_mov_b32 v1, 0
	ds_store_b96 v1, v[2:4] offset:1056
.LBB32_17:
	s_or_b32 exec_lo, exec_lo, s43
	s_mul_u64 s[6:7], s[16:17], s[26:27]
	s_mul_u64 s[34:35], s[16:17], s[4:5]
	s_clause 0x3
	s_load_b96 s[4:6], s[0:1], 0xd8
	s_load_b64 s[28:29], s[0:1], 0x1d0
	s_load_b64 s[10:11], s[0:1], 0xf0
	;; [unrolled: 1-line block ×3, first 2 shown]
	s_mul_u64 s[30:31], s[16:17], s[24:25]
	s_mul_i32 s17, s13, s42
	s_mov_b32 s25, 0
	s_lshl_b32 s17, s17, 8
	s_add_co_i32 s42, s42, 1
	s_wait_dscnt 0x0
	s_barrier_signal -1
	s_barrier_wait -1
	s_wait_kmcnt 0x0
	s_sub_co_i32 s24, s4, s17
	s_delay_alu instid0(SALU_CYCLE_1) | instskip(NEXT) | instid1(SALU_CYCLE_1)
	s_add_nc_u64 s[26:27], s[24:25], 0xff
	s_lshr_b64 s[26:27], s[26:27], 8
	s_cmp_lt_u32 s42, s14
	s_cselect_b32 s13, s13, s26
	s_delay_alu instid0(SALU_CYCLE_1)
	s_cmp_eq_u32 s13, 0
	s_cbranch_scc1 .LBB32_40
; %bb.18:
	s_mul_i32 s14, s35, s41
	s_add_co_i32 s24, s35, 1
	s_sub_co_i32 s14, s16, s14
	s_mul_i32 s26, s31, s40
	s_sub_co_i32 s27, s14, s41
	s_cmp_ge_u32 s14, s41
	s_mul_i32 s30, s7, s33
	s_cselect_b32 s24, s24, s35
	s_cselect_b32 s14, s27, s14
	s_add_co_i32 s34, s24, 1
	s_cmp_ge_u32 s14, s41
	v_dual_mov_b32 v7, 0 :: v_dual_lshrrev_b32 v1, 3, v0
	s_cselect_b32 s14, s34, s24
	s_sub_co_i32 s26, s16, s26
	s_mul_i32 s24, s14, s41
	s_mul_i32 s14, s14, s22
	s_sub_co_i32 s24, s16, s24
	s_add_co_i32 s34, s31, 1
	s_mul_i32 s24, s24, s23
	s_sub_co_i32 s22, s26, s40
	s_add_co_i32 s24, s14, s24
	s_cmp_ge_u32 s26, s40
	ds_load_b96 v[2:4], v7 offset:1056
	s_cselect_b32 s14, s34, s31
	s_cselect_b32 s22, s22, s26
	s_add_co_i32 s26, s14, 1
	s_cmp_ge_u32 s22, s40
	v_dual_add_nc_u32 v8, -1, v0 :: v_dual_bitop2_b32 v5, 28, v1 bitop3:0x40
	s_cselect_b32 s14, s26, s14
	s_sub_co_i32 s22, s16, s30
	s_mul_i32 s26, s14, s40
	s_mul_i32 s14, s14, s20
	s_sub_co_i32 s26, s16, s26
	s_add_co_i32 s30, s7, 1
	s_mul_i32 s26, s26, s21
	s_sub_co_i32 s20, s22, s33
	s_add_co_i32 s26, s14, s26
	s_cmp_ge_u32 s22, s33
	v_dual_add_nc_u32 v6, s17, v0 :: v_dual_lshlrev_b32 v11, 5, v0
	s_cselect_b32 s7, s30, s7
	s_load_b32 s30, s[0:1], 0xe8
	s_cselect_b32 s14, s20, s22
	s_add_co_i32 s20, s7, 1
	s_cmp_ge_u32 s14, s33
	s_wait_dscnt 0x0
	v_dual_lshrrev_b32 v9, 3, v8 :: v_dual_add_nc_u32 v1, v2, v3
	s_cselect_b32 s7, s20, s7
	v_lshl_add_u32 v2, v0, 2, v5
	s_mul_i32 s14, s7, s33
	v_and_b32_e32 v10, 0xfc, v0
	s_sub_co_i32 s14, s16, s14
	s_load_b32 s16, s[0:1], 0x1c8
	v_and_b32_e32 v9, 0x1ffffffc, v9
	v_mbcnt_lo_u32_b32 v3, -1, 0
	s_mul_i32 s7, s7, s18
	s_mul_i32 s14, s14, s19
	s_mov_b32 s27, s25
	s_mov_b32 s23, s25
	s_add_co_i32 s22, s7, s14
	s_lshl_b64 s[20:21], s[24:25], 2
	s_wait_kmcnt 0x0
	v_mul_lo_u32 v5, s30, v6
	s_lshl_b64 s[24:25], s[26:27], 2
	s_lshl_b64 s[18:19], s[22:23], 3
	s_xor_b32 s14, s15, 0x80000000
	v_cmp_gt_u32_e64 s0, 32, v0
	v_lshl_add_u32 v0, v8, 2, v9
	v_add_nc_u32_e32 v8, v10, v11
	v_dual_add_nc_u32 v11, -1, v3 :: v_dual_bitop2_b32 v9, 15, v3 bitop3:0x40
	v_bfe_i32 v10, v3, 4, 1
	s_bitcmp1_b32 s6, 0
	s_add_nc_u64 s[8:9], s[8:9], s[20:21]
	s_add_nc_u64 s[10:11], s[10:11], s[24:25]
	;; [unrolled: 1-line block ×3, first 2 shown]
	s_cselect_b32 s1, -1, 0
	s_lshl_b32 s17, s30, 8
                                        ; implicit-def: $vgpr12
	s_branch .LBB32_21
.LBB32_19:                              ;   in Loop: Header=BB32_21 Depth=1
	s_wait_xcnt 0x0
	s_or_b32 exec_lo, exec_lo, s18
	v_add_nc_u32_e32 v1, v15, v1
.LBB32_20:                              ;   in Loop: Header=BB32_21 Depth=1
	v_dual_add_nc_u32 v4, v14, v4 :: v_dual_add_nc_u32 v5, s17, v5
	v_add_nc_u32_e32 v6, 0x100, v6
	s_add_co_i32 s13, s13, -1
	s_delay_alu instid0(SALU_CYCLE_1)
	s_cmp_lg_u32 s13, 0
	s_cbranch_scc0 .LBB32_40
.LBB32_21:                              ; =>This Inner Loop Header: Depth=1
	v_dual_mov_b32 v15, 0 :: v_dual_mov_b32 v13, 0
	s_mov_b32 s18, exec_lo
	v_cmpx_gt_u32_e64 s4, v6
	s_cbranch_execz .LBB32_23
; %bb.22:                               ;   in Loop: Header=BB32_21 Depth=1
	global_load_b32 v12, v5, s[8:9] scale_offset
	s_wait_loadcnt 0x0
	v_xor_b32_e32 v13, 0x80000000, v12
	s_delay_alu instid0(VALU_DEP_1) | instskip(SKIP_4) | instid1(VALU_DEP_2)
	v_cmp_lt_u32_e32 vcc_lo, s14, v13
	v_cndmask_b32_e64 v14, 0, 1, vcc_lo
	v_cmp_gt_u32_e32 vcc_lo, s14, v13
	v_cndmask_b32_e64 v13, 0, 1, vcc_lo
	v_cmp_eq_u32_e32 vcc_lo, s15, v12
	v_cndmask_b32_e64 v13, v13, v14, s1
	s_delay_alu instid0(VALU_DEP_1)
	v_and_b32_e32 v15, 1, v13
	v_cndmask_b32_e64 v13, 0, 1, vcc_lo
.LBB32_23:                              ;   in Loop: Header=BB32_21 Depth=1
	s_wait_xcnt 0x0
	s_or_b32 exec_lo, exec_lo, s18
	ds_store_b32 v2, v15
	s_wait_dscnt 0x0
	s_barrier_signal -1
	s_barrier_wait -1
	s_and_saveexec_b32 s18, s0
	s_cbranch_execz .LBB32_25
; %bb.24:                               ;   in Loop: Header=BB32_21 Depth=1
	ds_load_2addr_b32 v[16:17], v8 offset1:1
	ds_load_2addr_b32 v[18:19], v8 offset0:2 offset1:3
	ds_load_2addr_b32 v[20:21], v8 offset0:4 offset1:5
	;; [unrolled: 1-line block ×3, first 2 shown]
	v_cmp_ne_u32_e32 vcc_lo, 0, v9
	; wave barrier
	s_wait_dscnt 0x3
	v_add_nc_u32_e32 v14, v17, v16
	s_wait_dscnt 0x2
	s_delay_alu instid0(VALU_DEP_1) | instskip(SKIP_1) | instid1(VALU_DEP_1)
	v_add3_u32 v14, v14, v18, v19
	s_wait_dscnt 0x1
	v_add3_u32 v14, v14, v20, v21
	s_wait_dscnt 0x0
	s_delay_alu instid0(VALU_DEP_1) | instskip(NEXT) | instid1(VALU_DEP_1)
	v_add3_u32 v14, v14, v22, v23
	v_mov_b32_dpp v17, v14 row_shr:1 row_mask:0xf bank_mask:0xf
	s_delay_alu instid0(VALU_DEP_1) | instskip(SKIP_1) | instid1(VALU_DEP_2)
	v_cndmask_b32_e32 v17, 0, v17, vcc_lo
	v_cmp_lt_u32_e32 vcc_lo, 1, v9
	v_add_nc_u32_e32 v14, v17, v14
	s_delay_alu instid0(VALU_DEP_1) | instskip(NEXT) | instid1(VALU_DEP_1)
	v_mov_b32_dpp v17, v14 row_shr:2 row_mask:0xf bank_mask:0xf
	v_cndmask_b32_e32 v17, 0, v17, vcc_lo
	v_cmp_lt_u32_e32 vcc_lo, 3, v9
	s_delay_alu instid0(VALU_DEP_2) | instskip(NEXT) | instid1(VALU_DEP_1)
	v_add_nc_u32_e32 v14, v14, v17
	v_mov_b32_dpp v17, v14 row_shr:4 row_mask:0xf bank_mask:0xf
	s_delay_alu instid0(VALU_DEP_1) | instskip(SKIP_1) | instid1(VALU_DEP_2)
	v_cndmask_b32_e32 v17, 0, v17, vcc_lo
	v_cmp_lt_u32_e32 vcc_lo, 7, v9
	v_add_nc_u32_e32 v14, v14, v17
	s_delay_alu instid0(VALU_DEP_1) | instskip(NEXT) | instid1(VALU_DEP_1)
	v_mov_b32_dpp v17, v14 row_shr:8 row_mask:0xf bank_mask:0xf
	v_cndmask_b32_e32 v17, 0, v17, vcc_lo
	v_cmp_gt_i32_e32 vcc_lo, 0, v11
	s_delay_alu instid0(VALU_DEP_2) | instskip(SKIP_3) | instid1(VALU_DEP_1)
	v_dual_add_nc_u32 v14, v14, v17 :: v_dual_cndmask_b32 v18, v11, v3, vcc_lo
	ds_swizzle_b32 v17, v14 offset:swizzle(BROADCAST,32,15)
	s_wait_dscnt 0x0
	v_dual_lshlrev_b32 v18, 2, v18 :: v_dual_bitop2_b32 v17, v10, v17 bitop3:0x40
	v_add_nc_u32_e32 v14, v14, v17
	ds_bpermute_b32 v14, v18, v14
	s_wait_dscnt 0x0
	v_add_nc_u32_e32 v14, v14, v16
	s_delay_alu instid0(VALU_DEP_1)
	v_cndmask_b32_e64 v14, v14, v15, s3
	ds_store_b32 v8, v14
	; wave barrier
	ds_load_2addr_b32 v[16:17], v8 offset0:1 offset1:2
	ds_load_2addr_b32 v[18:19], v8 offset0:3 offset1:4
	;; [unrolled: 1-line block ×3, first 2 shown]
	ds_load_b32 v22, v8 offset:28
	s_wait_dscnt 0x3
	v_add_nc_u32_e32 v14, v16, v14
	s_delay_alu instid0(VALU_DEP_1) | instskip(SKIP_1) | instid1(VALU_DEP_1)
	v_add_nc_u32_e32 v16, v17, v14
	s_wait_dscnt 0x2
	v_add_nc_u32_e32 v17, v18, v16
	s_delay_alu instid0(VALU_DEP_1) | instskip(SKIP_1) | instid1(VALU_DEP_1)
	v_add_nc_u32_e32 v18, v19, v17
	;; [unrolled: 4-line block ×3, first 2 shown]
	s_wait_dscnt 0x0
	v_add_nc_u32_e32 v21, v22, v20
	ds_store_2addr_b32 v8, v14, v16 offset0:1 offset1:2
	ds_store_2addr_b32 v8, v17, v18 offset0:3 offset1:4
	;; [unrolled: 1-line block ×3, first 2 shown]
	ds_store_b32 v8, v21 offset:28
.LBB32_25:                              ;   in Loop: Header=BB32_21 Depth=1
	s_or_b32 exec_lo, exec_lo, s18
	v_mov_b32_e32 v16, 0
	s_wait_dscnt 0x0
	s_barrier_signal -1
	s_barrier_wait -1
	s_and_saveexec_b32 s18, s2
; %bb.26:                               ;   in Loop: Header=BB32_21 Depth=1
	ds_load_b32 v16, v0
; %bb.27:                               ;   in Loop: Header=BB32_21 Depth=1
	s_or_b32 exec_lo, exec_lo, s18
	ds_load_b32 v14, v7 offset:1048
	s_mov_b32 s18, exec_lo
	s_wait_dscnt 0x0
	s_barrier_signal -1
	s_barrier_wait -1
	v_cmpx_ne_u32_e32 0, v15
	s_cbranch_execz .LBB32_29
; %bb.28:                               ;   in Loop: Header=BB32_21 Depth=1
	v_add_nc_u32_e32 v15, v16, v4
	s_delay_alu instid0(VALU_DEP_1)
	v_mul_lo_u32 v16, v15, s16
	v_mul_lo_u32 v15, v15, s12
	global_store_b32 v16, v12, s[10:11] scale_offset
	global_store_b64 v15, v[6:7], s[6:7] scale_offset
.LBB32_29:                              ;   in Loop: Header=BB32_21 Depth=1
	s_wait_xcnt 0x0
	s_or_b32 exec_lo, exec_lo, s18
	v_cmp_le_u32_e32 vcc_lo, s5, v1
	s_cbranch_vccnz .LBB32_20
; %bb.30:                               ;   in Loop: Header=BB32_21 Depth=1
	ds_store_b32 v2, v13
	s_wait_storecnt_dscnt 0x0
	s_barrier_signal -1
	s_barrier_wait -1
	s_and_saveexec_b32 s18, s0
	s_cbranch_execz .LBB32_32
; %bb.31:                               ;   in Loop: Header=BB32_21 Depth=1
	ds_load_2addr_b32 v[16:17], v8 offset1:1
	ds_load_2addr_b32 v[18:19], v8 offset0:2 offset1:3
	ds_load_2addr_b32 v[20:21], v8 offset0:4 offset1:5
	ds_load_2addr_b32 v[22:23], v8 offset0:6 offset1:7
	v_cmp_ne_u32_e32 vcc_lo, 0, v9
	; wave barrier
	s_wait_dscnt 0x3
	v_add_nc_u32_e32 v15, v17, v16
	s_wait_dscnt 0x2
	s_delay_alu instid0(VALU_DEP_1) | instskip(SKIP_1) | instid1(VALU_DEP_1)
	v_add3_u32 v15, v15, v18, v19
	s_wait_dscnt 0x1
	v_add3_u32 v15, v15, v20, v21
	s_wait_dscnt 0x0
	s_delay_alu instid0(VALU_DEP_1) | instskip(NEXT) | instid1(VALU_DEP_1)
	v_add3_u32 v15, v15, v22, v23
	v_mov_b32_dpp v17, v15 row_shr:1 row_mask:0xf bank_mask:0xf
	s_delay_alu instid0(VALU_DEP_1) | instskip(SKIP_1) | instid1(VALU_DEP_2)
	v_cndmask_b32_e32 v17, 0, v17, vcc_lo
	v_cmp_lt_u32_e32 vcc_lo, 1, v9
	v_add_nc_u32_e32 v15, v17, v15
	s_delay_alu instid0(VALU_DEP_1) | instskip(NEXT) | instid1(VALU_DEP_1)
	v_mov_b32_dpp v17, v15 row_shr:2 row_mask:0xf bank_mask:0xf
	v_cndmask_b32_e32 v17, 0, v17, vcc_lo
	v_cmp_lt_u32_e32 vcc_lo, 3, v9
	s_delay_alu instid0(VALU_DEP_2) | instskip(NEXT) | instid1(VALU_DEP_1)
	v_add_nc_u32_e32 v15, v15, v17
	v_mov_b32_dpp v17, v15 row_shr:4 row_mask:0xf bank_mask:0xf
	s_delay_alu instid0(VALU_DEP_1) | instskip(SKIP_1) | instid1(VALU_DEP_2)
	v_cndmask_b32_e32 v17, 0, v17, vcc_lo
	v_cmp_lt_u32_e32 vcc_lo, 7, v9
	v_add_nc_u32_e32 v15, v15, v17
	s_delay_alu instid0(VALU_DEP_1) | instskip(NEXT) | instid1(VALU_DEP_1)
	v_mov_b32_dpp v17, v15 row_shr:8 row_mask:0xf bank_mask:0xf
	v_cndmask_b32_e32 v17, 0, v17, vcc_lo
	v_cmp_gt_i32_e32 vcc_lo, 0, v11
	s_delay_alu instid0(VALU_DEP_2) | instskip(SKIP_4) | instid1(VALU_DEP_1)
	v_add_nc_u32_e32 v15, v15, v17
	v_cndmask_b32_e32 v18, v11, v3, vcc_lo
	ds_swizzle_b32 v17, v15 offset:swizzle(BROADCAST,32,15)
	s_wait_dscnt 0x0
	v_dual_lshlrev_b32 v18, 2, v18 :: v_dual_bitop2_b32 v17, v10, v17 bitop3:0x40
	v_add_nc_u32_e32 v15, v15, v17
	ds_bpermute_b32 v15, v18, v15
	s_wait_dscnt 0x0
	v_add_nc_u32_e32 v15, v15, v16
	s_delay_alu instid0(VALU_DEP_1)
	v_cndmask_b32_e64 v15, v15, v13, s3
	ds_store_b32 v8, v15
	; wave barrier
	ds_load_2addr_b32 v[16:17], v8 offset0:1 offset1:2
	ds_load_2addr_b32 v[18:19], v8 offset0:3 offset1:4
	;; [unrolled: 1-line block ×3, first 2 shown]
	ds_load_b32 v22, v8 offset:28
	s_wait_dscnt 0x3
	v_add_nc_u32_e32 v15, v16, v15
	s_delay_alu instid0(VALU_DEP_1) | instskip(SKIP_1) | instid1(VALU_DEP_1)
	v_add_nc_u32_e32 v16, v17, v15
	s_wait_dscnt 0x2
	v_add_nc_u32_e32 v17, v18, v16
	s_delay_alu instid0(VALU_DEP_1) | instskip(SKIP_1) | instid1(VALU_DEP_1)
	v_add_nc_u32_e32 v18, v19, v17
	;; [unrolled: 4-line block ×3, first 2 shown]
	s_wait_dscnt 0x0
	v_add_nc_u32_e32 v21, v22, v20
	ds_store_2addr_b32 v8, v15, v16 offset0:1 offset1:2
	ds_store_2addr_b32 v8, v17, v18 offset0:3 offset1:4
	ds_store_2addr_b32 v8, v19, v20 offset0:5 offset1:6
	ds_store_b32 v8, v21 offset:28
.LBB32_32:                              ;   in Loop: Header=BB32_21 Depth=1
	s_or_b32 exec_lo, exec_lo, s18
	v_mov_b32_e32 v16, 0
	s_wait_dscnt 0x0
	s_barrier_signal -1
	s_barrier_wait -1
	s_and_saveexec_b32 s18, s2
; %bb.33:                               ;   in Loop: Header=BB32_21 Depth=1
	ds_load_b32 v16, v0
; %bb.34:                               ;   in Loop: Header=BB32_21 Depth=1
	s_or_b32 exec_lo, exec_lo, s18
	ds_load_b32 v15, v7 offset:1048
	s_mov_b32 s18, exec_lo
	s_wait_dscnt 0x0
	s_barrier_signal -1
	s_barrier_wait -1
	v_cmpx_ne_u32_e32 0, v13
	s_cbranch_execz .LBB32_19
; %bb.35:                               ;   in Loop: Header=BB32_21 Depth=1
	v_add_nc_u32_e32 v13, v16, v1
	s_delay_alu instid0(VALU_DEP_1)
	v_cmp_gt_u32_e32 vcc_lo, s5, v13
	s_and_b32 exec_lo, exec_lo, vcc_lo
	s_cbranch_execz .LBB32_19
; %bb.36:                               ;   in Loop: Header=BB32_21 Depth=1
	v_mul_lo_u32 v16, v13, s16
	v_mul_lo_u32 v13, v13, s12
	global_store_b32 v16, v12, s[10:11] scale_offset
	global_store_b64 v13, v[6:7], s[6:7] scale_offset
	s_branch .LBB32_19
.LBB32_37:                              ;   in Loop: Header=BB32_38 Depth=1
	s_add_co_i32 s10, s10, 1
	s_wait_kmcnt 0x0
	s_add_co_i32 s29, s11, s29
	s_add_nc_u64 s[6:7], s[6:7], 4
	s_cmp_lt_u32 s10, s14
	s_add_nc_u64 s[8:9], s[8:9], 4
	s_cbranch_scc0 .LBB32_16
.LBB32_38:                              ; =>This Inner Loop Header: Depth=1
	s_load_b32 s11, s[6:7], 0x0
	s_cmp_ge_u32 s10, s42
	s_cbranch_scc1 .LBB32_37
; %bb.39:                               ;   in Loop: Header=BB32_38 Depth=1
	s_load_b32 s28, s[8:9], 0x0
	s_wait_kmcnt 0x0
	s_add_co_i32 s31, s11, s31
	s_add_co_i32 s30, s28, s30
	s_branch .LBB32_37
.LBB32_40:
	s_endpgm
	.section	.rodata,"a",@progbits
	.p2align	6, 0x0
	.amdhsa_kernel _ZN2at6native6mbtopk10gatherTopKIijLi2EEEvNS_4cuda6detail10TensorInfoIKT_T0_EES8_S8_bjS8_NS5_IS6_S8_EES8_NS5_IlS8_EES8_jjPS6_PjSD_j
		.amdhsa_group_segment_fixed_size 1068
		.amdhsa_private_segment_fixed_size 0
		.amdhsa_kernarg_size 984
		.amdhsa_user_sgpr_count 2
		.amdhsa_user_sgpr_dispatch_ptr 0
		.amdhsa_user_sgpr_queue_ptr 0
		.amdhsa_user_sgpr_kernarg_segment_ptr 1
		.amdhsa_user_sgpr_dispatch_id 0
		.amdhsa_user_sgpr_kernarg_preload_length 0
		.amdhsa_user_sgpr_kernarg_preload_offset 0
		.amdhsa_user_sgpr_private_segment_size 0
		.amdhsa_wavefront_size32 1
		.amdhsa_uses_dynamic_stack 0
		.amdhsa_enable_private_segment 0
		.amdhsa_system_sgpr_workgroup_id_x 1
		.amdhsa_system_sgpr_workgroup_id_y 1
		.amdhsa_system_sgpr_workgroup_id_z 1
		.amdhsa_system_sgpr_workgroup_info 0
		.amdhsa_system_vgpr_workitem_id 0
		.amdhsa_next_free_vgpr 24
		.amdhsa_next_free_sgpr 46
		.amdhsa_named_barrier_count 0
		.amdhsa_reserve_vcc 1
		.amdhsa_float_round_mode_32 0
		.amdhsa_float_round_mode_16_64 0
		.amdhsa_float_denorm_mode_32 3
		.amdhsa_float_denorm_mode_16_64 3
		.amdhsa_fp16_overflow 0
		.amdhsa_memory_ordered 1
		.amdhsa_forward_progress 1
		.amdhsa_inst_pref_size 22
		.amdhsa_round_robin_scheduling 0
		.amdhsa_exception_fp_ieee_invalid_op 0
		.amdhsa_exception_fp_denorm_src 0
		.amdhsa_exception_fp_ieee_div_zero 0
		.amdhsa_exception_fp_ieee_overflow 0
		.amdhsa_exception_fp_ieee_underflow 0
		.amdhsa_exception_fp_ieee_inexact 0
		.amdhsa_exception_int_div_zero 0
	.end_amdhsa_kernel
	.section	.text._ZN2at6native6mbtopk10gatherTopKIijLi2EEEvNS_4cuda6detail10TensorInfoIKT_T0_EES8_S8_bjS8_NS5_IS6_S8_EES8_NS5_IlS8_EES8_jjPS6_PjSD_j,"axG",@progbits,_ZN2at6native6mbtopk10gatherTopKIijLi2EEEvNS_4cuda6detail10TensorInfoIKT_T0_EES8_S8_bjS8_NS5_IS6_S8_EES8_NS5_IlS8_EES8_jjPS6_PjSD_j,comdat
.Lfunc_end32:
	.size	_ZN2at6native6mbtopk10gatherTopKIijLi2EEEvNS_4cuda6detail10TensorInfoIKT_T0_EES8_S8_bjS8_NS5_IS6_S8_EES8_NS5_IlS8_EES8_jjPS6_PjSD_j, .Lfunc_end32-_ZN2at6native6mbtopk10gatherTopKIijLi2EEEvNS_4cuda6detail10TensorInfoIKT_T0_EES8_S8_bjS8_NS5_IS6_S8_EES8_NS5_IlS8_EES8_jjPS6_PjSD_j
                                        ; -- End function
	.set _ZN2at6native6mbtopk10gatherTopKIijLi2EEEvNS_4cuda6detail10TensorInfoIKT_T0_EES8_S8_bjS8_NS5_IS6_S8_EES8_NS5_IlS8_EES8_jjPS6_PjSD_j.num_vgpr, 24
	.set _ZN2at6native6mbtopk10gatherTopKIijLi2EEEvNS_4cuda6detail10TensorInfoIKT_T0_EES8_S8_bjS8_NS5_IS6_S8_EES8_NS5_IlS8_EES8_jjPS6_PjSD_j.num_agpr, 0
	.set _ZN2at6native6mbtopk10gatherTopKIijLi2EEEvNS_4cuda6detail10TensorInfoIKT_T0_EES8_S8_bjS8_NS5_IS6_S8_EES8_NS5_IlS8_EES8_jjPS6_PjSD_j.numbered_sgpr, 46
	.set _ZN2at6native6mbtopk10gatherTopKIijLi2EEEvNS_4cuda6detail10TensorInfoIKT_T0_EES8_S8_bjS8_NS5_IS6_S8_EES8_NS5_IlS8_EES8_jjPS6_PjSD_j.num_named_barrier, 0
	.set _ZN2at6native6mbtopk10gatherTopKIijLi2EEEvNS_4cuda6detail10TensorInfoIKT_T0_EES8_S8_bjS8_NS5_IS6_S8_EES8_NS5_IlS8_EES8_jjPS6_PjSD_j.private_seg_size, 0
	.set _ZN2at6native6mbtopk10gatherTopKIijLi2EEEvNS_4cuda6detail10TensorInfoIKT_T0_EES8_S8_bjS8_NS5_IS6_S8_EES8_NS5_IlS8_EES8_jjPS6_PjSD_j.uses_vcc, 1
	.set _ZN2at6native6mbtopk10gatherTopKIijLi2EEEvNS_4cuda6detail10TensorInfoIKT_T0_EES8_S8_bjS8_NS5_IS6_S8_EES8_NS5_IlS8_EES8_jjPS6_PjSD_j.uses_flat_scratch, 0
	.set _ZN2at6native6mbtopk10gatherTopKIijLi2EEEvNS_4cuda6detail10TensorInfoIKT_T0_EES8_S8_bjS8_NS5_IS6_S8_EES8_NS5_IlS8_EES8_jjPS6_PjSD_j.has_dyn_sized_stack, 0
	.set _ZN2at6native6mbtopk10gatherTopKIijLi2EEEvNS_4cuda6detail10TensorInfoIKT_T0_EES8_S8_bjS8_NS5_IS6_S8_EES8_NS5_IlS8_EES8_jjPS6_PjSD_j.has_recursion, 0
	.set _ZN2at6native6mbtopk10gatherTopKIijLi2EEEvNS_4cuda6detail10TensorInfoIKT_T0_EES8_S8_bjS8_NS5_IS6_S8_EES8_NS5_IlS8_EES8_jjPS6_PjSD_j.has_indirect_call, 0
	.section	.AMDGPU.csdata,"",@progbits
; Kernel info:
; codeLenInByte = 2736
; TotalNumSgprs: 48
; NumVgprs: 24
; ScratchSize: 0
; MemoryBound: 0
; FloatMode: 240
; IeeeMode: 1
; LDSByteSize: 1068 bytes/workgroup (compile time only)
; SGPRBlocks: 0
; VGPRBlocks: 1
; NumSGPRsForWavesPerEU: 48
; NumVGPRsForWavesPerEU: 24
; NamedBarCnt: 0
; Occupancy: 16
; WaveLimiterHint : 1
; COMPUTE_PGM_RSRC2:SCRATCH_EN: 0
; COMPUTE_PGM_RSRC2:USER_SGPR: 2
; COMPUTE_PGM_RSRC2:TRAP_HANDLER: 0
; COMPUTE_PGM_RSRC2:TGID_X_EN: 1
; COMPUTE_PGM_RSRC2:TGID_Y_EN: 1
; COMPUTE_PGM_RSRC2:TGID_Z_EN: 1
; COMPUTE_PGM_RSRC2:TIDIG_COMP_CNT: 0
	.section	.text._ZN2at6native6sbtopk10gatherTopKIijLi2ELb0EEEvNS_4cuda6detail10TensorInfoIKT_T0_EES8_S8_bS8_S8_NS5_IS6_S8_EES8_NS5_IlS8_EES8_PS6_,"axG",@progbits,_ZN2at6native6sbtopk10gatherTopKIijLi2ELb0EEEvNS_4cuda6detail10TensorInfoIKT_T0_EES8_S8_bS8_S8_NS5_IS6_S8_EES8_NS5_IlS8_EES8_PS6_,comdat
	.protected	_ZN2at6native6sbtopk10gatherTopKIijLi2ELb0EEEvNS_4cuda6detail10TensorInfoIKT_T0_EES8_S8_bS8_S8_NS5_IS6_S8_EES8_NS5_IlS8_EES8_PS6_ ; -- Begin function _ZN2at6native6sbtopk10gatherTopKIijLi2ELb0EEEvNS_4cuda6detail10TensorInfoIKT_T0_EES8_S8_bS8_S8_NS5_IS6_S8_EES8_NS5_IlS8_EES8_PS6_
	.globl	_ZN2at6native6sbtopk10gatherTopKIijLi2ELb0EEEvNS_4cuda6detail10TensorInfoIKT_T0_EES8_S8_bS8_S8_NS5_IS6_S8_EES8_NS5_IlS8_EES8_PS6_
	.p2align	8
	.type	_ZN2at6native6sbtopk10gatherTopKIijLi2ELb0EEEvNS_4cuda6detail10TensorInfoIKT_T0_EES8_S8_bS8_S8_NS5_IS6_S8_EES8_NS5_IlS8_EES8_PS6_,@function
_ZN2at6native6sbtopk10gatherTopKIijLi2ELb0EEEvNS_4cuda6detail10TensorInfoIKT_T0_EES8_S8_bS8_S8_NS5_IS6_S8_EES8_NS5_IlS8_EES8_PS6_: ; @_ZN2at6native6sbtopk10gatherTopKIijLi2ELb0EEEvNS_4cuda6detail10TensorInfoIKT_T0_EES8_S8_bS8_S8_NS5_IS6_S8_EES8_NS5_IlS8_EES8_PS6_
; %bb.0:
	s_clause 0x1
	s_load_b128 s[36:39], s[0:1], 0xd8
	s_load_b64 s[8:9], s[0:1], 0x2b8
	s_bfe_u32 s2, ttmp6, 0x40010
	s_and_b32 s3, ttmp7, 0xffff
	s_add_co_i32 s2, s2, 1
	s_bfe_u32 s5, ttmp6, 0x4000c
	s_mul_i32 s2, s3, s2
	s_bfe_u32 s4, ttmp6, 0x40004
	s_add_co_i32 s5, s5, 1
	s_bfe_u32 s6, ttmp6, 0x40014
	s_add_co_i32 s4, s4, s2
	s_and_b32 s2, ttmp6, 15
	s_mul_i32 s5, ttmp9, s5
	s_lshr_b32 s7, ttmp7, 16
	s_add_co_i32 s6, s6, 1
	s_add_co_i32 s2, s2, s5
	s_mul_i32 s5, s7, s6
	s_bfe_u32 s6, ttmp6, 0x40008
	s_getreg_b32 s10, hwreg(HW_REG_IB_STS2, 6, 4)
	s_add_co_i32 s6, s6, s5
	s_cmp_eq_u32 s10, 0
	s_mov_b32 s41, 0
	s_cselect_b32 s5, s7, s6
	s_cselect_b32 s3, s3, s4
	s_wait_kmcnt 0x0
	s_mul_i32 s5, s9, s5
	s_cselect_b32 s9, ttmp9, s2
	s_add_co_i32 s2, s5, s3
	s_delay_alu instid0(SALU_CYCLE_1) | instskip(NEXT) | instid1(SALU_CYCLE_1)
	s_mul_i32 s2, s2, s8
	s_add_co_i32 s40, s2, s9
	s_delay_alu instid0(SALU_CYCLE_1)
	s_cmp_ge_u32 s40, s39
	s_cbranch_scc1 .LBB33_415
; %bb.1:
	s_clause 0x7
	s_load_b32 s16, s[0:1], 0xc
	s_load_b64 s[44:45], s[0:1], 0x15c
	s_load_b64 s[42:43], s[0:1], 0x23c
	s_load_b32 s60, s[0:1], 0xfc
	s_load_b32 s59, s[0:1], 0x1dc
	;; [unrolled: 1-line block ×3, first 2 shown]
	s_load_b64 s[12:13], s[0:1], 0x6c
	s_load_b64 s[10:11], s[0:1], 0x0
	v_cmp_eq_u32_e64 s5, 0, v0
	s_add_nc_u64 s[14:15], s[0:1], 0x2b8
	s_mov_b32 s7, s41
	v_mov_b32_e32 v13, 0
	s_wait_kmcnt 0x0
	s_cvt_f32_u32 s2, s16
	s_sub_co_i32 s4, 0, s60
	s_cvt_f32_u32 s3, s59
	s_delay_alu instid0(SALU_CYCLE_1) | instskip(SKIP_2) | instid1(TRANS32_DEP_1)
	v_rcp_iflag_f32_e32 v1, s2
	s_sub_co_i32 s2, 0, s16
	v_nop
	v_mul_f32_e32 v1, 0x4f7ffffe, v1
	s_delay_alu instid0(VALU_DEP_1) | instskip(NEXT) | instid1(VALU_DEP_1)
	v_cvt_u32_f32_e32 v1, v1
	v_mul_lo_u32 v2, s2, v1
	s_cvt_f32_u32 s2, s60
	s_delay_alu instid0(VALU_DEP_1) | instskip(NEXT) | instid1(VALU_DEP_1)
	v_mul_hi_u32 v2, v1, v2
	v_add_nc_u32_e32 v12, v1, v2
	s_delay_alu instid0(SALU_CYCLE_1) | instskip(NEXT) | instid1(VALU_DEP_1)
	v_rcp_iflag_f32_e32 v1, s2
	v_mul_u64_e32 v[2:3], s[40:41], v[12:13]
	v_rcp_iflag_f32_e32 v2, s3
	s_delay_alu instid0(TRANS32_DEP_2) | instskip(SKIP_1) | instid1(TRANS32_DEP_1)
	v_readfirstlane_b32 s2, v1
	s_mul_f32 s2, s2, 0x4f7ffffe
	v_readfirstlane_b32 s3, v2
	s_delay_alu instid0(SALU_CYCLE_2) | instskip(SKIP_1) | instid1(SALU_CYCLE_2)
	s_cvt_u32_f32 s2, s2
	s_mul_f32 s3, s3, 0x4f7ffffe
	s_mul_i32 s4, s4, s2
	s_delay_alu instid0(SALU_CYCLE_2) | instskip(SKIP_2) | instid1(SALU_CYCLE_1)
	s_cvt_u32_f32 s6, s3
	s_sub_co_i32 s3, 0, s59
	s_mul_hi_u32 s4, s2, s4
	s_mul_i32 s3, s3, s6
	s_add_co_i32 s2, s2, s4
	s_mul_hi_u32 s4, s6, s3
	s_mov_b32 s3, s41
	s_add_co_i32 s6, s6, s4
	s_and_saveexec_b32 s4, s5
; %bb.2:
	v_dual_mov_b32 v4, 0 :: v_dual_mov_b32 v5, s36
	s_delay_alu instid0(VALU_DEP_1)
	v_mov_b32_e32 v6, v4
	ds_store_b96 v4, v[4:6] offset:4096
; %bb.3:
	s_or_b32 exec_lo, exec_lo, s4
	v_mul_lo_u32 v1, v3, s16
	v_add_nc_u32_e32 v2, 1, v3
	s_clause 0x1
	s_load_b64 s[46:47], s[0:1], 0x1d0
	s_load_b64 s[48:49], s[0:1], 0xf0
	s_wait_dscnt 0x0
	s_barrier_signal -1
	s_barrier_wait -1
	s_load_b32 s17, s[14:15], 0xc
	v_mbcnt_lo_u32_b32 v9, -1, 0
	s_mul_u64 s[34:35], s[40:41], s[6:7]
	v_cmp_gt_u32_e64 s7, 32, v0
	v_sub_nc_u32_e32 v4, s40, v1
	s_bitcmp1_b32 s38, 0
	s_mul_u64 s[50:51], s[40:41], s[2:3]
	s_cselect_b32 s4, -1, 0
	v_add_max_u32_e64 v7, v0, 2, s36
	v_subrev_nc_u32_e32 v5, s16, v4
	v_cmp_le_u32_e32 vcc_lo, s16, v4
	s_xor_b32 s61, s4, -1
	s_movk_i32 s18, 0x1f0
	v_xad_u32 v16, v0, -1, v7
	v_dual_cndmask_b32 v2, v3, v2 :: v_dual_lshlrev_b32 v1, 2, v0
	v_cndmask_b32_e32 v3, v4, v5, vcc_lo
	v_mul_lo_u32 v14, s58, v0
	v_cmp_gt_u32_e64 s3, s36, v0
	v_cmp_gt_u32_e64 s6, 2, v0
	v_add_nc_u32_e32 v4, 1, v2
	v_cmp_le_u32_e32 vcc_lo, s16, v3
	v_mov_b32_e32 v15, v13
	s_wait_kmcnt 0x0
	s_and_b32 s41, s17, 0xffff
	v_cmp_eq_u32_e64 s2, 0, v9
	s_lshl_b32 s63, s41, 2
	v_cndmask_b32_e32 v4, v2, v4, vcc_lo
	v_lshlrev_b64_e64 v[2:3], v9, -1
	v_cmp_gt_i32_e32 vcc_lo, 4, v9
	v_add_nc_u32_e32 v22, 0xc00, v1
	v_lshl_or_b32 v32, v9, 2, 0xc00
	v_mul_lo_u32 v6, v4, s16
	v_lshrrev_b32_e32 v5, 1, v0
	v_mul_lo_u32 v4, v4, s12
	s_and_b32 s62, s7, vcc_lo
	s_cmp_gt_u32 s36, 0x300
	s_cvt_f32_u32 s7, s63
	s_cselect_b32 s64, -1, 0
	s_cmp_gt_u32 s41, 31
	v_not_b32_e32 v8, v2
	s_cselect_b32 s65, -1, 0
	s_add_co_i32 s66, s41, -1
	v_sub_nc_u32_e32 v3, s40, v6
	v_and_or_b32 v23, v5, s18, 0xc00
	v_dual_mov_b32 v26, 0 :: v_dual_mov_b32 v33, 0
	s_mov_b32 s39, 0
	s_delay_alu instid0(VALU_DEP_3)
	v_mul_lo_u32 v3, v3, s13
	s_add_co_i32 s13, s66, s36
	s_cmp_lt_u32 s9, s8
	v_add_nc_u32_e32 v17, -2, v16
	s_cselect_b32 s38, 12, 18
	s_bfe_u32 s67, s17, 0xb0005
	s_mul_i32 s50, s58, s41
	s_add_co_i32 s8, s67, -2
	s_mov_b32 s75, s58
	s_lshr_b32 s9, s8, 1
	s_mov_b32 s53, s39
	v_add_nc_u32_e32 v12, v4, v3
	v_rcp_iflag_f32_e32 v3, s7
	s_add_co_i32 s9, s9, 1
	s_cmp_gt_u32 s41, 63
	v_lshrrev_b32_e32 v2, 1, v17
	s_cselect_b32 s68, -1, 0
	s_and_b32 s69, s67, 0x7fe
	s_and_b32 s70, s9, 7
	v_readfirstlane_b32 s7, v3
	s_cmp_gt_u32 s8, 13
	v_lshlrev_b64_e32 v[4:5], 2, v[12:13]
	s_cselect_b32 s71, -1, 0
	s_and_b32 s72, s9, -8
	s_mul_f32 s7, s7, 0x4f7ffffe
	s_cmp_lg_u32 s70, 0
	s_cvt_f32_u32 s9, s41
	s_cselect_b32 s73, -1, 0
	s_cmp_lg_u32 s69, s67
	s_cvt_u32_f32 s7, s7
	s_cselect_b32 s74, -1, 0
	s_sub_co_i32 s8, 0, s63
	v_rcp_iflag_f32_e32 v3, s9
	s_mul_i32 s8, s8, s7
	v_add_nc_u64_e32 v[6:7], s[10:11], v[4:5]
	s_mul_hi_u32 s8, s7, s8
	v_dual_mov_b32 v34, s37 :: v_dual_bitop2_b32 v4, 2, v1 bitop3:0x54
	s_add_co_i32 s52, s7, s8
	s_delay_alu instid0(TRANS32_DEP_1)
	v_readfirstlane_b32 s9, v3
	s_mul_hi_u32 s7, s36, s52
	v_lshl_add_u64 v[10:11], v[14:15], 2, v[6:7]
	s_mul_i32 s8, s7, s63
	v_and_b32_e32 v15, -2, v16
	s_sub_co_i32 s8, s36, s8
	s_mul_f32 s9, s9, 0x4f7ffffe
	s_sub_co_i32 s10, s8, s63
	s_cmp_ge_u32 s8, s63
	v_dual_mov_b32 v20, 1 :: v_dual_bitop2_b32 v5, 3, v1 bitop3:0x54
	s_cselect_b32 s8, s10, s8
	s_cvt_u32_f32 s9, s9
	s_sub_co_i32 s10, s8, s63
	s_cmp_ge_u32 s8, s63
	v_mul_lo_u32 v28, s58, v4
	s_cselect_b32 s16, s10, s8
	s_sub_co_i32 s10, 0, s41
	s_sub_co_i32 s76, s36, s16
	s_mul_i32 s10, s10, s9
	v_dual_add_nc_u32 v2, 1, v2 :: v_dual_add_nc_u32 v24, s76, v0
	s_mul_hi_u32 s10, s9, s10
	v_lshlrev_b32_e32 v31, 4, v0
	s_add_co_i32 s54, s9, s10
	s_delay_alu instid0(VALU_DEP_2)
	v_and_b32_e32 v3, 7, v2
	s_mul_hi_u32 s10, s13, s54
	v_and_b32_e32 v25, -8, v2
	s_mul_i32 s10, s10, s41
	v_add3_u32 v2, s41, s36, v0
	s_sub_co_i32 s11, s13, s10
	v_mul_lo_u32 v12, v24, s58
	s_sub_co_i32 s12, s11, s41
	s_cmp_ge_u32 s11, s41
	v_subrev_nc_u32_e32 v2, s16, v2
	s_cselect_b32 s17, s12, s11
	v_mul_lo_u32 v29, s58, v5
	s_sub_co_i32 s18, s17, s41
	s_cmp_ge_u32 s17, s41
	v_mul_lo_u32 v30, s58, v2
	s_cselect_b32 s17, s18, s17
	v_cmp_lt_u32_e64 s7, 31, v16
	s_sub_co_i32 s77, s13, s17
	v_cmp_lt_u32_e64 s8, 13, v17
	v_cmp_ne_u32_e64 s9, 0, v3
	v_cmp_ne_u32_e64 s10, v16, v15
	v_cmp_gt_u32_e64 s11, s76, v1
	v_cmp_gt_u32_e64 s12, s36, v24
	v_lshl_add_u64 v[18:19], v[12:13], 2, v[6:7]
	v_cmp_gt_u32_e64 s13, s77, v0
	v_dual_lshlrev_b32 v27, 3, v3 :: v_dual_mov_b32 v17, 0
	s_mov_b32 s55, s39
	s_lshl_b32 s78, s50, 2
	s_lshl_b32 s79, s41, 4
	s_mov_b32 s80, 30
	s_add_nc_u64 s[56:57], s[14:15], s[38:39]
	s_mov_b32 s81, 0
	s_mov_b32 s83, 0
                                        ; implicit-def: $sgpr82
                                        ; implicit-def: $sgpr86
                                        ; implicit-def: $sgpr85
                                        ; implicit-def: $sgpr87
                                        ; implicit-def: $sgpr84
                                        ; implicit-def: $sgpr91
                                        ; implicit-def: $sgpr92
                                        ; implicit-def: $sgpr88
                                        ; implicit-def: $sgpr90
                                        ; implicit-def: $sgpr89
	s_branch .LBB33_6
.LBB33_4:                               ;   in Loop: Header=BB33_6 Depth=1
	s_or_b32 exec_lo, exec_lo, s17
	v_mov_b32_e32 v34, v35
	s_and_not1_b32 s17, s89, exec_lo
	s_and_b32 s16, s16, exec_lo
	s_and_not1_b32 s90, s90, exec_lo
	s_or_b32 s89, s17, s16
	s_and_not1_b32 s88, s88, exec_lo
	s_and_not1_b32 s92, s92, exec_lo
	;; [unrolled: 1-line block ×3, first 2 shown]
	s_or_not1_b32 s17, s15, exec_lo
.LBB33_5:                               ;   in Loop: Header=BB33_6 Depth=1
	s_or_b32 exec_lo, exec_lo, s14
	s_delay_alu instid0(SALU_CYCLE_1) | instskip(NEXT) | instid1(SALU_CYCLE_1)
	s_and_b32 s14, exec_lo, s17
	s_or_b32 s81, s14, s81
	s_and_not1_b32 s14, s84, exec_lo
	s_and_b32 s15, s89, exec_lo
	s_and_not1_b32 s16, s87, exec_lo
	s_or_b32 s84, s14, s15
	s_and_b32 s14, s90, exec_lo
	s_and_not1_b32 s15, s85, exec_lo
	s_and_b32 s17, s88, exec_lo
	s_or_b32 s87, s16, s14
	s_or_b32 s85, s15, s17
	s_and_not1_b32 s14, s86, exec_lo
	s_and_b32 s15, s92, exec_lo
	s_and_not1_b32 s16, s82, exec_lo
	s_and_b32 s17, s91, exec_lo
	s_or_b32 s86, s14, s15
	s_or_b32 s82, s16, s17
	s_and_not1_b32 exec_lo, exec_lo, s81
	s_cbranch_execz .LBB33_411
.LBB33_6:                               ; =>This Loop Header: Depth=1
                                        ;     Child Loop BB33_12 Depth 2
                                        ;     Child Loop BB33_33 Depth 2
	;; [unrolled: 1-line block ×27, first 2 shown]
	ds_load_b64 v[2:3], v13 offset:4096
	s_wait_dscnt 0x0
	v_readfirstlane_b32 s38, v2
	s_cmp_lg_u32 s38, 0
	s_cbranch_scc1 .LBB33_52
; %bb.7:                                ;   in Loop: Header=BB33_6 Depth=1
	s_and_b32 vcc_lo, exec_lo, s64
	s_cbranch_vccz .LBB33_20
; %bb.8:                                ;   in Loop: Header=BB33_6 Depth=1
	v_cmp_gt_u32_e32 vcc_lo, 0x301, v3
	s_mov_b32 s16, 0
	s_mov_b32 s14, 0
	s_cbranch_vccz .LBB33_21
; %bb.9:                                ;   in Loop: Header=BB33_6 Depth=1
	s_and_saveexec_b32 s17, s3
	s_cbranch_execz .LBB33_27
; %bb.10:                               ;   in Loop: Header=BB33_6 Depth=1
	global_load_b32 v3, v[10:11], off
	s_load_u16 s18, s[56:57], 0x0
	s_mov_b32 s20, 0
	s_wait_kmcnt 0x0
	v_dual_mov_b32 v4, v0 :: v_dual_add_nc_u32 v2, s18, v0
	s_mul_i32 s19, s58, s18
	s_delay_alu instid0(VALU_DEP_1)
	v_mul_lo_u32 v2, s58, v2
	s_branch .LBB33_12
.LBB33_11:                              ;   in Loop: Header=BB33_12 Depth=2
	s_or_b32 exec_lo, exec_lo, s15
	v_dual_mov_b32 v3, v5 :: v_dual_add_nc_u32 v2, s19, v2
	s_and_not1_b32 exec_lo, exec_lo, s20
	s_cbranch_execz .LBB33_27
.LBB33_12:                              ;   Parent Loop BB33_6 Depth=1
                                        ; =>  This Inner Loop Header: Depth=2
	s_wait_dscnt 0x0
	v_dual_add_nc_u32 v4, s18, v4 :: v_dual_mov_b32 v12, 0
	v_mov_b32_e32 v5, 0
	s_mov_b32 s15, exec_lo
	s_delay_alu instid0(VALU_DEP_2)
	v_cmp_le_u32_e32 vcc_lo, s36, v4
	v_cmpx_gt_u32_e64 s36, v4
	s_cbranch_execz .LBB33_14
; %bb.13:                               ;   in Loop: Header=BB33_12 Depth=2
	v_readfirstlane_b32 s22, v6
	v_readfirstlane_b32 s23, v7
	global_load_b32 v5, v2, s[22:23] scale_offset
.LBB33_14:                              ;   in Loop: Header=BB33_12 Depth=2
	s_wait_xcnt 0x0
	s_or_b32 exec_lo, exec_lo, s15
	s_wait_loadcnt 0x0
	v_bitop3_b32 v16, v3, v33, 0x80000000 bitop3:0x48
	s_delay_alu instid0(VALU_DEP_1) | instskip(SKIP_2) | instid1(SALU_CYCLE_1)
	v_cmp_eq_u32_e64 s14, v16, v26
	s_cmp_lg_u32 s14, 0
	s_cselect_b32 s15, -1, 0
	s_and_b32 s15, s2, s15
	s_delay_alu instid0(SALU_CYCLE_1)
	s_and_saveexec_b32 s21, s15
	s_cbranch_execz .LBB33_18
; %bb.15:                               ;   in Loop: Header=BB33_12 Depth=2
	s_mov_b32 s24, exec_lo
	s_bcnt1_i32_b32 s22, s14
	v_mbcnt_lo_u32_b32 v12, s24, 0
	s_mov_b32 s23, exec_lo
                                        ; implicit-def: $vgpr16
	s_delay_alu instid0(VALU_DEP_1)
	v_cmpx_eq_u32_e32 0, v12
; %bb.16:                               ;   in Loop: Header=BB33_12 Depth=2
	s_bcnt1_i32_b32 s15, s24
	s_delay_alu instid0(SALU_CYCLE_1) | instskip(NEXT) | instid1(SALU_CYCLE_1)
	s_mul_i32 s15, s22, s15
	v_mov_b32_e32 v16, s15
	ds_add_rtn_u32 v16, v13, v16 offset:4104
; %bb.17:                               ;   in Loop: Header=BB33_12 Depth=2
	s_or_b32 exec_lo, exec_lo, s23
	s_wait_dscnt 0x0
	v_readfirstlane_b32 s15, v16
	s_delay_alu instid0(VALU_DEP_1)
	v_mad_u32_u24 v12, s22, v12, s15
.LBB33_18:                              ;   in Loop: Header=BB33_12 Depth=2
	s_or_b32 exec_lo, exec_lo, s21
	ds_bpermute_b32 v12, v13, v12
	s_and_b32 s15, exec_lo, vcc_lo
	s_delay_alu instid0(SALU_CYCLE_1)
	s_or_b32 s20, s15, s20
	s_and_saveexec_b32 s15, s14
	s_cbranch_execz .LBB33_11
; %bb.19:                               ;   in Loop: Header=BB33_12 Depth=2
	v_and_b32_e32 v16, s14, v8
	s_delay_alu instid0(VALU_DEP_1) | instskip(NEXT) | instid1(VALU_DEP_1)
	v_bcnt_u32_b32 v16, v16, 0
	v_lshlrev_b32_e32 v16, 2, v16
	s_wait_dscnt 0x0
	s_delay_alu instid0(VALU_DEP_1)
	v_lshl_add_u32 v12, v12, 2, v16
	ds_store_b32 v12, v3
	s_branch .LBB33_11
.LBB33_20:                              ;   in Loop: Header=BB33_6 Depth=1
	s_mov_b32 s16, -1
	s_mov_b32 s14, 0
.LBB33_21:                              ;   in Loop: Header=BB33_6 Depth=1
	s_and_b32 vcc_lo, exec_lo, s16
	s_cbranch_vccz .LBB33_50
.LBB33_22:                              ;   in Loop: Header=BB33_6 Depth=1
	s_and_saveexec_b32 s15, s3
	s_cbranch_execz .LBB33_47
; %bb.23:                               ;   in Loop: Header=BB33_6 Depth=1
	global_load_b32 v16, v[10:11], off
	s_load_u16 s17, s[56:57], 0x0
	s_mov_b32 s16, exec_lo
	s_wait_kmcnt 0x0
	v_dual_mov_b32 v4, v0 :: v_dual_add_nc_u32 v2, s17, v0
	s_delay_alu instid0(VALU_DEP_1)
	v_cmpx_gt_u32_e64 s36, v2
	s_cbranch_execz .LBB33_46
; %bb.24:                               ;   in Loop: Header=BB33_6 Depth=1
	s_mov_b32 s14, 0
	s_mul_i32 s18, s58, s17
                                        ; implicit-def: $vgpr4
                                        ; implicit-def: $vgpr12
                                        ; implicit-def: $vgpr3
                                        ; implicit-def: $vgpr5
	s_and_saveexec_b32 s19, s7
	s_delay_alu instid0(SALU_CYCLE_1)
	s_xor_b32 s19, exec_lo, s19
	s_cbranch_execnz .LBB33_30
; %bb.25:                               ;   in Loop: Header=BB33_6 Depth=1
	s_and_not1_saveexec_b32 s19, s19
	s_cbranch_execnz .LBB33_41
.LBB33_26:                              ;   in Loop: Header=BB33_6 Depth=1
	s_or_b32 exec_lo, exec_lo, s19
	s_and_saveexec_b32 s18, s14
	s_cbranch_execnz .LBB33_42
	s_branch .LBB33_45
.LBB33_27:                              ;   in Loop: Header=BB33_6 Depth=1
	s_or_b32 exec_lo, exec_lo, s17
	s_wait_dscnt 0x0
	s_barrier_signal -1
	s_barrier_wait -1
	s_and_saveexec_b32 s14, s5
	s_cbranch_execz .LBB33_29
; %bb.28:                               ;   in Loop: Header=BB33_6 Depth=1
	ds_load_b32 v2, v13 offset:4104
	s_wait_dscnt 0x0
	ds_store_b32 v13, v2 offset:4096
.LBB33_29:                              ;   in Loop: Header=BB33_6 Depth=1
	s_or_b32 exec_lo, exec_lo, s14
	s_wait_dscnt 0x0
	s_barrier_signal -1
	s_mov_b32 s14, -1
	s_barrier_wait -1
	s_and_b32 vcc_lo, exec_lo, s16
	s_cbranch_vccnz .LBB33_22
	s_branch .LBB33_50
.LBB33_30:                              ;   in Loop: Header=BB33_6 Depth=1
	s_cvt_f32_u32 s14, s17
	v_add_max_u32_e64 v3, v2, s17, s36
	s_delay_alu instid0(SALU_CYCLE_2) | instskip(SKIP_1) | instid1(VALU_DEP_1)
	v_rcp_iflag_f32_e32 v4, s14
	s_lshl_b32 s14, s17, 1
	v_sub_nc_u32_e32 v3, v3, v0
	s_delay_alu instid0(VALU_DEP_1) | instskip(NEXT) | instid1(TRANS32_DEP_1)
	v_cmp_ne_u32_e32 vcc_lo, s14, v3
	v_readfirstlane_b32 s20, v4
	v_cndmask_b32_e64 v4, 0, 1, vcc_lo
	s_mul_f32 s20, s20, 0x4f7ffffe
	s_delay_alu instid0(VALU_DEP_1) | instskip(NEXT) | instid1(SALU_CYCLE_2)
	v_or_b32_e32 v4, s14, v4
	s_cvt_u32_f32 s14, s20
	s_sub_co_i32 s20, 0, s17
	s_delay_alu instid0(SALU_CYCLE_2) | instskip(NEXT) | instid1(VALU_DEP_1)
	s_mul_i32 s20, s20, s14
	v_sub_nc_u32_e32 v3, v3, v4
	s_mul_hi_u32 s20, s14, s20
	s_delay_alu instid0(SALU_CYCLE_1)
	s_add_co_i32 s14, s14, s20
	s_delay_alu instid0(VALU_DEP_1) | instid1(SALU_CYCLE_1)
	v_mul_hi_u32 v4, v3, s14
	s_delay_alu instid0(VALU_DEP_1) | instskip(NEXT) | instid1(VALU_DEP_1)
	v_mul_lo_u32 v5, v4, s17
	v_dual_sub_nc_u32 v3, v3, v5 :: v_dual_add_nc_u32 v5, 1, v4
	s_delay_alu instid0(VALU_DEP_1) | instskip(SKIP_1) | instid1(VALU_DEP_1)
	v_subrev_nc_u32_e32 v12, s17, v3
	v_cmp_le_u32_e64 s14, s17, v3
	v_dual_cndmask_b32 v4, v4, v5, s14 :: v_dual_cndmask_b32 v3, v3, v12, s14
	s_delay_alu instid0(VALU_DEP_1) | instskip(NEXT) | instid1(VALU_DEP_2)
	v_add_nc_u32_e32 v5, 1, v4
	v_cmp_le_u32_e64 s14, s17, v3
	s_delay_alu instid0(VALU_DEP_1) | instskip(SKIP_2) | instid1(VALU_DEP_2)
	v_cndmask_b32_e64 v3, v4, v5, s14
	v_mul_lo_u32 v4, s58, v2
	s_abs_i32 s14, s18
	v_add_co_ci_u32_e64 v3, null, 0, v3, vcc_lo
	s_delay_alu instid0(VALU_DEP_1) | instskip(SKIP_2) | instid1(SALU_CYCLE_1)
	v_mul_hi_u32 v5, s14, v3
	v_mul_lo_u32 v3, s14, v3
	s_not_b32 s14, s18
	s_ashr_i32 s14, s14, 31
	s_cmp_eq_u32 s17, 1
	s_delay_alu instid0(VALU_DEP_4) | instskip(SKIP_1) | instid1(VALU_DEP_3)
	v_xor_b32_e32 v4, s14, v4
	s_cselect_b32 s20, -1, 0
	v_cmp_eq_u32_e32 vcc_lo, 0, v5
	s_delay_alu instid0(VALU_DEP_2) | instskip(SKIP_2) | instid1(SALU_CYCLE_1)
	v_cmp_le_u32_e64 s14, v3, v4
	v_mov_b32_e32 v3, v0
                                        ; implicit-def: $vgpr4
	s_and_b32 s20, vcc_lo, s20
	s_and_b32 s21, s20, s14
	s_mov_b32 s20, -1
	s_and_saveexec_b32 s14, s21
	s_cbranch_execz .LBB33_40
; %bb.31:                               ;   in Loop: Header=BB33_6 Depth=1
	v_dual_mov_b32 v12, 0 :: v_dual_add_nc_u32 v3, 1, v2
	s_delay_alu instid0(VALU_DEP_1)
	v_mov_b64_e32 v[4:5], v[2:3]
	s_and_saveexec_b32 s20, s8
	s_cbranch_execz .LBB33_35
; %bb.32:                               ;   in Loop: Header=BB33_6 Depth=1
	v_mov_b64_e32 v[4:5], v[2:3]
	v_dual_mov_b32 v21, v25 :: v_dual_mov_b32 v35, v1
	s_mov_b32 s21, 0
	s_mov_b32 s22, 0
.LBB33_33:                              ;   Parent Loop BB33_6 Depth=1
                                        ; =>  This Inner Loop Header: Depth=2
	s_delay_alu instid0(VALU_DEP_2) | instskip(NEXT) | instid1(VALU_DEP_3)
	v_mul_lo_u32 v12, v4, s58
	v_dual_add_nc_u32 v40, 4, v4 :: v_dual_add_nc_u32 v44, 4, v5
	v_dual_mov_b32 v41, v13 :: v_dual_add_nc_u32 v48, 6, v4
	v_dual_mov_b32 v49, v13 :: v_dual_add_nc_u32 v38, 2, v5
	;; [unrolled: 1-line block ×4, first 2 shown]
	v_mov_b32_e32 v51, v13
	v_lshl_add_u64 v[36:37], v[12:13], 2, v[6:7]
	v_dual_add_nc_u32 v12, 2, v4 :: v_dual_add_nc_u32 v62, 12, v4
	v_dual_add_nc_u32 v60, 12, v5 :: v_dual_add_nc_u32 v61, 14, v5
	v_mov_b32_e32 v57, v13
	global_load_b32 v3, v[36:37], off
	s_wait_xcnt 0x0
	v_mov_b32_e32 v37, v13
	v_mul_lo_u32 v12, v12, s58
	v_mul_lo_u32 v36, v5, s75
	;; [unrolled: 1-line block ×3, first 2 shown]
	v_dual_mov_b32 v55, v13 :: v_dual_add_nc_u32 v63, 14, v4
	v_add_nc_u32_e32 v21, -8, v21
	s_add_co_i32 s22, s22, 16
	v_dual_add_nc_u32 v54, 8, v5 :: v_dual_add_nc_u32 v5, 16, v5
	v_lshl_add_u64 v[42:43], v[12:13], 2, v[6:7]
	v_mul_lo_u32 v12, v40, s58
	v_add_nc_u32_e32 v40, 8, v4
	v_lshl_add_u64 v[36:37], v[36:37], 2, v[6:7]
	s_delay_alu instid0(VALU_DEP_3) | instskip(SKIP_4) | instid1(VALU_DEP_3)
	v_lshl_add_u64 v[46:47], v[12:13], 2, v[6:7]
	v_mul_lo_u32 v12, v48, s58
	v_dual_add_nc_u32 v48, 10, v4 :: v_dual_add_nc_u32 v4, 16, v4
	v_cmp_eq_u32_e32 vcc_lo, 0, v21
	s_or_b32 s21, vcc_lo, s21
	v_lshl_add_u64 v[52:53], v[12:13], 2, v[6:7]
	v_mul_lo_u32 v12, v40, s58
	v_mul_lo_u32 v40, v44, s75
	;; [unrolled: 1-line block ×5, first 2 shown]
	v_lshl_add_u64 v[58:59], v[12:13], 2, v[6:7]
	v_mul_lo_u32 v12, v48, s58
	v_mul_lo_u32 v48, v54, s75
	;; [unrolled: 1-line block ×3, first 2 shown]
	s_delay_alu instid0(VALU_DEP_3)
	v_lshl_add_u64 v[60:61], v[12:13], 2, v[6:7]
	v_mul_lo_u32 v12, v62, s58
	global_load_b32 v62, v[36:37], off
	s_wait_xcnt 0x0
	v_lshl_add_u64 v[36:37], v[38:39], 2, v[6:7]
	v_lshl_add_u64 v[38:39], v[40:41], 2, v[6:7]
	;; [unrolled: 1-line block ×7, first 2 shown]
	s_clause 0x8
	global_load_b32 v42, v[42:43], off
	global_load_b32 v43, v[36:37], off
	;; [unrolled: 1-line block ×9, first 2 shown]
	v_lshl_add_u64 v[56:57], v[12:13], 2, v[6:7]
	v_mul_lo_u32 v12, v63, s58
	s_delay_alu instid0(VALU_DEP_1)
	v_lshl_add_u64 v[36:37], v[12:13], 2, v[6:7]
	s_clause 0x3
	global_load_b32 v47, v[48:49], off
	global_load_b32 v48, v[56:57], off
	;; [unrolled: 1-line block ×4, first 2 shown]
	v_mov_b32_e32 v12, s22
	s_wait_loadcnt 0xe
	ds_store_2addr_b32 v35, v16, v3 offset1:1
	global_load_b32 v16, v[54:55], off
	s_wait_loadcnt 0xd
	ds_store_2addr_b32 v35, v62, v42 offset0:2 offset1:3
	s_wait_loadcnt 0xb
	ds_store_2addr_b32 v35, v43, v46 offset0:4 offset1:5
	;; [unrolled: 2-line block ×7, first 2 shown]
	v_add_nc_u32_e32 v35, 64, v35
	s_wait_xcnt 0x0
	s_and_not1_b32 exec_lo, exec_lo, s21
	s_cbranch_execnz .LBB33_33
; %bb.34:                               ;   in Loop: Header=BB33_6 Depth=1
	s_or_b32 exec_lo, exec_lo, s21
.LBB33_35:                              ;   in Loop: Header=BB33_6 Depth=1
	s_delay_alu instid0(SALU_CYCLE_1)
	s_or_b32 exec_lo, exec_lo, s20
	s_and_saveexec_b32 s20, s9
	s_cbranch_execz .LBB33_39
; %bb.36:                               ;   in Loop: Header=BB33_6 Depth=1
	v_lshl_add_u32 v3, v12, 2, v1
	v_mov_b32_e32 v21, v27
	s_mov_b32 s21, 0
.LBB33_37:                              ;   Parent Loop BB33_6 Depth=1
                                        ; =>  This Inner Loop Header: Depth=2
	v_mul_lo_u32 v12, v4, s58
	v_mul_lo_u32 v36, v5, s75
	s_delay_alu instid0(VALU_DEP_3) | instskip(SKIP_1) | instid1(VALU_DEP_2)
	v_dual_mov_b32 v37, v13 :: v_dual_add_nc_u32 v21, -8, v21
	v_dual_add_nc_u32 v5, 2, v5 :: v_dual_add_nc_u32 v4, 2, v4
	v_cmp_eq_u32_e32 vcc_lo, 0, v21
	v_lshl_add_u64 v[38:39], v[12:13], 2, v[6:7]
	s_delay_alu instid0(VALU_DEP_4)
	v_lshl_add_u64 v[36:37], v[36:37], 2, v[6:7]
	s_or_b32 s21, vcc_lo, s21
	s_clause 0x1
	global_load_b32 v35, v[38:39], off
	global_load_b32 v12, v[36:37], off
	s_wait_loadcnt 0x1
	ds_store_2addr_b32 v3, v16, v35 offset1:1
	s_wait_loadcnt 0x0
	v_dual_mov_b32 v16, v12 :: v_dual_add_nc_u32 v3, 8, v3
	s_and_not1_b32 exec_lo, exec_lo, s21
	s_cbranch_execnz .LBB33_37
; %bb.38:                               ;   in Loop: Header=BB33_6 Depth=1
	s_or_b32 exec_lo, exec_lo, s21
	v_mov_b32_e32 v16, v12
.LBB33_39:                              ;   in Loop: Header=BB33_6 Depth=1
	s_or_b32 exec_lo, exec_lo, s20
	v_dual_add_nc_u32 v2, v2, v15 :: v_dual_add_nc_u32 v3, v0, v15
	s_or_not1_b32 s20, s10, exec_lo
	s_delay_alu instid0(VALU_DEP_1)
	v_add_nc_u32_e32 v4, -1, v2
.LBB33_40:                              ;   in Loop: Header=BB33_6 Depth=1
	s_or_b32 exec_lo, exec_lo, s14
	s_wait_loadcnt 0x0
	v_dual_mov_b32 v5, s18 :: v_dual_mov_b32 v12, v16
	s_and_b32 s14, s20, exec_lo
	s_and_not1_saveexec_b32 s19, s19
	s_cbranch_execz .LBB33_26
.LBB33_41:                              ;   in Loop: Header=BB33_6 Depth=1
	s_wait_loadcnt 0x0
	v_dual_mov_b32 v5, s18 :: v_dual_mov_b32 v12, v16
	v_mov_b32_e32 v3, v0
	s_or_b32 s14, s14, exec_lo
	s_or_b32 exec_lo, exec_lo, s19
	s_and_saveexec_b32 s18, s14
	s_cbranch_execz .LBB33_45
.LBB33_42:                              ;   in Loop: Header=BB33_6 Depth=1
	v_mul_lo_u32 v4, s58, v2
	s_mov_b32 s19, 0
	s_sub_co_i32 s14, 0, s17
.LBB33_43:                              ;   Parent Loop BB33_6 Depth=1
                                        ; =>  This Inner Loop Header: Depth=2
	v_readfirstlane_b32 s20, v6
	v_readfirstlane_b32 s21, v7
	v_dual_mov_b32 v21, v2 :: v_dual_lshlrev_b32 v3, 2, v3
	s_wait_loadcnt 0x0
	global_load_b32 v16, v4, s[20:21] scale_offset
	v_add_nc_u32_e32 v2, s17, v21
	ds_store_b32 v3, v12
	s_wait_xcnt 0x0
	v_dual_mov_b32 v3, v21 :: v_dual_add_nc_u32 v4, v4, v5
	v_cmp_le_u32_e32 vcc_lo, s36, v2
	s_or_b32 s19, vcc_lo, s19
	s_wait_loadcnt 0x0
	v_mov_b32_e32 v12, v16
	s_and_not1_b32 exec_lo, exec_lo, s19
	s_cbranch_execnz .LBB33_43
; %bb.44:                               ;   in Loop: Header=BB33_6 Depth=1
	s_or_b32 exec_lo, exec_lo, s19
	v_add_nc_u32_e32 v4, s14, v2
.LBB33_45:                              ;   in Loop: Header=BB33_6 Depth=1
	s_or_b32 exec_lo, exec_lo, s18
.LBB33_46:                              ;   in Loop: Header=BB33_6 Depth=1
	s_delay_alu instid0(SALU_CYCLE_1) | instskip(NEXT) | instid1(VALU_DEP_1)
	s_or_b32 exec_lo, exec_lo, s16
	v_lshlrev_b32_e32 v2, 2, v4
	s_wait_loadcnt 0x0
	ds_store_b32 v2, v16
.LBB33_47:                              ;   in Loop: Header=BB33_6 Depth=1
	s_or_b32 exec_lo, exec_lo, s15
	s_wait_dscnt 0x0
	s_barrier_signal -1
	s_barrier_wait -1
	s_and_saveexec_b32 s14, s5
; %bb.48:                               ;   in Loop: Header=BB33_6 Depth=1
	v_mov_b32_e32 v2, s36
	ds_store_b32 v13, v2 offset:4096
; %bb.49:                               ;   in Loop: Header=BB33_6 Depth=1
	s_or_b32 exec_lo, exec_lo, s14
	s_mov_b32 s14, -1
	s_wait_dscnt 0x0
	s_barrier_signal -1
	s_barrier_wait -1
.LBB33_50:                              ;   in Loop: Header=BB33_6 Depth=1
	s_and_b32 vcc_lo, exec_lo, s14
	s_mov_b32 s38, 0
	s_cbranch_vccz .LBB33_52
; %bb.51:                               ;   in Loop: Header=BB33_6 Depth=1
	ds_load_b32 v2, v13 offset:4096
	s_wait_dscnt 0x0
	v_readfirstlane_b32 s38, v2
.LBB33_52:                              ;   in Loop: Header=BB33_6 Depth=1
	s_delay_alu instid0(VALU_DEP_1)
	s_cmp_lt_i32 s38, 1
	s_mov_b32 s14, -1
                                        ; implicit-def: $vgpr5
	s_cbranch_scc1 .LBB33_65
; %bb.53:                               ;   in Loop: Header=BB33_6 Depth=1
	s_and_b32 vcc_lo, exec_lo, s14
	s_cbranch_vccnz .LBB33_76
.LBB33_54:                              ;   in Loop: Header=BB33_6 Depth=1
	s_lshl_b32 s16, s83, 7
	s_and_saveexec_b32 s14, s2
.LBB33_55:                              ;   in Loop: Header=BB33_6 Depth=1
	v_lshl_add_u32 v12, s16, 2, v23
	ds_store_b128 v12, v[2:5]
.LBB33_56:                              ;   in Loop: Header=BB33_6 Depth=1
	s_or_b32 exec_lo, exec_lo, s14
	s_wait_dscnt 0x0
	s_barrier_signal -1
	s_barrier_wait -1
	s_and_saveexec_b32 s17, s62
	s_cbranch_execz .LBB33_89
; %bb.57:                               ;   in Loop: Header=BB33_6 Depth=1
	v_dual_add_nc_u32 v4, s16, v9 :: v_dual_mov_b32 v2, 0
	s_and_not1_b32 vcc_lo, exec_lo, s65
	s_cbranch_vccnz .LBB33_88
; %bb.58:                               ;   in Loop: Header=BB33_6 Depth=1
	s_and_not1_b32 vcc_lo, exec_lo, s68
	s_cbranch_vccnz .LBB33_85
; %bb.59:                               ;   in Loop: Header=BB33_6 Depth=1
	v_lshl_add_u32 v5, v4, 2, 0xc00
	s_and_not1_b32 vcc_lo, exec_lo, s71
	s_cbranch_vccnz .LBB33_113
; %bb.60:                               ;   in Loop: Header=BB33_6 Depth=1
	v_dual_mov_b32 v2, 0 :: v_dual_mov_b32 v3, 0
	s_mov_b32 s15, 1
	s_mov_b32 s14, 0
	;; [unrolled: 1-line block ×3, first 2 shown]
.LBB33_61:                              ;   Parent Loop BB33_6 Depth=1
                                        ; =>  This Inner Loop Header: Depth=2
	v_lshl_add_u32 v12, s15, 4, v5
	v_lshl_add_u32 v16, s14, 4, v5
	s_add_co_i32 s18, s18, -8
	s_add_co_i32 s15, s15, 16
	s_add_co_i32 s14, s14, 16
	ds_load_2addr_b32 v[36:37], v12 offset1:8
	ds_load_2addr_b32 v[38:39], v16 offset1:8
	ds_load_2addr_b32 v[40:41], v12 offset0:16 offset1:24
	ds_load_2addr_b32 v[42:43], v16 offset0:16 offset1:24
	;; [unrolled: 1-line block ×6, first 2 shown]
	s_cmp_lg_u32 s18, 0
	s_wait_dscnt 0x7
	v_add3_u32 v3, v36, v3, v37
	s_wait_dscnt 0x6
	v_add3_u32 v2, v38, v2, v39
	s_wait_dscnt 0x5
	s_delay_alu instid0(VALU_DEP_2) | instskip(SKIP_1) | instid1(VALU_DEP_2)
	v_add3_u32 v3, v40, v3, v41
	s_wait_dscnt 0x4
	v_add3_u32 v2, v42, v2, v43
	s_wait_dscnt 0x3
	s_delay_alu instid0(VALU_DEP_2) | instskip(SKIP_1) | instid1(VALU_DEP_2)
	;; [unrolled: 5-line block ×3, first 2 shown]
	v_add3_u32 v3, v48, v3, v49
	s_wait_dscnt 0x0
	v_add3_u32 v2, v50, v2, v51
	s_cbranch_scc1 .LBB33_61
; %bb.62:                               ;   in Loop: Header=BB33_6 Depth=1
	s_and_not1_b32 vcc_lo, exec_lo, s73
	s_mov_b32 s18, s70
	s_cbranch_vccnz .LBB33_64
.LBB33_63:                              ;   Parent Loop BB33_6 Depth=1
                                        ; =>  This Inner Loop Header: Depth=2
	v_lshl_add_u32 v12, s15, 4, v5
	v_lshl_add_u32 v16, s14, 4, v5
	s_add_co_i32 s18, s18, -1
	s_add_co_i32 s15, s15, 2
	s_add_co_i32 s14, s14, 2
	ds_load_b32 v12, v12
	ds_load_b32 v16, v16
	s_cmp_lg_u32 s18, 0
	s_wait_dscnt 0x1
	v_add_nc_u32_e32 v3, v12, v3
	s_wait_dscnt 0x0
	v_add_nc_u32_e32 v2, v16, v2
	s_cbranch_scc1 .LBB33_63
.LBB33_64:                              ;   in Loop: Header=BB33_6 Depth=1
	s_delay_alu instid0(VALU_DEP_1) | instskip(SKIP_2) | instid1(SALU_CYCLE_1)
	v_add_nc_u32_e32 v2, v2, v3
	s_mov_b32 s14, s69
	s_mov_b32 s15, s74
	s_and_b32 vcc_lo, exec_lo, s15
	s_cbranch_vccnz .LBB33_86
	s_branch .LBB33_88
.LBB33_65:                              ;   in Loop: Header=BB33_6 Depth=1
	v_dual_mov_b32 v2, 0 :: v_dual_mov_b32 v3, 0
	v_dual_mov_b32 v4, 0 :: v_dual_mov_b32 v5, 0
	s_and_saveexec_b32 s34, s11
	s_cbranch_execz .LBB33_69
; %bb.66:                               ;   in Loop: Header=BB33_6 Depth=1
	v_mov_b32_e32 v12, v1
	s_mov_b32 s93, 0
	s_mov_b32 s94, 0
	;; [unrolled: 1-line block ×6, first 2 shown]
.LBB33_67:                              ;   Parent Loop BB33_6 Depth=1
                                        ; =>  This Inner Loop Header: Depth=2
	v_dual_lshlrev_b32 v2, 2, v14 :: v_dual_add_nc_u32 v4, s94, v28
	v_readfirstlane_b32 s14, v6
	v_readfirstlane_b32 s15, v7
	s_delay_alu instid0(VALU_DEP_3)
	v_dual_add_nc_u32 v5, s94, v29 :: v_dual_add_nc_u32 v2, s94, v2
	v_mad_u32 v3, s58, v1, s58
	v_add_nc_u32_e32 v12, s63, v12
	global_load_b32 v2, v2, s[14:15] scale_offset
	v_cmp_le_u32_e32 vcc_lo, s76, v12
	v_add_nc_u32_e32 v3, s94, v3
	s_clause 0x2
	global_load_b32 v3, v3, s[14:15] scale_offset
	global_load_b32 v4, v4, s[14:15] scale_offset
	;; [unrolled: 1-line block ×3, first 2 shown]
	s_add_co_i32 s94, s94, s78
	s_wait_loadcnt 0x3
	v_bitop3_b32 v16, v2, v33, 0x80000000 bitop3:0x48
	v_xor_b32_e32 v2, 0x80000000, v2
	s_wait_xcnt 0x0
	s_delay_alu instid0(VALU_DEP_2) | instskip(NEXT) | instid1(VALU_DEP_2)
	v_cmp_eq_u32_e64 s14, v16, v26
	v_bfe_u32 v2, v2, s80, 2
	s_wait_loadcnt 0x2
	v_xor_b32_e32 v16, 0x80000000, v3
	s_delay_alu instid0(VALU_DEP_2)
	v_cmp_eq_u32_e64 s15, 0, v2
	s_wait_loadcnt 0x0
	v_xor_b32_e32 v35, 0x80000000, v5
	v_bitop3_b32 v5, v5, v33, 0x80000000 bitop3:0x48
	v_cmp_eq_u32_e64 s16, 1, v2
	v_xor_b32_e32 v21, 0x80000000, v4
	v_bitop3_b32 v3, v3, v33, 0x80000000 bitop3:0x48
	v_cmp_eq_u32_e64 s17, 2, v2
	v_cmp_eq_u32_e64 s18, 3, v2
	v_bitop3_b32 v4, v4, v33, 0x80000000 bitop3:0x48
	s_and_b32 s15, s14, s15
	v_bfe_u32 v2, v16, s80, 2
	v_cmp_eq_u32_e64 s21, v5, v26
	v_cndmask_b32_e64 v5, 0, 1, s15
	s_and_b32 s15, s14, s16
	v_cmp_eq_u32_e64 s19, v3, v26
	v_bfe_u32 v3, v21, s80, 2
	v_cndmask_b32_e64 v16, 0, 1, s15
	s_and_b32 s15, s14, s17
	s_and_b32 s14, s14, s18
	v_cmp_eq_u32_e64 s20, v4, v26
	v_bfe_u32 v4, v35, s80, 2
	v_cndmask_b32_e64 v35, 0, 1, s14
	v_cmp_eq_u32_e64 s14, 0, v2
	v_cndmask_b32_e64 v21, 0, 1, s15
	v_cmp_eq_u32_e64 s15, 0, v3
	v_cmp_eq_u32_e64 s16, 0, v4
	;; [unrolled: 1-line block ×3, first 2 shown]
	s_and_b32 s14, s19, s14
	v_cmp_eq_u32_e64 s23, 2, v2
	v_cmp_eq_u32_e64 s26, 3, v2
	v_cndmask_b32_e64 v2, 0, 1, s14
	s_and_b32 s14, s20, s15
	v_cmp_eq_u32_e64 s18, 1, v3
	v_cmp_eq_u32_e64 s24, 2, v3
	;; [unrolled: 1-line block ×3, first 2 shown]
	v_cndmask_b32_e64 v3, 0, 1, s14
	s_and_b32 s14, s21, s16
	v_cmp_eq_u32_e64 s22, 1, v4
	v_cmp_eq_u32_e64 s25, 2, v4
	;; [unrolled: 1-line block ×3, first 2 shown]
	v_cndmask_b32_e64 v4, 0, 1, s14
	s_and_b32 s14, s19, s17
	v_cmp_ne_u32_e64 s29, 0, v5
	v_cndmask_b32_e64 v5, 0, 1, s14
	s_and_b32 s14, s20, s18
	v_cmp_ne_u32_e64 s30, 0, v16
	;; [unrolled: 3-line block ×9, first 2 shown]
	v_cndmask_b32_e64 v40, 0, 1, s14
	v_cmp_ne_u32_e64 s14, 0, v2
	v_cmp_ne_u32_e64 s21, 0, v36
	;; [unrolled: 1-line block ×3, first 2 shown]
	s_bcnt1_i32_b32 s26, s29
	s_bcnt1_i32_b32 s27, s30
	;; [unrolled: 1-line block ×4, first 2 shown]
	v_cmp_ne_u32_e64 s16, 0, v4
	v_cmp_ne_u32_e64 s19, 0, v21
	;; [unrolled: 1-line block ×4, first 2 shown]
	s_add_co_i32 s26, s26, s98
	s_add_co_i32 s27, s27, s97
	;; [unrolled: 1-line block ×4, first 2 shown]
	s_bcnt1_i32_b32 s14, s14
	s_bcnt1_i32_b32 s17, s17
	;; [unrolled: 1-line block ×8, first 2 shown]
	s_add_co_i32 s14, s26, s14
	s_add_co_i32 s17, s27, s17
	;; [unrolled: 1-line block ×4, first 2 shown]
	s_bcnt1_i32_b32 s16, s16
	s_bcnt1_i32_b32 s19, s19
	;; [unrolled: 1-line block ×4, first 2 shown]
	s_add_co_i32 s14, s14, s15
	s_add_co_i32 s15, s17, s18
	s_add_co_i32 s17, s20, s21
	s_add_co_i32 s18, s23, s24
	s_add_co_i32 s98, s14, s16
	s_add_co_i32 s97, s15, s19
	s_add_co_i32 s96, s17, s22
	s_add_co_i32 s95, s18, s25
	v_dual_mov_b32 v2, s98 :: v_dual_mov_b32 v3, s97
	v_dual_mov_b32 v4, s96 :: v_dual_mov_b32 v5, s95
	s_or_b32 s93, vcc_lo, s93
	s_delay_alu instid0(SALU_CYCLE_1)
	s_and_not1_b32 exec_lo, exec_lo, s93
	s_cbranch_execnz .LBB33_67
; %bb.68:                               ;   in Loop: Header=BB33_6 Depth=1
	s_or_b32 exec_lo, exec_lo, s93
.LBB33_69:                              ;   in Loop: Header=BB33_6 Depth=1
	s_delay_alu instid0(SALU_CYCLE_1)
	s_or_b32 exec_lo, exec_lo, s34
	s_and_saveexec_b32 s18, s12
	s_cbranch_execz .LBB33_75
; %bb.70:                               ;   in Loop: Header=BB33_6 Depth=1
	global_load_b32 v35, v[18:19], off
	v_dual_mov_b32 v12, v30 :: v_dual_mov_b32 v16, v24
	s_mov_b32 s19, 0
	s_branch .LBB33_72
.LBB33_71:                              ;   in Loop: Header=BB33_72 Depth=2
	s_wait_xcnt 0x0
	s_or_b32 exec_lo, exec_lo, s15
	s_wait_loadcnt 0x0
	v_xor_b32_e32 v36, 0x80000000, v35
	v_bitop3_b32 v35, v35, v33, 0x80000000 bitop3:0x48
	s_and_b32 s15, exec_lo, vcc_lo
	v_add_nc_u32_e32 v12, s50, v12
	s_or_b32 s19, s15, s19
	v_bfe_u32 v36, v36, s80, 2
	v_cmp_eq_u32_e32 vcc_lo, v35, v26
	s_delay_alu instid0(VALU_DEP_2) | instskip(SKIP_4) | instid1(SALU_CYCLE_1)
	v_cmp_eq_u32_e64 s14, 0, v36
	v_cmp_eq_u32_e64 s15, 1, v36
	;; [unrolled: 1-line block ×4, first 2 shown]
	s_and_b32 s14, vcc_lo, s14
	v_cndmask_b32_e64 v35, 0, 1, s14
	s_and_b32 s14, vcc_lo, s15
	s_delay_alu instid0(SALU_CYCLE_1) | instskip(SKIP_1) | instid1(SALU_CYCLE_1)
	v_cndmask_b32_e64 v36, 0, 1, s14
	s_and_b32 s14, vcc_lo, s16
	v_cndmask_b32_e64 v37, 0, 1, s14
	s_and_b32 s14, vcc_lo, s17
	v_cmp_ne_u32_e32 vcc_lo, 0, v35
	v_cndmask_b32_e64 v38, 0, 1, s14
	v_cmp_ne_u32_e64 s14, 0, v36
	v_cmp_ne_u32_e64 s15, 0, v37
	v_mov_b32_e32 v35, v21
	s_bcnt1_i32_b32 s17, vcc_lo
	v_cmp_ne_u32_e64 s16, 0, v38
	s_bcnt1_i32_b32 s14, s14
	s_bcnt1_i32_b32 s15, s15
	v_dual_add_nc_u32 v2, s17, v2 :: v_dual_add_nc_u32 v3, s14, v3
	s_bcnt1_i32_b32 s16, s16
	s_delay_alu instid0(SALU_CYCLE_1)
	v_dual_add_nc_u32 v4, s15, v4 :: v_dual_add_nc_u32 v5, s16, v5
	s_and_not1_b32 exec_lo, exec_lo, s19
	s_cbranch_execz .LBB33_74
.LBB33_72:                              ;   Parent Loop BB33_6 Depth=1
                                        ; =>  This Inner Loop Header: Depth=2
	s_delay_alu instid0(VALU_DEP_1) | instskip(SKIP_1) | instid1(VALU_DEP_1)
	v_dual_mov_b32 v21, 0 :: v_dual_add_nc_u32 v16, s41, v16
	s_mov_b32 s15, exec_lo
	v_cmp_le_u32_e32 vcc_lo, s36, v16
	s_wait_xcnt 0x0
	v_cmpx_gt_u32_e64 s36, v16
	s_cbranch_execz .LBB33_71
; %bb.73:                               ;   in Loop: Header=BB33_72 Depth=2
	v_readfirstlane_b32 s16, v6
	v_readfirstlane_b32 s17, v7
	global_load_b32 v21, v12, s[16:17] scale_offset
	s_branch .LBB33_71
.LBB33_74:                              ;   in Loop: Header=BB33_6 Depth=1
	s_or_b32 exec_lo, exec_lo, s19
.LBB33_75:                              ;   in Loop: Header=BB33_6 Depth=1
	s_delay_alu instid0(SALU_CYCLE_1)
	s_or_b32 exec_lo, exec_lo, s18
	s_branch .LBB33_54
.LBB33_76:                              ;   in Loop: Header=BB33_6 Depth=1
	s_mul_u64 s[14:15], s[38:39], s[52:53]
	v_dual_mov_b32 v2, 0 :: v_dual_mov_b32 v3, 0
	s_mul_i32 s14, s15, s63
	v_dual_mov_b32 v4, 0 :: v_dual_mov_b32 v5, 0
	s_sub_co_i32 s14, s38, s14
	s_mov_b32 s94, exec_lo
	s_sub_co_i32 s15, s14, s63
	s_cmp_ge_u32 s14, s63
	s_cselect_b32 s14, s15, s14
	s_delay_alu instid0(SALU_CYCLE_1) | instskip(SKIP_2) | instid1(SALU_CYCLE_1)
	s_sub_co_i32 s15, s14, s63
	s_cmp_ge_u32 s14, s63
	s_cselect_b32 s14, s15, s14
	s_sub_co_i32 s93, s38, s14
	s_delay_alu instid0(SALU_CYCLE_1)
	v_cmpx_gt_u32_e64 s93, v1
	s_cbranch_execz .LBB33_80
; %bb.77:                               ;   in Loop: Header=BB33_6 Depth=1
	v_dual_mov_b32 v12, v31 :: v_dual_mov_b32 v16, v1
	s_mov_b32 s95, 0
	s_mov_b32 s96, 0
	;; [unrolled: 1-line block ×5, first 2 shown]
.LBB33_78:                              ;   Parent Loop BB33_6 Depth=1
                                        ; =>  This Inner Loop Header: Depth=2
	ds_load_b128 v[2:5], v12
	s_wait_dscnt 0x0
	v_xor_b32_e32 v21, 0x80000000, v2
	v_bitop3_b32 v2, v2, v33, 0x80000000 bitop3:0x48
	v_xor_b32_e32 v35, 0x80000000, v3
	v_bitop3_b32 v3, v3, v33, 0x80000000 bitop3:0x48
	;; [unrolled: 2-line block ×3, first 2 shown]
	v_cmp_eq_u32_e64 s14, v2, v26
	v_bfe_u32 v2, v21, s80, 2
	v_xor_b32_e32 v37, 0x80000000, v5
	v_cmp_eq_u32_e64 s15, v3, v26
	v_bfe_u32 v3, v35, s80, 2
	v_cmp_eq_u32_e64 s16, v4, v26
	v_bfe_u32 v4, v36, s80, 2
	v_cmp_eq_u32_e64 s18, 0, v2
	v_bitop3_b32 v5, v5, v33, 0x80000000 bitop3:0x48
	v_bfe_u32 v21, v37, s80, 2
	v_cmp_eq_u32_e64 s19, 0, v3
	v_cmp_eq_u32_e64 s20, 0, v4
	s_and_b32 s18, s14, s18
	v_cmp_eq_u32_e64 s17, v5, v26
	v_cmp_eq_u32_e64 s21, 0, v21
	;; [unrolled: 1-line block ×5, first 2 shown]
	v_cndmask_b32_e64 v2, 0, 1, s18
	s_and_b32 s18, s15, s19
	v_cmp_eq_u32_e64 s23, 1, v3
	v_cmp_eq_u32_e64 s27, 2, v3
	;; [unrolled: 1-line block ×3, first 2 shown]
	v_cndmask_b32_e64 v3, 0, 1, s18
	s_and_b32 s18, s16, s20
	v_cmp_eq_u32_e64 s24, 1, v4
	v_cmp_eq_u32_e64 s28, 2, v4
	;; [unrolled: 1-line block ×3, first 2 shown]
	v_cndmask_b32_e64 v4, 0, 1, s18
	s_and_b32 s18, s17, s21
	v_cmp_eq_u32_e64 s25, 1, v21
	v_cndmask_b32_e64 v5, 0, 1, s18
	s_and_b32 s18, s14, s22
	v_cmp_eq_u32_e64 s29, 2, v21
	v_cmp_eq_u32_e64 s34, 3, v21
	v_cndmask_b32_e64 v21, 0, 1, s18
	s_and_b32 s18, s15, s23
	s_delay_alu instid0(SALU_CYCLE_1) | instskip(SKIP_1) | instid1(SALU_CYCLE_1)
	v_cndmask_b32_e64 v35, 0, 1, s18
	s_and_b32 s18, s16, s24
	v_cndmask_b32_e64 v36, 0, 1, s18
	s_and_b32 s18, s17, s25
	s_delay_alu instid0(VALU_DEP_2)
	v_cmp_ne_u32_e64 s19, 0, v35
	v_cndmask_b32_e64 v37, 0, 1, s18
	s_and_b32 s18, s14, s26
	s_and_b32 s14, s14, s30
	v_cndmask_b32_e64 v38, 0, 1, s18
	v_cndmask_b32_e64 v42, 0, 1, s14
	s_and_b32 s14, s15, s31
	s_and_b32 s18, s15, s27
	v_cndmask_b32_e64 v43, 0, 1, s14
	s_and_b32 s14, s16, s33
	v_cndmask_b32_e64 v39, 0, 1, s18
	v_cndmask_b32_e64 v44, 0, 1, s14
	s_and_b32 s14, s17, s34
	s_and_b32 s18, s16, s28
	v_cndmask_b32_e64 v45, 0, 1, s14
	v_cmp_ne_u32_e64 s14, 0, v2
	v_cmp_ne_u32_e64 s15, 0, v3
	v_cndmask_b32_e64 v40, 0, 1, s18
	s_and_b32 s18, s17, s29
	v_cmp_ne_u32_e64 s16, 0, v4
	v_cndmask_b32_e64 v41, 0, 1, s18
	v_cmp_ne_u32_e64 s18, 0, v21
	v_cmp_ne_u32_e64 s22, 0, v38
	;; [unrolled: 1-line block ×3, first 2 shown]
	s_bcnt1_i32_b32 s14, s14
	v_cmp_ne_u32_e64 s17, 0, v5
	v_cmp_ne_u32_e64 s23, 0, v39
	;; [unrolled: 1-line block ×3, first 2 shown]
	s_bcnt1_i32_b32 s15, s15
	s_add_co_i32 s14, s14, s99
	v_cmp_ne_u32_e64 s20, 0, v36
	v_cmp_ne_u32_e64 s24, 0, v40
	v_cmp_ne_u32_e64 s28, 0, v44
	s_bcnt1_i32_b32 s16, s16
	s_add_co_i32 s14, s14, s15
	s_bcnt1_i32_b32 s18, s18
	s_bcnt1_i32_b32 s22, s22
	;; [unrolled: 1-line block ×3, first 2 shown]
	v_cmp_ne_u32_e64 s21, 0, v37
	v_cmp_ne_u32_e64 s25, 0, v41
	;; [unrolled: 1-line block ×3, first 2 shown]
	s_bcnt1_i32_b32 s17, s17
	s_add_co_i32 s14, s14, s16
	s_bcnt1_i32_b32 s19, s19
	s_bcnt1_i32_b32 s23, s23
	;; [unrolled: 1-line block ×3, first 2 shown]
	s_add_co_i32 s18, s18, s98
	s_add_co_i32 s22, s22, s97
	;; [unrolled: 1-line block ×4, first 2 shown]
	s_delay_alu instid0(SALU_CYCLE_1)
	v_dual_add_nc_u32 v16, s63, v16 :: v_dual_mov_b32 v2, s99
	s_bcnt1_i32_b32 s20, s20
	s_bcnt1_i32_b32 s24, s24
	;; [unrolled: 1-line block ×3, first 2 shown]
	s_add_co_i32 s15, s18, s19
	s_add_co_i32 s18, s22, s23
	;; [unrolled: 1-line block ×3, first 2 shown]
	s_bcnt1_i32_b32 s21, s21
	s_bcnt1_i32_b32 s25, s25
	;; [unrolled: 1-line block ×3, first 2 shown]
	s_add_co_i32 s15, s15, s20
	s_add_co_i32 s16, s18, s24
	;; [unrolled: 1-line block ×3, first 2 shown]
	v_cmp_le_u32_e32 vcc_lo, s93, v16
	s_add_co_i32 s98, s15, s21
	s_add_co_i32 s97, s16, s25
	;; [unrolled: 1-line block ×3, first 2 shown]
	v_dual_mov_b32 v3, s98 :: v_dual_add_nc_u32 v12, s79, v12
	v_dual_mov_b32 v4, s97 :: v_dual_mov_b32 v5, s96
	s_or_b32 s95, vcc_lo, s95
	s_delay_alu instid0(SALU_CYCLE_1)
	s_and_not1_b32 exec_lo, exec_lo, s95
	s_cbranch_execnz .LBB33_78
; %bb.79:                               ;   in Loop: Header=BB33_6 Depth=1
	s_or_b32 exec_lo, exec_lo, s95
.LBB33_80:                              ;   in Loop: Header=BB33_6 Depth=1
	s_delay_alu instid0(SALU_CYCLE_1) | instskip(SKIP_2) | instid1(VALU_DEP_1)
	s_or_b32 exec_lo, exec_lo, s94
	v_add_nc_u32_e32 v12, s93, v0
	s_mov_b32 s19, exec_lo
	v_cmpx_gt_u32_e64 s38, v12
	s_cbranch_execz .LBB33_84
; %bb.81:                               ;   in Loop: Header=BB33_6 Depth=1
	v_lshlrev_b32_e32 v16, 2, v12
	s_mov_b32 s20, 0
.LBB33_82:                              ;   Parent Loop BB33_6 Depth=1
                                        ; =>  This Inner Loop Header: Depth=2
	ds_load_b32 v21, v16
	s_wait_dscnt 0x0
	v_xor_b32_e32 v35, 0x80000000, v21
	v_bitop3_b32 v21, v21, v33, 0x80000000 bitop3:0x48
	s_delay_alu instid0(VALU_DEP_2) | instskip(NEXT) | instid1(VALU_DEP_2)
	v_bfe_u32 v35, v35, s80, 2
	v_cmp_eq_u32_e64 s14, v21, v26
	s_delay_alu instid0(VALU_DEP_2) | instskip(SKIP_4) | instid1(SALU_CYCLE_1)
	v_cmp_eq_u32_e64 s15, 0, v35
	v_cmp_eq_u32_e64 s16, 1, v35
	;; [unrolled: 1-line block ×4, first 2 shown]
	s_and_b32 s15, s14, s15
	v_cndmask_b32_e64 v21, 0, 1, s15
	s_and_b32 s15, s14, s16
	s_delay_alu instid0(SALU_CYCLE_1)
	v_cndmask_b32_e64 v35, 0, 1, s15
	s_and_b32 s15, s14, s17
	s_and_b32 s14, s14, s18
	v_cndmask_b32_e64 v36, 0, 1, s15
	v_cndmask_b32_e64 v37, 0, 1, s14
	v_cmp_ne_u32_e64 s14, 0, v21
	v_cmp_ne_u32_e64 s15, 0, v35
	s_delay_alu instid0(VALU_DEP_4) | instskip(NEXT) | instid1(VALU_DEP_4)
	v_cmp_ne_u32_e64 s16, 0, v36
	v_cmp_ne_u32_e64 s17, 0, v37
	s_bcnt1_i32_b32 s14, s14
	s_delay_alu instid0(SALU_CYCLE_1) | instskip(SKIP_3) | instid1(VALU_DEP_1)
	v_dual_add_nc_u32 v12, s41, v12 :: v_dual_add_nc_u32 v2, s14, v2
	s_bcnt1_i32_b32 s15, s15
	s_bcnt1_i32_b32 s16, s16
	s_bcnt1_i32_b32 s17, s17
	v_cmp_le_u32_e32 vcc_lo, s38, v12
	v_dual_add_nc_u32 v16, s63, v16 :: v_dual_add_nc_u32 v3, s15, v3
	v_dual_add_nc_u32 v4, s16, v4 :: v_dual_add_nc_u32 v5, s17, v5
	s_or_b32 s20, vcc_lo, s20
	s_delay_alu instid0(SALU_CYCLE_1)
	s_and_not1_b32 exec_lo, exec_lo, s20
	s_cbranch_execnz .LBB33_82
; %bb.83:                               ;   in Loop: Header=BB33_6 Depth=1
	s_or_b32 exec_lo, exec_lo, s20
.LBB33_84:                              ;   in Loop: Header=BB33_6 Depth=1
	s_delay_alu instid0(SALU_CYCLE_1)
	s_or_b32 exec_lo, exec_lo, s19
	s_lshl_b32 s16, s83, 7
	s_and_saveexec_b32 s14, s2
	s_cbranch_execnz .LBB33_55
	s_branch .LBB33_56
.LBB33_85:                              ;   in Loop: Header=BB33_6 Depth=1
	v_mov_b32_e32 v2, 0
	s_mov_b32 s14, 0
	s_cbranch_execz .LBB33_88
.LBB33_86:                              ;   in Loop: Header=BB33_6 Depth=1
	s_lshl_b32 s15, s83, 9
	s_lshl_b32 s18, s14, 4
	s_sub_co_i32 s14, s67, s14
	v_add3_u32 v3, s15, s18, v32
.LBB33_87:                              ;   Parent Loop BB33_6 Depth=1
                                        ; =>  This Inner Loop Header: Depth=2
	ds_load_b32 v5, v3
	v_add_nc_u32_e32 v3, 16, v3
	s_add_co_i32 s14, s14, -1
	s_delay_alu instid0(SALU_CYCLE_1)
	s_cmp_eq_u32 s14, 0
	s_wait_dscnt 0x0
	v_add_nc_u32_e32 v2, v5, v2
	s_cbranch_scc0 .LBB33_87
.LBB33_88:                              ;   in Loop: Header=BB33_6 Depth=1
	s_delay_alu instid0(VALU_DEP_1)
	v_lshlrev_b32_e32 v3, 2, v4
	ds_store_b32 v3, v2 offset:3072
.LBB33_89:                              ;   in Loop: Header=BB33_6 Depth=1
	s_or_b32 exec_lo, exec_lo, s17
	s_lshl_b32 s14, s16, 2
	s_wait_dscnt 0x0
	v_mov_b32_e32 v2, s14
	s_barrier_signal -1
	s_barrier_wait -1
	v_cmp_eq_u32_e64 s14, 1, v34
	ds_load_b128 v[2:5], v2 offset:3072
	s_lshl_b32 s18, 3, s80
	s_mov_b32 s26, -1
	s_not_b32 s19, s18
	s_mov_b32 s16, 0
	s_and_not1_b32 vcc_lo, exec_lo, s61
	s_mov_b32 s23, 0
	s_mov_b32 s15, 0
                                        ; implicit-def: $sgpr24
                                        ; implicit-def: $sgpr25
                                        ; implicit-def: $vgpr35
                                        ; implicit-def: $vgpr12
	s_wait_dscnt 0x0
	v_readfirstlane_b32 s17, v2
	v_readfirstlane_b32 s20, v3
	;; [unrolled: 1-line block ×4, first 2 shown]
                                        ; implicit-def: $vgpr4
                                        ; implicit-def: $vgpr5
                                        ; implicit-def: $vgpr3
	s_cbranch_vccnz .LBB33_248
; %bb.90:                               ;   in Loop: Header=BB33_6 Depth=1
	s_cmp_eq_u32 s17, 1
	v_dual_mov_b32 v5, v26 :: v_dual_mov_b32 v12, v33
	v_mov_b32_e32 v3, v17
	s_cselect_b32 s15, -1, 0
	s_mov_b32 s29, -1
	s_and_b32 s28, s15, s14
                                        ; implicit-def: $sgpr25
                                        ; implicit-def: $sgpr24
	s_delay_alu instid0(SALU_CYCLE_1)
	s_and_saveexec_b32 s15, s28
	s_cbranch_execz .LBB33_117
; %bb.91:                               ;   in Loop: Header=BB33_6 Depth=1
	ds_load_b32 v2, v13 offset:4096
	s_wait_dscnt 0x0
	s_barrier_signal -1
	s_barrier_wait -1
	v_readfirstlane_b32 s26, v2
	s_and_saveexec_b32 s23, s6
; %bb.92:                               ;   in Loop: Header=BB33_6 Depth=1
	ds_store_b32 v22, v13
; %bb.93:                               ;   in Loop: Header=BB33_6 Depth=1
	s_or_b32 exec_lo, exec_lo, s23
	v_and_b32_e32 v5, s19, v26
	v_or_b32_e32 v12, s18, v33
	s_mov_b32 s24, -1
	s_mov_b32 s25, 0
	s_cmp_eq_u32 s26, 0
	s_mov_b32 s23, 0
	s_mov_b32 s27, -1
	s_wait_dscnt 0x0
	s_barrier_signal -1
	s_barrier_wait -1
                                        ; implicit-def: $vgpr3
	s_cbranch_scc1 .LBB33_104
; %bb.94:                               ;   in Loop: Header=BB33_6 Depth=1
	s_add_co_i32 s38, s26, s66
	s_mov_b32 s29, exec_lo
	s_mul_u64 s[30:31], s[38:39], s[54:55]
                                        ; implicit-def: $vgpr3
	s_delay_alu instid0(SALU_CYCLE_1) | instskip(NEXT) | instid1(SALU_CYCLE_1)
	s_mul_i32 s23, s31, s41
	s_sub_co_i32 s23, s38, s23
	s_delay_alu instid0(SALU_CYCLE_1) | instskip(SKIP_2) | instid1(SALU_CYCLE_1)
	s_sub_co_i32 s27, s23, s41
	s_cmp_ge_u32 s23, s41
	s_cselect_b32 s23, s27, s23
	s_sub_co_i32 s27, s23, s41
	s_cmp_ge_u32 s23, s41
	s_cselect_b32 s23, s27, s23
	s_mov_b32 s27, 0
	s_sub_co_i32 s30, s38, s23
	s_mov_b32 s23, 0
	v_cmpx_gt_u32_e64 s30, v0
	s_cbranch_execz .LBB33_103
; %bb.95:                               ;   in Loop: Header=BB33_6 Depth=1
	v_dual_mov_b32 v4, v1 :: v_dual_mov_b32 v16, v0
                                        ; implicit-def: $sgpr31
	s_branch .LBB33_98
.LBB33_96:                              ;   in Loop: Header=BB33_98 Depth=2
	s_or_b32 exec_lo, exec_lo, s33
	s_wait_dscnt 0x0
	s_barrier_signal -1
	s_barrier_wait -1
	ds_load_b64 v[2:3], v13 offset:3072
	s_mov_b32 s33, -1
	s_mov_b32 s34, -1
	s_wait_dscnt 0x0
	s_barrier_signal -1
	s_barrier_wait -1
	v_cmp_ne_u32_e32 vcc_lo, 0, v2
	s_cbranch_vccz .LBB33_101
.LBB33_97:                              ;   in Loop: Header=BB33_98 Depth=2
	s_and_b32 s33, exec_lo, s33
	s_delay_alu instid0(SALU_CYCLE_1) | instskip(SKIP_2) | instid1(SALU_CYCLE_1)
	s_or_b32 s23, s33, s23
	s_and_not1_b32 s31, s31, exec_lo
	s_and_b32 s33, s34, exec_lo
	s_or_b32 s31, s31, s33
	s_and_not1_b32 exec_lo, exec_lo, s23
	s_cbranch_execz .LBB33_102
.LBB33_98:                              ;   Parent Loop BB33_6 Depth=1
                                        ; =>  This Inner Loop Header: Depth=2
	s_mov_b32 s33, exec_lo
	s_delay_alu instid0(VALU_DEP_1)
	v_cmpx_gt_u32_e64 s26, v16
	s_cbranch_execz .LBB33_96
; %bb.99:                               ;   in Loop: Header=BB33_98 Depth=2
	ds_load_b32 v21, v4
	s_wait_dscnt 0x0
	v_bitop3_b32 v2, v21, v12, 0x80000000 bitop3:0x48
	s_delay_alu instid0(VALU_DEP_1)
	v_cmp_eq_u32_e32 vcc_lo, v2, v5
	s_and_b32 exec_lo, exec_lo, vcc_lo
	s_cbranch_execz .LBB33_96
; %bb.100:                              ;   in Loop: Header=BB33_98 Depth=2
	ds_store_b64 v13, v[20:21] offset:3072
	s_branch .LBB33_96
.LBB33_101:                             ;   in Loop: Header=BB33_98 Depth=2
	v_add_nc_u32_e32 v16, s41, v16
	v_add_nc_u32_e32 v4, s63, v4
	s_mov_b32 s34, 0
	s_delay_alu instid0(VALU_DEP_2)
	v_cmp_le_u32_e32 vcc_lo, s30, v16
	s_or_not1_b32 s33, vcc_lo, exec_lo
	s_branch .LBB33_97
.LBB33_102:                             ;   in Loop: Header=BB33_6 Depth=1
	s_or_b32 exec_lo, exec_lo, s23
	s_delay_alu instid0(SALU_CYCLE_1)
	s_and_b32 s23, s31, exec_lo
.LBB33_103:                             ;   in Loop: Header=BB33_6 Depth=1
	s_or_b32 exec_lo, exec_lo, s29
.LBB33_104:                             ;   in Loop: Header=BB33_6 Depth=1
	s_delay_alu instid0(SALU_CYCLE_1)
	s_and_b32 vcc_lo, exec_lo, s27
	s_cbranch_vccz .LBB33_116
; %bb.105:                              ;   in Loop: Header=BB33_6 Depth=1
                                        ; implicit-def: $vgpr3
	s_and_saveexec_b32 s24, s13
	s_cbranch_execz .LBB33_115
; %bb.106:                              ;   in Loop: Header=BB33_6 Depth=1
	v_dual_mov_b32 v4, v14 :: v_dual_mov_b32 v16, v0
	s_mov_b32 s25, 0
                                        ; implicit-def: $sgpr26
	s_branch .LBB33_109
.LBB33_107:                             ;   in Loop: Header=BB33_109 Depth=2
	s_or_b32 exec_lo, exec_lo, s27
	s_wait_dscnt 0x0
	s_barrier_signal -1
	s_barrier_wait -1
	ds_load_b64 v[2:3], v13 offset:3072
	s_mov_b32 s27, -1
	s_mov_b32 s29, -1
	s_wait_dscnt 0x0
	s_barrier_signal -1
	s_barrier_wait -1
	v_cmp_ne_u32_e32 vcc_lo, 0, v2
	s_cbranch_vccz .LBB33_112
.LBB33_108:                             ;   in Loop: Header=BB33_109 Depth=2
	s_and_b32 s27, exec_lo, s27
	s_delay_alu instid0(SALU_CYCLE_1) | instskip(SKIP_2) | instid1(SALU_CYCLE_1)
	s_or_b32 s25, s27, s25
	s_and_not1_b32 s26, s26, exec_lo
	s_and_b32 s27, s29, exec_lo
	s_or_b32 s26, s26, s27
	s_and_not1_b32 exec_lo, exec_lo, s25
	s_cbranch_execz .LBB33_114
.LBB33_109:                             ;   Parent Loop BB33_6 Depth=1
                                        ; =>  This Inner Loop Header: Depth=2
	s_mov_b32 s27, exec_lo
	s_delay_alu instid0(VALU_DEP_1)
	v_cmpx_gt_u32_e64 s36, v16
	s_cbranch_execz .LBB33_107
; %bb.110:                              ;   in Loop: Header=BB33_109 Depth=2
	v_readfirstlane_b32 s30, v6
	v_readfirstlane_b32 s31, v7
	global_load_b32 v21, v4, s[30:31] scale_offset
	s_wait_loadcnt 0x0
	v_bitop3_b32 v2, v21, v12, 0x80000000 bitop3:0x48
	s_delay_alu instid0(VALU_DEP_1)
	v_cmp_eq_u32_e32 vcc_lo, v2, v5
	s_and_b32 exec_lo, exec_lo, vcc_lo
	s_cbranch_execz .LBB33_107
; %bb.111:                              ;   in Loop: Header=BB33_109 Depth=2
	ds_store_b64 v13, v[20:21] offset:3072
	s_branch .LBB33_107
.LBB33_112:                             ;   in Loop: Header=BB33_109 Depth=2
	v_add_nc_u32_e32 v16, s41, v16
	v_add_nc_u32_e32 v4, s50, v4
	s_mov_b32 s29, 0
	s_delay_alu instid0(VALU_DEP_2)
	v_cmp_le_u32_e32 vcc_lo, s77, v16
	s_or_not1_b32 s27, vcc_lo, exec_lo
	s_branch .LBB33_108
.LBB33_113:                             ;   in Loop: Header=BB33_6 Depth=1
	s_mov_b64 s[14:15], 0x100000000
	v_mov_b64_e32 v[2:3], 0
	s_and_not1_b32 vcc_lo, exec_lo, s73
	s_mov_b32 s18, s70
	s_cbranch_vccz .LBB33_63
	s_branch .LBB33_64
.LBB33_114:                             ;   in Loop: Header=BB33_6 Depth=1
	s_or_b32 exec_lo, exec_lo, s25
	s_delay_alu instid0(SALU_CYCLE_1) | instskip(SKIP_1) | instid1(SALU_CYCLE_1)
	s_and_not1_b32 s23, s23, exec_lo
	s_and_b32 s25, s26, exec_lo
	s_or_b32 s23, s23, s25
.LBB33_115:                             ;   in Loop: Header=BB33_6 Depth=1
	s_or_b32 exec_lo, exec_lo, s24
	s_mov_b32 s24, 0
	s_mov_b32 s25, -1
.LBB33_116:                             ;   in Loop: Header=BB33_6 Depth=1
	s_or_not1_b32 s29, s23, exec_lo
.LBB33_117:                             ;   in Loop: Header=BB33_6 Depth=1
	s_or_b32 exec_lo, exec_lo, s15
	s_mov_b32 s26, 0
	s_mov_b32 s23, 0
	;; [unrolled: 1-line block ×3, first 2 shown]
                                        ; implicit-def: $vgpr35
                                        ; implicit-def: $vgpr4
	s_and_saveexec_b32 s27, s29
	s_cbranch_execz .LBB33_247
; %bb.118:                              ;   in Loop: Header=BB33_6 Depth=1
	v_dual_mov_b32 v35, 1 :: v_dual_mov_b32 v4, 1
	s_xor_b32 s23, s28, -1
	s_mov_b32 s30, 0
	s_and_saveexec_b32 s15, s23
	s_cbranch_execz .LBB33_127
; %bb.119:                              ;   in Loop: Header=BB33_6 Depth=1
	s_mov_b32 s23, exec_lo
	v_cmpx_ge_u32_e64 s17, v34
	s_xor_b32 s23, exec_lo, s23
	s_cbranch_execz .LBB33_124
; %bb.120:                              ;   in Loop: Header=BB33_6 Depth=1
	ds_load_b32 v2, v13 offset:4096
	v_and_b32_e32 v5, s19, v5
	v_or_b32_e32 v12, s18, v12
	s_wait_dscnt 0x0
	v_cmp_ne_u32_e32 vcc_lo, 0, v2
	s_cbranch_vccnz .LBB33_124
; %bb.121:                              ;   in Loop: Header=BB33_6 Depth=1
	s_and_saveexec_b32 s28, s5
; %bb.122:                              ;   in Loop: Header=BB33_6 Depth=1
	v_mov_b32_e32 v2, s17
	ds_store_b32 v13, v2 offset:4100
; %bb.123:                              ;   in Loop: Header=BB33_6 Depth=1
	s_or_b32 exec_lo, exec_lo, s28
	s_wait_dscnt 0x0
	s_barrier_signal -1
	s_barrier_wait -1
.LBB33_124:                             ;   in Loop: Header=BB33_6 Depth=1
	s_or_saveexec_b32 s23, s23
	v_dual_mov_b32 v4, 8 :: v_dual_mov_b32 v35, v34
	s_mov_b32 s28, 0
	s_xor_b32 exec_lo, exec_lo, s23
; %bb.125:                              ;   in Loop: Header=BB33_6 Depth=1
	v_subrev_nc_u32_e32 v35, s17, v34
	v_mov_b32_e32 v4, 0
	s_mov_b32 s28, exec_lo
; %bb.126:                              ;   in Loop: Header=BB33_6 Depth=1
	s_or_b32 exec_lo, exec_lo, s23
	s_delay_alu instid0(SALU_CYCLE_1)
	s_and_b32 s30, s28, exec_lo
.LBB33_127:                             ;   in Loop: Header=BB33_6 Depth=1
	s_or_b32 exec_lo, exec_lo, s15
	s_mov_b32 s29, -1
                                        ; implicit-def: $sgpr23
                                        ; implicit-def: $sgpr28
	s_and_saveexec_b32 s15, s30
	s_delay_alu instid0(SALU_CYCLE_1)
	s_xor_b32 s15, exec_lo, s15
	s_cbranch_execz .LBB33_244
; %bb.128:                              ;   in Loop: Header=BB33_6 Depth=1
	v_cmp_eq_u32_e32 vcc_lo, 1, v35
	s_cmp_eq_u32 s20, 1
	s_mov_b32 s31, -1
	s_cselect_b32 s23, -1, 0
                                        ; implicit-def: $sgpr28
	s_delay_alu instid0(SALU_CYCLE_1) | instskip(NEXT) | instid1(SALU_CYCLE_1)
	s_and_b32 s30, s23, vcc_lo
                                        ; implicit-def: $sgpr23
	s_and_saveexec_b32 s29, s30
	s_cbranch_execz .LBB33_154
; %bb.129:                              ;   in Loop: Header=BB33_6 Depth=1
	ds_load_b32 v2, v13 offset:4096
	s_wait_dscnt 0x0
	s_barrier_signal -1
	s_barrier_wait -1
	v_readfirstlane_b32 s33, v2
	s_and_saveexec_b32 s23, s6
; %bb.130:                              ;   in Loop: Header=BB33_6 Depth=1
	ds_store_b32 v22, v13
; %bb.131:                              ;   in Loop: Header=BB33_6 Depth=1
	s_or_b32 exec_lo, exec_lo, s23
	s_lshl_b32 s23, 1, s80
	v_or_b32_e32 v12, s18, v12
	v_and_or_b32 v5, v5, s19, s23
	s_mov_b32 s23, -1
	s_mov_b32 s28, 0
	s_cmp_eq_u32 s33, 0
	s_mov_b32 s31, 0
	s_mov_b32 s34, -1
	s_wait_dscnt 0x0
	s_barrier_signal -1
	s_barrier_wait -1
                                        ; implicit-def: $vgpr3
	s_cbranch_scc1 .LBB33_142
; %bb.132:                              ;   in Loop: Header=BB33_6 Depth=1
	s_add_co_i32 s38, s33, s66
                                        ; implicit-def: $vgpr3
	s_delay_alu instid0(SALU_CYCLE_1) | instskip(NEXT) | instid1(SALU_CYCLE_1)
	s_mul_u64 s[94:95], s[38:39], s[54:55]
	s_mul_i32 s31, s95, s41
	s_delay_alu instid0(SALU_CYCLE_1) | instskip(NEXT) | instid1(SALU_CYCLE_1)
	s_sub_co_i32 s31, s38, s31
	s_sub_co_i32 s34, s31, s41
	s_cmp_ge_u32 s31, s41
	s_cselect_b32 s31, s34, s31
	s_delay_alu instid0(SALU_CYCLE_1)
	s_sub_co_i32 s34, s31, s41
	s_cmp_ge_u32 s31, s41
	s_cselect_b32 s31, s34, s31
	s_mov_b32 s34, 0
	s_sub_co_i32 s93, s38, s31
	s_mov_b32 s31, 0
	s_mov_b32 s38, exec_lo
	v_cmpx_gt_u32_e64 s93, v0
	s_cbranch_execz .LBB33_141
; %bb.133:                              ;   in Loop: Header=BB33_6 Depth=1
	v_dual_mov_b32 v16, v1 :: v_dual_mov_b32 v36, v0
                                        ; implicit-def: $sgpr94
	s_branch .LBB33_136
.LBB33_134:                             ;   in Loop: Header=BB33_136 Depth=2
	s_or_b32 exec_lo, exec_lo, s95
	s_wait_dscnt 0x0
	s_barrier_signal -1
	s_barrier_wait -1
	ds_load_b64 v[2:3], v13 offset:3072
	s_mov_b32 s95, -1
	s_mov_b32 s96, -1
	s_wait_dscnt 0x0
	s_barrier_signal -1
	s_barrier_wait -1
	v_cmp_ne_u32_e32 vcc_lo, 0, v2
	s_cbranch_vccz .LBB33_139
.LBB33_135:                             ;   in Loop: Header=BB33_136 Depth=2
	s_and_b32 s95, exec_lo, s95
	s_delay_alu instid0(SALU_CYCLE_1) | instskip(SKIP_2) | instid1(SALU_CYCLE_1)
	s_or_b32 s31, s95, s31
	s_and_not1_b32 s94, s94, exec_lo
	s_and_b32 s95, s96, exec_lo
	s_or_b32 s94, s94, s95
	s_and_not1_b32 exec_lo, exec_lo, s31
	s_cbranch_execz .LBB33_140
.LBB33_136:                             ;   Parent Loop BB33_6 Depth=1
                                        ; =>  This Inner Loop Header: Depth=2
	s_mov_b32 s95, exec_lo
	s_delay_alu instid0(VALU_DEP_1)
	v_cmpx_gt_u32_e64 s33, v36
	s_cbranch_execz .LBB33_134
; %bb.137:                              ;   in Loop: Header=BB33_136 Depth=2
	ds_load_b32 v21, v16
	s_wait_dscnt 0x0
	v_bitop3_b32 v2, v21, v12, 0x80000000 bitop3:0x48
	s_delay_alu instid0(VALU_DEP_1)
	v_cmp_eq_u32_e32 vcc_lo, v2, v5
	s_and_b32 exec_lo, exec_lo, vcc_lo
	s_cbranch_execz .LBB33_134
; %bb.138:                              ;   in Loop: Header=BB33_136 Depth=2
	ds_store_b64 v13, v[20:21] offset:3072
	s_branch .LBB33_134
.LBB33_139:                             ;   in Loop: Header=BB33_136 Depth=2
	v_add_nc_u32_e32 v36, s41, v36
	v_add_nc_u32_e32 v16, s63, v16
	s_mov_b32 s96, 0
	s_delay_alu instid0(VALU_DEP_2)
	v_cmp_le_u32_e32 vcc_lo, s93, v36
	s_or_not1_b32 s95, vcc_lo, exec_lo
	s_branch .LBB33_135
.LBB33_140:                             ;   in Loop: Header=BB33_6 Depth=1
	s_or_b32 exec_lo, exec_lo, s31
	s_delay_alu instid0(SALU_CYCLE_1)
	s_and_b32 s31, s94, exec_lo
.LBB33_141:                             ;   in Loop: Header=BB33_6 Depth=1
	s_or_b32 exec_lo, exec_lo, s38
.LBB33_142:                             ;   in Loop: Header=BB33_6 Depth=1
	s_delay_alu instid0(SALU_CYCLE_1)
	s_and_b32 vcc_lo, exec_lo, s34
	s_cbranch_vccz .LBB33_153
; %bb.143:                              ;   in Loop: Header=BB33_6 Depth=1
                                        ; implicit-def: $vgpr3
	s_and_saveexec_b32 s23, s13
	s_cbranch_execz .LBB33_152
; %bb.144:                              ;   in Loop: Header=BB33_6 Depth=1
	v_dual_mov_b32 v16, v14 :: v_dual_mov_b32 v36, v0
	s_mov_b32 s28, 0
                                        ; implicit-def: $sgpr33
	s_branch .LBB33_147
.LBB33_145:                             ;   in Loop: Header=BB33_147 Depth=2
	s_or_b32 exec_lo, exec_lo, s34
	s_wait_dscnt 0x0
	s_barrier_signal -1
	s_barrier_wait -1
	ds_load_b64 v[2:3], v13 offset:3072
	s_mov_b32 s34, -1
	s_mov_b32 s38, -1
	s_wait_dscnt 0x0
	s_barrier_signal -1
	s_barrier_wait -1
	v_cmp_eq_u32_e32 vcc_lo, 0, v2
	s_cbranch_vccnz .LBB33_150
.LBB33_146:                             ;   in Loop: Header=BB33_147 Depth=2
	s_and_b32 s34, exec_lo, s34
	s_delay_alu instid0(SALU_CYCLE_1) | instskip(SKIP_2) | instid1(SALU_CYCLE_1)
	s_or_b32 s28, s34, s28
	s_and_not1_b32 s33, s33, exec_lo
	s_and_b32 s34, s38, exec_lo
	s_or_b32 s33, s33, s34
	s_and_not1_b32 exec_lo, exec_lo, s28
	s_cbranch_execz .LBB33_151
.LBB33_147:                             ;   Parent Loop BB33_6 Depth=1
                                        ; =>  This Inner Loop Header: Depth=2
	s_mov_b32 s34, exec_lo
	s_delay_alu instid0(VALU_DEP_1)
	v_cmpx_gt_u32_e64 s36, v36
	s_cbranch_execz .LBB33_145
; %bb.148:                              ;   in Loop: Header=BB33_147 Depth=2
	v_readfirstlane_b32 s94, v6
	v_readfirstlane_b32 s95, v7
	global_load_b32 v21, v16, s[94:95] scale_offset
	s_wait_loadcnt 0x0
	v_bitop3_b32 v2, v21, v12, 0x80000000 bitop3:0x48
	s_delay_alu instid0(VALU_DEP_1)
	v_cmp_eq_u32_e32 vcc_lo, v2, v5
	s_and_b32 exec_lo, exec_lo, vcc_lo
	s_cbranch_execz .LBB33_145
; %bb.149:                              ;   in Loop: Header=BB33_147 Depth=2
	ds_store_b64 v13, v[20:21] offset:3072
	s_branch .LBB33_145
.LBB33_150:                             ;   in Loop: Header=BB33_147 Depth=2
	v_add_nc_u32_e32 v36, s41, v36
	v_add_nc_u32_e32 v16, s50, v16
	s_mov_b32 s38, 0
	s_delay_alu instid0(VALU_DEP_2)
	v_cmp_le_u32_e32 vcc_lo, s77, v36
	s_or_not1_b32 s34, vcc_lo, exec_lo
	s_branch .LBB33_146
.LBB33_151:                             ;   in Loop: Header=BB33_6 Depth=1
	s_or_b32 exec_lo, exec_lo, s28
	s_delay_alu instid0(SALU_CYCLE_1) | instskip(SKIP_1) | instid1(SALU_CYCLE_1)
	s_and_not1_b32 s28, s31, exec_lo
	s_and_b32 s31, s33, exec_lo
	s_or_b32 s31, s28, s31
.LBB33_152:                             ;   in Loop: Header=BB33_6 Depth=1
	s_or_b32 exec_lo, exec_lo, s23
	s_mov_b32 s23, 0
	s_mov_b32 s28, -1
.LBB33_153:                             ;   in Loop: Header=BB33_6 Depth=1
	s_or_not1_b32 s31, s31, exec_lo
.LBB33_154:                             ;   in Loop: Header=BB33_6 Depth=1
	s_or_b32 exec_lo, exec_lo, s29
	s_mov_b32 s33, 0
	s_and_saveexec_b32 s29, s31
	s_cbranch_execz .LBB33_243
; %bb.155:                              ;   in Loop: Header=BB33_6 Depth=1
	v_dual_mov_b32 v16, 1 :: v_dual_mov_b32 v4, 1
	s_xor_b32 s31, s30, -1
	s_mov_b32 s38, 0
	s_and_saveexec_b32 s30, s31
	s_cbranch_execz .LBB33_164
; %bb.156:                              ;   in Loop: Header=BB33_6 Depth=1
	s_mov_b32 s31, exec_lo
	v_cmpx_ge_u32_e64 s20, v35
	s_xor_b32 s31, exec_lo, s31
	s_cbranch_execz .LBB33_161
; %bb.157:                              ;   in Loop: Header=BB33_6 Depth=1
	ds_load_b32 v2, v13 offset:4096
	s_lshl_b32 s33, 1, s80
	v_or_b32_e32 v12, s18, v12
	v_and_or_b32 v5, v5, s19, s33
	s_wait_dscnt 0x0
	v_cmp_ne_u32_e32 vcc_lo, 0, v2
	s_cbranch_vccnz .LBB33_161
; %bb.158:                              ;   in Loop: Header=BB33_6 Depth=1
	s_and_saveexec_b32 s33, s5
; %bb.159:                              ;   in Loop: Header=BB33_6 Depth=1
	v_mov_b32_e32 v2, s20
	ds_store_b32 v13, v2 offset:4100
; %bb.160:                              ;   in Loop: Header=BB33_6 Depth=1
	s_or_b32 exec_lo, exec_lo, s33
	s_wait_dscnt 0x0
	s_barrier_signal -1
	s_barrier_wait -1
.LBB33_161:                             ;   in Loop: Header=BB33_6 Depth=1
	s_or_saveexec_b32 s31, s31
	v_mov_b32_e32 v4, 8
	s_mov_b32 s33, 0
	s_xor_b32 exec_lo, exec_lo, s31
; %bb.162:                              ;   in Loop: Header=BB33_6 Depth=1
	v_subrev_nc_u32_e32 v35, s20, v35
	v_mov_b32_e32 v4, 0
	s_mov_b32 s33, exec_lo
; %bb.163:                              ;   in Loop: Header=BB33_6 Depth=1
	s_or_b32 exec_lo, exec_lo, s31
	s_delay_alu instid0(VALU_DEP_2)
	v_mov_b32_e32 v16, v35
	s_and_b32 s38, s33, exec_lo
.LBB33_164:                             ;   in Loop: Header=BB33_6 Depth=1
	s_or_b32 exec_lo, exec_lo, s30
	s_mov_b32 s34, -1
                                        ; implicit-def: $sgpr31
                                        ; implicit-def: $sgpr33
	s_and_saveexec_b32 s30, s38
	s_cbranch_execz .LBB33_242
; %bb.165:                              ;   in Loop: Header=BB33_6 Depth=1
	v_cmp_eq_u32_e32 vcc_lo, 1, v16
	s_cmp_eq_u32 s21, 1
	s_mov_b32 s38, -1
	s_cselect_b32 s31, -1, 0
                                        ; implicit-def: $sgpr33
	s_delay_alu instid0(SALU_CYCLE_1) | instskip(NEXT) | instid1(SALU_CYCLE_1)
	s_and_b32 s93, s31, vcc_lo
                                        ; implicit-def: $sgpr31
	s_and_saveexec_b32 s34, s93
	s_cbranch_execz .LBB33_191
; %bb.166:                              ;   in Loop: Header=BB33_6 Depth=1
	ds_load_b32 v2, v13 offset:4096
	s_wait_dscnt 0x0
	s_barrier_signal -1
	s_barrier_wait -1
	v_readfirstlane_b32 s94, v2
	s_and_saveexec_b32 s31, s6
; %bb.167:                              ;   in Loop: Header=BB33_6 Depth=1
	ds_store_b32 v22, v13
; %bb.168:                              ;   in Loop: Header=BB33_6 Depth=1
	s_or_b32 exec_lo, exec_lo, s31
	s_lshl_b32 s31, 2, s80
	v_or_b32_e32 v12, s18, v12
	v_and_or_b32 v5, v5, s19, s31
	s_mov_b32 s31, -1
	s_mov_b32 s33, 0
	s_cmp_eq_u32 s94, 0
	s_mov_b32 s38, 0
	s_mov_b32 s95, -1
	s_wait_dscnt 0x0
	s_barrier_signal -1
	s_barrier_wait -1
                                        ; implicit-def: $vgpr3
	s_cbranch_scc1 .LBB33_179
; %bb.169:                              ;   in Loop: Header=BB33_6 Depth=1
	s_add_co_i32 s38, s94, s66
                                        ; implicit-def: $vgpr3
	s_delay_alu instid0(SALU_CYCLE_1) | instskip(NEXT) | instid1(SALU_CYCLE_1)
	s_mul_u64 s[96:97], s[38:39], s[54:55]
	s_mul_i32 s95, s97, s41
	s_delay_alu instid0(SALU_CYCLE_1) | instskip(NEXT) | instid1(SALU_CYCLE_1)
	s_sub_co_i32 s95, s38, s95
	s_sub_co_i32 s96, s95, s41
	s_cmp_ge_u32 s95, s41
	s_cselect_b32 s95, s96, s95
	s_delay_alu instid0(SALU_CYCLE_1)
	s_sub_co_i32 s96, s95, s41
	s_cmp_ge_u32 s95, s41
	s_cselect_b32 s95, s96, s95
	s_mov_b32 s96, exec_lo
	s_sub_co_i32 s97, s38, s95
	s_mov_b32 s95, 0
	s_mov_b32 s38, 0
	v_cmpx_gt_u32_e64 s97, v0
	s_cbranch_execz .LBB33_178
; %bb.170:                              ;   in Loop: Header=BB33_6 Depth=1
	v_dual_mov_b32 v35, v1 :: v_dual_mov_b32 v36, v0
                                        ; implicit-def: $sgpr98
	s_branch .LBB33_173
.LBB33_171:                             ;   in Loop: Header=BB33_173 Depth=2
	s_or_b32 exec_lo, exec_lo, s99
	s_wait_dscnt 0x0
	s_barrier_signal -1
	s_barrier_wait -1
	ds_load_b64 v[2:3], v13 offset:3072
	s_mov_b32 s99, -1
	s_mov_b32 s100, -1
	s_wait_dscnt 0x0
	s_barrier_signal -1
	s_barrier_wait -1
	v_cmp_ne_u32_e32 vcc_lo, 0, v2
	s_cbranch_vccz .LBB33_176
.LBB33_172:                             ;   in Loop: Header=BB33_173 Depth=2
	s_and_b32 s99, exec_lo, s99
	s_delay_alu instid0(SALU_CYCLE_1) | instskip(SKIP_2) | instid1(SALU_CYCLE_1)
	s_or_b32 s38, s99, s38
	s_and_not1_b32 s98, s98, exec_lo
	s_and_b32 s99, s100, exec_lo
	s_or_b32 s98, s98, s99
	s_and_not1_b32 exec_lo, exec_lo, s38
	s_cbranch_execz .LBB33_177
.LBB33_173:                             ;   Parent Loop BB33_6 Depth=1
                                        ; =>  This Inner Loop Header: Depth=2
	s_mov_b32 s99, exec_lo
	s_delay_alu instid0(VALU_DEP_1)
	v_cmpx_gt_u32_e64 s94, v36
	s_cbranch_execz .LBB33_171
; %bb.174:                              ;   in Loop: Header=BB33_173 Depth=2
	ds_load_b32 v21, v35
	s_wait_dscnt 0x0
	v_bitop3_b32 v2, v21, v12, 0x80000000 bitop3:0x48
	s_delay_alu instid0(VALU_DEP_1)
	v_cmp_eq_u32_e32 vcc_lo, v2, v5
	s_and_b32 exec_lo, exec_lo, vcc_lo
	s_cbranch_execz .LBB33_171
; %bb.175:                              ;   in Loop: Header=BB33_173 Depth=2
	ds_store_b64 v13, v[20:21] offset:3072
	s_branch .LBB33_171
.LBB33_176:                             ;   in Loop: Header=BB33_173 Depth=2
	v_dual_add_nc_u32 v36, s41, v36 :: v_dual_add_nc_u32 v35, s63, v35
	s_mov_b32 s100, 0
	s_delay_alu instid0(VALU_DEP_1)
	v_cmp_le_u32_e32 vcc_lo, s97, v36
	s_or_not1_b32 s99, vcc_lo, exec_lo
	s_branch .LBB33_172
.LBB33_177:                             ;   in Loop: Header=BB33_6 Depth=1
	s_or_b32 exec_lo, exec_lo, s38
	s_delay_alu instid0(SALU_CYCLE_1)
	s_and_b32 s38, s98, exec_lo
.LBB33_178:                             ;   in Loop: Header=BB33_6 Depth=1
	s_or_b32 exec_lo, exec_lo, s96
.LBB33_179:                             ;   in Loop: Header=BB33_6 Depth=1
	s_delay_alu instid0(SALU_CYCLE_1)
	s_and_b32 vcc_lo, exec_lo, s95
	s_cbranch_vccz .LBB33_190
; %bb.180:                              ;   in Loop: Header=BB33_6 Depth=1
                                        ; implicit-def: $vgpr3
	s_and_saveexec_b32 s31, s13
	s_cbranch_execz .LBB33_189
; %bb.181:                              ;   in Loop: Header=BB33_6 Depth=1
	v_dual_mov_b32 v35, v14 :: v_dual_mov_b32 v36, v0
	s_mov_b32 s33, 0
                                        ; implicit-def: $sgpr94
	s_branch .LBB33_184
.LBB33_182:                             ;   in Loop: Header=BB33_184 Depth=2
	s_or_b32 exec_lo, exec_lo, s95
	s_wait_dscnt 0x0
	s_barrier_signal -1
	s_barrier_wait -1
	ds_load_b64 v[2:3], v13 offset:3072
	s_mov_b32 s95, -1
	s_mov_b32 s96, -1
	s_wait_dscnt 0x0
	s_barrier_signal -1
	s_barrier_wait -1
	v_cmp_eq_u32_e32 vcc_lo, 0, v2
	s_cbranch_vccnz .LBB33_187
.LBB33_183:                             ;   in Loop: Header=BB33_184 Depth=2
	s_and_b32 s95, exec_lo, s95
	s_delay_alu instid0(SALU_CYCLE_1) | instskip(SKIP_2) | instid1(SALU_CYCLE_1)
	s_or_b32 s33, s95, s33
	s_and_not1_b32 s94, s94, exec_lo
	s_and_b32 s95, s96, exec_lo
	s_or_b32 s94, s94, s95
	s_and_not1_b32 exec_lo, exec_lo, s33
	s_cbranch_execz .LBB33_188
.LBB33_184:                             ;   Parent Loop BB33_6 Depth=1
                                        ; =>  This Inner Loop Header: Depth=2
	s_mov_b32 s95, exec_lo
	s_delay_alu instid0(VALU_DEP_1)
	v_cmpx_gt_u32_e64 s36, v36
	s_cbranch_execz .LBB33_182
; %bb.185:                              ;   in Loop: Header=BB33_184 Depth=2
	v_readfirstlane_b32 s96, v6
	v_readfirstlane_b32 s97, v7
	global_load_b32 v21, v35, s[96:97] scale_offset
	s_wait_loadcnt 0x0
	v_bitop3_b32 v2, v21, v12, 0x80000000 bitop3:0x48
	s_delay_alu instid0(VALU_DEP_1)
	v_cmp_eq_u32_e32 vcc_lo, v2, v5
	s_and_b32 exec_lo, exec_lo, vcc_lo
	s_cbranch_execz .LBB33_182
; %bb.186:                              ;   in Loop: Header=BB33_184 Depth=2
	ds_store_b64 v13, v[20:21] offset:3072
	s_branch .LBB33_182
.LBB33_187:                             ;   in Loop: Header=BB33_184 Depth=2
	v_dual_add_nc_u32 v36, s41, v36 :: v_dual_add_nc_u32 v35, s50, v35
	s_mov_b32 s96, 0
	s_delay_alu instid0(VALU_DEP_1)
	v_cmp_le_u32_e32 vcc_lo, s77, v36
	s_or_not1_b32 s95, vcc_lo, exec_lo
	s_branch .LBB33_183
.LBB33_188:                             ;   in Loop: Header=BB33_6 Depth=1
	s_or_b32 exec_lo, exec_lo, s33
	s_delay_alu instid0(SALU_CYCLE_1) | instskip(SKIP_1) | instid1(SALU_CYCLE_1)
	s_and_not1_b32 s33, s38, exec_lo
	s_and_b32 s38, s94, exec_lo
	s_or_b32 s38, s33, s38
.LBB33_189:                             ;   in Loop: Header=BB33_6 Depth=1
	s_or_b32 exec_lo, exec_lo, s31
	s_mov_b32 s31, 0
	s_mov_b32 s33, -1
.LBB33_190:                             ;   in Loop: Header=BB33_6 Depth=1
	s_or_not1_b32 s38, s38, exec_lo
.LBB33_191:                             ;   in Loop: Header=BB33_6 Depth=1
	s_or_b32 exec_lo, exec_lo, s34
	s_mov_b32 s94, 0
	s_and_saveexec_b32 s34, s38
	s_cbranch_execz .LBB33_241
; %bb.192:                              ;   in Loop: Header=BB33_6 Depth=1
	v_dual_mov_b32 v35, 1 :: v_dual_mov_b32 v4, 1
	s_xor_b32 s93, s93, -1
	s_delay_alu instid0(SALU_CYCLE_1)
	s_and_saveexec_b32 s38, s93
	s_cbranch_execz .LBB33_201
; %bb.193:                              ;   in Loop: Header=BB33_6 Depth=1
	s_mov_b32 s93, exec_lo
	v_cmpx_ge_u32_e64 s21, v16
	s_xor_b32 s93, exec_lo, s93
	s_cbranch_execz .LBB33_198
; %bb.194:                              ;   in Loop: Header=BB33_6 Depth=1
	ds_load_b32 v2, v13 offset:4096
	s_lshl_b32 s94, 2, s80
	v_or_b32_e32 v12, s18, v12
	v_and_or_b32 v5, v5, s19, s94
	s_wait_dscnt 0x0
	v_cmp_ne_u32_e32 vcc_lo, 0, v2
	s_cbranch_vccnz .LBB33_198
; %bb.195:                              ;   in Loop: Header=BB33_6 Depth=1
	s_and_saveexec_b32 s94, s5
; %bb.196:                              ;   in Loop: Header=BB33_6 Depth=1
	v_mov_b32_e32 v2, s21
	ds_store_b32 v13, v2 offset:4100
; %bb.197:                              ;   in Loop: Header=BB33_6 Depth=1
	s_or_b32 exec_lo, exec_lo, s94
	s_wait_dscnt 0x0
	s_barrier_signal -1
	s_barrier_wait -1
.LBB33_198:                             ;   in Loop: Header=BB33_6 Depth=1
	s_or_saveexec_b32 s93, s93
	v_mov_b32_e32 v4, 8
	s_mov_b32 s94, 0
	s_xor_b32 exec_lo, exec_lo, s93
; %bb.199:                              ;   in Loop: Header=BB33_6 Depth=1
	v_subrev_nc_u32_e32 v16, s21, v16
	v_mov_b32_e32 v4, 0
	s_mov_b32 s94, exec_lo
; %bb.200:                              ;   in Loop: Header=BB33_6 Depth=1
	s_or_b32 exec_lo, exec_lo, s93
	s_delay_alu instid0(VALU_DEP_2)
	v_mov_b32_e32 v35, v16
	s_and_b32 s94, s94, exec_lo
.LBB33_201:                             ;   in Loop: Header=BB33_6 Depth=1
	s_or_b32 exec_lo, exec_lo, s38
	s_mov_b32 s38, -1
                                        ; implicit-def: $sgpr96
                                        ; implicit-def: $sgpr95
	s_and_saveexec_b32 s93, s94
	s_cbranch_execz .LBB33_240
; %bb.202:                              ;   in Loop: Header=BB33_6 Depth=1
	v_cmp_eq_u32_e32 vcc_lo, 1, v35
	s_cmp_eq_u32 s22, 1
	s_mov_b32 s98, -1
	s_cselect_b32 s38, -1, 0
                                        ; implicit-def: $sgpr96
                                        ; implicit-def: $sgpr95
	s_delay_alu instid0(SALU_CYCLE_1) | instskip(NEXT) | instid1(SALU_CYCLE_1)
	s_and_b32 s94, s38, vcc_lo
	s_and_saveexec_b32 s97, s94
	s_cbranch_execz .LBB33_228
; %bb.203:                              ;   in Loop: Header=BB33_6 Depth=1
	ds_load_b32 v2, v13 offset:4096
	s_wait_dscnt 0x0
	s_barrier_signal -1
	s_barrier_wait -1
	v_readfirstlane_b32 s98, v2
	s_and_saveexec_b32 s38, s6
; %bb.204:                              ;   in Loop: Header=BB33_6 Depth=1
	ds_store_b32 v22, v13
; %bb.205:                              ;   in Loop: Header=BB33_6 Depth=1
	s_or_b32 exec_lo, exec_lo, s38
	v_or_b32_e32 v5, s18, v5
	v_or_b32_e32 v12, s18, v12
	s_mov_b32 s95, -1
	s_mov_b32 s96, 0
	s_cmp_eq_u32 s98, 0
	s_mov_b32 s38, 0
	s_mov_b32 s99, -1
	s_wait_dscnt 0x0
	s_barrier_signal -1
	s_barrier_wait -1
                                        ; implicit-def: $vgpr3
	s_cbranch_scc1 .LBB33_216
; %bb.206:                              ;   in Loop: Header=BB33_6 Depth=1
	s_add_co_i32 s38, s98, s66
                                        ; implicit-def: $vgpr3
	s_delay_alu instid0(SALU_CYCLE_1) | instskip(NEXT) | instid1(SALU_CYCLE_1)
	s_mul_u64 s[100:101], s[38:39], s[54:55]
	s_mul_i32 s99, s101, s41
	s_delay_alu instid0(SALU_CYCLE_1) | instskip(NEXT) | instid1(SALU_CYCLE_1)
	s_sub_co_i32 s99, s38, s99
	s_sub_co_i32 s100, s99, s41
	s_cmp_ge_u32 s99, s41
	s_cselect_b32 s99, s100, s99
	s_delay_alu instid0(SALU_CYCLE_1)
	s_sub_co_i32 s100, s99, s41
	s_cmp_ge_u32 s99, s41
	s_cselect_b32 s99, s100, s99
	s_mov_b32 s100, exec_lo
	s_sub_co_i32 s101, s38, s99
	s_mov_b32 s99, 0
	s_mov_b32 s38, 0
	v_cmpx_gt_u32_e64 s101, v0
	s_cbranch_execz .LBB33_215
; %bb.207:                              ;   in Loop: Header=BB33_6 Depth=1
	v_dual_mov_b32 v16, v1 :: v_dual_mov_b32 v36, v0
                                        ; implicit-def: $sgpr102
	s_branch .LBB33_210
.LBB33_208:                             ;   in Loop: Header=BB33_210 Depth=2
	s_or_b32 exec_lo, exec_lo, s103
	s_wait_dscnt 0x0
	s_barrier_signal -1
	s_barrier_wait -1
	ds_load_b64 v[2:3], v13 offset:3072
	s_mov_b32 s103, -1
	s_mov_b32 s104, -1
	s_wait_dscnt 0x0
	s_barrier_signal -1
	s_barrier_wait -1
	v_cmp_ne_u32_e32 vcc_lo, 0, v2
	s_cbranch_vccz .LBB33_213
.LBB33_209:                             ;   in Loop: Header=BB33_210 Depth=2
	s_and_b32 s103, exec_lo, s103
	s_delay_alu instid0(SALU_CYCLE_1) | instskip(SKIP_2) | instid1(SALU_CYCLE_1)
	s_or_b32 s38, s103, s38
	s_and_not1_b32 s102, s102, exec_lo
	s_and_b32 s103, s104, exec_lo
	s_or_b32 s102, s102, s103
	s_and_not1_b32 exec_lo, exec_lo, s38
	s_cbranch_execz .LBB33_214
.LBB33_210:                             ;   Parent Loop BB33_6 Depth=1
                                        ; =>  This Inner Loop Header: Depth=2
	s_mov_b32 s103, exec_lo
	s_delay_alu instid0(VALU_DEP_1)
	v_cmpx_gt_u32_e64 s98, v36
	s_cbranch_execz .LBB33_208
; %bb.211:                              ;   in Loop: Header=BB33_210 Depth=2
	ds_load_b32 v21, v16
	s_wait_dscnt 0x0
	v_bitop3_b32 v2, v21, v12, 0x80000000 bitop3:0x48
	s_delay_alu instid0(VALU_DEP_1)
	v_cmp_eq_u32_e32 vcc_lo, v2, v5
	s_and_b32 exec_lo, exec_lo, vcc_lo
	s_cbranch_execz .LBB33_208
; %bb.212:                              ;   in Loop: Header=BB33_210 Depth=2
	ds_store_b64 v13, v[20:21] offset:3072
	s_branch .LBB33_208
.LBB33_213:                             ;   in Loop: Header=BB33_210 Depth=2
	v_add_nc_u32_e32 v36, s41, v36
	v_add_nc_u32_e32 v16, s63, v16
	s_mov_b32 s104, 0
	s_delay_alu instid0(VALU_DEP_2)
	v_cmp_le_u32_e32 vcc_lo, s101, v36
	s_or_not1_b32 s103, vcc_lo, exec_lo
	s_branch .LBB33_209
.LBB33_214:                             ;   in Loop: Header=BB33_6 Depth=1
	s_or_b32 exec_lo, exec_lo, s38
	s_delay_alu instid0(SALU_CYCLE_1)
	s_and_b32 s38, s102, exec_lo
.LBB33_215:                             ;   in Loop: Header=BB33_6 Depth=1
	s_or_b32 exec_lo, exec_lo, s100
.LBB33_216:                             ;   in Loop: Header=BB33_6 Depth=1
	s_delay_alu instid0(SALU_CYCLE_1)
	s_and_b32 vcc_lo, exec_lo, s99
	s_cbranch_vccz .LBB33_227
; %bb.217:                              ;   in Loop: Header=BB33_6 Depth=1
                                        ; implicit-def: $vgpr3
	s_and_saveexec_b32 s95, s13
	s_cbranch_execz .LBB33_226
; %bb.218:                              ;   in Loop: Header=BB33_6 Depth=1
	v_dual_mov_b32 v16, v14 :: v_dual_mov_b32 v36, v0
	s_mov_b32 s96, 0
                                        ; implicit-def: $sgpr98
	s_branch .LBB33_221
.LBB33_219:                             ;   in Loop: Header=BB33_221 Depth=2
	s_or_b32 exec_lo, exec_lo, s99
	s_wait_dscnt 0x0
	s_barrier_signal -1
	s_barrier_wait -1
	ds_load_b64 v[2:3], v13 offset:3072
	s_mov_b32 s99, -1
	s_mov_b32 s100, -1
	s_wait_dscnt 0x0
	s_barrier_signal -1
	s_barrier_wait -1
	v_cmp_eq_u32_e32 vcc_lo, 0, v2
	s_cbranch_vccnz .LBB33_224
.LBB33_220:                             ;   in Loop: Header=BB33_221 Depth=2
	s_and_b32 s99, exec_lo, s99
	s_delay_alu instid0(SALU_CYCLE_1) | instskip(SKIP_2) | instid1(SALU_CYCLE_1)
	s_or_b32 s96, s99, s96
	s_and_not1_b32 s98, s98, exec_lo
	s_and_b32 s99, s100, exec_lo
	s_or_b32 s98, s98, s99
	s_and_not1_b32 exec_lo, exec_lo, s96
	s_cbranch_execz .LBB33_225
.LBB33_221:                             ;   Parent Loop BB33_6 Depth=1
                                        ; =>  This Inner Loop Header: Depth=2
	s_mov_b32 s99, exec_lo
	s_delay_alu instid0(VALU_DEP_1)
	v_cmpx_gt_u32_e64 s36, v36
	s_cbranch_execz .LBB33_219
; %bb.222:                              ;   in Loop: Header=BB33_221 Depth=2
	v_readfirstlane_b32 s100, v6
	v_readfirstlane_b32 s101, v7
	global_load_b32 v21, v16, s[100:101] scale_offset
	s_wait_loadcnt 0x0
	v_bitop3_b32 v2, v21, v12, 0x80000000 bitop3:0x48
	s_delay_alu instid0(VALU_DEP_1)
	v_cmp_eq_u32_e32 vcc_lo, v2, v5
	s_and_b32 exec_lo, exec_lo, vcc_lo
	s_cbranch_execz .LBB33_219
; %bb.223:                              ;   in Loop: Header=BB33_221 Depth=2
	ds_store_b64 v13, v[20:21] offset:3072
	s_branch .LBB33_219
.LBB33_224:                             ;   in Loop: Header=BB33_221 Depth=2
	v_add_nc_u32_e32 v36, s41, v36
	v_add_nc_u32_e32 v16, s50, v16
	s_mov_b32 s100, 0
	s_delay_alu instid0(VALU_DEP_2)
	v_cmp_le_u32_e32 vcc_lo, s77, v36
	s_or_not1_b32 s99, vcc_lo, exec_lo
	s_branch .LBB33_220
.LBB33_225:                             ;   in Loop: Header=BB33_6 Depth=1
	s_or_b32 exec_lo, exec_lo, s96
	s_delay_alu instid0(SALU_CYCLE_1) | instskip(SKIP_1) | instid1(SALU_CYCLE_1)
	s_and_not1_b32 s38, s38, exec_lo
	s_and_b32 s96, s98, exec_lo
	s_or_b32 s38, s38, s96
.LBB33_226:                             ;   in Loop: Header=BB33_6 Depth=1
	s_or_b32 exec_lo, exec_lo, s95
	s_mov_b32 s95, 0
	s_mov_b32 s96, -1
.LBB33_227:                             ;   in Loop: Header=BB33_6 Depth=1
	s_or_not1_b32 s98, s38, exec_lo
.LBB33_228:                             ;   in Loop: Header=BB33_6 Depth=1
	s_or_b32 exec_lo, exec_lo, s97
	s_mov_b32 s97, 0
	s_and_saveexec_b32 s38, s98
	s_cbranch_execz .LBB33_239
; %bb.229:                              ;   in Loop: Header=BB33_6 Depth=1
	v_dual_mov_b32 v4, 1 :: v_dual_mov_b32 v2, 1
	s_xor_b32 s97, s94, -1
	s_delay_alu instid0(SALU_CYCLE_1)
	s_and_saveexec_b32 s94, s97
	s_cbranch_execz .LBB33_238
; %bb.230:                              ;   in Loop: Header=BB33_6 Depth=1
	s_mov_b32 s97, exec_lo
	v_cmpx_ge_u32_e64 s22, v35
	s_xor_b32 s97, exec_lo, s97
	s_cbranch_execz .LBB33_235
; %bb.231:                              ;   in Loop: Header=BB33_6 Depth=1
	ds_load_b32 v2, v13 offset:4096
	v_or_b32_e32 v5, s18, v5
	v_or_b32_e32 v12, s18, v12
	s_wait_dscnt 0x0
	v_cmp_ne_u32_e32 vcc_lo, 0, v2
	s_cbranch_vccnz .LBB33_235
; %bb.232:                              ;   in Loop: Header=BB33_6 Depth=1
	s_and_saveexec_b32 s98, s5
; %bb.233:                              ;   in Loop: Header=BB33_6 Depth=1
	v_mov_b32_e32 v2, s22
	ds_store_b32 v13, v2 offset:4100
; %bb.234:                              ;   in Loop: Header=BB33_6 Depth=1
	s_or_b32 exec_lo, exec_lo, s98
	s_wait_dscnt 0x0
	s_barrier_signal -1
	s_barrier_wait -1
.LBB33_235:                             ;   in Loop: Header=BB33_6 Depth=1
	s_and_not1_saveexec_b32 s97, s97
; %bb.236:                              ;   in Loop: Header=BB33_6 Depth=1
	v_subrev_nc_u32_e32 v35, s22, v35
; %bb.237:                              ;   in Loop: Header=BB33_6 Depth=1
	s_or_b32 exec_lo, exec_lo, s97
	s_delay_alu instid0(VALU_DEP_1)
	v_dual_mov_b32 v4, 8 :: v_dual_mov_b32 v2, v35
.LBB33_238:                             ;   in Loop: Header=BB33_6 Depth=1
	s_or_b32 exec_lo, exec_lo, s94
	s_delay_alu instid0(VALU_DEP_1)
	v_mov_b32_e32 v35, v2
	s_mov_b32 s97, exec_lo
.LBB33_239:                             ;   in Loop: Header=BB33_6 Depth=1
	s_or_b32 exec_lo, exec_lo, s38
	s_delay_alu instid0(SALU_CYCLE_1)
	s_or_not1_b32 s38, s97, exec_lo
.LBB33_240:                             ;   in Loop: Header=BB33_6 Depth=1
	s_or_b32 exec_lo, exec_lo, s93
	v_mov_b32_e32 v16, v35
	s_and_not1_b32 s33, s33, exec_lo
	s_and_b32 s93, s96, exec_lo
	s_and_not1_b32 s31, s31, exec_lo
	s_and_b32 s94, s95, exec_lo
	s_or_b32 s33, s33, s93
	s_or_b32 s31, s31, s94
	s_and_b32 s94, s38, exec_lo
.LBB33_241:                             ;   in Loop: Header=BB33_6 Depth=1
	s_or_b32 exec_lo, exec_lo, s34
	s_delay_alu instid0(SALU_CYCLE_1)
	s_or_not1_b32 s34, s94, exec_lo
.LBB33_242:                             ;   in Loop: Header=BB33_6 Depth=1
	s_or_b32 exec_lo, exec_lo, s30
	v_mov_b32_e32 v35, v16
	s_and_not1_b32 s28, s28, exec_lo
	s_and_b32 s30, s33, exec_lo
	s_and_not1_b32 s23, s23, exec_lo
	s_and_b32 s31, s31, exec_lo
	s_or_b32 s28, s28, s30
	s_or_b32 s23, s23, s31
	s_and_b32 s33, s34, exec_lo
.LBB33_243:                             ;   in Loop: Header=BB33_6 Depth=1
	s_or_b32 exec_lo, exec_lo, s29
	s_delay_alu instid0(SALU_CYCLE_1)
	s_or_not1_b32 s29, s33, exec_lo
.LBB33_244:                             ;   in Loop: Header=BB33_6 Depth=1
	s_or_b32 exec_lo, exec_lo, s15
	s_mov_b32 s30, 0
	s_mov_b32 s31, 0
	s_and_saveexec_b32 s15, s29
	s_delay_alu instid0(SALU_CYCLE_1)
	s_xor_b32 s29, exec_lo, s15
; %bb.245:                              ;   in Loop: Header=BB33_6 Depth=1
	v_cmp_ne_u32_e32 vcc_lo, 8, v4
	v_cmp_eq_u32_e64 s15, 8, v4
	s_and_b32 s31, vcc_lo, exec_lo
	s_and_b32 s30, s15, exec_lo
; %bb.246:                              ;   in Loop: Header=BB33_6 Depth=1
	s_or_b32 exec_lo, exec_lo, s29
	s_delay_alu instid0(SALU_CYCLE_1)
	s_and_not1_b32 s15, s25, exec_lo
	s_and_b32 s25, s28, exec_lo
	s_and_not1_b32 s24, s24, exec_lo
	s_and_b32 s23, s23, exec_lo
	s_or_b32 s25, s15, s25
	s_or_b32 s24, s24, s23
	s_and_b32 s15, s31, exec_lo
	s_and_b32 s23, s30, exec_lo
.LBB33_247:                             ;   in Loop: Header=BB33_6 Depth=1
	s_or_b32 exec_lo, exec_lo, s27
.LBB33_248:                             ;   in Loop: Header=BB33_6 Depth=1
	s_delay_alu instid0(SALU_CYCLE_1)
	s_and_b32 vcc_lo, exec_lo, s26
	s_cbranch_vccz .LBB33_261
; %bb.249:                              ;   in Loop: Header=BB33_6 Depth=1
	s_cmp_eq_u32 s22, 1
	s_mov_b32 s25, -1
	s_cselect_b32 s16, -1, 0
                                        ; implicit-def: $sgpr26
	s_delay_alu instid0(SALU_CYCLE_1) | instskip(NEXT) | instid1(SALU_CYCLE_1)
	s_and_b32 s14, s16, s14
                                        ; implicit-def: $sgpr16
	s_and_saveexec_b32 s24, s14
	s_cbranch_execz .LBB33_276
; %bb.250:                              ;   in Loop: Header=BB33_6 Depth=1
	ds_load_b32 v2, v13 offset:4096
	s_wait_dscnt 0x0
	s_barrier_signal -1
	s_barrier_wait -1
	v_readfirstlane_b32 s27, v2
	s_and_saveexec_b32 s16, s6
; %bb.251:                              ;   in Loop: Header=BB33_6 Depth=1
	ds_store_b32 v22, v13
; %bb.252:                              ;   in Loop: Header=BB33_6 Depth=1
	s_or_b32 exec_lo, exec_lo, s16
	v_or_b32_e32 v26, s18, v26
	v_or_b32_e32 v33, s18, v33
	s_mov_b32 s16, -1
	s_mov_b32 s26, 0
	s_cmp_eq_u32 s27, 0
	s_mov_b32 s25, 0
	s_mov_b32 s28, -1
	s_wait_dscnt 0x0
	s_barrier_signal -1
	s_barrier_wait -1
                                        ; implicit-def: $vgpr17
	s_cbranch_scc1 .LBB33_264
; %bb.253:                              ;   in Loop: Header=BB33_6 Depth=1
	s_add_co_i32 s38, s27, s66
                                        ; implicit-def: $vgpr17
	s_delay_alu instid0(SALU_CYCLE_1) | instskip(NEXT) | instid1(SALU_CYCLE_1)
	s_mul_u64 s[28:29], s[38:39], s[54:55]
	s_mul_i32 s25, s29, s41
	s_mov_b32 s29, exec_lo
	s_sub_co_i32 s25, s38, s25
	s_delay_alu instid0(SALU_CYCLE_1) | instskip(SKIP_2) | instid1(SALU_CYCLE_1)
	s_sub_co_i32 s28, s25, s41
	s_cmp_ge_u32 s25, s41
	s_cselect_b32 s25, s28, s25
	s_sub_co_i32 s28, s25, s41
	s_cmp_ge_u32 s25, s41
	s_cselect_b32 s25, s28, s25
	s_mov_b32 s28, 0
	s_sub_co_i32 s30, s38, s25
	s_mov_b32 s25, 0
	v_cmpx_gt_u32_e64 s30, v0
	s_cbranch_execz .LBB33_263
; %bb.254:                              ;   in Loop: Header=BB33_6 Depth=1
	v_dual_mov_b32 v2, v1 :: v_dual_mov_b32 v3, v0
                                        ; implicit-def: $sgpr31
	s_branch .LBB33_257
.LBB33_255:                             ;   in Loop: Header=BB33_257 Depth=2
	s_or_b32 exec_lo, exec_lo, s33
	s_wait_dscnt 0x0
	s_barrier_signal -1
	s_barrier_wait -1
	ds_load_b64 v[16:17], v13 offset:3072
	s_mov_b32 s33, -1
	s_mov_b32 s34, -1
	s_wait_dscnt 0x0
	s_barrier_signal -1
	s_barrier_wait -1
	v_cmp_ne_u32_e32 vcc_lo, 0, v16
	s_cbranch_vccz .LBB33_260
.LBB33_256:                             ;   in Loop: Header=BB33_257 Depth=2
	s_and_b32 s33, exec_lo, s33
	s_delay_alu instid0(SALU_CYCLE_1) | instskip(SKIP_2) | instid1(SALU_CYCLE_1)
	s_or_b32 s25, s33, s25
	s_and_not1_b32 s31, s31, exec_lo
	s_and_b32 s33, s34, exec_lo
	s_or_b32 s31, s31, s33
	s_and_not1_b32 exec_lo, exec_lo, s25
	s_cbranch_execz .LBB33_262
.LBB33_257:                             ;   Parent Loop BB33_6 Depth=1
                                        ; =>  This Inner Loop Header: Depth=2
	s_mov_b32 s33, exec_lo
	s_delay_alu instid0(VALU_DEP_1)
	v_cmpx_gt_u32_e64 s27, v3
	s_cbranch_execz .LBB33_255
; %bb.258:                              ;   in Loop: Header=BB33_257 Depth=2
	ds_load_b32 v21, v2
	s_wait_dscnt 0x0
	v_bitop3_b32 v4, v21, v33, 0x80000000 bitop3:0x48
	s_delay_alu instid0(VALU_DEP_1)
	v_cmp_eq_u32_e32 vcc_lo, v4, v26
	s_and_b32 exec_lo, exec_lo, vcc_lo
	s_cbranch_execz .LBB33_255
; %bb.259:                              ;   in Loop: Header=BB33_257 Depth=2
	ds_store_b64 v13, v[20:21] offset:3072
	s_branch .LBB33_255
.LBB33_260:                             ;   in Loop: Header=BB33_257 Depth=2
	v_dual_add_nc_u32 v3, s41, v3 :: v_dual_add_nc_u32 v2, s63, v2
	s_mov_b32 s34, 0
	s_delay_alu instid0(VALU_DEP_1)
	v_cmp_le_u32_e32 vcc_lo, s30, v3
	s_or_not1_b32 s33, vcc_lo, exec_lo
	s_branch .LBB33_256
.LBB33_261:                             ;   in Loop: Header=BB33_6 Depth=1
	v_dual_mov_b32 v26, v5 :: v_dual_mov_b32 v33, v12
	v_mov_b32_e32 v17, v3
	s_mov_b32 s26, 0
	s_and_saveexec_b32 s14, s23
	s_cbranch_execnz .LBB33_407
	s_branch .LBB33_408
.LBB33_262:                             ;   in Loop: Header=BB33_6 Depth=1
	s_or_b32 exec_lo, exec_lo, s25
	s_delay_alu instid0(SALU_CYCLE_1)
	s_and_b32 s25, s31, exec_lo
.LBB33_263:                             ;   in Loop: Header=BB33_6 Depth=1
	s_or_b32 exec_lo, exec_lo, s29
.LBB33_264:                             ;   in Loop: Header=BB33_6 Depth=1
	s_delay_alu instid0(SALU_CYCLE_1)
	s_and_b32 vcc_lo, exec_lo, s28
	s_cbranch_vccz .LBB33_275
; %bb.265:                              ;   in Loop: Header=BB33_6 Depth=1
                                        ; implicit-def: $vgpr17
	s_and_saveexec_b32 s16, s13
	s_cbranch_execz .LBB33_274
; %bb.266:                              ;   in Loop: Header=BB33_6 Depth=1
	v_dual_mov_b32 v2, v14 :: v_dual_mov_b32 v3, v0
	s_mov_b32 s26, 0
                                        ; implicit-def: $sgpr27
	s_branch .LBB33_269
.LBB33_267:                             ;   in Loop: Header=BB33_269 Depth=2
	s_or_b32 exec_lo, exec_lo, s28
	s_wait_dscnt 0x0
	s_barrier_signal -1
	s_barrier_wait -1
	ds_load_b64 v[16:17], v13 offset:3072
	s_mov_b32 s28, -1
	s_mov_b32 s29, -1
	s_wait_dscnt 0x0
	s_barrier_signal -1
	s_barrier_wait -1
	v_cmp_ne_u32_e32 vcc_lo, 0, v16
	s_cbranch_vccz .LBB33_272
.LBB33_268:                             ;   in Loop: Header=BB33_269 Depth=2
	s_and_b32 s28, exec_lo, s28
	s_delay_alu instid0(SALU_CYCLE_1) | instskip(SKIP_2) | instid1(SALU_CYCLE_1)
	s_or_b32 s26, s28, s26
	s_and_not1_b32 s27, s27, exec_lo
	s_and_b32 s28, s29, exec_lo
	s_or_b32 s27, s27, s28
	s_and_not1_b32 exec_lo, exec_lo, s26
	s_cbranch_execz .LBB33_273
.LBB33_269:                             ;   Parent Loop BB33_6 Depth=1
                                        ; =>  This Inner Loop Header: Depth=2
	s_mov_b32 s28, exec_lo
	s_delay_alu instid0(VALU_DEP_1)
	v_cmpx_gt_u32_e64 s36, v3
	s_cbranch_execz .LBB33_267
; %bb.270:                              ;   in Loop: Header=BB33_269 Depth=2
	v_readfirstlane_b32 s30, v6
	v_readfirstlane_b32 s31, v7
	global_load_b32 v21, v2, s[30:31] scale_offset
	s_wait_loadcnt 0x0
	v_bitop3_b32 v4, v21, v33, 0x80000000 bitop3:0x48
	s_delay_alu instid0(VALU_DEP_1)
	v_cmp_eq_u32_e32 vcc_lo, v4, v26
	s_and_b32 exec_lo, exec_lo, vcc_lo
	s_cbranch_execz .LBB33_267
; %bb.271:                              ;   in Loop: Header=BB33_269 Depth=2
	ds_store_b64 v13, v[20:21] offset:3072
	s_branch .LBB33_267
.LBB33_272:                             ;   in Loop: Header=BB33_269 Depth=2
	v_dual_add_nc_u32 v3, s41, v3 :: v_dual_add_nc_u32 v2, s50, v2
	s_mov_b32 s29, 0
	s_delay_alu instid0(VALU_DEP_1)
	v_cmp_le_u32_e32 vcc_lo, s77, v3
	s_or_not1_b32 s28, vcc_lo, exec_lo
	s_branch .LBB33_268
.LBB33_273:                             ;   in Loop: Header=BB33_6 Depth=1
	s_or_b32 exec_lo, exec_lo, s26
	s_delay_alu instid0(SALU_CYCLE_1) | instskip(SKIP_1) | instid1(SALU_CYCLE_1)
	s_and_not1_b32 s25, s25, exec_lo
	s_and_b32 s26, s27, exec_lo
	s_or_b32 s25, s25, s26
.LBB33_274:                             ;   in Loop: Header=BB33_6 Depth=1
	s_or_b32 exec_lo, exec_lo, s16
	s_mov_b32 s16, 0
	s_mov_b32 s26, -1
.LBB33_275:                             ;   in Loop: Header=BB33_6 Depth=1
	s_or_not1_b32 s25, s25, exec_lo
.LBB33_276:                             ;   in Loop: Header=BB33_6 Depth=1
	s_or_b32 exec_lo, exec_lo, s24
                                        ; implicit-def: $vgpr35
                                        ; implicit-def: $vgpr4
	s_and_saveexec_b32 s24, s25
	s_cbranch_execz .LBB33_406
; %bb.277:                              ;   in Loop: Header=BB33_6 Depth=1
	v_dual_mov_b32 v35, 1 :: v_dual_mov_b32 v4, 1
	s_xor_b32 s25, s14, -1
	s_mov_b32 s28, 0
	s_and_saveexec_b32 s14, s25
	s_cbranch_execz .LBB33_286
; %bb.278:                              ;   in Loop: Header=BB33_6 Depth=1
	s_mov_b32 s25, exec_lo
	v_cmpx_ge_u32_e64 s22, v34
	s_xor_b32 s25, exec_lo, s25
	s_cbranch_execz .LBB33_283
; %bb.279:                              ;   in Loop: Header=BB33_6 Depth=1
	ds_load_b32 v2, v13 offset:4096
	v_or_b32_e32 v26, s18, v26
	v_or_b32_e32 v33, s18, v33
	s_wait_dscnt 0x0
	v_cmp_ne_u32_e32 vcc_lo, 0, v2
	s_cbranch_vccnz .LBB33_283
; %bb.280:                              ;   in Loop: Header=BB33_6 Depth=1
	s_and_saveexec_b32 s27, s5
; %bb.281:                              ;   in Loop: Header=BB33_6 Depth=1
	v_mov_b32_e32 v2, s22
	ds_store_b32 v13, v2 offset:4100
; %bb.282:                              ;   in Loop: Header=BB33_6 Depth=1
	s_or_b32 exec_lo, exec_lo, s27
	s_wait_dscnt 0x0
	s_barrier_signal -1
	s_barrier_wait -1
.LBB33_283:                             ;   in Loop: Header=BB33_6 Depth=1
	s_or_saveexec_b32 s25, s25
	v_mov_b32_e32 v4, 5
	s_mov_b32 s27, 0
	s_xor_b32 exec_lo, exec_lo, s25
; %bb.284:                              ;   in Loop: Header=BB33_6 Depth=1
	v_subrev_nc_u32_e32 v34, s22, v34
	v_mov_b32_e32 v4, 0
	s_mov_b32 s27, exec_lo
; %bb.285:                              ;   in Loop: Header=BB33_6 Depth=1
	s_or_b32 exec_lo, exec_lo, s25
	s_delay_alu instid0(VALU_DEP_2)
	v_mov_b32_e32 v35, v34
	s_and_b32 s28, s27, exec_lo
.LBB33_286:                             ;   in Loop: Header=BB33_6 Depth=1
	s_or_b32 exec_lo, exec_lo, s14
	s_mov_b32 s27, -1
                                        ; implicit-def: $sgpr22
                                        ; implicit-def: $sgpr25
	s_and_saveexec_b32 s14, s28
	s_delay_alu instid0(SALU_CYCLE_1)
	s_xor_b32 s14, exec_lo, s14
	s_cbranch_execz .LBB33_403
; %bb.287:                              ;   in Loop: Header=BB33_6 Depth=1
	v_cmp_eq_u32_e32 vcc_lo, 1, v35
	s_cmp_eq_u32 s21, 1
	s_mov_b32 s29, -1
	s_cselect_b32 s22, -1, 0
                                        ; implicit-def: $sgpr25
	s_delay_alu instid0(SALU_CYCLE_1) | instskip(NEXT) | instid1(SALU_CYCLE_1)
	s_and_b32 s28, s22, vcc_lo
                                        ; implicit-def: $sgpr22
	s_and_saveexec_b32 s27, s28
	s_cbranch_execz .LBB33_313
; %bb.288:                              ;   in Loop: Header=BB33_6 Depth=1
	ds_load_b32 v2, v13 offset:4096
	s_wait_dscnt 0x0
	s_barrier_signal -1
	s_barrier_wait -1
	v_readfirstlane_b32 s30, v2
	s_and_saveexec_b32 s22, s6
; %bb.289:                              ;   in Loop: Header=BB33_6 Depth=1
	ds_store_b32 v22, v13
; %bb.290:                              ;   in Loop: Header=BB33_6 Depth=1
	s_or_b32 exec_lo, exec_lo, s22
	s_lshl_b32 s22, 2, s80
	v_or_b32_e32 v33, s18, v33
	v_and_or_b32 v26, v26, s19, s22
	s_mov_b32 s22, -1
	s_mov_b32 s25, 0
	s_cmp_eq_u32 s30, 0
	s_mov_b32 s29, 0
	s_mov_b32 s31, -1
	s_wait_dscnt 0x0
	s_barrier_signal -1
	s_barrier_wait -1
                                        ; implicit-def: $vgpr17
	s_cbranch_scc1 .LBB33_301
; %bb.291:                              ;   in Loop: Header=BB33_6 Depth=1
	s_add_co_i32 s38, s30, s66
	s_mov_b32 s33, exec_lo
	s_mul_u64 s[94:95], s[38:39], s[54:55]
                                        ; implicit-def: $vgpr17
	s_delay_alu instid0(SALU_CYCLE_1) | instskip(NEXT) | instid1(SALU_CYCLE_1)
	s_mul_i32 s29, s95, s41
	s_sub_co_i32 s29, s38, s29
	s_delay_alu instid0(SALU_CYCLE_1) | instskip(SKIP_2) | instid1(SALU_CYCLE_1)
	s_sub_co_i32 s31, s29, s41
	s_cmp_ge_u32 s29, s41
	s_cselect_b32 s29, s31, s29
	s_sub_co_i32 s31, s29, s41
	s_cmp_ge_u32 s29, s41
	s_cselect_b32 s29, s31, s29
	s_mov_b32 s31, 0
	s_sub_co_i32 s34, s38, s29
	s_mov_b32 s29, 0
	v_cmpx_gt_u32_e64 s34, v0
	s_cbranch_execz .LBB33_300
; %bb.292:                              ;   in Loop: Header=BB33_6 Depth=1
	v_dual_mov_b32 v2, v1 :: v_dual_mov_b32 v3, v0
                                        ; implicit-def: $sgpr38
	s_branch .LBB33_295
.LBB33_293:                             ;   in Loop: Header=BB33_295 Depth=2
	s_or_b32 exec_lo, exec_lo, s93
	s_wait_dscnt 0x0
	s_barrier_signal -1
	s_barrier_wait -1
	ds_load_b64 v[16:17], v13 offset:3072
	s_mov_b32 s93, -1
	s_mov_b32 s94, -1
	s_wait_dscnt 0x0
	s_barrier_signal -1
	s_barrier_wait -1
	v_cmp_ne_u32_e32 vcc_lo, 0, v16
	s_cbranch_vccz .LBB33_298
.LBB33_294:                             ;   in Loop: Header=BB33_295 Depth=2
	s_and_b32 s93, exec_lo, s93
	s_delay_alu instid0(SALU_CYCLE_1) | instskip(SKIP_2) | instid1(SALU_CYCLE_1)
	s_or_b32 s29, s93, s29
	s_and_not1_b32 s38, s38, exec_lo
	s_and_b32 s93, s94, exec_lo
	s_or_b32 s38, s38, s93
	s_and_not1_b32 exec_lo, exec_lo, s29
	s_cbranch_execz .LBB33_299
.LBB33_295:                             ;   Parent Loop BB33_6 Depth=1
                                        ; =>  This Inner Loop Header: Depth=2
	s_mov_b32 s93, exec_lo
	s_delay_alu instid0(VALU_DEP_1)
	v_cmpx_gt_u32_e64 s30, v3
	s_cbranch_execz .LBB33_293
; %bb.296:                              ;   in Loop: Header=BB33_295 Depth=2
	ds_load_b32 v21, v2
	s_wait_dscnt 0x0
	v_bitop3_b32 v5, v21, v33, 0x80000000 bitop3:0x48
	s_delay_alu instid0(VALU_DEP_1)
	v_cmp_eq_u32_e32 vcc_lo, v5, v26
	s_and_b32 exec_lo, exec_lo, vcc_lo
	s_cbranch_execz .LBB33_293
; %bb.297:                              ;   in Loop: Header=BB33_295 Depth=2
	ds_store_b64 v13, v[20:21] offset:3072
	s_branch .LBB33_293
.LBB33_298:                             ;   in Loop: Header=BB33_295 Depth=2
	v_dual_add_nc_u32 v3, s41, v3 :: v_dual_add_nc_u32 v2, s63, v2
	s_mov_b32 s94, 0
	s_delay_alu instid0(VALU_DEP_1)
	v_cmp_le_u32_e32 vcc_lo, s34, v3
	s_or_not1_b32 s93, vcc_lo, exec_lo
	s_branch .LBB33_294
.LBB33_299:                             ;   in Loop: Header=BB33_6 Depth=1
	s_or_b32 exec_lo, exec_lo, s29
	s_delay_alu instid0(SALU_CYCLE_1)
	s_and_b32 s29, s38, exec_lo
.LBB33_300:                             ;   in Loop: Header=BB33_6 Depth=1
	s_or_b32 exec_lo, exec_lo, s33
.LBB33_301:                             ;   in Loop: Header=BB33_6 Depth=1
	s_delay_alu instid0(SALU_CYCLE_1)
	s_and_b32 vcc_lo, exec_lo, s31
	s_cbranch_vccz .LBB33_312
; %bb.302:                              ;   in Loop: Header=BB33_6 Depth=1
                                        ; implicit-def: $vgpr17
	s_and_saveexec_b32 s22, s13
	s_cbranch_execz .LBB33_311
; %bb.303:                              ;   in Loop: Header=BB33_6 Depth=1
	v_dual_mov_b32 v2, v14 :: v_dual_mov_b32 v3, v0
	s_mov_b32 s25, 0
                                        ; implicit-def: $sgpr30
	s_branch .LBB33_306
.LBB33_304:                             ;   in Loop: Header=BB33_306 Depth=2
	s_or_b32 exec_lo, exec_lo, s31
	s_wait_dscnt 0x0
	s_barrier_signal -1
	s_barrier_wait -1
	ds_load_b64 v[16:17], v13 offset:3072
	s_mov_b32 s31, -1
	s_mov_b32 s33, -1
	s_wait_dscnt 0x0
	s_barrier_signal -1
	s_barrier_wait -1
	v_cmp_eq_u32_e32 vcc_lo, 0, v16
	s_cbranch_vccnz .LBB33_309
.LBB33_305:                             ;   in Loop: Header=BB33_306 Depth=2
	s_and_b32 s31, exec_lo, s31
	s_delay_alu instid0(SALU_CYCLE_1) | instskip(SKIP_2) | instid1(SALU_CYCLE_1)
	s_or_b32 s25, s31, s25
	s_and_not1_b32 s30, s30, exec_lo
	s_and_b32 s31, s33, exec_lo
	s_or_b32 s30, s30, s31
	s_and_not1_b32 exec_lo, exec_lo, s25
	s_cbranch_execz .LBB33_310
.LBB33_306:                             ;   Parent Loop BB33_6 Depth=1
                                        ; =>  This Inner Loop Header: Depth=2
	s_mov_b32 s31, exec_lo
	s_delay_alu instid0(VALU_DEP_1)
	v_cmpx_gt_u32_e64 s36, v3
	s_cbranch_execz .LBB33_304
; %bb.307:                              ;   in Loop: Header=BB33_306 Depth=2
	v_readfirstlane_b32 s94, v6
	v_readfirstlane_b32 s95, v7
	global_load_b32 v21, v2, s[94:95] scale_offset
	s_wait_loadcnt 0x0
	v_bitop3_b32 v5, v21, v33, 0x80000000 bitop3:0x48
	s_delay_alu instid0(VALU_DEP_1)
	v_cmp_eq_u32_e32 vcc_lo, v5, v26
	s_and_b32 exec_lo, exec_lo, vcc_lo
	s_cbranch_execz .LBB33_304
; %bb.308:                              ;   in Loop: Header=BB33_306 Depth=2
	ds_store_b64 v13, v[20:21] offset:3072
	s_branch .LBB33_304
.LBB33_309:                             ;   in Loop: Header=BB33_306 Depth=2
	v_dual_add_nc_u32 v3, s41, v3 :: v_dual_add_nc_u32 v2, s50, v2
	s_mov_b32 s33, 0
	s_delay_alu instid0(VALU_DEP_1)
	v_cmp_le_u32_e32 vcc_lo, s77, v3
	s_or_not1_b32 s31, vcc_lo, exec_lo
	s_branch .LBB33_305
.LBB33_310:                             ;   in Loop: Header=BB33_6 Depth=1
	s_or_b32 exec_lo, exec_lo, s25
	s_delay_alu instid0(SALU_CYCLE_1) | instskip(SKIP_1) | instid1(SALU_CYCLE_1)
	s_and_not1_b32 s25, s29, exec_lo
	s_and_b32 s29, s30, exec_lo
	s_or_b32 s29, s25, s29
.LBB33_311:                             ;   in Loop: Header=BB33_6 Depth=1
	s_or_b32 exec_lo, exec_lo, s22
	s_mov_b32 s22, 0
	s_mov_b32 s25, -1
.LBB33_312:                             ;   in Loop: Header=BB33_6 Depth=1
	s_or_not1_b32 s29, s29, exec_lo
.LBB33_313:                             ;   in Loop: Header=BB33_6 Depth=1
	s_or_b32 exec_lo, exec_lo, s27
	s_mov_b32 s30, 0
	s_and_saveexec_b32 s27, s29
	s_cbranch_execz .LBB33_402
; %bb.314:                              ;   in Loop: Header=BB33_6 Depth=1
	v_dual_mov_b32 v2, 1 :: v_dual_mov_b32 v4, 1
	s_xor_b32 s29, s28, -1
	s_mov_b32 s31, 0
	s_and_saveexec_b32 s28, s29
	s_cbranch_execz .LBB33_323
; %bb.315:                              ;   in Loop: Header=BB33_6 Depth=1
	s_mov_b32 s29, exec_lo
	v_cmpx_ge_u32_e64 s21, v35
	s_xor_b32 s29, exec_lo, s29
	s_cbranch_execz .LBB33_320
; %bb.316:                              ;   in Loop: Header=BB33_6 Depth=1
	ds_load_b32 v2, v13 offset:4096
	s_lshl_b32 s30, 2, s80
	v_or_b32_e32 v33, s18, v33
	v_and_or_b32 v26, v26, s19, s30
	s_wait_dscnt 0x0
	v_cmp_ne_u32_e32 vcc_lo, 0, v2
	s_cbranch_vccnz .LBB33_320
; %bb.317:                              ;   in Loop: Header=BB33_6 Depth=1
	s_and_saveexec_b32 s30, s5
; %bb.318:                              ;   in Loop: Header=BB33_6 Depth=1
	v_mov_b32_e32 v2, s21
	ds_store_b32 v13, v2 offset:4100
; %bb.319:                              ;   in Loop: Header=BB33_6 Depth=1
	s_or_b32 exec_lo, exec_lo, s30
	s_wait_dscnt 0x0
	s_barrier_signal -1
	s_barrier_wait -1
.LBB33_320:                             ;   in Loop: Header=BB33_6 Depth=1
	s_or_saveexec_b32 s29, s29
	v_mov_b32_e32 v4, 5
	s_mov_b32 s30, 0
	s_xor_b32 exec_lo, exec_lo, s29
; %bb.321:                              ;   in Loop: Header=BB33_6 Depth=1
	v_subrev_nc_u32_e32 v35, s21, v35
	v_mov_b32_e32 v4, 0
	s_mov_b32 s30, exec_lo
; %bb.322:                              ;   in Loop: Header=BB33_6 Depth=1
	s_or_b32 exec_lo, exec_lo, s29
	s_delay_alu instid0(VALU_DEP_2)
	v_mov_b32_e32 v2, v35
	s_and_b32 s31, s30, exec_lo
.LBB33_323:                             ;   in Loop: Header=BB33_6 Depth=1
	s_or_b32 exec_lo, exec_lo, s28
	s_mov_b32 s30, -1
                                        ; implicit-def: $sgpr28
                                        ; implicit-def: $sgpr29
	s_and_saveexec_b32 s21, s31
	s_cbranch_execz .LBB33_401
; %bb.324:                              ;   in Loop: Header=BB33_6 Depth=1
	v_cmp_eq_u32_e32 vcc_lo, 1, v2
	s_cmp_eq_u32 s20, 1
	s_mov_b32 s33, -1
	s_cselect_b32 s28, -1, 0
                                        ; implicit-def: $sgpr29
	s_delay_alu instid0(SALU_CYCLE_1) | instskip(NEXT) | instid1(SALU_CYCLE_1)
	s_and_b32 s31, s28, vcc_lo
                                        ; implicit-def: $sgpr28
	s_and_saveexec_b32 s30, s31
	s_cbranch_execz .LBB33_350
; %bb.325:                              ;   in Loop: Header=BB33_6 Depth=1
	ds_load_b32 v3, v13 offset:4096
	s_wait_dscnt 0x0
	s_barrier_signal -1
	s_barrier_wait -1
	v_readfirstlane_b32 s34, v3
	s_and_saveexec_b32 s28, s6
; %bb.326:                              ;   in Loop: Header=BB33_6 Depth=1
	ds_store_b32 v22, v13
; %bb.327:                              ;   in Loop: Header=BB33_6 Depth=1
	s_or_b32 exec_lo, exec_lo, s28
	s_lshl_b32 s28, 1, s80
	v_or_b32_e32 v33, s18, v33
	v_and_or_b32 v26, v26, s19, s28
	s_mov_b32 s28, -1
	s_mov_b32 s29, 0
	s_cmp_eq_u32 s34, 0
	s_mov_b32 s33, 0
	s_mov_b32 s38, -1
	s_wait_dscnt 0x0
	s_barrier_signal -1
	s_barrier_wait -1
                                        ; implicit-def: $vgpr17
	s_cbranch_scc1 .LBB33_338
; %bb.328:                              ;   in Loop: Header=BB33_6 Depth=1
	s_add_co_i32 s38, s34, s66
                                        ; implicit-def: $vgpr17
	s_delay_alu instid0(SALU_CYCLE_1) | instskip(NEXT) | instid1(SALU_CYCLE_1)
	s_mul_u64 s[94:95], s[38:39], s[54:55]
	s_mul_i32 s33, s95, s41
	s_delay_alu instid0(SALU_CYCLE_1) | instskip(NEXT) | instid1(SALU_CYCLE_1)
	s_sub_co_i32 s33, s38, s33
	s_sub_co_i32 s93, s33, s41
	s_cmp_ge_u32 s33, s41
	s_cselect_b32 s33, s93, s33
	s_delay_alu instid0(SALU_CYCLE_1)
	s_sub_co_i32 s93, s33, s41
	s_cmp_ge_u32 s33, s41
	s_cselect_b32 s33, s93, s33
	s_mov_b32 s93, exec_lo
	s_sub_co_i32 s94, s38, s33
	s_mov_b32 s38, 0
	s_mov_b32 s33, 0
	v_cmpx_gt_u32_e64 s94, v0
	s_cbranch_execz .LBB33_337
; %bb.329:                              ;   in Loop: Header=BB33_6 Depth=1
	v_dual_mov_b32 v3, v1 :: v_dual_mov_b32 v5, v0
                                        ; implicit-def: $sgpr95
	s_branch .LBB33_332
.LBB33_330:                             ;   in Loop: Header=BB33_332 Depth=2
	s_or_b32 exec_lo, exec_lo, s96
	s_wait_dscnt 0x0
	s_barrier_signal -1
	s_barrier_wait -1
	ds_load_b64 v[16:17], v13 offset:3072
	s_mov_b32 s96, -1
	s_mov_b32 s97, -1
	s_wait_dscnt 0x0
	s_barrier_signal -1
	s_barrier_wait -1
	v_cmp_ne_u32_e32 vcc_lo, 0, v16
	s_cbranch_vccz .LBB33_335
.LBB33_331:                             ;   in Loop: Header=BB33_332 Depth=2
	s_and_b32 s96, exec_lo, s96
	s_delay_alu instid0(SALU_CYCLE_1) | instskip(SKIP_2) | instid1(SALU_CYCLE_1)
	s_or_b32 s33, s96, s33
	s_and_not1_b32 s95, s95, exec_lo
	s_and_b32 s96, s97, exec_lo
	s_or_b32 s95, s95, s96
	s_and_not1_b32 exec_lo, exec_lo, s33
	s_cbranch_execz .LBB33_336
.LBB33_332:                             ;   Parent Loop BB33_6 Depth=1
                                        ; =>  This Inner Loop Header: Depth=2
	s_mov_b32 s96, exec_lo
	s_delay_alu instid0(VALU_DEP_1)
	v_cmpx_gt_u32_e64 s34, v5
	s_cbranch_execz .LBB33_330
; %bb.333:                              ;   in Loop: Header=BB33_332 Depth=2
	ds_load_b32 v21, v3
	s_wait_dscnt 0x0
	v_bitop3_b32 v12, v21, v33, 0x80000000 bitop3:0x48
	s_delay_alu instid0(VALU_DEP_1)
	v_cmp_eq_u32_e32 vcc_lo, v12, v26
	s_and_b32 exec_lo, exec_lo, vcc_lo
	s_cbranch_execz .LBB33_330
; %bb.334:                              ;   in Loop: Header=BB33_332 Depth=2
	ds_store_b64 v13, v[20:21] offset:3072
	s_branch .LBB33_330
.LBB33_335:                             ;   in Loop: Header=BB33_332 Depth=2
	v_dual_add_nc_u32 v5, s41, v5 :: v_dual_add_nc_u32 v3, s63, v3
	s_mov_b32 s97, 0
	s_delay_alu instid0(VALU_DEP_1)
	v_cmp_le_u32_e32 vcc_lo, s94, v5
	s_or_not1_b32 s96, vcc_lo, exec_lo
	s_branch .LBB33_331
.LBB33_336:                             ;   in Loop: Header=BB33_6 Depth=1
	s_or_b32 exec_lo, exec_lo, s33
	s_delay_alu instid0(SALU_CYCLE_1)
	s_and_b32 s33, s95, exec_lo
.LBB33_337:                             ;   in Loop: Header=BB33_6 Depth=1
	s_or_b32 exec_lo, exec_lo, s93
.LBB33_338:                             ;   in Loop: Header=BB33_6 Depth=1
	s_delay_alu instid0(SALU_CYCLE_1)
	s_and_b32 vcc_lo, exec_lo, s38
	s_cbranch_vccz .LBB33_349
; %bb.339:                              ;   in Loop: Header=BB33_6 Depth=1
                                        ; implicit-def: $vgpr17
	s_and_saveexec_b32 s28, s13
	s_cbranch_execz .LBB33_348
; %bb.340:                              ;   in Loop: Header=BB33_6 Depth=1
	v_dual_mov_b32 v3, v14 :: v_dual_mov_b32 v5, v0
	s_mov_b32 s29, 0
                                        ; implicit-def: $sgpr34
	s_branch .LBB33_343
.LBB33_341:                             ;   in Loop: Header=BB33_343 Depth=2
	s_or_b32 exec_lo, exec_lo, s38
	s_wait_dscnt 0x0
	s_barrier_signal -1
	s_barrier_wait -1
	ds_load_b64 v[16:17], v13 offset:3072
	s_mov_b32 s38, -1
	s_mov_b32 s93, -1
	s_wait_dscnt 0x0
	s_barrier_signal -1
	s_barrier_wait -1
	v_cmp_eq_u32_e32 vcc_lo, 0, v16
	s_cbranch_vccnz .LBB33_346
.LBB33_342:                             ;   in Loop: Header=BB33_343 Depth=2
	s_and_b32 s38, exec_lo, s38
	s_delay_alu instid0(SALU_CYCLE_1) | instskip(SKIP_2) | instid1(SALU_CYCLE_1)
	s_or_b32 s29, s38, s29
	s_and_not1_b32 s34, s34, exec_lo
	s_and_b32 s38, s93, exec_lo
	s_or_b32 s34, s34, s38
	s_and_not1_b32 exec_lo, exec_lo, s29
	s_cbranch_execz .LBB33_347
.LBB33_343:                             ;   Parent Loop BB33_6 Depth=1
                                        ; =>  This Inner Loop Header: Depth=2
	s_mov_b32 s38, exec_lo
	s_delay_alu instid0(VALU_DEP_1)
	v_cmpx_gt_u32_e64 s36, v5
	s_cbranch_execz .LBB33_341
; %bb.344:                              ;   in Loop: Header=BB33_343 Depth=2
	v_readfirstlane_b32 s94, v6
	v_readfirstlane_b32 s95, v7
	global_load_b32 v21, v3, s[94:95] scale_offset
	s_wait_loadcnt 0x0
	v_bitop3_b32 v12, v21, v33, 0x80000000 bitop3:0x48
	s_delay_alu instid0(VALU_DEP_1)
	v_cmp_eq_u32_e32 vcc_lo, v12, v26
	s_and_b32 exec_lo, exec_lo, vcc_lo
	s_cbranch_execz .LBB33_341
; %bb.345:                              ;   in Loop: Header=BB33_343 Depth=2
	ds_store_b64 v13, v[20:21] offset:3072
	s_branch .LBB33_341
.LBB33_346:                             ;   in Loop: Header=BB33_343 Depth=2
	v_dual_add_nc_u32 v5, s41, v5 :: v_dual_add_nc_u32 v3, s50, v3
	s_mov_b32 s93, 0
	s_delay_alu instid0(VALU_DEP_1)
	v_cmp_le_u32_e32 vcc_lo, s77, v5
	s_or_not1_b32 s38, vcc_lo, exec_lo
	s_branch .LBB33_342
.LBB33_347:                             ;   in Loop: Header=BB33_6 Depth=1
	s_or_b32 exec_lo, exec_lo, s29
	s_delay_alu instid0(SALU_CYCLE_1) | instskip(SKIP_1) | instid1(SALU_CYCLE_1)
	s_and_not1_b32 s29, s33, exec_lo
	s_and_b32 s33, s34, exec_lo
	s_or_b32 s33, s29, s33
.LBB33_348:                             ;   in Loop: Header=BB33_6 Depth=1
	s_or_b32 exec_lo, exec_lo, s28
	s_mov_b32 s28, 0
	s_mov_b32 s29, -1
.LBB33_349:                             ;   in Loop: Header=BB33_6 Depth=1
	s_or_not1_b32 s33, s33, exec_lo
.LBB33_350:                             ;   in Loop: Header=BB33_6 Depth=1
	s_or_b32 exec_lo, exec_lo, s30
	s_mov_b32 s34, 0
	s_and_saveexec_b32 s30, s33
	s_cbranch_execz .LBB33_400
; %bb.351:                              ;   in Loop: Header=BB33_6 Depth=1
	v_dual_mov_b32 v3, 1 :: v_dual_mov_b32 v4, 1
	s_xor_b32 s33, s31, -1
	s_mov_b32 s38, 0
	s_and_saveexec_b32 s31, s33
	s_cbranch_execz .LBB33_360
; %bb.352:                              ;   in Loop: Header=BB33_6 Depth=1
	s_mov_b32 s33, exec_lo
	v_cmpx_ge_u32_e64 s20, v2
	s_xor_b32 s33, exec_lo, s33
	s_cbranch_execz .LBB33_357
; %bb.353:                              ;   in Loop: Header=BB33_6 Depth=1
	ds_load_b32 v3, v13 offset:4096
	s_lshl_b32 s34, 1, s80
	v_or_b32_e32 v33, s18, v33
	v_and_or_b32 v26, v26, s19, s34
	s_wait_dscnt 0x0
	v_cmp_ne_u32_e32 vcc_lo, 0, v3
	s_cbranch_vccnz .LBB33_357
; %bb.354:                              ;   in Loop: Header=BB33_6 Depth=1
	s_and_saveexec_b32 s34, s5
; %bb.355:                              ;   in Loop: Header=BB33_6 Depth=1
	v_mov_b32_e32 v3, s20
	ds_store_b32 v13, v3 offset:4100
; %bb.356:                              ;   in Loop: Header=BB33_6 Depth=1
	s_or_b32 exec_lo, exec_lo, s34
	s_wait_dscnt 0x0
	s_barrier_signal -1
	s_barrier_wait -1
.LBB33_357:                             ;   in Loop: Header=BB33_6 Depth=1
	s_or_saveexec_b32 s33, s33
	v_mov_b32_e32 v4, 5
	s_mov_b32 s34, 0
	s_xor_b32 exec_lo, exec_lo, s33
; %bb.358:                              ;   in Loop: Header=BB33_6 Depth=1
	v_subrev_nc_u32_e32 v2, s20, v2
	v_mov_b32_e32 v4, 0
	s_mov_b32 s34, exec_lo
; %bb.359:                              ;   in Loop: Header=BB33_6 Depth=1
	s_or_b32 exec_lo, exec_lo, s33
	s_delay_alu instid0(VALU_DEP_2)
	v_mov_b32_e32 v3, v2
	s_and_b32 s38, s34, exec_lo
.LBB33_360:                             ;   in Loop: Header=BB33_6 Depth=1
	s_or_b32 exec_lo, exec_lo, s31
	s_mov_b32 s31, -1
                                        ; implicit-def: $sgpr34
                                        ; implicit-def: $sgpr33
	s_and_saveexec_b32 s20, s38
	s_cbranch_execz .LBB33_399
; %bb.361:                              ;   in Loop: Header=BB33_6 Depth=1
	v_cmp_eq_u32_e32 vcc_lo, 1, v3
	s_cmp_eq_u32 s17, 1
	s_mov_b32 s94, -1
	s_cselect_b32 s31, -1, 0
                                        ; implicit-def: $sgpr34
                                        ; implicit-def: $sgpr33
	s_delay_alu instid0(SALU_CYCLE_1) | instskip(NEXT) | instid1(SALU_CYCLE_1)
	s_and_b32 s31, s31, vcc_lo
	s_and_saveexec_b32 s93, s31
	s_cbranch_execz .LBB33_387
; %bb.362:                              ;   in Loop: Header=BB33_6 Depth=1
	ds_load_b32 v2, v13 offset:4096
	s_wait_dscnt 0x0
	s_barrier_signal -1
	s_barrier_wait -1
	v_readfirstlane_b32 s94, v2
	s_and_saveexec_b32 s33, s6
; %bb.363:                              ;   in Loop: Header=BB33_6 Depth=1
	ds_store_b32 v22, v13
; %bb.364:                              ;   in Loop: Header=BB33_6 Depth=1
	s_or_b32 exec_lo, exec_lo, s33
	v_and_b32_e32 v26, s19, v26
	v_or_b32_e32 v33, s18, v33
	s_mov_b32 s33, -1
	s_mov_b32 s34, 0
	s_cmp_eq_u32 s94, 0
	s_mov_b32 s38, 0
	s_mov_b32 s95, -1
	s_wait_dscnt 0x0
	s_barrier_signal -1
	s_barrier_wait -1
                                        ; implicit-def: $vgpr17
	s_cbranch_scc1 .LBB33_375
; %bb.365:                              ;   in Loop: Header=BB33_6 Depth=1
	s_add_co_i32 s38, s94, s66
                                        ; implicit-def: $vgpr17
	s_delay_alu instid0(SALU_CYCLE_1) | instskip(NEXT) | instid1(SALU_CYCLE_1)
	s_mul_u64 s[96:97], s[38:39], s[54:55]
	s_mul_i32 s95, s97, s41
	s_delay_alu instid0(SALU_CYCLE_1) | instskip(NEXT) | instid1(SALU_CYCLE_1)
	s_sub_co_i32 s95, s38, s95
	s_sub_co_i32 s96, s95, s41
	s_cmp_ge_u32 s95, s41
	s_cselect_b32 s95, s96, s95
	s_delay_alu instid0(SALU_CYCLE_1)
	s_sub_co_i32 s96, s95, s41
	s_cmp_ge_u32 s95, s41
	s_cselect_b32 s95, s96, s95
	s_mov_b32 s96, exec_lo
	s_sub_co_i32 s97, s38, s95
	s_mov_b32 s95, 0
	s_mov_b32 s38, 0
	v_cmpx_gt_u32_e64 s97, v0
	s_cbranch_execz .LBB33_374
; %bb.366:                              ;   in Loop: Header=BB33_6 Depth=1
	v_dual_mov_b32 v2, v1 :: v_dual_mov_b32 v5, v0
                                        ; implicit-def: $sgpr98
	s_branch .LBB33_369
.LBB33_367:                             ;   in Loop: Header=BB33_369 Depth=2
	s_or_b32 exec_lo, exec_lo, s99
	s_wait_dscnt 0x0
	s_barrier_signal -1
	s_barrier_wait -1
	ds_load_b64 v[16:17], v13 offset:3072
	s_mov_b32 s99, -1
	s_mov_b32 s100, -1
	s_wait_dscnt 0x0
	s_barrier_signal -1
	s_barrier_wait -1
	v_cmp_ne_u32_e32 vcc_lo, 0, v16
	s_cbranch_vccz .LBB33_372
.LBB33_368:                             ;   in Loop: Header=BB33_369 Depth=2
	s_and_b32 s99, exec_lo, s99
	s_delay_alu instid0(SALU_CYCLE_1) | instskip(SKIP_2) | instid1(SALU_CYCLE_1)
	s_or_b32 s38, s99, s38
	s_and_not1_b32 s98, s98, exec_lo
	s_and_b32 s99, s100, exec_lo
	s_or_b32 s98, s98, s99
	s_and_not1_b32 exec_lo, exec_lo, s38
	s_cbranch_execz .LBB33_373
.LBB33_369:                             ;   Parent Loop BB33_6 Depth=1
                                        ; =>  This Inner Loop Header: Depth=2
	s_mov_b32 s99, exec_lo
	s_delay_alu instid0(VALU_DEP_1)
	v_cmpx_gt_u32_e64 s94, v5
	s_cbranch_execz .LBB33_367
; %bb.370:                              ;   in Loop: Header=BB33_369 Depth=2
	ds_load_b32 v21, v2
	s_wait_dscnt 0x0
	v_bitop3_b32 v12, v21, v33, 0x80000000 bitop3:0x48
	s_delay_alu instid0(VALU_DEP_1)
	v_cmp_eq_u32_e32 vcc_lo, v12, v26
	s_and_b32 exec_lo, exec_lo, vcc_lo
	s_cbranch_execz .LBB33_367
; %bb.371:                              ;   in Loop: Header=BB33_369 Depth=2
	ds_store_b64 v13, v[20:21] offset:3072
	s_branch .LBB33_367
.LBB33_372:                             ;   in Loop: Header=BB33_369 Depth=2
	v_dual_add_nc_u32 v5, s41, v5 :: v_dual_add_nc_u32 v2, s63, v2
	s_mov_b32 s100, 0
	s_delay_alu instid0(VALU_DEP_1)
	v_cmp_le_u32_e32 vcc_lo, s97, v5
	s_or_not1_b32 s99, vcc_lo, exec_lo
	s_branch .LBB33_368
.LBB33_373:                             ;   in Loop: Header=BB33_6 Depth=1
	s_or_b32 exec_lo, exec_lo, s38
	s_delay_alu instid0(SALU_CYCLE_1)
	s_and_b32 s38, s98, exec_lo
.LBB33_374:                             ;   in Loop: Header=BB33_6 Depth=1
	s_or_b32 exec_lo, exec_lo, s96
.LBB33_375:                             ;   in Loop: Header=BB33_6 Depth=1
	s_delay_alu instid0(SALU_CYCLE_1)
	s_and_b32 vcc_lo, exec_lo, s95
	s_cbranch_vccz .LBB33_386
; %bb.376:                              ;   in Loop: Header=BB33_6 Depth=1
                                        ; implicit-def: $vgpr17
	s_and_saveexec_b32 s33, s13
	s_cbranch_execz .LBB33_385
; %bb.377:                              ;   in Loop: Header=BB33_6 Depth=1
	v_dual_mov_b32 v2, v14 :: v_dual_mov_b32 v5, v0
	s_mov_b32 s34, 0
                                        ; implicit-def: $sgpr94
	s_branch .LBB33_380
.LBB33_378:                             ;   in Loop: Header=BB33_380 Depth=2
	s_or_b32 exec_lo, exec_lo, s95
	s_wait_dscnt 0x0
	s_barrier_signal -1
	s_barrier_wait -1
	ds_load_b64 v[16:17], v13 offset:3072
	s_mov_b32 s95, -1
	s_mov_b32 s96, -1
	s_wait_dscnt 0x0
	s_barrier_signal -1
	s_barrier_wait -1
	v_cmp_eq_u32_e32 vcc_lo, 0, v16
	s_cbranch_vccnz .LBB33_383
.LBB33_379:                             ;   in Loop: Header=BB33_380 Depth=2
	s_and_b32 s95, exec_lo, s95
	s_delay_alu instid0(SALU_CYCLE_1) | instskip(SKIP_2) | instid1(SALU_CYCLE_1)
	s_or_b32 s34, s95, s34
	s_and_not1_b32 s94, s94, exec_lo
	s_and_b32 s95, s96, exec_lo
	s_or_b32 s94, s94, s95
	s_and_not1_b32 exec_lo, exec_lo, s34
	s_cbranch_execz .LBB33_384
.LBB33_380:                             ;   Parent Loop BB33_6 Depth=1
                                        ; =>  This Inner Loop Header: Depth=2
	s_mov_b32 s95, exec_lo
	s_delay_alu instid0(VALU_DEP_1)
	v_cmpx_gt_u32_e64 s36, v5
	s_cbranch_execz .LBB33_378
; %bb.381:                              ;   in Loop: Header=BB33_380 Depth=2
	v_readfirstlane_b32 s96, v6
	v_readfirstlane_b32 s97, v7
	global_load_b32 v21, v2, s[96:97] scale_offset
	s_wait_loadcnt 0x0
	v_bitop3_b32 v12, v21, v33, 0x80000000 bitop3:0x48
	s_delay_alu instid0(VALU_DEP_1)
	v_cmp_eq_u32_e32 vcc_lo, v12, v26
	s_and_b32 exec_lo, exec_lo, vcc_lo
	s_cbranch_execz .LBB33_378
; %bb.382:                              ;   in Loop: Header=BB33_380 Depth=2
	ds_store_b64 v13, v[20:21] offset:3072
	s_branch .LBB33_378
.LBB33_383:                             ;   in Loop: Header=BB33_380 Depth=2
	v_dual_add_nc_u32 v5, s41, v5 :: v_dual_add_nc_u32 v2, s50, v2
	s_mov_b32 s96, 0
	s_delay_alu instid0(VALU_DEP_1)
	v_cmp_le_u32_e32 vcc_lo, s77, v5
	s_or_not1_b32 s95, vcc_lo, exec_lo
	s_branch .LBB33_379
.LBB33_384:                             ;   in Loop: Header=BB33_6 Depth=1
	s_or_b32 exec_lo, exec_lo, s34
	s_delay_alu instid0(SALU_CYCLE_1) | instskip(SKIP_1) | instid1(SALU_CYCLE_1)
	s_and_not1_b32 s34, s38, exec_lo
	s_and_b32 s38, s94, exec_lo
	s_or_b32 s38, s34, s38
.LBB33_385:                             ;   in Loop: Header=BB33_6 Depth=1
	s_or_b32 exec_lo, exec_lo, s33
	s_mov_b32 s33, 0
	s_mov_b32 s34, -1
.LBB33_386:                             ;   in Loop: Header=BB33_6 Depth=1
	s_or_not1_b32 s94, s38, exec_lo
.LBB33_387:                             ;   in Loop: Header=BB33_6 Depth=1
	s_or_b32 exec_lo, exec_lo, s93
	s_mov_b32 s93, 0
	s_and_saveexec_b32 s38, s94
	s_cbranch_execz .LBB33_398
; %bb.388:                              ;   in Loop: Header=BB33_6 Depth=1
	v_dual_mov_b32 v4, 1 :: v_dual_mov_b32 v2, 1
	s_xor_b32 s93, s31, -1
	s_delay_alu instid0(SALU_CYCLE_1)
	s_and_saveexec_b32 s31, s93
	s_cbranch_execz .LBB33_397
; %bb.389:                              ;   in Loop: Header=BB33_6 Depth=1
	s_mov_b32 s93, exec_lo
	v_cmpx_ge_u32_e64 s17, v3
	s_xor_b32 s93, exec_lo, s93
	s_cbranch_execz .LBB33_394
; %bb.390:                              ;   in Loop: Header=BB33_6 Depth=1
	ds_load_b32 v2, v13 offset:4096
	v_and_b32_e32 v26, s19, v26
	v_or_b32_e32 v33, s18, v33
	s_wait_dscnt 0x0
	v_cmp_ne_u32_e32 vcc_lo, 0, v2
	s_cbranch_vccnz .LBB33_394
; %bb.391:                              ;   in Loop: Header=BB33_6 Depth=1
	s_and_saveexec_b32 s18, s5
; %bb.392:                              ;   in Loop: Header=BB33_6 Depth=1
	v_mov_b32_e32 v2, s17
	ds_store_b32 v13, v2 offset:4100
; %bb.393:                              ;   in Loop: Header=BB33_6 Depth=1
	s_or_b32 exec_lo, exec_lo, s18
	s_wait_dscnt 0x0
	s_barrier_signal -1
	s_barrier_wait -1
.LBB33_394:                             ;   in Loop: Header=BB33_6 Depth=1
	s_and_not1_saveexec_b32 s18, s93
; %bb.395:                              ;   in Loop: Header=BB33_6 Depth=1
	v_subrev_nc_u32_e32 v3, s17, v3
; %bb.396:                              ;   in Loop: Header=BB33_6 Depth=1
	s_or_b32 exec_lo, exec_lo, s18
	s_delay_alu instid0(VALU_DEP_1)
	v_dual_mov_b32 v4, 5 :: v_dual_mov_b32 v2, v3
.LBB33_397:                             ;   in Loop: Header=BB33_6 Depth=1
	s_or_b32 exec_lo, exec_lo, s31
	s_delay_alu instid0(VALU_DEP_1)
	v_mov_b32_e32 v3, v2
	s_mov_b32 s93, exec_lo
.LBB33_398:                             ;   in Loop: Header=BB33_6 Depth=1
	s_or_b32 exec_lo, exec_lo, s38
	s_delay_alu instid0(SALU_CYCLE_1)
	s_or_not1_b32 s31, s93, exec_lo
.LBB33_399:                             ;   in Loop: Header=BB33_6 Depth=1
	s_or_b32 exec_lo, exec_lo, s20
	v_mov_b32_e32 v2, v3
	s_and_not1_b32 s17, s29, exec_lo
	s_and_b32 s18, s34, exec_lo
	s_and_not1_b32 s19, s28, exec_lo
	s_and_b32 s20, s33, exec_lo
	s_or_b32 s29, s17, s18
	s_or_b32 s28, s19, s20
	s_and_b32 s34, s31, exec_lo
.LBB33_400:                             ;   in Loop: Header=BB33_6 Depth=1
	s_or_b32 exec_lo, exec_lo, s30
	s_delay_alu instid0(SALU_CYCLE_1)
	s_or_not1_b32 s30, s34, exec_lo
.LBB33_401:                             ;   in Loop: Header=BB33_6 Depth=1
	s_or_b32 exec_lo, exec_lo, s21
	v_mov_b32_e32 v35, v2
	s_and_not1_b32 s17, s25, exec_lo
	s_and_b32 s18, s29, exec_lo
	s_and_not1_b32 s19, s22, exec_lo
	s_and_b32 s20, s28, exec_lo
	s_or_b32 s25, s17, s18
	s_or_b32 s22, s19, s20
	s_and_b32 s30, s30, exec_lo
.LBB33_402:                             ;   in Loop: Header=BB33_6 Depth=1
	s_or_b32 exec_lo, exec_lo, s27
	s_delay_alu instid0(SALU_CYCLE_1)
	s_or_not1_b32 s27, s30, exec_lo
.LBB33_403:                             ;   in Loop: Header=BB33_6 Depth=1
	s_or_b32 exec_lo, exec_lo, s14
	s_mov_b32 s14, s23
	s_mov_b32 s17, s15
	s_and_saveexec_b32 s18, s27
; %bb.404:                              ;   in Loop: Header=BB33_6 Depth=1
	v_cmp_ne_u32_e32 vcc_lo, 5, v4
	v_cmp_eq_u32_e64 s14, 5, v4
	s_and_not1_b32 s17, s15, exec_lo
	s_and_not1_b32 s19, s23, exec_lo
	s_and_b32 s20, vcc_lo, exec_lo
	s_and_b32 s14, s14, exec_lo
	s_or_b32 s17, s17, s20
	s_or_b32 s14, s19, s14
; %bb.405:                              ;   in Loop: Header=BB33_6 Depth=1
	s_or_b32 exec_lo, exec_lo, s18
	s_delay_alu instid0(SALU_CYCLE_1)
	s_and_not1_b32 s18, s26, exec_lo
	s_and_b32 s19, s25, exec_lo
	s_and_not1_b32 s16, s16, exec_lo
	s_and_b32 s20, s22, exec_lo
	s_or_b32 s26, s18, s19
	s_and_not1_b32 s15, s15, exec_lo
	s_and_b32 s17, s17, exec_lo
	s_and_not1_b32 s18, s23, exec_lo
	s_and_b32 s14, s14, exec_lo
	s_or_b32 s16, s16, s20
	s_or_b32 s15, s15, s17
	;; [unrolled: 1-line block ×3, first 2 shown]
.LBB33_406:                             ;   in Loop: Header=BB33_6 Depth=1
	s_or_b32 exec_lo, exec_lo, s24
	s_mov_b32 s24, 0
	s_mov_b32 s25, 0
	s_and_saveexec_b32 s14, s23
.LBB33_407:                             ;   in Loop: Header=BB33_6 Depth=1
	v_mov_b32_e32 v4, 0
	s_or_b32 s15, s15, exec_lo
.LBB33_408:                             ;   in Loop: Header=BB33_6 Depth=1
	s_or_b32 exec_lo, exec_lo, s14
	s_delay_alu instid0(SALU_CYCLE_1)
	s_and_not1_b32 s14, s90, exec_lo
	s_and_b32 s18, s26, exec_lo
	s_and_not1_b32 s19, s88, exec_lo
	s_and_b32 s16, s16, exec_lo
	v_mov_b32_e32 v34, v35
	s_or_b32 s90, s14, s18
	s_or_b32 s88, s19, s16
	s_and_not1_b32 s14, s92, exec_lo
	s_and_b32 s16, s25, exec_lo
	s_and_not1_b32 s18, s91, exec_lo
	s_and_b32 s19, s24, exec_lo
	s_mov_b32 s17, -1
	s_and_not1_b32 s89, s89, exec_lo
	s_or_b32 s92, s14, s16
	s_or_b32 s91, s18, s19
	s_and_saveexec_b32 s14, s15
	s_delay_alu instid0(SALU_CYCLE_1)
	s_xor_b32 s14, exec_lo, s14
	s_cbranch_execz .LBB33_5
; %bb.409:                              ;   in Loop: Header=BB33_6 Depth=1
	s_mov_b32 s15, -1
	s_mov_b32 s16, -1
	s_mov_b32 s17, exec_lo
	v_cmpx_eq_u32_e32 0, v4
	s_cbranch_execz .LBB33_4
; %bb.410:                              ;   in Loop: Header=BB33_6 Depth=1
	s_xor_b32 s83, s83, 1
	s_add_co_i32 s18, s80, -2
	s_cmp_eq_u32 s80, 0
	s_mov_b32 s80, s18
	s_cselect_b32 s15, -1, 0
	s_xor_b32 s16, exec_lo, -1
	s_or_not1_b32 s15, s15, exec_lo
	s_branch .LBB33_4
.LBB33_411:
	s_or_b32 exec_lo, exec_lo, s81
	s_xor_b32 s7, s87, -1
	s_xor_b32 s9, s85, -1
	;; [unrolled: 1-line block ×5, first 2 shown]
	s_mov_b32 s8, 0
	s_and_saveexec_b32 s12, s11
	s_delay_alu instid0(SALU_CYCLE_1)
	s_xor_b32 s12, exec_lo, s12
	s_cbranch_execnz .LBB33_416
; %bb.412:
	s_and_not1_saveexec_b32 s0, s12
	s_cbranch_execnz .LBB33_435
.LBB33_413:
	s_or_b32 exec_lo, exec_lo, s0
	s_and_saveexec_b32 s0, s8
.LBB33_414:
	; divergent unreachable
.LBB33_415:
	s_endpgm
.LBB33_416:
	s_and_saveexec_b32 s11, s10
	s_delay_alu instid0(SALU_CYCLE_1)
	s_xor_b32 s13, exec_lo, s11
	s_cbranch_execz .LBB33_433
; %bb.417:
	s_and_saveexec_b32 s10, s9
	s_delay_alu instid0(SALU_CYCLE_1)
	s_xor_b32 s14, exec_lo, s10
	s_cbranch_execz .LBB33_431
; %bb.418:
	;; [unrolled: 5-line block ×3, first 2 shown]
	s_and_saveexec_b32 s7, s6
	s_delay_alu instid0(SALU_CYCLE_1)
	s_xor_b32 s6, exec_lo, s7
; %bb.420:
	v_xor_b32_e32 v17, 0x80000000, v26
; %bb.421:
	s_or_b32 exec_lo, exec_lo, s6
	s_and_saveexec_b32 s6, s5
; %bb.422:
	v_mov_b32_e32 v1, 0
	ds_store_b32 v1, v1 offset:4108
; %bb.423:
	s_or_b32 exec_lo, exec_lo, s6
	v_mov_b32_e32 v1, 0
	s_wait_dscnt 0x0
	s_barrier_signal -1
	s_barrier_wait -1
	s_and_saveexec_b32 s5, s3
	s_cbranch_execz .LBB33_425
; %bb.424:
	global_load_b32 v1, v[10:11], off
.LBB33_425:
	s_wait_xcnt 0x0
	s_or_b32 exec_lo, exec_lo, s5
	s_mul_i32 s6, s51, s60
	s_add_co_i32 s5, s36, 31
	s_sub_co_i32 s6, s40, s6
	s_and_not1_b32 s5, s5, 31
	s_add_co_i32 s7, s51, 1
	s_sub_co_i32 s8, s6, s60
	s_cmp_ge_u32 s6, s60
	s_clause 0x1
	s_load_b32 s16, s[0:1], 0x1c8
	s_load_b32 s17, s[0:1], 0x2a8
	s_cselect_b32 s7, s7, s51
	s_cselect_b32 s6, s8, s6
	s_add_co_i32 s8, s7, 1
	s_cmp_ge_u32 s6, s60
	s_mul_i32 s6, s35, s59
	s_cselect_b32 s7, s8, s7
	s_sub_co_i32 s6, s40, s6
	s_mul_i32 s8, s7, s60
	s_mul_i32 s7, s7, s44
	s_sub_co_i32 s8, s40, s8
	s_add_co_i32 s9, s35, 1
	s_mul_i32 s8, s8, s45
	s_sub_co_i32 s11, s6, s59
	s_add_co_i32 s10, s7, s8
	s_cmp_ge_u32 s6, s59
	v_cmp_gt_u32_e32 vcc_lo, s5, v0
	s_cselect_b32 s7, s9, s35
	s_cselect_b32 s6, s11, s6
	s_wait_xcnt 0x0
	s_add_co_i32 s0, s7, 1
	s_cmp_ge_u32 s6, s59
	s_mov_b32 s11, 0
	s_cselect_b32 s0, s0, s7
	s_mov_b32 s1, s11
	s_mul_i32 s6, s0, s59
	s_mul_i32 s0, s0, s42
	s_sub_co_i32 s6, s40, s6
	s_delay_alu instid0(SALU_CYCLE_1) | instskip(NEXT) | instid1(SALU_CYCLE_1)
	s_mul_i32 s6, s6, s43
	s_add_co_i32 s0, s0, s6
	s_lshl_b64 s[6:7], s[10:11], 2
	s_lshl_b64 s[0:1], s[0:1], 3
	s_add_nc_u64 s[6:7], s[48:49], s[6:7]
	s_add_nc_u64 s[8:9], s[46:47], s[0:1]
	s_mov_b32 s0, -1
	s_mov_b32 s1, 0
	s_and_saveexec_b32 s10, vcc_lo
	s_cbranch_execnz .LBB33_436
; %bb.426:
	s_or_b32 exec_lo, exec_lo, s10
	s_and_saveexec_b32 s4, s0
	s_cbranch_execnz .LBB33_451
.LBB33_427:
	s_or_b32 exec_lo, exec_lo, s4
	s_and_saveexec_b32 s0, s1
	s_delay_alu instid0(SALU_CYCLE_1)
	s_xor_b32 s0, exec_lo, s0
	s_cbranch_execnz .LBB33_474
.LBB33_428:
	s_or_b32 exec_lo, exec_lo, s0
	s_delay_alu instid0(SALU_CYCLE_1)
	s_and_b32 s8, s11, exec_lo
.LBB33_429:
	s_and_not1_saveexec_b32 s0, s15
	s_cbranch_execnz .LBB33_476
.LBB33_430:
	s_or_b32 exec_lo, exec_lo, s0
	s_delay_alu instid0(SALU_CYCLE_1)
	s_and_b32 s8, s8, exec_lo
.LBB33_431:
	s_and_not1_saveexec_b32 s0, s14
	s_cbranch_execnz .LBB33_475
.LBB33_432:
	s_or_b32 exec_lo, exec_lo, s0
	s_delay_alu instid0(SALU_CYCLE_1)
	s_and_b32 s8, s8, exec_lo
.LBB33_433:
	s_and_not1_saveexec_b32 s0, s13
	s_cbranch_execnz .LBB33_470
.LBB33_434:
	s_or_b32 exec_lo, exec_lo, s0
	s_delay_alu instid0(SALU_CYCLE_1)
	s_and_b32 s8, s8, exec_lo
	s_and_not1_saveexec_b32 s0, s12
	s_cbranch_execz .LBB33_413
.LBB33_435:
	s_or_b32 s8, s8, exec_lo
	s_trap 2
	s_or_b32 exec_lo, exec_lo, s0
	s_and_saveexec_b32 s0, s8
	s_cbranch_execnz .LBB33_414
	s_branch .LBB33_415
.LBB33_436:
	v_dual_mov_b32 v3, 0 :: v_dual_add_nc_u32 v2, s41, v0
	v_xor_b32_e32 v5, 0x80000000, v17
	s_mov_b32 s18, 0
                                        ; implicit-def: $sgpr19
                                        ; implicit-def: $vgpr12
	s_delay_alu instid0(VALU_DEP_2)
	v_mul_lo_u32 v4, s58, v2
	v_mov_b32_e32 v2, v0
	s_branch .LBB33_438
.LBB33_437:                             ;   in Loop: Header=BB33_438 Depth=1
	s_or_b32 exec_lo, exec_lo, s21
	s_xor_b32 s0, s20, -1
	s_and_b32 s1, exec_lo, s1
	v_dual_mov_b32 v1, v13 :: v_dual_mov_b32 v2, v9
	s_or_b32 s18, s1, s18
	s_and_not1_b32 s1, s19, exec_lo
	s_and_b32 s0, s0, exec_lo
	s_delay_alu instid0(SALU_CYCLE_1)
	s_or_b32 s19, s1, s0
	s_and_not1_b32 exec_lo, exec_lo, s18
	s_cbranch_execz .LBB33_450
.LBB33_438:                             ; =>This Inner Loop Header: Depth=1
	s_delay_alu instid0(VALU_DEP_1) | instskip(SKIP_1) | instid1(VALU_DEP_1)
	v_dual_add_nc_u32 v9, s41, v2 :: v_dual_mov_b32 v13, 0
	s_mov_b32 s1, exec_lo
	v_cmpx_gt_u32_e64 s36, v9
	s_cbranch_execz .LBB33_440
; %bb.439:                              ;   in Loop: Header=BB33_438 Depth=1
	v_readfirstlane_b32 s20, v6
	v_readfirstlane_b32 s21, v7
	global_load_b32 v13, v4, s[20:21] scale_offset
.LBB33_440:                             ;   in Loop: Header=BB33_438 Depth=1
	s_wait_xcnt 0x0
	s_or_b32 exec_lo, exec_lo, s1
	s_wait_loadcnt 0x0
	v_xor_b32_e32 v14, 0x80000000, v1
	s_delay_alu instid0(VALU_DEP_1) | instskip(NEXT) | instid1(VALU_DEP_1)
	v_cmp_gt_u32_e64 s0, v14, v5
	v_cndmask_b32_e64 v15, 0, 1, s0
	v_cmp_lt_u32_e64 s0, v14, v5
	s_delay_alu instid0(VALU_DEP_1) | instskip(SKIP_1) | instid1(VALU_DEP_2)
	v_cndmask_b32_e64 v14, 0, 1, s0
	v_cmp_gt_u32_e64 s0, s36, v2
	v_cndmask_b32_e64 v14, v14, v15, s4
	s_delay_alu instid0(VALU_DEP_1) | instskip(NEXT) | instid1(VALU_DEP_1)
	v_and_b32_e32 v14, 1, v14
	v_cmp_eq_u32_e64 s1, 1, v14
	s_and_b32 s20, s0, s1
	s_delay_alu instid0(SALU_CYCLE_1) | instskip(NEXT) | instid1(VALU_DEP_1)
	v_cndmask_b32_e64 v14, 0, 1, s20
	v_cmp_ne_u32_e64 s0, 0, v14
	s_cmp_lg_u32 s0, 0
	s_cselect_b32 s1, -1, 0
	s_delay_alu instid0(SALU_CYCLE_1) | instskip(NEXT) | instid1(SALU_CYCLE_1)
	s_and_b32 s1, s2, s1
	s_and_saveexec_b32 s21, s1
	s_cbranch_execz .LBB33_444
; %bb.441:                              ;   in Loop: Header=BB33_438 Depth=1
	s_mov_b32 s24, exec_lo
	s_bcnt1_i32_b32 s22, s0
	s_wait_dscnt 0x0
	v_mbcnt_lo_u32_b32 v12, s24, 0
	s_mov_b32 s23, exec_lo
                                        ; implicit-def: $vgpr14
	s_delay_alu instid0(VALU_DEP_1)
	v_cmpx_eq_u32_e32 0, v12
; %bb.442:                              ;   in Loop: Header=BB33_438 Depth=1
	s_bcnt1_i32_b32 s1, s24
	s_delay_alu instid0(SALU_CYCLE_1) | instskip(NEXT) | instid1(SALU_CYCLE_1)
	s_mul_i32 s1, s22, s1
	v_mov_b32_e32 v14, s1
	ds_add_rtn_u32 v14, v3, v14 offset:4108
; %bb.443:                              ;   in Loop: Header=BB33_438 Depth=1
	s_or_b32 exec_lo, exec_lo, s23
	s_wait_dscnt 0x0
	v_readfirstlane_b32 s1, v14
	s_delay_alu instid0(VALU_DEP_1)
	v_mad_u32_u24 v12, s22, v12, s1
.LBB33_444:                             ;   in Loop: Header=BB33_438 Depth=1
	s_or_b32 exec_lo, exec_lo, s21
	s_wait_dscnt 0x0
	ds_bpermute_b32 v12, v3, v12
	s_mov_b32 s1, -1
	s_mov_b32 s22, -1
	s_and_saveexec_b32 s21, s20
	s_cbranch_execz .LBB33_448
; %bb.445:                              ;   in Loop: Header=BB33_438 Depth=1
	v_and_b32_e32 v14, s0, v8
	s_mov_b32 s20, 0
	s_mov_b32 s22, exec_lo
	s_wait_dscnt 0x0
	s_delay_alu instid0(VALU_DEP_1) | instskip(NEXT) | instid1(VALU_DEP_1)
	v_bcnt_u32_b32 v14, v14, v12
	v_cmpx_gt_u32_e64 s37, v14
	s_cbranch_execz .LBB33_447
; %bb.446:                              ;   in Loop: Header=BB33_438 Depth=1
	s_wait_kmcnt 0x0
	v_mul_lo_u32 v15, v14, s16
	v_mul_lo_u32 v14, v14, s17
	s_mov_b32 s20, exec_lo
	global_store_b32 v15, v1, s[6:7] scale_offset
	global_store_b64 v14, v[2:3], s[8:9] scale_offset
.LBB33_447:                             ;   in Loop: Header=BB33_438 Depth=1
	s_wait_xcnt 0x0
	s_or_b32 exec_lo, exec_lo, s22
	s_delay_alu instid0(SALU_CYCLE_1)
	s_or_not1_b32 s22, s20, exec_lo
.LBB33_448:                             ;   in Loop: Header=BB33_438 Depth=1
	s_or_b32 exec_lo, exec_lo, s21
	s_mov_b32 s20, -1
	s_and_saveexec_b32 s21, s22
	s_cbranch_execz .LBB33_437
; %bb.449:                              ;   in Loop: Header=BB33_438 Depth=1
	v_cmp_le_u32_e64 s0, s5, v9
	v_add_nc_u32_e32 v4, s50, v4
	s_xor_b32 s20, exec_lo, -1
	s_or_not1_b32 s1, s0, exec_lo
	s_branch .LBB33_437
.LBB33_450:
	s_or_b32 exec_lo, exec_lo, s18
	s_delay_alu instid0(SALU_CYCLE_1)
	s_mov_b32 s1, exec_lo
	s_or_not1_b32 s0, s19, exec_lo
	s_or_b32 exec_lo, exec_lo, s10
	s_and_saveexec_b32 s4, s0
	s_cbranch_execz .LBB33_427
.LBB33_451:
	v_mov_b32_e32 v9, 0
	s_wait_storecnt 0x0
	s_wait_loadcnt_dscnt 0x0
	s_barrier_signal -1
	s_barrier_wait -1
	s_and_saveexec_b32 s0, s3
	s_cbranch_execz .LBB33_453
; %bb.452:
	global_load_b32 v9, v[10:11], off
.LBB33_453:
	s_wait_xcnt 0x0
	s_or_b32 exec_lo, exec_lo, s0
	s_mov_b32 s0, 0
	s_and_saveexec_b32 s3, vcc_lo
	s_cbranch_execz .LBB33_473
; %bb.454:
	v_add_nc_u32_e32 v1, s41, v0
	s_mov_b32 s10, 0
                                        ; implicit-def: $sgpr11
                                        ; implicit-def: $vgpr5
	s_delay_alu instid0(VALU_DEP_1)
	v_mul_lo_u32 v2, s58, v1
	v_mov_b32_e32 v1, 0
	s_branch .LBB33_457
.LBB33_455:                             ;   in Loop: Header=BB33_457 Depth=1
	s_or_b32 exec_lo, exec_lo, s20
	s_delay_alu instid0(SALU_CYCLE_1)
	s_or_not1_b32 s20, s18, exec_lo
	s_or_not1_b32 s19, s19, exec_lo
.LBB33_456:                             ;   in Loop: Header=BB33_457 Depth=1
	s_or_b32 exec_lo, exec_lo, s0
	s_xor_b32 s0, s20, -1
	s_and_b32 s18, exec_lo, s19
	v_dual_mov_b32 v0, v3 :: v_dual_mov_b32 v9, v4
	s_or_b32 s10, s18, s10
	s_and_not1_b32 s11, s11, exec_lo
	s_and_b32 s0, s0, exec_lo
	s_delay_alu instid0(SALU_CYCLE_1)
	s_or_b32 s11, s11, s0
	s_and_not1_b32 exec_lo, exec_lo, s10
	s_cbranch_execz .LBB33_471
.LBB33_457:                             ; =>This Inner Loop Header: Depth=1
	v_dual_mov_b32 v4, 0 :: v_dual_add_nc_u32 v3, s41, v0
	s_mov_b32 s0, exec_lo
	s_delay_alu instid0(VALU_DEP_1)
	v_cmpx_gt_u32_e64 s36, v3
	s_cbranch_execz .LBB33_459
; %bb.458:                              ;   in Loop: Header=BB33_457 Depth=1
	v_readfirstlane_b32 s18, v6
	v_readfirstlane_b32 s19, v7
	global_load_b32 v4, v2, s[18:19] scale_offset
.LBB33_459:                             ;   in Loop: Header=BB33_457 Depth=1
	s_wait_xcnt 0x0
	s_or_b32 exec_lo, exec_lo, s0
	v_cmp_gt_u32_e32 vcc_lo, s36, v0
	s_wait_loadcnt 0x0
	v_cmp_eq_u32_e64 s0, v9, v17
	s_and_b32 s18, vcc_lo, s0
	s_delay_alu instid0(SALU_CYCLE_1) | instskip(NEXT) | instid1(VALU_DEP_1)
	v_cndmask_b32_e64 v9, 0, 1, s18
	v_cmp_ne_u32_e32 vcc_lo, 0, v9
	s_cmp_lg_u32 vcc_lo, 0
	s_cselect_b32 s0, -1, 0
	s_delay_alu instid0(SALU_CYCLE_1) | instskip(NEXT) | instid1(SALU_CYCLE_1)
	s_and_b32 s0, s2, s0
	s_and_saveexec_b32 s19, s0
	s_cbranch_execz .LBB33_463
; %bb.460:                              ;   in Loop: Header=BB33_457 Depth=1
	s_mov_b32 s22, exec_lo
	s_bcnt1_i32_b32 s20, vcc_lo
	v_mbcnt_lo_u32_b32 v5, s22, 0
	s_mov_b32 s21, exec_lo
                                        ; implicit-def: $vgpr9
	s_delay_alu instid0(VALU_DEP_1)
	v_cmpx_eq_u32_e32 0, v5
; %bb.461:                              ;   in Loop: Header=BB33_457 Depth=1
	s_bcnt1_i32_b32 s0, s22
	s_delay_alu instid0(SALU_CYCLE_1) | instskip(NEXT) | instid1(SALU_CYCLE_1)
	s_mul_i32 s0, s20, s0
	v_mov_b32_e32 v9, s0
	ds_add_rtn_u32 v9, v1, v9 offset:4108
; %bb.462:                              ;   in Loop: Header=BB33_457 Depth=1
	s_or_b32 exec_lo, exec_lo, s21
	s_wait_dscnt 0x0
	v_readfirstlane_b32 s0, v9
	s_delay_alu instid0(VALU_DEP_1)
	v_mad_u32_u24 v5, s20, v5, s0
.LBB33_463:                             ;   in Loop: Header=BB33_457 Depth=1
	s_or_b32 exec_lo, exec_lo, s19
	ds_bpermute_b32 v5, v1, v5
	s_cmp_eq_u32 vcc_lo, 0
	s_mov_b32 s19, -1
	s_cselect_b32 s20, -1, 0
	s_wait_dscnt 0x0
	v_cmp_gt_u32_e64 s0, s37, v5
	s_or_b32 s21, s20, s0
	s_mov_b32 s20, -1
	s_and_saveexec_b32 s0, s21
	s_cbranch_execz .LBB33_456
; %bb.464:                              ;   in Loop: Header=BB33_457 Depth=1
	v_dual_sub_nc_u32 v10, s37, v5 :: v_dual_bitop2_b32 v9, vcc_lo, v8 bitop3:0x40
	s_mov_b32 s21, -1
	s_delay_alu instid0(VALU_DEP_1) | instskip(NEXT) | instid1(VALU_DEP_1)
	v_bcnt_u32_b32 v9, v9, 0
	v_bcnt_u32_b32 v9, 0, v9
	s_delay_alu instid0(VALU_DEP_1)
	v_cmp_gt_u32_e32 vcc_lo, v10, v9
	s_and_b32 s22, s18, vcc_lo
	s_mov_b32 s18, -1
	s_and_saveexec_b32 s20, s22
	s_cbranch_execz .LBB33_468
; %bb.465:                              ;   in Loop: Header=BB33_457 Depth=1
	v_add_nc_u32_e32 v9, v5, v9
	s_mov_b32 s21, 0
	s_mov_b32 s18, exec_lo
	s_delay_alu instid0(VALU_DEP_1)
	v_cmpx_gt_u32_e64 s37, v9
	s_cbranch_execz .LBB33_467
; %bb.466:                              ;   in Loop: Header=BB33_457 Depth=1
	s_wait_kmcnt 0x0
	v_mul_lo_u32 v10, v9, s16
	v_mul_lo_u32 v9, v9, s17
	s_mov_b32 s21, exec_lo
	global_store_b32 v10, v17, s[6:7] scale_offset
	global_store_b64 v9, v[0:1], s[8:9] scale_offset
.LBB33_467:                             ;   in Loop: Header=BB33_457 Depth=1
	s_wait_xcnt 0x0
	s_or_b32 exec_lo, exec_lo, s18
	s_delay_alu instid0(SALU_CYCLE_1)
	s_xor_b32 s18, exec_lo, -1
	s_or_not1_b32 s21, s21, exec_lo
.LBB33_468:                             ;   in Loop: Header=BB33_457 Depth=1
	s_or_b32 exec_lo, exec_lo, s20
	s_and_saveexec_b32 s20, s21
	s_cbranch_execz .LBB33_455
; %bb.469:                              ;   in Loop: Header=BB33_457 Depth=1
	v_cmp_le_u32_e32 vcc_lo, s5, v3
	v_add_nc_u32_e32 v2, s50, v2
	s_or_b32 s18, s18, exec_lo
	s_or_not1_b32 s19, vcc_lo, exec_lo
	s_branch .LBB33_455
.LBB33_470:
	s_or_b32 s8, s8, exec_lo
	s_trap 2
	s_branch .LBB33_434
.LBB33_471:
	s_or_b32 exec_lo, exec_lo, s10
	s_mov_b32 s0, 0
	s_and_saveexec_b32 s2, s11
	s_delay_alu instid0(SALU_CYCLE_1)
	s_xor_b32 s2, exec_lo, s2
	s_cbranch_execnz .LBB33_477
.LBB33_472:
	s_or_b32 exec_lo, exec_lo, s2
	s_delay_alu instid0(SALU_CYCLE_1)
	s_and_b32 s0, s0, exec_lo
.LBB33_473:
	s_or_b32 exec_lo, exec_lo, s3
	s_delay_alu instid0(SALU_CYCLE_1) | instskip(SKIP_3) | instid1(SALU_CYCLE_1)
	s_and_b32 s11, s0, exec_lo
	s_and_not1_b32 s1, s1, exec_lo
	s_or_b32 exec_lo, exec_lo, s4
	s_and_saveexec_b32 s0, s1
	s_xor_b32 s0, exec_lo, s0
	s_cbranch_execz .LBB33_428
.LBB33_474:
	s_or_b32 s11, s11, exec_lo
	s_trap 2
	s_branch .LBB33_428
.LBB33_475:
	s_or_b32 s8, s8, exec_lo
	s_trap 2
	s_branch .LBB33_432
.LBB33_476:
	s_or_b32 s8, s8, exec_lo
	s_trap 2
	s_branch .LBB33_430
.LBB33_477:
	s_mov_b32 s0, exec_lo
	s_trap 2
	s_branch .LBB33_472
	.section	.rodata,"a",@progbits
	.p2align	6, 0x0
	.amdhsa_kernel _ZN2at6native6sbtopk10gatherTopKIijLi2ELb0EEEvNS_4cuda6detail10TensorInfoIKT_T0_EES8_S8_bS8_S8_NS5_IS6_S8_EES8_NS5_IlS8_EES8_PS6_
		.amdhsa_group_segment_fixed_size 4112
		.amdhsa_private_segment_fixed_size 0
		.amdhsa_kernarg_size 952
		.amdhsa_user_sgpr_count 2
		.amdhsa_user_sgpr_dispatch_ptr 0
		.amdhsa_user_sgpr_queue_ptr 0
		.amdhsa_user_sgpr_kernarg_segment_ptr 1
		.amdhsa_user_sgpr_dispatch_id 0
		.amdhsa_user_sgpr_kernarg_preload_length 0
		.amdhsa_user_sgpr_kernarg_preload_offset 0
		.amdhsa_user_sgpr_private_segment_size 0
		.amdhsa_wavefront_size32 1
		.amdhsa_uses_dynamic_stack 0
		.amdhsa_enable_private_segment 0
		.amdhsa_system_sgpr_workgroup_id_x 1
		.amdhsa_system_sgpr_workgroup_id_y 1
		.amdhsa_system_sgpr_workgroup_id_z 1
		.amdhsa_system_sgpr_workgroup_info 0
		.amdhsa_system_vgpr_workitem_id 0
		.amdhsa_next_free_vgpr 64
		.amdhsa_next_free_sgpr 105
		.amdhsa_named_barrier_count 0
		.amdhsa_reserve_vcc 1
		.amdhsa_float_round_mode_32 0
		.amdhsa_float_round_mode_16_64 0
		.amdhsa_float_denorm_mode_32 3
		.amdhsa_float_denorm_mode_16_64 3
		.amdhsa_fp16_overflow 0
		.amdhsa_memory_ordered 1
		.amdhsa_forward_progress 1
		.amdhsa_inst_pref_size 127
		.amdhsa_round_robin_scheduling 0
		.amdhsa_exception_fp_ieee_invalid_op 0
		.amdhsa_exception_fp_denorm_src 0
		.amdhsa_exception_fp_ieee_div_zero 0
		.amdhsa_exception_fp_ieee_overflow 0
		.amdhsa_exception_fp_ieee_underflow 0
		.amdhsa_exception_fp_ieee_inexact 0
		.amdhsa_exception_int_div_zero 0
	.end_amdhsa_kernel
	.section	.text._ZN2at6native6sbtopk10gatherTopKIijLi2ELb0EEEvNS_4cuda6detail10TensorInfoIKT_T0_EES8_S8_bS8_S8_NS5_IS6_S8_EES8_NS5_IlS8_EES8_PS6_,"axG",@progbits,_ZN2at6native6sbtopk10gatherTopKIijLi2ELb0EEEvNS_4cuda6detail10TensorInfoIKT_T0_EES8_S8_bS8_S8_NS5_IS6_S8_EES8_NS5_IlS8_EES8_PS6_,comdat
.Lfunc_end33:
	.size	_ZN2at6native6sbtopk10gatherTopKIijLi2ELb0EEEvNS_4cuda6detail10TensorInfoIKT_T0_EES8_S8_bS8_S8_NS5_IS6_S8_EES8_NS5_IlS8_EES8_PS6_, .Lfunc_end33-_ZN2at6native6sbtopk10gatherTopKIijLi2ELb0EEEvNS_4cuda6detail10TensorInfoIKT_T0_EES8_S8_bS8_S8_NS5_IS6_S8_EES8_NS5_IlS8_EES8_PS6_
                                        ; -- End function
	.set _ZN2at6native6sbtopk10gatherTopKIijLi2ELb0EEEvNS_4cuda6detail10TensorInfoIKT_T0_EES8_S8_bS8_S8_NS5_IS6_S8_EES8_NS5_IlS8_EES8_PS6_.num_vgpr, 64
	.set _ZN2at6native6sbtopk10gatherTopKIijLi2ELb0EEEvNS_4cuda6detail10TensorInfoIKT_T0_EES8_S8_bS8_S8_NS5_IS6_S8_EES8_NS5_IlS8_EES8_PS6_.num_agpr, 0
	.set _ZN2at6native6sbtopk10gatherTopKIijLi2ELb0EEEvNS_4cuda6detail10TensorInfoIKT_T0_EES8_S8_bS8_S8_NS5_IS6_S8_EES8_NS5_IlS8_EES8_PS6_.numbered_sgpr, 105
	.set _ZN2at6native6sbtopk10gatherTopKIijLi2ELb0EEEvNS_4cuda6detail10TensorInfoIKT_T0_EES8_S8_bS8_S8_NS5_IS6_S8_EES8_NS5_IlS8_EES8_PS6_.num_named_barrier, 0
	.set _ZN2at6native6sbtopk10gatherTopKIijLi2ELb0EEEvNS_4cuda6detail10TensorInfoIKT_T0_EES8_S8_bS8_S8_NS5_IS6_S8_EES8_NS5_IlS8_EES8_PS6_.private_seg_size, 0
	.set _ZN2at6native6sbtopk10gatherTopKIijLi2ELb0EEEvNS_4cuda6detail10TensorInfoIKT_T0_EES8_S8_bS8_S8_NS5_IS6_S8_EES8_NS5_IlS8_EES8_PS6_.uses_vcc, 1
	.set _ZN2at6native6sbtopk10gatherTopKIijLi2ELb0EEEvNS_4cuda6detail10TensorInfoIKT_T0_EES8_S8_bS8_S8_NS5_IS6_S8_EES8_NS5_IlS8_EES8_PS6_.uses_flat_scratch, 0
	.set _ZN2at6native6sbtopk10gatherTopKIijLi2ELb0EEEvNS_4cuda6detail10TensorInfoIKT_T0_EES8_S8_bS8_S8_NS5_IS6_S8_EES8_NS5_IlS8_EES8_PS6_.has_dyn_sized_stack, 0
	.set _ZN2at6native6sbtopk10gatherTopKIijLi2ELb0EEEvNS_4cuda6detail10TensorInfoIKT_T0_EES8_S8_bS8_S8_NS5_IS6_S8_EES8_NS5_IlS8_EES8_PS6_.has_recursion, 0
	.set _ZN2at6native6sbtopk10gatherTopKIijLi2ELb0EEEvNS_4cuda6detail10TensorInfoIKT_T0_EES8_S8_bS8_S8_NS5_IS6_S8_EES8_NS5_IlS8_EES8_PS6_.has_indirect_call, 0
	.section	.AMDGPU.csdata,"",@progbits
; Kernel info:
; codeLenInByte = 16164
; TotalNumSgprs: 107
; NumVgprs: 64
; ScratchSize: 0
; MemoryBound: 0
; FloatMode: 240
; IeeeMode: 1
; LDSByteSize: 4112 bytes/workgroup (compile time only)
; SGPRBlocks: 0
; VGPRBlocks: 3
; NumSGPRsForWavesPerEU: 107
; NumVGPRsForWavesPerEU: 64
; NamedBarCnt: 0
; Occupancy: 16
; WaveLimiterHint : 1
; COMPUTE_PGM_RSRC2:SCRATCH_EN: 0
; COMPUTE_PGM_RSRC2:USER_SGPR: 2
; COMPUTE_PGM_RSRC2:TRAP_HANDLER: 0
; COMPUTE_PGM_RSRC2:TGID_X_EN: 1
; COMPUTE_PGM_RSRC2:TGID_Y_EN: 1
; COMPUTE_PGM_RSRC2:TGID_Z_EN: 1
; COMPUTE_PGM_RSRC2:TIDIG_COMP_CNT: 0
	.section	.text._ZN2at6native6mbtopk23computeBlockDigitCountsIijjLi3EEEvNS_4cuda6detail10TensorInfoIKT_T0_EEjPjjS8_iijT1_PSB_Ps,"axG",@progbits,_ZN2at6native6mbtopk23computeBlockDigitCountsIijjLi3EEEvNS_4cuda6detail10TensorInfoIKT_T0_EEjPjjS8_iijT1_PSB_Ps,comdat
	.protected	_ZN2at6native6mbtopk23computeBlockDigitCountsIijjLi3EEEvNS_4cuda6detail10TensorInfoIKT_T0_EEjPjjS8_iijT1_PSB_Ps ; -- Begin function _ZN2at6native6mbtopk23computeBlockDigitCountsIijjLi3EEEvNS_4cuda6detail10TensorInfoIKT_T0_EEjPjjS8_iijT1_PSB_Ps
	.globl	_ZN2at6native6mbtopk23computeBlockDigitCountsIijjLi3EEEvNS_4cuda6detail10TensorInfoIKT_T0_EEjPjjS8_iijT1_PSB_Ps
	.p2align	8
	.type	_ZN2at6native6mbtopk23computeBlockDigitCountsIijjLi3EEEvNS_4cuda6detail10TensorInfoIKT_T0_EEjPjjS8_iijT1_PSB_Ps,@function
_ZN2at6native6mbtopk23computeBlockDigitCountsIijjLi3EEEvNS_4cuda6detail10TensorInfoIKT_T0_EEjPjjS8_iijT1_PSB_Ps: ; @_ZN2at6native6mbtopk23computeBlockDigitCountsIijjLi3EEEvNS_4cuda6detail10TensorInfoIKT_T0_EEjPjjS8_iijT1_PSB_Ps
; %bb.0:
	s_load_b64 s[2:3], s[0:1], 0xf8
	s_bfe_u32 s4, ttmp6, 0x40010
	s_and_b32 s10, ttmp7, 0xffff
	s_add_co_i32 s4, s4, 1
	s_bfe_u32 s5, ttmp6, 0x40004
	s_mul_i32 s4, s10, s4
	s_load_b64 s[8:9], s[0:1], 0x110
	s_add_co_i32 s11, s5, s4
	s_bfe_u32 s6, ttmp6, 0x4000c
	s_bfe_u32 s7, ttmp6, 0x40014
	s_add_co_i32 s6, s6, 1
	s_and_b32 s5, ttmp6, 15
	s_mul_i32 s6, ttmp9, s6
	s_add_co_i32 s7, s7, 1
	s_add_co_i32 s12, s5, s6
	s_bfe_u32 s6, ttmp6, 0x40008
	s_mov_b32 s15, 0
	s_wait_kmcnt 0x0
	s_cvt_f32_u32 s4, s2
	s_delay_alu instid0(SALU_CYCLE_3) | instskip(SKIP_1) | instid1(SALU_CYCLE_1)
	v_rcp_iflag_f32_e32 v1, s4
	s_lshr_b32 s4, ttmp7, 16
	s_mul_i32 s5, s4, s7
	s_getreg_b32 s7, hwreg(HW_REG_IB_STS2, 6, 4)
	s_add_co_i32 s6, s6, s5
	s_cmp_eq_u32 s7, 0
	v_nop
	v_readfirstlane_b32 s13, v1
	s_cselect_b32 s14, s4, s6
	s_load_b128 s[4:7], s[0:1], 0xe8
	s_mul_i32 s9, s9, s14
	s_cselect_b32 s12, ttmp9, s12
	s_mul_f32 s13, s13, 0x4f7ffffe
	s_cselect_b32 s10, s10, s11
	s_sub_co_i32 s11, 0, s2
	s_add_co_i32 s9, s9, s10
	s_cvt_u32_f32 s13, s13
	s_mul_i32 s18, s9, s8
	s_delay_alu instid0(SALU_CYCLE_1) | instskip(NEXT) | instid1(SALU_CYCLE_1)
	s_add_co_i32 s18, s18, s12
	s_mul_i32 s11, s11, s13
	s_delay_alu instid0(SALU_CYCLE_1) | instskip(NEXT) | instid1(SALU_CYCLE_1)
	s_mul_hi_u32 s8, s13, s11
	s_add_co_i32 s13, s13, s8
	s_delay_alu instid0(SALU_CYCLE_1) | instskip(NEXT) | instid1(SALU_CYCLE_1)
	s_mul_hi_u32 s8, s18, s13
	s_mul_i32 s9, s8, s2
	s_add_co_i32 s10, s8, 1
	s_sub_co_i32 s9, s18, s9
	s_delay_alu instid0(SALU_CYCLE_1)
	s_sub_co_i32 s11, s9, s2
	s_cmp_ge_u32 s9, s2
	s_cselect_b32 s8, s10, s8
	s_cselect_b32 s9, s11, s9
	s_add_co_i32 s10, s8, 1
	s_cmp_ge_u32 s9, s2
	s_cselect_b32 s20, s10, s8
	s_wait_kmcnt 0x0
	s_cmp_ge_u32 s20, s4
	s_cbranch_scc1 .LBB34_27
; %bb.1:
	s_load_b64 s[16:17], s[0:1], 0xc
	v_cmp_gt_u32_e32 vcc_lo, 0x100, v0
	s_wait_kmcnt 0x0
	s_cvt_f32_u32 s4, s17
	s_sub_co_i32 s8, 0, s17
	s_cvt_f32_u32 s9, s16
	s_delay_alu instid0(SALU_CYCLE_1) | instskip(SKIP_1) | instid1(TRANS32_DEP_1)
	v_rcp_iflag_f32_e32 v1, s4
	v_nop
	v_readfirstlane_b32 s4, v1
	v_rcp_iflag_f32_e32 v1, s9
	s_mul_f32 s4, s4, 0x4f7ffffe
	v_nop
	s_delay_alu instid0(TRANS32_DEP_1) | instskip(NEXT) | instid1(SALU_CYCLE_1)
	v_readfirstlane_b32 s21, v1
	s_cvt_u32_f32 s4, s4
	v_lshlrev_b32_e32 v1, 2, v0
	s_delay_alu instid0(SALU_CYCLE_2) | instskip(NEXT) | instid1(SALU_CYCLE_1)
	s_mul_i32 s8, s8, s4
	s_mul_hi_u32 s8, s4, s8
	s_delay_alu instid0(SALU_CYCLE_1) | instskip(NEXT) | instid1(SALU_CYCLE_1)
	s_add_co_i32 s4, s4, s8
	s_mul_hi_u32 s4, s20, s4
	s_delay_alu instid0(SALU_CYCLE_1) | instskip(SKIP_2) | instid1(SALU_CYCLE_1)
	s_mul_i32 s8, s4, s17
	s_add_co_i32 s9, s4, 1
	s_sub_co_i32 s8, s20, s8
	s_sub_co_i32 s10, s8, s17
	s_cmp_ge_u32 s8, s17
	s_cselect_b32 s4, s9, s4
	s_cselect_b32 s8, s10, s8
	s_add_co_i32 s9, s4, 1
	s_cmp_ge_u32 s8, s17
	s_cselect_b32 s14, s9, s4
	s_and_saveexec_b32 s4, vcc_lo
; %bb.2:
	v_mov_b32_e32 v2, 0
	ds_store_b32 v1, v2
; %bb.3:
	s_or_b32 exec_lo, exec_lo, s4
	s_clause 0x1
	s_load_b32 s4, s[0:1], 0xd8
	s_load_b128 s[8:11], s[0:1], 0x100
	s_mul_i32 s12, s20, s2
	s_mov_b32 s13, 0
	s_sub_co_i32 s24, s18, s12
	s_wait_dscnt 0x0
	s_mul_i32 s12, s7, s24
	s_add_co_i32 s24, s24, 1
	s_lshl_b32 s19, s12, 8
	s_barrier_signal -1
	s_barrier_wait -1
	s_wait_kmcnt 0x0
	s_sub_co_i32 s12, s4, s19
	s_delay_alu instid0(SALU_CYCLE_1) | instskip(NEXT) | instid1(SALU_CYCLE_1)
	s_add_nc_u64 s[22:23], s[12:13], 0xff
	s_lshr_b64 s[22:23], s[22:23], 8
	s_cmp_lt_u32 s24, s2
	s_cselect_b32 s2, s7, s22
	s_delay_alu instid0(SALU_CYCLE_1)
	s_cmp_lt_i32 s2, 1
	s_cbranch_scc1 .LBB34_25
; %bb.4:
	s_mul_f32 s7, s21, 0x4f7ffffe
	s_sub_co_i32 s12, 0, s16
	s_mov_b32 s23, s15
	s_clause 0x1
	s_load_b96 s[24:26], s[0:1], 0x6c
	s_load_b64 s[28:29], s[0:1], 0x0
	s_cvt_u32_f32 s7, s7
	s_wait_xcnt 0x0
	s_mul_i32 s0, s14, s17
	s_delay_alu instid0(SALU_CYCLE_1) | instskip(SKIP_1) | instid1(SALU_CYCLE_1)
	s_sub_co_i32 s0, s20, s0
	s_mul_i32 s12, s12, s7
	s_mul_hi_u32 s12, s7, s12
	s_delay_alu instid0(SALU_CYCLE_1) | instskip(NEXT) | instid1(SALU_CYCLE_1)
	s_add_co_i32 s22, s7, s12
	s_mul_u64 s[22:23], s[14:15], s[22:23]
	s_delay_alu instid0(SALU_CYCLE_1)
	s_mul_i32 s1, s23, s16
	s_add_co_i32 s12, s23, 1
	s_sub_co_i32 s7, s14, s1
	s_load_b32 s1, s[8:9], s20 offset:0x0 scale_offset
	s_sub_co_i32 s15, s7, s16
	s_cmp_ge_u32 s7, s16
	s_wait_kmcnt 0x0
	s_mul_i32 s0, s0, s26
	s_cselect_b32 s8, s12, s23
	s_cselect_b32 s7, s15, s7
	s_add_co_i32 s9, s8, 1
	s_cmp_ge_u32 s7, s16
	s_cselect_b32 s7, s9, s8
	s_delay_alu instid0(SALU_CYCLE_1) | instskip(SKIP_2) | instid1(SALU_CYCLE_1)
	s_mul_i32 s8, s7, s16
	s_mul_i32 s7, s7, s24
	s_sub_co_i32 s8, s14, s8
	s_mul_i32 s8, s8, s25
	s_delay_alu instid0(SALU_CYCLE_1) | instskip(SKIP_2) | instid1(SALU_CYCLE_1)
	s_add_co_i32 s0, s8, s0
	s_and_b32 s8, s6, 0xff
	s_add_co_i32 s12, s0, s7
	s_lshl_b64 s[14:15], s[12:13], 2
	s_cmp_lt_u32 s2, 4
	s_add_nc_u64 s[6:7], s[28:29], s[14:15]
	s_cbranch_scc1 .LBB34_19
; %bb.5:
	v_dual_mov_b32 v7, 1 :: v_dual_add_nc_u32 v6, s19, v0
	s_and_b32 s13, s2, 0x7ffffffc
	s_lshl_b32 s9, s5, 10
	s_mov_b32 s12, 0
	s_delay_alu instid0(VALU_DEP_1)
	v_add_nc_u32_e32 v2, 0x300, v6
	v_add_nc_u32_e32 v4, 0x200, v6
	;; [unrolled: 1-line block ×3, first 2 shown]
	v_mul_lo_u32 v6, s5, v6
	s_mov_b32 s14, 0
	v_mul_lo_u32 v3, s5, v2
	v_mul_lo_u32 v4, s5, v4
	;; [unrolled: 1-line block ×3, first 2 shown]
	s_branch .LBB34_7
.LBB34_6:                               ;   in Loop: Header=BB34_7 Depth=1
	s_or_b32 exec_lo, exec_lo, s15
	v_add_nc_u32_e32 v2, 0x400, v2
	s_add_co_i32 s14, s14, 4
	s_add_co_i32 s12, s12, s9
	s_cmp_eq_u32 s13, s14
	s_cbranch_scc1 .LBB34_19
.LBB34_7:                               ; =>This Inner Loop Header: Depth=1
	v_add_nc_u32_e32 v8, 0xfffffd00, v2
	s_mov_b32 s15, exec_lo
	s_delay_alu instid0(VALU_DEP_1)
	v_cmpx_gt_u32_e64 s4, v8
	s_cbranch_execz .LBB34_10
; %bb.8:                                ;   in Loop: Header=BB34_7 Depth=1
	v_add_nc_u32_e32 v8, s12, v6
	global_load_b32 v8, v8, s[6:7] scale_offset
	s_wait_loadcnt 0x0
	s_wait_xcnt 0x0
	v_xor_b32_e32 v8, 0x80000000, v8
	s_delay_alu instid0(VALU_DEP_1) | instskip(NEXT) | instid1(VALU_DEP_1)
	v_bitop3_b32 v9, v8, s3, s1 bitop3:0x48
	v_cmp_eq_u32_e64 s0, 0, v9
	s_and_b32 exec_lo, exec_lo, s0
; %bb.9:                                ;   in Loop: Header=BB34_7 Depth=1
	v_bfe_u32 v8, v8, s8, 8
	s_delay_alu instid0(VALU_DEP_1)
	v_lshlrev_b32_e32 v8, 2, v8
	ds_add_u32 v8, v7
.LBB34_10:                              ;   in Loop: Header=BB34_7 Depth=1
	s_or_b32 exec_lo, exec_lo, s15
	v_add_nc_u32_e32 v8, 0xfffffe00, v2
	s_mov_b32 s15, exec_lo
	s_delay_alu instid0(VALU_DEP_1)
	v_cmpx_gt_u32_e64 s4, v8
	s_cbranch_execz .LBB34_13
; %bb.11:                               ;   in Loop: Header=BB34_7 Depth=1
	v_add_nc_u32_e32 v8, s12, v5
	global_load_b32 v8, v8, s[6:7] scale_offset
	s_wait_loadcnt 0x0
	v_xor_b32_e32 v8, 0x80000000, v8
	s_delay_alu instid0(VALU_DEP_1) | instskip(NEXT) | instid1(VALU_DEP_1)
	v_bitop3_b32 v9, v8, s3, s1 bitop3:0x48
	v_cmp_eq_u32_e64 s0, 0, v9
	s_and_b32 exec_lo, exec_lo, s0
; %bb.12:                               ;   in Loop: Header=BB34_7 Depth=1
	v_bfe_u32 v8, v8, s8, 8
	s_delay_alu instid0(VALU_DEP_1)
	v_lshlrev_b32_e32 v8, 2, v8
	ds_add_u32 v8, v7
.LBB34_13:                              ;   in Loop: Header=BB34_7 Depth=1
	s_or_b32 exec_lo, exec_lo, s15
	v_add_nc_u32_e32 v8, 0xffffff00, v2
	s_mov_b32 s15, exec_lo
	s_delay_alu instid0(VALU_DEP_1)
	v_cmpx_gt_u32_e64 s4, v8
	s_cbranch_execz .LBB34_16
; %bb.14:                               ;   in Loop: Header=BB34_7 Depth=1
	v_add_nc_u32_e32 v8, s12, v4
	global_load_b32 v8, v8, s[6:7] scale_offset
	s_wait_loadcnt 0x0
	v_xor_b32_e32 v8, 0x80000000, v8
	s_delay_alu instid0(VALU_DEP_1) | instskip(NEXT) | instid1(VALU_DEP_1)
	v_bitop3_b32 v9, v8, s3, s1 bitop3:0x48
	v_cmp_eq_u32_e64 s0, 0, v9
	s_and_b32 exec_lo, exec_lo, s0
; %bb.15:                               ;   in Loop: Header=BB34_7 Depth=1
	v_bfe_u32 v8, v8, s8, 8
	s_delay_alu instid0(VALU_DEP_1)
	v_lshlrev_b32_e32 v8, 2, v8
	ds_add_u32 v8, v7
.LBB34_16:                              ;   in Loop: Header=BB34_7 Depth=1
	s_or_b32 exec_lo, exec_lo, s15
	s_delay_alu instid0(SALU_CYCLE_1)
	s_mov_b32 s15, exec_lo
	v_cmpx_gt_u32_e64 s4, v2
	s_cbranch_execz .LBB34_6
; %bb.17:                               ;   in Loop: Header=BB34_7 Depth=1
	v_add_nc_u32_e32 v8, s12, v3
	global_load_b32 v8, v8, s[6:7] scale_offset
	s_wait_loadcnt 0x0
	v_xor_b32_e32 v8, 0x80000000, v8
	s_delay_alu instid0(VALU_DEP_1) | instskip(NEXT) | instid1(VALU_DEP_1)
	v_bitop3_b32 v9, v8, s3, s1 bitop3:0x48
	v_cmp_eq_u32_e64 s0, 0, v9
	s_and_b32 exec_lo, exec_lo, s0
	s_cbranch_execz .LBB34_6
; %bb.18:                               ;   in Loop: Header=BB34_7 Depth=1
	v_bfe_u32 v8, v8, s8, 8
	s_delay_alu instid0(VALU_DEP_1)
	v_lshlrev_b32_e32 v8, 2, v8
	ds_add_u32 v8, v7
	s_branch .LBB34_6
.LBB34_19:
	s_and_b32 s2, s2, 3
	s_delay_alu instid0(SALU_CYCLE_1)
	s_cmp_eq_u32 s2, 0
	s_cbranch_scc1 .LBB34_25
; %bb.20:
	s_lshl_b32 s0, s13, 8
	v_mov_b32_e32 v4, 1
	v_add3_u32 v2, s0, s19, v0
	s_delay_alu instid0(VALU_DEP_1)
	v_mul_lo_u32 v3, s5, v2
	s_lshl_b32 s5, s5, 8
	s_branch .LBB34_22
.LBB34_21:                              ;   in Loop: Header=BB34_22 Depth=1
	s_or_b32 exec_lo, exec_lo, s9
	s_delay_alu instid0(VALU_DEP_2) | instskip(SKIP_2) | instid1(SALU_CYCLE_1)
	v_add_nc_u32_e32 v3, s5, v3
	v_add_nc_u32_e32 v2, 0x100, v2
	s_add_co_i32 s2, s2, -1
	s_cmp_lg_u32 s2, 0
	s_cbranch_scc0 .LBB34_25
.LBB34_22:                              ; =>This Inner Loop Header: Depth=1
	s_mov_b32 s9, exec_lo
	v_cmpx_gt_u32_e64 s4, v2
	s_cbranch_execz .LBB34_21
; %bb.23:                               ;   in Loop: Header=BB34_22 Depth=1
	global_load_b32 v5, v3, s[6:7] scale_offset
	s_wait_loadcnt 0x0
	v_xor_b32_e32 v5, 0x80000000, v5
	s_delay_alu instid0(VALU_DEP_1) | instskip(NEXT) | instid1(VALU_DEP_1)
	v_bitop3_b32 v6, v5, s3, s1 bitop3:0x48
	v_cmp_eq_u32_e64 s0, 0, v6
	s_and_b32 exec_lo, exec_lo, s0
	s_cbranch_execz .LBB34_21
; %bb.24:                               ;   in Loop: Header=BB34_22 Depth=1
	v_bfe_u32 v5, v5, s8, 8
	s_delay_alu instid0(VALU_DEP_1)
	v_lshlrev_b32_e32 v5, 2, v5
	ds_add_u32 v5, v4
	s_branch .LBB34_21
.LBB34_25:
	s_wait_dscnt 0x0
	s_barrier_signal -1
	s_barrier_wait -1
	s_and_saveexec_b32 s0, vcc_lo
	s_cbranch_execz .LBB34_27
; %bb.26:
	ds_load_b32 v1, v1
	v_lshl_or_b32 v0, s18, 8, v0
	s_wait_dscnt 0x0
	global_store_b16 v0, v1, s[10:11] scale_offset
.LBB34_27:
	s_endpgm
	.section	.rodata,"a",@progbits
	.p2align	6, 0x0
	.amdhsa_kernel _ZN2at6native6mbtopk23computeBlockDigitCountsIijjLi3EEEvNS_4cuda6detail10TensorInfoIKT_T0_EEjPjjS8_iijT1_PSB_Ps
		.amdhsa_group_segment_fixed_size 1024
		.amdhsa_private_segment_fixed_size 0
		.amdhsa_kernarg_size 528
		.amdhsa_user_sgpr_count 2
		.amdhsa_user_sgpr_dispatch_ptr 0
		.amdhsa_user_sgpr_queue_ptr 0
		.amdhsa_user_sgpr_kernarg_segment_ptr 1
		.amdhsa_user_sgpr_dispatch_id 0
		.amdhsa_user_sgpr_kernarg_preload_length 0
		.amdhsa_user_sgpr_kernarg_preload_offset 0
		.amdhsa_user_sgpr_private_segment_size 0
		.amdhsa_wavefront_size32 1
		.amdhsa_uses_dynamic_stack 0
		.amdhsa_enable_private_segment 0
		.amdhsa_system_sgpr_workgroup_id_x 1
		.amdhsa_system_sgpr_workgroup_id_y 1
		.amdhsa_system_sgpr_workgroup_id_z 1
		.amdhsa_system_sgpr_workgroup_info 0
		.amdhsa_system_vgpr_workitem_id 0
		.amdhsa_next_free_vgpr 10
		.amdhsa_next_free_sgpr 30
		.amdhsa_named_barrier_count 0
		.amdhsa_reserve_vcc 1
		.amdhsa_float_round_mode_32 0
		.amdhsa_float_round_mode_16_64 0
		.amdhsa_float_denorm_mode_32 3
		.amdhsa_float_denorm_mode_16_64 3
		.amdhsa_fp16_overflow 0
		.amdhsa_memory_ordered 1
		.amdhsa_forward_progress 1
		.amdhsa_inst_pref_size 12
		.amdhsa_round_robin_scheduling 0
		.amdhsa_exception_fp_ieee_invalid_op 0
		.amdhsa_exception_fp_denorm_src 0
		.amdhsa_exception_fp_ieee_div_zero 0
		.amdhsa_exception_fp_ieee_overflow 0
		.amdhsa_exception_fp_ieee_underflow 0
		.amdhsa_exception_fp_ieee_inexact 0
		.amdhsa_exception_int_div_zero 0
	.end_amdhsa_kernel
	.section	.text._ZN2at6native6mbtopk23computeBlockDigitCountsIijjLi3EEEvNS_4cuda6detail10TensorInfoIKT_T0_EEjPjjS8_iijT1_PSB_Ps,"axG",@progbits,_ZN2at6native6mbtopk23computeBlockDigitCountsIijjLi3EEEvNS_4cuda6detail10TensorInfoIKT_T0_EEjPjjS8_iijT1_PSB_Ps,comdat
.Lfunc_end34:
	.size	_ZN2at6native6mbtopk23computeBlockDigitCountsIijjLi3EEEvNS_4cuda6detail10TensorInfoIKT_T0_EEjPjjS8_iijT1_PSB_Ps, .Lfunc_end34-_ZN2at6native6mbtopk23computeBlockDigitCountsIijjLi3EEEvNS_4cuda6detail10TensorInfoIKT_T0_EEjPjjS8_iijT1_PSB_Ps
                                        ; -- End function
	.set _ZN2at6native6mbtopk23computeBlockDigitCountsIijjLi3EEEvNS_4cuda6detail10TensorInfoIKT_T0_EEjPjjS8_iijT1_PSB_Ps.num_vgpr, 10
	.set _ZN2at6native6mbtopk23computeBlockDigitCountsIijjLi3EEEvNS_4cuda6detail10TensorInfoIKT_T0_EEjPjjS8_iijT1_PSB_Ps.num_agpr, 0
	.set _ZN2at6native6mbtopk23computeBlockDigitCountsIijjLi3EEEvNS_4cuda6detail10TensorInfoIKT_T0_EEjPjjS8_iijT1_PSB_Ps.numbered_sgpr, 30
	.set _ZN2at6native6mbtopk23computeBlockDigitCountsIijjLi3EEEvNS_4cuda6detail10TensorInfoIKT_T0_EEjPjjS8_iijT1_PSB_Ps.num_named_barrier, 0
	.set _ZN2at6native6mbtopk23computeBlockDigitCountsIijjLi3EEEvNS_4cuda6detail10TensorInfoIKT_T0_EEjPjjS8_iijT1_PSB_Ps.private_seg_size, 0
	.set _ZN2at6native6mbtopk23computeBlockDigitCountsIijjLi3EEEvNS_4cuda6detail10TensorInfoIKT_T0_EEjPjjS8_iijT1_PSB_Ps.uses_vcc, 1
	.set _ZN2at6native6mbtopk23computeBlockDigitCountsIijjLi3EEEvNS_4cuda6detail10TensorInfoIKT_T0_EEjPjjS8_iijT1_PSB_Ps.uses_flat_scratch, 0
	.set _ZN2at6native6mbtopk23computeBlockDigitCountsIijjLi3EEEvNS_4cuda6detail10TensorInfoIKT_T0_EEjPjjS8_iijT1_PSB_Ps.has_dyn_sized_stack, 0
	.set _ZN2at6native6mbtopk23computeBlockDigitCountsIijjLi3EEEvNS_4cuda6detail10TensorInfoIKT_T0_EEjPjjS8_iijT1_PSB_Ps.has_recursion, 0
	.set _ZN2at6native6mbtopk23computeBlockDigitCountsIijjLi3EEEvNS_4cuda6detail10TensorInfoIKT_T0_EEjPjjS8_iijT1_PSB_Ps.has_indirect_call, 0
	.section	.AMDGPU.csdata,"",@progbits
; Kernel info:
; codeLenInByte = 1528
; TotalNumSgprs: 32
; NumVgprs: 10
; ScratchSize: 0
; MemoryBound: 0
; FloatMode: 240
; IeeeMode: 1
; LDSByteSize: 1024 bytes/workgroup (compile time only)
; SGPRBlocks: 0
; VGPRBlocks: 0
; NumSGPRsForWavesPerEU: 32
; NumVGPRsForWavesPerEU: 10
; NamedBarCnt: 0
; Occupancy: 16
; WaveLimiterHint : 1
; COMPUTE_PGM_RSRC2:SCRATCH_EN: 0
; COMPUTE_PGM_RSRC2:USER_SGPR: 2
; COMPUTE_PGM_RSRC2:TRAP_HANDLER: 0
; COMPUTE_PGM_RSRC2:TGID_X_EN: 1
; COMPUTE_PGM_RSRC2:TGID_Y_EN: 1
; COMPUTE_PGM_RSRC2:TGID_Z_EN: 1
; COMPUTE_PGM_RSRC2:TIDIG_COMP_CNT: 0
	.section	.text._ZN2at6native6mbtopk10gatherTopKIijLi3EEEvNS_4cuda6detail10TensorInfoIKT_T0_EES8_S8_bjS8_NS5_IS6_S8_EES8_NS5_IlS8_EES8_jjPS6_PjSD_j,"axG",@progbits,_ZN2at6native6mbtopk10gatherTopKIijLi3EEEvNS_4cuda6detail10TensorInfoIKT_T0_EES8_S8_bjS8_NS5_IS6_S8_EES8_NS5_IlS8_EES8_jjPS6_PjSD_j,comdat
	.protected	_ZN2at6native6mbtopk10gatherTopKIijLi3EEEvNS_4cuda6detail10TensorInfoIKT_T0_EES8_S8_bjS8_NS5_IS6_S8_EES8_NS5_IlS8_EES8_jjPS6_PjSD_j ; -- Begin function _ZN2at6native6mbtopk10gatherTopKIijLi3EEEvNS_4cuda6detail10TensorInfoIKT_T0_EES8_S8_bjS8_NS5_IS6_S8_EES8_NS5_IlS8_EES8_jjPS6_PjSD_j
	.globl	_ZN2at6native6mbtopk10gatherTopKIijLi3EEEvNS_4cuda6detail10TensorInfoIKT_T0_EES8_S8_bjS8_NS5_IS6_S8_EES8_NS5_IlS8_EES8_jjPS6_PjSD_j
	.p2align	8
	.type	_ZN2at6native6mbtopk10gatherTopKIijLi3EEEvNS_4cuda6detail10TensorInfoIKT_T0_EES8_S8_bjS8_NS5_IS6_S8_EES8_NS5_IlS8_EES8_jjPS6_PjSD_j,@function
_ZN2at6native6mbtopk10gatherTopKIijLi3EEEvNS_4cuda6detail10TensorInfoIKT_T0_EES8_S8_bjS8_NS5_IS6_S8_EES8_NS5_IlS8_EES8_jjPS6_PjSD_j: ; @_ZN2at6native6mbtopk10gatherTopKIijLi3EEEvNS_4cuda6detail10TensorInfoIKT_T0_EES8_S8_bjS8_NS5_IS6_S8_EES8_NS5_IlS8_EES8_jjPS6_PjSD_j
; %bb.0:
	s_bfe_u32 s2, ttmp6, 0x40010
	s_and_b32 s4, ttmp7, 0xffff
	s_add_co_i32 s5, s2, 1
	s_clause 0x1
	s_load_b32 s6, s[0:1], 0x2d0
	s_load_b64 s[2:3], s[0:1], 0x2d8
	s_bfe_u32 s8, ttmp6, 0x4000c
	s_mul_i32 s5, s4, s5
	s_bfe_u32 s7, ttmp6, 0x40004
	s_add_co_i32 s8, s8, 1
	s_bfe_u32 s9, ttmp6, 0x40014
	s_add_co_i32 s7, s7, s5
	s_and_b32 s5, ttmp6, 15
	s_mul_i32 s8, ttmp9, s8
	s_lshr_b32 s10, ttmp7, 16
	s_add_co_i32 s9, s9, 1
	s_add_co_i32 s5, s5, s8
	s_mul_i32 s8, s10, s9
	s_bfe_u32 s9, ttmp6, 0x40008
	s_getreg_b32 s11, hwreg(HW_REG_IB_STS2, 6, 4)
	s_add_co_i32 s9, s9, s8
	s_cmp_eq_u32 s11, 0
	s_mov_b32 s29, 0
	s_cselect_b32 s8, s10, s9
	s_cselect_b32 s4, s4, s7
	s_wait_kmcnt 0x0
	s_mul_i32 s3, s3, s8
	s_cselect_b32 s5, ttmp9, s5
	s_add_co_i32 s3, s3, s4
	s_delay_alu instid0(SALU_CYCLE_1) | instskip(NEXT) | instid1(SALU_CYCLE_1)
	s_mul_i32 s2, s3, s2
	s_add_co_i32 s2, s2, s5
	s_delay_alu instid0(SALU_CYCLE_1)
	s_cmp_ge_u32 s2, s6
	s_cbranch_scc1 .LBB35_40
; %bb.1:
	s_clause 0x4
	s_load_b96 s[12:14], s[0:1], 0x2a8
	s_load_b64 s[30:31], s[0:1], 0xc
	s_load_b64 s[26:27], s[0:1], 0xfc
	;; [unrolled: 1-line block ×3, first 2 shown]
	s_load_b128 s[4:7], s[0:1], 0x2b8
	s_mov_b32 s37, s29
	s_mov_b32 s35, s29
	;; [unrolled: 1-line block ×4, first 2 shown]
	s_wait_kmcnt 0x0
	s_cvt_f32_u32 s3, s14
	s_cvt_f32_u32 s9, s31
	;; [unrolled: 1-line block ×4, first 2 shown]
	v_rcp_iflag_f32_e32 v1, s3
	s_sub_co_i32 s3, 0, s14
	s_cvt_f32_u32 s16, s25
	v_rcp_iflag_f32_e32 v2, s10
	v_rcp_iflag_f32_e32 v4, s15
	s_cvt_f32_u32 s11, s27
	v_rcp_iflag_f32_e32 v5, s16
	v_readfirstlane_b32 s8, v1
	v_rcp_iflag_f32_e32 v1, s9
	v_rcp_iflag_f32_e32 v3, s11
	v_readfirstlane_b32 s9, v2
	s_cvt_f32_u32 s17, s24
	s_mul_f32 s8, s8, 0x4f7ffffe
	s_delay_alu instid0(SALU_CYCLE_2) | instskip(NEXT) | instid1(SALU_CYCLE_2)
	v_rcp_iflag_f32_e32 v6, s17
	s_cvt_u32_f32 s8, s8
	s_delay_alu instid0(TRANS32_DEP_2) | instskip(NEXT) | instid1(SALU_CYCLE_2)
	v_readfirstlane_b32 s11, v3
	s_mul_i32 s3, s3, s8
	s_mul_f32 s11, s11, 0x4f7ffffe
	s_mul_hi_u32 s3, s8, s3
	s_delay_alu instid0(TRANS32_DEP_1) | instskip(SKIP_3) | instid1(SALU_CYCLE_1)
	v_readfirstlane_b32 s17, v6
	s_add_co_i32 s8, s8, s3
	v_readfirstlane_b32 s3, v1
	s_mul_hi_u32 s8, s2, s8
	s_mul_i32 s10, s8, s14
	s_add_co_i32 s15, s8, 1
	s_sub_co_i32 s10, s2, s10
	s_mul_f32 s3, s3, 0x4f7ffffe
	s_sub_co_i32 s16, s10, s14
	s_cmp_ge_u32 s10, s14
	s_cselect_b32 s8, s15, s8
	s_cselect_b32 s10, s16, s10
	s_add_co_i32 s15, s8, 1
	s_cmp_ge_u32 s10, s14
	s_cvt_u32_f32 s3, s3
	s_cselect_b32 s33, s15, s8
	s_sub_co_i32 s8, 0, s31
	s_mul_i32 s16, s33, s14
	s_mul_i32 s8, s8, s3
	s_sub_co_i32 s50, s2, s16
	s_mul_hi_u32 s8, s3, s8
	v_readfirstlane_b32 s10, v4
	s_add_co_i32 s3, s3, s8
	s_mul_f32 s8, s9, 0x4f7ffffe
	s_mul_hi_u32 s3, s33, s3
	v_readfirstlane_b32 s15, v5
	s_mul_i32 s9, s3, s31
	s_cvt_u32_f32 s8, s8
	s_sub_co_i32 s2, s33, s9
	s_add_co_i32 s9, s3, 1
	s_sub_co_i32 s18, s2, s31
	s_cmp_ge_u32 s2, s31
	s_cselect_b32 s3, s9, s3
	s_cselect_b32 s2, s18, s2
	s_add_co_i32 s9, s3, 1
	s_cmp_ge_u32 s2, s31
	s_cvt_u32_f32 s2, s11
	s_cselect_b32 s28, s9, s3
	s_sub_co_i32 s3, 0, s27
	s_mul_f32 s9, s10, 0x4f7ffffe
	s_mul_i32 s3, s3, s2
	s_sub_co_i32 s10, 0, s30
	s_mul_hi_u32 s3, s2, s3
	s_mul_i32 s10, s10, s8
	s_add_co_i32 s2, s2, s3
	s_mul_hi_u32 s3, s8, s10
	s_mul_hi_u32 s2, s33, s2
	s_add_co_i32 s36, s8, s3
	s_mul_i32 s10, s2, s27
	s_add_co_i32 s8, s2, 1
	s_sub_co_i32 s3, s33, s10
	s_mul_f32 s11, s15, 0x4f7ffffe
	s_sub_co_i32 s10, s3, s27
	s_cmp_ge_u32 s3, s27
	s_load_b32 s15, s[4:5], s33 offset:0x0 scale_offset
	s_cselect_b32 s2, s8, s2
	s_cselect_b32 s3, s10, s3
	s_add_co_i32 s8, s2, 1
	s_cmp_ge_u32 s3, s27
	s_cvt_u32_f32 s3, s11
	s_cselect_b32 s34, s8, s2
	s_sub_co_i32 s2, 0, s25
	s_cvt_u32_f32 s8, s9
	s_mul_i32 s2, s2, s3
	s_wait_xcnt 0x0
	s_sub_co_i32 s4, 0, s26
	s_mul_hi_u32 s2, s3, s2
	s_mul_i32 s4, s4, s8
	s_add_co_i32 s3, s3, s2
	s_delay_alu instid0(SALU_CYCLE_1)
	s_mul_hi_u32 s2, s33, s3
	s_mul_hi_u32 s3, s8, s4
	s_mul_i32 s4, s2, s25
	s_add_co_i32 s38, s8, s3
	s_sub_co_i32 s3, s33, s4
	s_add_co_i32 s4, s2, 1
	s_sub_co_i32 s5, s3, s25
	s_cmp_ge_u32 s3, s25
	s_mul_f32 s8, s17, 0x4f7ffffe
	s_cselect_b32 s2, s4, s2
	s_cselect_b32 s3, s5, s3
	s_add_co_i32 s4, s2, 1
	s_cmp_ge_u32 s3, s25
	s_cvt_u32_f32 s5, s8
	s_cselect_b32 s40, s4, s2
	s_sub_co_i32 s3, 0, s24
	v_cmp_ne_u32_e64 s2, 0, v0
	s_mul_i32 s4, s3, s5
	v_cmp_eq_u32_e64 s3, 0, v0
	s_mul_hi_u32 s4, s5, s4
	s_delay_alu instid0(SALU_CYCLE_1)
	s_add_co_i32 s4, s5, s4
	s_mov_b32 s5, s29
	s_and_saveexec_b32 s44, s3
	s_cbranch_execz .LBB35_17
; %bb.2:
	s_load_b64 s[20:21], s[0:1], 0x2c8
	s_mov_b32 s17, 0
	s_delay_alu instid0(SALU_CYCLE_1)
	s_lshl_b64 s[22:23], s[16:17], 2
	s_cmp_lt_u32 s14, 4
	s_cbranch_scc1 .LBB35_14
; %bb.3:
	s_mov_b64 s[18:19], 0
	s_mov_b32 s16, 0
.LBB35_4:                               ; =>This Inner Loop Header: Depth=1
	s_add_nc_u64 s[42:43], s[6:7], s[22:23]
	s_cmp_ge_u32 s16, s50
	s_load_b128 s[8:11], s[42:43], 0x0
	s_wait_kmcnt 0x0
	s_add_nc_u64 s[42:43], s[20:21], s[22:23]
	s_cbranch_scc0 .LBB35_11
; %bb.5:                                ;   in Loop: Header=BB35_4 Depth=1
	s_add_co_i32 s45, s16, 1
	s_delay_alu instid0(SALU_CYCLE_1)
	s_cmp_ge_u32 s45, s50
	s_cbranch_scc0 .LBB35_12
.LBB35_6:                               ;   in Loop: Header=BB35_4 Depth=1
	s_add_co_i32 s45, s45, 1
	s_delay_alu instid0(SALU_CYCLE_1)
	s_cmp_ge_u32 s45, s50
	s_cbranch_scc0 .LBB35_13
.LBB35_7:                               ;   in Loop: Header=BB35_4 Depth=1
	s_add_co_i32 s45, s45, 1
	s_delay_alu instid0(SALU_CYCLE_1)
	s_cmp_ge_u32 s45, s50
	s_cbranch_scc1 .LBB35_9
.LBB35_8:                               ;   in Loop: Header=BB35_4 Depth=1
	s_load_b32 s42, s[42:43], 0xc
	s_add_co_i32 s19, s11, s19
	s_wait_kmcnt 0x0
	s_add_co_i32 s18, s42, s18
.LBB35_9:                               ;   in Loop: Header=BB35_4 Depth=1
	s_add_co_i32 s8, s8, s17
	s_add_nc_u64 s[6:7], s[6:7], 16
	s_add_co_i32 s8, s8, s9
	s_add_co_i32 s9, s45, 4
	;; [unrolled: 1-line block ×3, first 2 shown]
	s_add_nc_u64 s[20:21], s[20:21], 16
	s_add_co_i32 s17, s8, s11
	s_add_co_i32 s8, s45, 1
	s_cmp_ge_u32 s9, s14
	s_cbranch_scc1 .LBB35_15
; %bb.10:                               ;   in Loop: Header=BB35_4 Depth=1
	s_mov_b32 s16, s8
	s_branch .LBB35_4
.LBB35_11:                              ;   in Loop: Header=BB35_4 Depth=1
	s_load_b32 s45, s[42:43], 0x0
	s_add_co_i32 s19, s8, s19
	s_wait_kmcnt 0x0
	s_add_co_i32 s18, s45, s18
	s_add_co_i32 s45, s16, 1
	s_delay_alu instid0(SALU_CYCLE_1)
	s_cmp_ge_u32 s45, s50
	s_cbranch_scc1 .LBB35_6
.LBB35_12:                              ;   in Loop: Header=BB35_4 Depth=1
	s_load_b32 s46, s[42:43], 0x4
	s_add_co_i32 s19, s9, s19
	s_wait_kmcnt 0x0
	s_add_co_i32 s18, s46, s18
	s_add_co_i32 s45, s45, 1
	s_delay_alu instid0(SALU_CYCLE_1)
	s_cmp_ge_u32 s45, s50
	s_cbranch_scc1 .LBB35_7
.LBB35_13:                              ;   in Loop: Header=BB35_4 Depth=1
	s_load_b32 s46, s[42:43], 0x8
	s_add_co_i32 s19, s10, s19
	s_wait_kmcnt 0x0
	s_add_co_i32 s18, s46, s18
	s_add_co_i32 s45, s45, 1
	s_delay_alu instid0(SALU_CYCLE_1)
	s_cmp_ge_u32 s45, s50
	s_cbranch_scc0 .LBB35_8
	s_branch .LBB35_9
.LBB35_14:
	s_mov_b64 s[18:19], 0
	s_add_nc_u64 s[6:7], s[6:7], s[22:23]
	s_wait_kmcnt 0x0
	s_add_nc_u64 s[8:9], s[20:21], s[22:23]
	s_mov_b32 s10, 0
	s_delay_alu instid0(SALU_CYCLE_1)
	s_cmp_ge_u32 s10, s14
	s_cbranch_scc0 .LBB35_38
	s_branch .LBB35_16
.LBB35_15:
	s_add_co_i32 s10, s16, 4
	s_add_nc_u64 s[8:9], s[20:21], s[22:23]
	s_add_nc_u64 s[6:7], s[6:7], s[22:23]
	s_cmp_ge_u32 s10, s14
	s_cbranch_scc0 .LBB35_38
.LBB35_16:
	v_dual_mov_b32 v2, s18 :: v_dual_mov_b32 v3, s17
	v_dual_mov_b32 v4, s19 :: v_dual_mov_b32 v1, 0
	ds_store_b96 v1, v[2:4] offset:1056
.LBB35_17:
	s_or_b32 exec_lo, exec_lo, s44
	s_mul_u64 s[6:7], s[40:41], s[4:5]
	s_clause 0x6
	s_load_b96 s[4:6], s[0:1], 0xd8
	s_load_b96 s[8:10], s[0:1], 0x23c
	s_load_b64 s[42:43], s[0:1], 0x1d0
	s_load_b96 s[16:18], s[0:1], 0x15c
	s_load_b64 s[44:45], s[0:1], 0xf0
	;; [unrolled: 2-line block ×3, first 2 shown]
	s_mul_i32 s11, s13, s50
	s_mul_u64 s[48:49], s[28:29], s[36:37]
	s_lshl_b32 s19, s11, 8
	s_mov_b32 s37, 0
	s_add_co_i32 s11, s50, 1
	s_mul_u64 s[38:39], s[34:35], s[38:39]
	s_wait_dscnt 0x0
	s_barrier_signal -1
	s_barrier_wait -1
	s_wait_kmcnt 0x0
	s_sub_co_i32 s36, s4, s19
	s_delay_alu instid0(SALU_CYCLE_1) | instskip(NEXT) | instid1(SALU_CYCLE_1)
	s_add_nc_u64 s[52:53], s[36:37], 0xff
	s_lshr_b64 s[50:51], s[52:53], 8
	s_cmp_lt_u32 s11, s14
	s_cselect_b32 s13, s13, s50
	s_delay_alu instid0(SALU_CYCLE_1)
	s_cmp_eq_u32 s13, 0
	s_cbranch_scc1 .LBB35_40
; %bb.18:
	s_mul_i32 s14, s49, s30
	s_mul_i32 s11, s28, s31
	s_sub_co_i32 s14, s28, s14
	s_sub_co_i32 s11, s33, s11
	s_add_co_i32 s23, s49, 1
	s_sub_co_i32 s29, s14, s30
	s_cmp_ge_u32 s14, s30
	s_mul_i32 s11, s11, s22
	s_cselect_b32 s23, s23, s49
	s_cselect_b32 s14, s29, s14
	s_add_co_i32 s29, s23, 1
	s_cmp_ge_u32 s14, s30
	s_mul_i32 s14, s34, s27
	s_cselect_b32 s23, s29, s23
	s_mul_i32 s27, s39, s26
	s_mul_i32 s29, s23, s30
	;; [unrolled: 1-line block ×3, first 2 shown]
	s_sub_co_i32 s22, s28, s29
	s_sub_co_i32 s20, s34, s27
	s_mul_i32 s21, s22, s21
	s_sub_co_i32 s14, s33, s14
	s_add_co_i32 s11, s21, s11
	s_sub_co_i32 s21, s20, s26
	s_add_co_i32 s36, s11, s23
	s_add_co_i32 s11, s39, 1
	s_cmp_ge_u32 s20, s26
	s_mul_i32 s14, s14, s18
	s_cselect_b32 s11, s11, s39
	s_cselect_b32 s20, s21, s20
	s_add_co_i32 s21, s11, 1
	s_cmp_ge_u32 s20, s26
	s_mul_i32 s22, s7, s24
	s_cselect_b32 s11, s21, s11
	s_mul_i32 s20, s40, s25
	s_mul_i32 s21, s11, s26
	;; [unrolled: 1-line block ×3, first 2 shown]
	s_sub_co_i32 s21, s34, s21
	v_dual_mov_b32 v7, 0 :: v_dual_lshrrev_b32 v1, 3, v0
	s_mul_i32 s17, s21, s17
	v_add_nc_u32_e32 v8, -1, v0
	s_add_co_i32 s14, s17, s14
	s_sub_co_i32 s17, s33, s20
	s_add_co_i32 s16, s14, s11
	s_sub_co_i32 s11, s40, s22
	;; [unrolled: 2-line block ×3, first 2 shown]
	s_cmp_ge_u32 s11, s24
	ds_load_b96 v[2:4], v7 offset:1056
	s_cselect_b32 s7, s14, s7
	s_cselect_b32 s11, s18, s11
	s_add_co_i32 s14, s7, 1
	s_cmp_ge_u32 s11, s24
	s_load_b32 s18, s[0:1], 0xe8
	s_cselect_b32 s7, s14, s7
	s_mul_i32 s17, s17, s10
	s_mul_i32 s11, s7, s24
	;; [unrolled: 1-line block ×3, first 2 shown]
	s_sub_co_i32 s11, s40, s11
	v_and_b32_e32 v5, 28, v1
	s_mul_i32 s9, s11, s9
	v_dual_add_nc_u32 v6, s19, v0 :: v_dual_lshlrev_b32 v11, 5, v0
	s_add_co_i32 s8, s9, s17
	s_mov_b32 s17, s37
	v_lshrrev_b32_e32 v9, 3, v8
	s_lshl_b64 s[10:11], s[16:17], 2
	s_load_b32 s16, s[0:1], 0x1c8
	s_wait_dscnt 0x0
	v_add_nc_u32_e32 v1, v2, v3
	v_lshl_add_u32 v2, v0, 2, v5
	v_and_b32_e32 v10, 0xfc, v0
	v_and_b32_e32 v9, 0x1ffffffc, v9
	v_mbcnt_lo_u32_b32 v3, -1, 0
	s_wait_kmcnt 0x0
	v_mul_lo_u32 v5, s18, v6
	s_add_co_i32 s20, s8, s7
	s_mov_b32 s21, s37
	s_lshl_b64 s[8:9], s[36:37], 2
	s_lshl_b64 s[20:21], s[20:21], 3
	s_xor_b32 s14, s15, 0x80000000
	v_cmp_gt_u32_e64 s0, 32, v0
	v_lshl_add_u32 v0, v8, 2, v9
	v_add_nc_u32_e32 v8, v10, v11
	v_dual_add_nc_u32 v11, -1, v3 :: v_dual_bitop2_b32 v9, 15, v3 bitop3:0x40
	v_bfe_i32 v10, v3, 4, 1
	s_bitcmp1_b32 s6, 0
	s_add_nc_u64 s[8:9], s[46:47], s[8:9]
	s_add_nc_u64 s[10:11], s[44:45], s[10:11]
	;; [unrolled: 1-line block ×3, first 2 shown]
	s_cselect_b32 s1, -1, 0
	s_lshl_b32 s17, s18, 8
                                        ; implicit-def: $vgpr12
	s_branch .LBB35_21
.LBB35_19:                              ;   in Loop: Header=BB35_21 Depth=1
	s_wait_xcnt 0x0
	s_or_b32 exec_lo, exec_lo, s18
	v_add_nc_u32_e32 v1, v15, v1
.LBB35_20:                              ;   in Loop: Header=BB35_21 Depth=1
	v_dual_add_nc_u32 v4, v14, v4 :: v_dual_add_nc_u32 v5, s17, v5
	v_add_nc_u32_e32 v6, 0x100, v6
	s_add_co_i32 s13, s13, -1
	s_delay_alu instid0(SALU_CYCLE_1)
	s_cmp_lg_u32 s13, 0
	s_cbranch_scc0 .LBB35_40
.LBB35_21:                              ; =>This Inner Loop Header: Depth=1
	v_dual_mov_b32 v15, 0 :: v_dual_mov_b32 v13, 0
	s_mov_b32 s18, exec_lo
	v_cmpx_gt_u32_e64 s4, v6
	s_cbranch_execz .LBB35_23
; %bb.22:                               ;   in Loop: Header=BB35_21 Depth=1
	global_load_b32 v12, v5, s[8:9] scale_offset
	s_wait_loadcnt 0x0
	v_xor_b32_e32 v13, 0x80000000, v12
	s_delay_alu instid0(VALU_DEP_1) | instskip(SKIP_4) | instid1(VALU_DEP_2)
	v_cmp_lt_u32_e32 vcc_lo, s14, v13
	v_cndmask_b32_e64 v14, 0, 1, vcc_lo
	v_cmp_gt_u32_e32 vcc_lo, s14, v13
	v_cndmask_b32_e64 v13, 0, 1, vcc_lo
	v_cmp_eq_u32_e32 vcc_lo, s15, v12
	v_cndmask_b32_e64 v13, v13, v14, s1
	s_delay_alu instid0(VALU_DEP_1)
	v_and_b32_e32 v15, 1, v13
	v_cndmask_b32_e64 v13, 0, 1, vcc_lo
.LBB35_23:                              ;   in Loop: Header=BB35_21 Depth=1
	s_wait_xcnt 0x0
	s_or_b32 exec_lo, exec_lo, s18
	ds_store_b32 v2, v15
	s_wait_dscnt 0x0
	s_barrier_signal -1
	s_barrier_wait -1
	s_and_saveexec_b32 s18, s0
	s_cbranch_execz .LBB35_25
; %bb.24:                               ;   in Loop: Header=BB35_21 Depth=1
	ds_load_2addr_b32 v[16:17], v8 offset1:1
	ds_load_2addr_b32 v[18:19], v8 offset0:2 offset1:3
	ds_load_2addr_b32 v[20:21], v8 offset0:4 offset1:5
	;; [unrolled: 1-line block ×3, first 2 shown]
	v_cmp_ne_u32_e32 vcc_lo, 0, v9
	; wave barrier
	s_wait_dscnt 0x3
	v_add_nc_u32_e32 v14, v17, v16
	s_wait_dscnt 0x2
	s_delay_alu instid0(VALU_DEP_1) | instskip(SKIP_1) | instid1(VALU_DEP_1)
	v_add3_u32 v14, v14, v18, v19
	s_wait_dscnt 0x1
	v_add3_u32 v14, v14, v20, v21
	s_wait_dscnt 0x0
	s_delay_alu instid0(VALU_DEP_1) | instskip(NEXT) | instid1(VALU_DEP_1)
	v_add3_u32 v14, v14, v22, v23
	v_mov_b32_dpp v17, v14 row_shr:1 row_mask:0xf bank_mask:0xf
	s_delay_alu instid0(VALU_DEP_1) | instskip(SKIP_1) | instid1(VALU_DEP_2)
	v_cndmask_b32_e32 v17, 0, v17, vcc_lo
	v_cmp_lt_u32_e32 vcc_lo, 1, v9
	v_add_nc_u32_e32 v14, v17, v14
	s_delay_alu instid0(VALU_DEP_1) | instskip(NEXT) | instid1(VALU_DEP_1)
	v_mov_b32_dpp v17, v14 row_shr:2 row_mask:0xf bank_mask:0xf
	v_cndmask_b32_e32 v17, 0, v17, vcc_lo
	v_cmp_lt_u32_e32 vcc_lo, 3, v9
	s_delay_alu instid0(VALU_DEP_2) | instskip(NEXT) | instid1(VALU_DEP_1)
	v_add_nc_u32_e32 v14, v14, v17
	v_mov_b32_dpp v17, v14 row_shr:4 row_mask:0xf bank_mask:0xf
	s_delay_alu instid0(VALU_DEP_1) | instskip(SKIP_1) | instid1(VALU_DEP_2)
	v_cndmask_b32_e32 v17, 0, v17, vcc_lo
	v_cmp_lt_u32_e32 vcc_lo, 7, v9
	v_add_nc_u32_e32 v14, v14, v17
	s_delay_alu instid0(VALU_DEP_1) | instskip(NEXT) | instid1(VALU_DEP_1)
	v_mov_b32_dpp v17, v14 row_shr:8 row_mask:0xf bank_mask:0xf
	v_cndmask_b32_e32 v17, 0, v17, vcc_lo
	v_cmp_gt_i32_e32 vcc_lo, 0, v11
	s_delay_alu instid0(VALU_DEP_2) | instskip(SKIP_3) | instid1(VALU_DEP_1)
	v_dual_add_nc_u32 v14, v14, v17 :: v_dual_cndmask_b32 v18, v11, v3, vcc_lo
	ds_swizzle_b32 v17, v14 offset:swizzle(BROADCAST,32,15)
	s_wait_dscnt 0x0
	v_dual_lshlrev_b32 v18, 2, v18 :: v_dual_bitop2_b32 v17, v10, v17 bitop3:0x40
	v_add_nc_u32_e32 v14, v14, v17
	ds_bpermute_b32 v14, v18, v14
	s_wait_dscnt 0x0
	v_add_nc_u32_e32 v14, v14, v16
	s_delay_alu instid0(VALU_DEP_1)
	v_cndmask_b32_e64 v14, v14, v15, s3
	ds_store_b32 v8, v14
	; wave barrier
	ds_load_2addr_b32 v[16:17], v8 offset0:1 offset1:2
	ds_load_2addr_b32 v[18:19], v8 offset0:3 offset1:4
	;; [unrolled: 1-line block ×3, first 2 shown]
	ds_load_b32 v22, v8 offset:28
	s_wait_dscnt 0x3
	v_add_nc_u32_e32 v14, v16, v14
	s_delay_alu instid0(VALU_DEP_1) | instskip(SKIP_1) | instid1(VALU_DEP_1)
	v_add_nc_u32_e32 v16, v17, v14
	s_wait_dscnt 0x2
	v_add_nc_u32_e32 v17, v18, v16
	s_delay_alu instid0(VALU_DEP_1) | instskip(SKIP_1) | instid1(VALU_DEP_1)
	v_add_nc_u32_e32 v18, v19, v17
	;; [unrolled: 4-line block ×3, first 2 shown]
	s_wait_dscnt 0x0
	v_add_nc_u32_e32 v21, v22, v20
	ds_store_2addr_b32 v8, v14, v16 offset0:1 offset1:2
	ds_store_2addr_b32 v8, v17, v18 offset0:3 offset1:4
	;; [unrolled: 1-line block ×3, first 2 shown]
	ds_store_b32 v8, v21 offset:28
.LBB35_25:                              ;   in Loop: Header=BB35_21 Depth=1
	s_or_b32 exec_lo, exec_lo, s18
	v_mov_b32_e32 v16, 0
	s_wait_dscnt 0x0
	s_barrier_signal -1
	s_barrier_wait -1
	s_and_saveexec_b32 s18, s2
; %bb.26:                               ;   in Loop: Header=BB35_21 Depth=1
	ds_load_b32 v16, v0
; %bb.27:                               ;   in Loop: Header=BB35_21 Depth=1
	s_or_b32 exec_lo, exec_lo, s18
	ds_load_b32 v14, v7 offset:1048
	s_mov_b32 s18, exec_lo
	s_wait_dscnt 0x0
	s_barrier_signal -1
	s_barrier_wait -1
	v_cmpx_ne_u32_e32 0, v15
	s_cbranch_execz .LBB35_29
; %bb.28:                               ;   in Loop: Header=BB35_21 Depth=1
	v_add_nc_u32_e32 v15, v16, v4
	s_delay_alu instid0(VALU_DEP_1)
	v_mul_lo_u32 v16, v15, s16
	v_mul_lo_u32 v15, v15, s12
	global_store_b32 v16, v12, s[10:11] scale_offset
	global_store_b64 v15, v[6:7], s[6:7] scale_offset
.LBB35_29:                              ;   in Loop: Header=BB35_21 Depth=1
	s_wait_xcnt 0x0
	s_or_b32 exec_lo, exec_lo, s18
	v_cmp_le_u32_e32 vcc_lo, s5, v1
	s_cbranch_vccnz .LBB35_20
; %bb.30:                               ;   in Loop: Header=BB35_21 Depth=1
	ds_store_b32 v2, v13
	s_wait_storecnt_dscnt 0x0
	s_barrier_signal -1
	s_barrier_wait -1
	s_and_saveexec_b32 s18, s0
	s_cbranch_execz .LBB35_32
; %bb.31:                               ;   in Loop: Header=BB35_21 Depth=1
	ds_load_2addr_b32 v[16:17], v8 offset1:1
	ds_load_2addr_b32 v[18:19], v8 offset0:2 offset1:3
	ds_load_2addr_b32 v[20:21], v8 offset0:4 offset1:5
	;; [unrolled: 1-line block ×3, first 2 shown]
	v_cmp_ne_u32_e32 vcc_lo, 0, v9
	; wave barrier
	s_wait_dscnt 0x3
	v_add_nc_u32_e32 v15, v17, v16
	s_wait_dscnt 0x2
	s_delay_alu instid0(VALU_DEP_1) | instskip(SKIP_1) | instid1(VALU_DEP_1)
	v_add3_u32 v15, v15, v18, v19
	s_wait_dscnt 0x1
	v_add3_u32 v15, v15, v20, v21
	s_wait_dscnt 0x0
	s_delay_alu instid0(VALU_DEP_1) | instskip(NEXT) | instid1(VALU_DEP_1)
	v_add3_u32 v15, v15, v22, v23
	v_mov_b32_dpp v17, v15 row_shr:1 row_mask:0xf bank_mask:0xf
	s_delay_alu instid0(VALU_DEP_1) | instskip(SKIP_1) | instid1(VALU_DEP_2)
	v_cndmask_b32_e32 v17, 0, v17, vcc_lo
	v_cmp_lt_u32_e32 vcc_lo, 1, v9
	v_add_nc_u32_e32 v15, v17, v15
	s_delay_alu instid0(VALU_DEP_1) | instskip(NEXT) | instid1(VALU_DEP_1)
	v_mov_b32_dpp v17, v15 row_shr:2 row_mask:0xf bank_mask:0xf
	v_cndmask_b32_e32 v17, 0, v17, vcc_lo
	v_cmp_lt_u32_e32 vcc_lo, 3, v9
	s_delay_alu instid0(VALU_DEP_2) | instskip(NEXT) | instid1(VALU_DEP_1)
	v_add_nc_u32_e32 v15, v15, v17
	v_mov_b32_dpp v17, v15 row_shr:4 row_mask:0xf bank_mask:0xf
	s_delay_alu instid0(VALU_DEP_1) | instskip(SKIP_1) | instid1(VALU_DEP_2)
	v_cndmask_b32_e32 v17, 0, v17, vcc_lo
	v_cmp_lt_u32_e32 vcc_lo, 7, v9
	v_add_nc_u32_e32 v15, v15, v17
	s_delay_alu instid0(VALU_DEP_1) | instskip(NEXT) | instid1(VALU_DEP_1)
	v_mov_b32_dpp v17, v15 row_shr:8 row_mask:0xf bank_mask:0xf
	v_cndmask_b32_e32 v17, 0, v17, vcc_lo
	v_cmp_gt_i32_e32 vcc_lo, 0, v11
	s_delay_alu instid0(VALU_DEP_2) | instskip(SKIP_4) | instid1(VALU_DEP_1)
	v_add_nc_u32_e32 v15, v15, v17
	v_cndmask_b32_e32 v18, v11, v3, vcc_lo
	ds_swizzle_b32 v17, v15 offset:swizzle(BROADCAST,32,15)
	s_wait_dscnt 0x0
	v_dual_lshlrev_b32 v18, 2, v18 :: v_dual_bitop2_b32 v17, v10, v17 bitop3:0x40
	v_add_nc_u32_e32 v15, v15, v17
	ds_bpermute_b32 v15, v18, v15
	s_wait_dscnt 0x0
	v_add_nc_u32_e32 v15, v15, v16
	s_delay_alu instid0(VALU_DEP_1)
	v_cndmask_b32_e64 v15, v15, v13, s3
	ds_store_b32 v8, v15
	; wave barrier
	ds_load_2addr_b32 v[16:17], v8 offset0:1 offset1:2
	ds_load_2addr_b32 v[18:19], v8 offset0:3 offset1:4
	;; [unrolled: 1-line block ×3, first 2 shown]
	ds_load_b32 v22, v8 offset:28
	s_wait_dscnt 0x3
	v_add_nc_u32_e32 v15, v16, v15
	s_delay_alu instid0(VALU_DEP_1) | instskip(SKIP_1) | instid1(VALU_DEP_1)
	v_add_nc_u32_e32 v16, v17, v15
	s_wait_dscnt 0x2
	v_add_nc_u32_e32 v17, v18, v16
	s_delay_alu instid0(VALU_DEP_1) | instskip(SKIP_1) | instid1(VALU_DEP_1)
	v_add_nc_u32_e32 v18, v19, v17
	;; [unrolled: 4-line block ×3, first 2 shown]
	s_wait_dscnt 0x0
	v_add_nc_u32_e32 v21, v22, v20
	ds_store_2addr_b32 v8, v15, v16 offset0:1 offset1:2
	ds_store_2addr_b32 v8, v17, v18 offset0:3 offset1:4
	;; [unrolled: 1-line block ×3, first 2 shown]
	ds_store_b32 v8, v21 offset:28
.LBB35_32:                              ;   in Loop: Header=BB35_21 Depth=1
	s_or_b32 exec_lo, exec_lo, s18
	v_mov_b32_e32 v16, 0
	s_wait_dscnt 0x0
	s_barrier_signal -1
	s_barrier_wait -1
	s_and_saveexec_b32 s18, s2
; %bb.33:                               ;   in Loop: Header=BB35_21 Depth=1
	ds_load_b32 v16, v0
; %bb.34:                               ;   in Loop: Header=BB35_21 Depth=1
	s_or_b32 exec_lo, exec_lo, s18
	ds_load_b32 v15, v7 offset:1048
	s_mov_b32 s18, exec_lo
	s_wait_dscnt 0x0
	s_barrier_signal -1
	s_barrier_wait -1
	v_cmpx_ne_u32_e32 0, v13
	s_cbranch_execz .LBB35_19
; %bb.35:                               ;   in Loop: Header=BB35_21 Depth=1
	v_add_nc_u32_e32 v13, v16, v1
	s_delay_alu instid0(VALU_DEP_1)
	v_cmp_gt_u32_e32 vcc_lo, s5, v13
	s_and_b32 exec_lo, exec_lo, vcc_lo
	s_cbranch_execz .LBB35_19
; %bb.36:                               ;   in Loop: Header=BB35_21 Depth=1
	v_mul_lo_u32 v16, v13, s16
	v_mul_lo_u32 v13, v13, s12
	global_store_b32 v16, v12, s[10:11] scale_offset
	global_store_b64 v13, v[6:7], s[6:7] scale_offset
	s_branch .LBB35_19
.LBB35_37:                              ;   in Loop: Header=BB35_38 Depth=1
	s_add_co_i32 s10, s10, 1
	s_wait_kmcnt 0x0
	s_add_co_i32 s17, s11, s17
	s_add_nc_u64 s[6:7], s[6:7], 4
	s_cmp_lt_u32 s10, s14
	s_add_nc_u64 s[8:9], s[8:9], 4
	s_cbranch_scc0 .LBB35_16
.LBB35_38:                              ; =>This Inner Loop Header: Depth=1
	s_load_b32 s11, s[6:7], 0x0
	s_cmp_ge_u32 s10, s50
	s_cbranch_scc1 .LBB35_37
; %bb.39:                               ;   in Loop: Header=BB35_38 Depth=1
	s_load_b32 s16, s[8:9], 0x0
	s_wait_kmcnt 0x0
	s_add_co_i32 s19, s11, s19
	s_add_co_i32 s18, s16, s18
	s_branch .LBB35_37
.LBB35_40:
	s_endpgm
	.section	.rodata,"a",@progbits
	.p2align	6, 0x0
	.amdhsa_kernel _ZN2at6native6mbtopk10gatherTopKIijLi3EEEvNS_4cuda6detail10TensorInfoIKT_T0_EES8_S8_bjS8_NS5_IS6_S8_EES8_NS5_IlS8_EES8_jjPS6_PjSD_j
		.amdhsa_group_segment_fixed_size 1068
		.amdhsa_private_segment_fixed_size 0
		.amdhsa_kernarg_size 984
		.amdhsa_user_sgpr_count 2
		.amdhsa_user_sgpr_dispatch_ptr 0
		.amdhsa_user_sgpr_queue_ptr 0
		.amdhsa_user_sgpr_kernarg_segment_ptr 1
		.amdhsa_user_sgpr_dispatch_id 0
		.amdhsa_user_sgpr_kernarg_preload_length 0
		.amdhsa_user_sgpr_kernarg_preload_offset 0
		.amdhsa_user_sgpr_private_segment_size 0
		.amdhsa_wavefront_size32 1
		.amdhsa_uses_dynamic_stack 0
		.amdhsa_enable_private_segment 0
		.amdhsa_system_sgpr_workgroup_id_x 1
		.amdhsa_system_sgpr_workgroup_id_y 1
		.amdhsa_system_sgpr_workgroup_id_z 1
		.amdhsa_system_sgpr_workgroup_info 0
		.amdhsa_system_vgpr_workitem_id 0
		.amdhsa_next_free_vgpr 24
		.amdhsa_next_free_sgpr 54
		.amdhsa_named_barrier_count 0
		.amdhsa_reserve_vcc 1
		.amdhsa_float_round_mode_32 0
		.amdhsa_float_round_mode_16_64 0
		.amdhsa_float_denorm_mode_32 3
		.amdhsa_float_denorm_mode_16_64 3
		.amdhsa_fp16_overflow 0
		.amdhsa_memory_ordered 1
		.amdhsa_forward_progress 1
		.amdhsa_inst_pref_size 24
		.amdhsa_round_robin_scheduling 0
		.amdhsa_exception_fp_ieee_invalid_op 0
		.amdhsa_exception_fp_denorm_src 0
		.amdhsa_exception_fp_ieee_div_zero 0
		.amdhsa_exception_fp_ieee_overflow 0
		.amdhsa_exception_fp_ieee_underflow 0
		.amdhsa_exception_fp_ieee_inexact 0
		.amdhsa_exception_int_div_zero 0
	.end_amdhsa_kernel
	.section	.text._ZN2at6native6mbtopk10gatherTopKIijLi3EEEvNS_4cuda6detail10TensorInfoIKT_T0_EES8_S8_bjS8_NS5_IS6_S8_EES8_NS5_IlS8_EES8_jjPS6_PjSD_j,"axG",@progbits,_ZN2at6native6mbtopk10gatherTopKIijLi3EEEvNS_4cuda6detail10TensorInfoIKT_T0_EES8_S8_bjS8_NS5_IS6_S8_EES8_NS5_IlS8_EES8_jjPS6_PjSD_j,comdat
.Lfunc_end35:
	.size	_ZN2at6native6mbtopk10gatherTopKIijLi3EEEvNS_4cuda6detail10TensorInfoIKT_T0_EES8_S8_bjS8_NS5_IS6_S8_EES8_NS5_IlS8_EES8_jjPS6_PjSD_j, .Lfunc_end35-_ZN2at6native6mbtopk10gatherTopKIijLi3EEEvNS_4cuda6detail10TensorInfoIKT_T0_EES8_S8_bjS8_NS5_IS6_S8_EES8_NS5_IlS8_EES8_jjPS6_PjSD_j
                                        ; -- End function
	.set _ZN2at6native6mbtopk10gatherTopKIijLi3EEEvNS_4cuda6detail10TensorInfoIKT_T0_EES8_S8_bjS8_NS5_IS6_S8_EES8_NS5_IlS8_EES8_jjPS6_PjSD_j.num_vgpr, 24
	.set _ZN2at6native6mbtopk10gatherTopKIijLi3EEEvNS_4cuda6detail10TensorInfoIKT_T0_EES8_S8_bjS8_NS5_IS6_S8_EES8_NS5_IlS8_EES8_jjPS6_PjSD_j.num_agpr, 0
	.set _ZN2at6native6mbtopk10gatherTopKIijLi3EEEvNS_4cuda6detail10TensorInfoIKT_T0_EES8_S8_bjS8_NS5_IS6_S8_EES8_NS5_IlS8_EES8_jjPS6_PjSD_j.numbered_sgpr, 54
	.set _ZN2at6native6mbtopk10gatherTopKIijLi3EEEvNS_4cuda6detail10TensorInfoIKT_T0_EES8_S8_bjS8_NS5_IS6_S8_EES8_NS5_IlS8_EES8_jjPS6_PjSD_j.num_named_barrier, 0
	.set _ZN2at6native6mbtopk10gatherTopKIijLi3EEEvNS_4cuda6detail10TensorInfoIKT_T0_EES8_S8_bjS8_NS5_IS6_S8_EES8_NS5_IlS8_EES8_jjPS6_PjSD_j.private_seg_size, 0
	.set _ZN2at6native6mbtopk10gatherTopKIijLi3EEEvNS_4cuda6detail10TensorInfoIKT_T0_EES8_S8_bjS8_NS5_IS6_S8_EES8_NS5_IlS8_EES8_jjPS6_PjSD_j.uses_vcc, 1
	.set _ZN2at6native6mbtopk10gatherTopKIijLi3EEEvNS_4cuda6detail10TensorInfoIKT_T0_EES8_S8_bjS8_NS5_IS6_S8_EES8_NS5_IlS8_EES8_jjPS6_PjSD_j.uses_flat_scratch, 0
	.set _ZN2at6native6mbtopk10gatherTopKIijLi3EEEvNS_4cuda6detail10TensorInfoIKT_T0_EES8_S8_bjS8_NS5_IS6_S8_EES8_NS5_IlS8_EES8_jjPS6_PjSD_j.has_dyn_sized_stack, 0
	.set _ZN2at6native6mbtopk10gatherTopKIijLi3EEEvNS_4cuda6detail10TensorInfoIKT_T0_EES8_S8_bjS8_NS5_IS6_S8_EES8_NS5_IlS8_EES8_jjPS6_PjSD_j.has_recursion, 0
	.set _ZN2at6native6mbtopk10gatherTopKIijLi3EEEvNS_4cuda6detail10TensorInfoIKT_T0_EES8_S8_bjS8_NS5_IS6_S8_EES8_NS5_IlS8_EES8_jjPS6_PjSD_j.has_indirect_call, 0
	.section	.AMDGPU.csdata,"",@progbits
; Kernel info:
; codeLenInByte = 3036
; TotalNumSgprs: 56
; NumVgprs: 24
; ScratchSize: 0
; MemoryBound: 0
; FloatMode: 240
; IeeeMode: 1
; LDSByteSize: 1068 bytes/workgroup (compile time only)
; SGPRBlocks: 0
; VGPRBlocks: 1
; NumSGPRsForWavesPerEU: 56
; NumVGPRsForWavesPerEU: 24
; NamedBarCnt: 0
; Occupancy: 16
; WaveLimiterHint : 1
; COMPUTE_PGM_RSRC2:SCRATCH_EN: 0
; COMPUTE_PGM_RSRC2:USER_SGPR: 2
; COMPUTE_PGM_RSRC2:TRAP_HANDLER: 0
; COMPUTE_PGM_RSRC2:TGID_X_EN: 1
; COMPUTE_PGM_RSRC2:TGID_Y_EN: 1
; COMPUTE_PGM_RSRC2:TGID_Z_EN: 1
; COMPUTE_PGM_RSRC2:TIDIG_COMP_CNT: 0
	.section	.text._ZN2at6native6sbtopk10gatherTopKIijLi3ELb0EEEvNS_4cuda6detail10TensorInfoIKT_T0_EES8_S8_bS8_S8_NS5_IS6_S8_EES8_NS5_IlS8_EES8_PS6_,"axG",@progbits,_ZN2at6native6sbtopk10gatherTopKIijLi3ELb0EEEvNS_4cuda6detail10TensorInfoIKT_T0_EES8_S8_bS8_S8_NS5_IS6_S8_EES8_NS5_IlS8_EES8_PS6_,comdat
	.protected	_ZN2at6native6sbtopk10gatherTopKIijLi3ELb0EEEvNS_4cuda6detail10TensorInfoIKT_T0_EES8_S8_bS8_S8_NS5_IS6_S8_EES8_NS5_IlS8_EES8_PS6_ ; -- Begin function _ZN2at6native6sbtopk10gatherTopKIijLi3ELb0EEEvNS_4cuda6detail10TensorInfoIKT_T0_EES8_S8_bS8_S8_NS5_IS6_S8_EES8_NS5_IlS8_EES8_PS6_
	.globl	_ZN2at6native6sbtopk10gatherTopKIijLi3ELb0EEEvNS_4cuda6detail10TensorInfoIKT_T0_EES8_S8_bS8_S8_NS5_IS6_S8_EES8_NS5_IlS8_EES8_PS6_
	.p2align	8
	.type	_ZN2at6native6sbtopk10gatherTopKIijLi3ELb0EEEvNS_4cuda6detail10TensorInfoIKT_T0_EES8_S8_bS8_S8_NS5_IS6_S8_EES8_NS5_IlS8_EES8_PS6_,@function
_ZN2at6native6sbtopk10gatherTopKIijLi3ELb0EEEvNS_4cuda6detail10TensorInfoIKT_T0_EES8_S8_bS8_S8_NS5_IS6_S8_EES8_NS5_IlS8_EES8_PS6_: ; @_ZN2at6native6sbtopk10gatherTopKIijLi3ELb0EEEvNS_4cuda6detail10TensorInfoIKT_T0_EES8_S8_bS8_S8_NS5_IS6_S8_EES8_NS5_IlS8_EES8_PS6_
; %bb.0:
	s_clause 0x1
	s_load_b128 s[36:39], s[0:1], 0xd8
	s_load_b64 s[12:13], s[0:1], 0x2b8
	s_bfe_u32 s2, ttmp6, 0x40010
	s_and_b32 s3, ttmp7, 0xffff
	s_add_co_i32 s2, s2, 1
	s_bfe_u32 s5, ttmp6, 0x4000c
	s_mul_i32 s2, s3, s2
	s_bfe_u32 s4, ttmp6, 0x40004
	s_add_co_i32 s5, s5, 1
	s_bfe_u32 s6, ttmp6, 0x40014
	s_add_co_i32 s4, s4, s2
	s_and_b32 s2, ttmp6, 15
	s_mul_i32 s5, ttmp9, s5
	s_lshr_b32 s7, ttmp7, 16
	s_add_co_i32 s6, s6, 1
	s_add_co_i32 s2, s2, s5
	s_mul_i32 s5, s7, s6
	s_bfe_u32 s6, ttmp6, 0x40008
	s_getreg_b32 s8, hwreg(HW_REG_IB_STS2, 6, 4)
	s_add_co_i32 s6, s6, s5
	s_cmp_eq_u32 s8, 0
	s_mov_b32 s51, 0
	s_cselect_b32 s5, s7, s6
	s_cselect_b32 s3, s3, s4
	s_wait_kmcnt 0x0
	s_mul_i32 s5, s13, s5
	s_cselect_b32 s11, ttmp9, s2
	s_add_co_i32 s2, s5, s3
	s_delay_alu instid0(SALU_CYCLE_1) | instskip(NEXT) | instid1(SALU_CYCLE_1)
	s_mul_i32 s68, s2, s12
	s_add_co_i32 s68, s68, s11
	s_delay_alu instid0(SALU_CYCLE_1)
	s_cmp_ge_u32 s68, s39
	s_cbranch_scc1 .LBB36_415
; %bb.1:
	s_clause 0x5
	s_load_b64 s[18:19], s[0:1], 0xc
	s_load_b64 s[52:53], s[0:1], 0xfc
	;; [unrolled: 1-line block ×4, first 2 shown]
	s_load_b32 s43, s[0:1], 0xe8
	s_load_b96 s[8:10], s[0:1], 0x6c
	s_add_nc_u64 s[14:15], s[0:1], 0x2b8
	s_mov_b32 s55, s51
	s_wait_kmcnt 0x0
	s_cvt_f32_u32 s2, s19
	s_cvt_f32_u32 s3, s53
	s_delay_alu instid0(SALU_CYCLE_2) | instskip(SKIP_1) | instid1(SALU_CYCLE_1)
	v_rcp_iflag_f32_e32 v1, s2
	s_sub_co_i32 s2, 0, s19
	v_rcp_iflag_f32_e32 v4, s3
	s_cvt_f32_u32 s3, s49
	s_delay_alu instid0(SALU_CYCLE_3) | instskip(NEXT) | instid1(TRANS32_DEP_3)
	v_rcp_iflag_f32_e32 v5, s3
	v_mul_f32_e32 v1, 0x4f7ffffe, v1
	s_delay_alu instid0(TRANS32_DEP_2) | instskip(SKIP_2) | instid1(TRANS32_DEP_1)
	v_readfirstlane_b32 s4, v4
	s_sub_co_i32 s3, 0, s18
	v_cvt_u32_f32_e32 v1, v1
	v_readfirstlane_b32 s5, v5
	s_delay_alu instid0(VALU_DEP_2) | instskip(SKIP_2) | instid1(SALU_CYCLE_2)
	v_mul_lo_u32 v2, s2, v1
	s_cvt_f32_u32 s2, s18
	s_mul_f32 s5, s5, 0x4f7ffffe
	v_rcp_iflag_f32_e32 v3, s2
	s_cvt_f32_u32 s2, s52
	s_delay_alu instid0(SALU_CYCLE_1) | instskip(NEXT) | instid1(SALU_CYCLE_2)
	s_cvt_u32_f32 s5, s5
	v_rcp_iflag_f32_e32 v4, s2
	s_delay_alu instid0(VALU_DEP_1) | instskip(SKIP_2) | instid1(TRANS32_DEP_1)
	v_mul_hi_u32 v2, v1, v2
	v_mov_b32_e32 v13, 0
	s_mul_f32 s2, s4, 0x4f7ffffe
	v_readfirstlane_b32 s4, v4
	s_delay_alu instid0(SALU_CYCLE_2) | instskip(SKIP_2) | instid1(VALU_DEP_1)
	s_cvt_u32_f32 s2, s2
	s_mul_f32 s4, s4, 0x4f7ffffe
	v_dual_mul_f32 v2, 0x4f7ffffe, v3 :: v_dual_add_nc_u32 v1, v1, v2
	v_mul_hi_u32 v1, s68, v1
	s_delay_alu instid0(VALU_DEP_2) | instskip(NEXT) | instid1(VALU_DEP_1)
	v_cvt_u32_f32_e32 v2, v2
	v_mul_lo_u32 v4, s3, v2
	s_sub_co_i32 s3, 0, s53
	s_delay_alu instid0(SALU_CYCLE_1) | instskip(NEXT) | instid1(VALU_DEP_3)
	s_mul_i32 s3, s3, s2
	v_mul_lo_u32 v5, v1, s19
	v_mov_b32_e32 v3, v13
	s_mul_hi_u32 s3, s2, s3
	s_delay_alu instid0(SALU_CYCLE_1) | instskip(SKIP_1) | instid1(VALU_DEP_3)
	s_add_co_i32 s2, s2, s3
	s_cvt_u32_f32 s3, s4
	v_mul_hi_u32 v4, v2, v4
	s_mul_hi_u32 s2, s68, s2
	s_delay_alu instid0(SALU_CYCLE_1) | instskip(SKIP_1) | instid1(VALU_DEP_3)
	s_mul_i32 s4, s2, s53
	s_add_co_i32 s6, s2, 1
	v_sub_nc_u32_e32 v5, s68, v5
	s_sub_co_i32 s4, s68, s4
	s_delay_alu instid0(SALU_CYCLE_1) | instskip(SKIP_1) | instid1(VALU_DEP_1)
	s_sub_co_i32 s7, s4, s53
	s_cmp_ge_u32 s4, s53
	v_subrev_nc_u32_e32 v7, s19, v5
	v_cmp_le_u32_e32 vcc_lo, s19, v5
	s_delay_alu instid0(VALU_DEP_4) | instskip(SKIP_3) | instid1(VALU_DEP_2)
	v_dual_add_nc_u32 v6, 1, v1 :: v_dual_add_nc_u32 v2, v2, v4
	s_cselect_b32 s2, s6, s2
	s_cselect_b32 s4, s7, s4
	v_cndmask_b32_e32 v5, v5, v7, vcc_lo
	v_cndmask_b32_e32 v1, v1, v6, vcc_lo
	s_add_co_i32 s6, s2, 1
	s_cmp_ge_u32 s4, s53
	s_delay_alu instid0(VALU_DEP_2) | instskip(NEXT) | instid1(VALU_DEP_2)
	v_cmp_le_u32_e32 vcc_lo, s19, v5
	v_add_nc_u32_e32 v6, 1, v1
	s_cselect_b32 s50, s6, s2
	s_sub_co_i32 s2, 0, s49
	s_cvt_f32_u32 s6, s48
	s_mul_i32 s2, s2, s5
	v_cndmask_b32_e32 v12, v1, v6, vcc_lo
	s_mul_hi_u32 s2, s5, s2
	v_rcp_iflag_f32_e32 v1, s6
	s_sub_co_i32 s4, 0, s52
	s_add_co_i32 s5, s5, s2
	v_mul_u64_e32 v[2:3], v[12:13], v[2:3]
	s_mul_i32 s4, s4, s3
	s_mul_hi_u32 s5, s68, s5
	s_mul_hi_u32 s2, s3, s4
	s_mul_i32 s4, s5, s49
	s_add_co_i32 s2, s3, s2
	s_sub_co_i32 s3, s68, s4
	v_readfirstlane_b32 s6, v1
	s_add_co_i32 s4, s5, 1
	s_sub_co_i32 s7, s3, s49
	s_cmp_ge_u32 s3, s49
	s_cselect_b32 s4, s4, s5
	s_mul_f32 s5, s6, 0x4f7ffffe
	s_cselect_b32 s3, s7, s3
	s_add_co_i32 s6, s4, 1
	s_cmp_ge_u32 s3, s49
	s_cvt_u32_f32 s7, s5
	s_cselect_b32 s54, s6, s4
	s_sub_co_i32 s3, 0, s48
	v_cmp_eq_u32_e64 s5, 0, v0
	s_mul_i32 s4, s3, s7
	s_mov_b32 s3, s51
	s_mul_hi_u32 s4, s7, s4
	s_delay_alu instid0(SALU_CYCLE_1)
	s_add_co_i32 s6, s7, s4
	s_mov_b32 s7, s51
	s_and_saveexec_b32 s4, s5
; %bb.2:
	v_dual_mov_b32 v4, 0 :: v_dual_mov_b32 v5, s36
	s_delay_alu instid0(VALU_DEP_1)
	v_mov_b32_e32 v6, v4
	ds_store_b96 v4, v[4:6] offset:4096
; %bb.3:
	s_or_b32 exec_lo, exec_lo, s4
	v_mul_lo_u32 v1, v3, s18
	v_add_nc_u32_e32 v4, 1, v3
	s_mul_u64 s[60:61], s[50:51], s[2:3]
	s_clause 0x1
	s_load_b96 s[40:42], s[0:1], 0x23c
	s_load_b64 s[20:21], s[0:1], 0x1d0
	s_wait_dscnt 0x0
	s_barrier_signal -1
	s_barrier_wait -1
	s_load_b32 s13, s[14:15], 0xc
	v_mul_lo_u32 v2, v12, s19
	v_mbcnt_lo_u32_b32 v9, -1, 0
	v_sub_nc_u32_e32 v1, v12, v1
	v_add_max_u32_e64 v7, v0, 2, s36
	s_mul_u64 s[34:35], s[54:55], s[6:7]
	s_bitcmp1_b32 s38, 0
	v_cmp_gt_i32_e64 s7, 4, v9
	v_subrev_nc_u32_e32 v5, s18, v1
	v_cmp_le_u32_e32 vcc_lo, s18, v1
	v_lshrrev_b32_e32 v6, 1, v0
	s_cselect_b32 s4, -1, 0
	v_sub_nc_u32_e32 v8, s68, v2
	v_xad_u32 v16, v0, -1, v7
	v_dual_cndmask_b32 v3, v3, v4 :: v_dual_cndmask_b32 v4, v1, v5
	v_cmp_gt_u32_e32 vcc_lo, 32, v0
	s_xor_b32 s55, s4, -1
	s_delay_alu instid0(VALU_DEP_2) | instskip(NEXT) | instid1(VALU_DEP_3)
	v_dual_lshlrev_b32 v1, 2, v0 :: v_dual_add_nc_u32 v5, 1, v3
	v_cmp_le_u32_e64 s2, s18, v4
	s_wait_kmcnt 0x0
	s_and_b32 s47, s13, 0xffff
	s_and_b32 s60, vcc_lo, s7
	v_mov_b32_e32 v15, v13
	s_lshl_b32 s69, s47, 2
	v_cndmask_b32_e64 v4, v3, v5, s2
	v_lshlrev_b64_e64 v[2:3], v9, -1
	s_cmp_gt_u32 s36, 0x300
	s_cvt_f32_u32 s7, s69
	s_cselect_b32 s70, -1, 0
	v_mul_lo_u32 v5, v4, s18
	s_cmp_gt_u32 s47, 31
	v_mul_lo_u32 v4, v4, s8
	s_cselect_b32 s71, -1, 0
	s_add_co_i32 s72, s47, -1
	v_rcp_iflag_f32_e32 v7, s7
	s_add_co_i32 s19, s72, s36
	s_cmp_lt_u32 s11, s12
	s_movk_i32 s18, 0x1f0
	s_cselect_b32 s38, 12, 18
	s_bfe_u32 s73, s13, 0xb0005
	v_sub_nc_u32_e32 v3, v12, v5
	v_mul_lo_u32 v5, v8, s10
	s_add_co_i32 s7, s73, -2
	v_not_b32_e32 v8, v2
	s_lshr_b32 s8, s7, 1
	v_mul_lo_u32 v3, v3, s9
	s_add_co_i32 s8, s8, 1
	v_readfirstlane_b32 s9, v7
	s_cmp_gt_u32 s47, 63
	v_and_or_b32 v23, v6, s18, 0xc00
	s_cselect_b32 s74, -1, 0
	s_and_b32 s75, s73, 0x7fe
	s_and_b32 s76, s8, 7
	s_cmp_gt_u32 s7, 13
	s_mul_f32 s7, s9, 0x4f7ffffe
	s_cselect_b32 s77, -1, 0
	v_add_nc_u32_e32 v3, v3, v5
	s_and_b32 s78, s8, -8
	s_cmp_lg_u32 s76, 0
	s_cvt_u32_f32 s7, s7
	s_cselect_b32 s79, -1, 0
	v_add_nc_u32_e32 v12, v3, v4
	v_add_nc_u32_e32 v3, -2, v16
	s_cmp_lg_u32 s75, s73
	s_cvt_f32_u32 s9, s47
	s_cselect_b32 s80, -1, 0
	s_sub_co_i32 s8, 0, s69
	v_lshrrev_b32_e32 v2, 1, v3
	v_lshlrev_b64_e32 v[4:5], 2, v[12:13]
	s_mul_i32 s8, s8, s7
	v_mul_lo_u32 v14, s43, v0
	s_mul_hi_u32 s8, s7, s8
	v_add_nc_u32_e32 v2, 1, v2
	s_add_co_i32 s62, s7, s8
	s_load_b64 s[58:59], s[0:1], 0xf0
	v_add_nc_u64_e32 v[6:7], s[16:17], v[4:5]
	v_rcp_iflag_f32_e32 v4, s9
	s_mul_hi_u32 s8, s36, s62
	v_mad_u32 v29, s43, v1, s43
	s_mul_i32 s8, s8, s69
                                        ; implicit-def: $vgpr68 : SGPR spill to VGPR lane
	v_cmp_gt_u32_e64 s3, s36, v0
	s_sub_co_i32 s8, s36, s8
	v_lshl_add_u64 v[10:11], v[14:15], 2, v[6:7]
	v_readfirstlane_b32 s9, v4
	s_sub_co_i32 s10, s8, s69
	s_cmp_ge_u32 s8, s69
	v_and_b32_e32 v15, -2, v16
	s_cselect_b32 s8, s10, s8
	s_mul_f32 s9, s9, 0x4f7ffffe
	s_sub_co_i32 s10, s8, s69
	s_cmp_ge_u32 s8, s69
	v_add_nc_u32_e32 v24, v0, v15
	s_cvt_u32_f32 s9, s9
	s_cselect_b32 s16, s10, s8
	s_sub_co_i32 s10, 0, s47
	s_sub_co_i32 s82, s36, s16
	s_mul_i32 s10, s10, s9
	v_dual_add_nc_u32 v25, s82, v0 :: v_dual_bitop2_b32 v4, 7, v2 bitop3:0x40
	s_mul_hi_u32 s10, s9, s10
	v_and_b32_e32 v26, -8, v2
	s_add_co_i32 s64, s9, s10
	v_add3_u32 v2, s47, s36, v0
	s_mul_hi_u32 s10, s19, s64
	v_cmp_lt_u32_e64 s8, 13, v3
	s_mul_i32 s10, s10, s47
	v_cmp_ne_u32_e64 s9, 0, v4
	s_sub_co_i32 s11, s19, s10
	v_mul_lo_u32 v12, v25, s43
	s_sub_co_i32 s12, s11, s47
	s_cmp_ge_u32 s11, s47
	v_dual_lshlrev_b32 v27, 3, v4 :: v_dual_bitop2_b32 v3, 2, v1 bitop3:0x54
	v_dual_lshlrev_b32 v32, 2, v14 :: v_dual_bitop2_b32 v4, 3, v1 bitop3:0x54
	v_lshlrev_b32_e32 v34, 4, v0
	v_subrev_nc_u32_e32 v2, s16, v2
	s_cselect_b32 s13, s12, s11
	v_mul_lo_u32 v30, s43, v3
	s_sub_co_i32 s17, s13, s47
	s_cmp_ge_u32 s13, s47
	v_mul_lo_u32 v31, s43, v4
	v_mul_lo_u32 v33, s43, v2
	s_cselect_b32 s13, s17, s13
	v_writelane_b32 v68, s20, 0
	s_sub_co_i32 s83, s19, s13
	v_cmp_gt_u32_e64 s6, 2, v0
	v_cmp_eq_u32_e64 s2, 0, v9
	v_dual_mov_b32 v37, s37 :: v_dual_add_nc_u32 v22, 0xc00, v1
	v_cmp_lt_u32_e64 s7, 31, v16
	v_cmp_ne_u32_e64 s10, v16, v15
	v_cmp_gt_u32_e64 s11, s82, v1
	v_cmp_gt_u32_e64 s12, s36, v25
	v_lshl_add_u64 v[18:19], v[12:13], 2, v[6:7]
	v_cmp_gt_u32_e64 s13, s83, v0
	v_lshl_or_b32 v35, v9, 2, 0xc00
	v_dual_mov_b32 v20, 1 :: v_dual_mov_b32 v17, 0
	v_dual_mov_b32 v28, 0 :: v_dual_mov_b32 v36, 0
	s_mov_b32 s39, 0
	s_mul_i32 s51, s43, s47
	s_mov_b32 s81, s43
	s_mov_b32 s63, s39
	;; [unrolled: 1-line block ×3, first 2 shown]
	s_lshl_b32 s84, s51, 2
	s_lshl_b32 s85, s47, 4
	s_mov_b32 s86, 30
	s_add_nc_u64 s[66:67], s[14:15], s[38:39]
	s_mov_b32 s87, 0
	s_mov_b32 s89, 0
	v_writelane_b32 v68, s21, 1
                                        ; implicit-def: $sgpr88
                                        ; implicit-def: $sgpr92
                                        ; implicit-def: $sgpr91
                                        ; implicit-def: $sgpr93
                                        ; implicit-def: $sgpr90
                                        ; implicit-def: $sgpr97
                                        ; implicit-def: $sgpr98
                                        ; implicit-def: $sgpr94
                                        ; implicit-def: $sgpr96
                                        ; implicit-def: $sgpr95
	s_branch .LBB36_6
.LBB36_4:                               ;   in Loop: Header=BB36_6 Depth=1
	s_or_b32 exec_lo, exec_lo, s17
	v_mov_b32_e32 v37, v38
	s_and_not1_b32 s17, s95, exec_lo
	s_and_b32 s16, s16, exec_lo
	s_and_not1_b32 s96, s96, exec_lo
	s_or_b32 s95, s17, s16
	s_and_not1_b32 s94, s94, exec_lo
	s_and_not1_b32 s98, s98, exec_lo
	;; [unrolled: 1-line block ×3, first 2 shown]
	s_or_not1_b32 s17, s15, exec_lo
.LBB36_5:                               ;   in Loop: Header=BB36_6 Depth=1
	s_or_b32 exec_lo, exec_lo, s14
	s_delay_alu instid0(SALU_CYCLE_1) | instskip(NEXT) | instid1(SALU_CYCLE_1)
	s_and_b32 s14, exec_lo, s17
	s_or_b32 s87, s14, s87
	s_and_not1_b32 s14, s90, exec_lo
	s_and_b32 s15, s95, exec_lo
	s_and_not1_b32 s16, s93, exec_lo
	s_or_b32 s90, s14, s15
	s_and_b32 s14, s96, exec_lo
	s_and_not1_b32 s15, s91, exec_lo
	s_and_b32 s17, s94, exec_lo
	s_or_b32 s93, s16, s14
	s_or_b32 s91, s15, s17
	s_and_not1_b32 s14, s92, exec_lo
	s_and_b32 s15, s98, exec_lo
	s_and_not1_b32 s16, s88, exec_lo
	s_and_b32 s17, s97, exec_lo
	s_or_b32 s92, s14, s15
	s_or_b32 s88, s16, s17
	s_and_not1_b32 exec_lo, exec_lo, s87
	s_cbranch_execz .LBB36_411
.LBB36_6:                               ; =>This Loop Header: Depth=1
                                        ;     Child Loop BB36_12 Depth 2
                                        ;     Child Loop BB36_33 Depth 2
	;; [unrolled: 1-line block ×27, first 2 shown]
	ds_load_b64 v[2:3], v13 offset:4096
	s_wait_dscnt 0x0
	v_readfirstlane_b32 s38, v2
	s_cmp_lg_u32 s38, 0
	s_cbranch_scc1 .LBB36_52
; %bb.7:                                ;   in Loop: Header=BB36_6 Depth=1
	s_and_b32 vcc_lo, exec_lo, s70
	s_cbranch_vccz .LBB36_20
; %bb.8:                                ;   in Loop: Header=BB36_6 Depth=1
	v_cmp_gt_u32_e32 vcc_lo, 0x301, v3
	s_mov_b32 s16, 0
	s_mov_b32 s14, 0
	s_cbranch_vccz .LBB36_21
; %bb.9:                                ;   in Loop: Header=BB36_6 Depth=1
	s_and_saveexec_b32 s17, s3
	s_cbranch_execz .LBB36_27
; %bb.10:                               ;   in Loop: Header=BB36_6 Depth=1
	global_load_b32 v3, v[10:11], off
	s_load_u16 s18, s[66:67], 0x0
	s_mov_b32 s20, 0
	s_wait_kmcnt 0x0
	v_dual_mov_b32 v4, v0 :: v_dual_add_nc_u32 v2, s18, v0
	s_mul_i32 s19, s43, s18
	s_delay_alu instid0(VALU_DEP_1)
	v_mul_lo_u32 v2, s43, v2
	s_branch .LBB36_12
.LBB36_11:                              ;   in Loop: Header=BB36_12 Depth=2
	s_or_b32 exec_lo, exec_lo, s15
	v_dual_mov_b32 v3, v5 :: v_dual_add_nc_u32 v2, s19, v2
	s_and_not1_b32 exec_lo, exec_lo, s20
	s_cbranch_execz .LBB36_27
.LBB36_12:                              ;   Parent Loop BB36_6 Depth=1
                                        ; =>  This Inner Loop Header: Depth=2
	s_wait_dscnt 0x0
	v_dual_add_nc_u32 v4, s18, v4 :: v_dual_mov_b32 v12, 0
	v_mov_b32_e32 v5, 0
	s_mov_b32 s15, exec_lo
	s_delay_alu instid0(VALU_DEP_2)
	v_cmp_le_u32_e32 vcc_lo, s36, v4
	v_cmpx_gt_u32_e64 s36, v4
	s_cbranch_execz .LBB36_14
; %bb.13:                               ;   in Loop: Header=BB36_12 Depth=2
	v_readfirstlane_b32 s22, v6
	v_readfirstlane_b32 s23, v7
	global_load_b32 v5, v2, s[22:23] scale_offset
.LBB36_14:                              ;   in Loop: Header=BB36_12 Depth=2
	s_wait_xcnt 0x0
	s_or_b32 exec_lo, exec_lo, s15
	s_wait_loadcnt 0x0
	v_bitop3_b32 v16, v3, v36, 0x80000000 bitop3:0x48
	s_delay_alu instid0(VALU_DEP_1) | instskip(SKIP_2) | instid1(SALU_CYCLE_1)
	v_cmp_eq_u32_e64 s14, v16, v28
	s_cmp_lg_u32 s14, 0
	s_cselect_b32 s15, -1, 0
	s_and_b32 s15, s2, s15
	s_delay_alu instid0(SALU_CYCLE_1)
	s_and_saveexec_b32 s21, s15
	s_cbranch_execz .LBB36_18
; %bb.15:                               ;   in Loop: Header=BB36_12 Depth=2
	s_mov_b32 s24, exec_lo
	s_bcnt1_i32_b32 s22, s14
	v_mbcnt_lo_u32_b32 v12, s24, 0
	s_mov_b32 s23, exec_lo
                                        ; implicit-def: $vgpr16
	s_delay_alu instid0(VALU_DEP_1)
	v_cmpx_eq_u32_e32 0, v12
; %bb.16:                               ;   in Loop: Header=BB36_12 Depth=2
	s_bcnt1_i32_b32 s15, s24
	s_delay_alu instid0(SALU_CYCLE_1) | instskip(NEXT) | instid1(SALU_CYCLE_1)
	s_mul_i32 s15, s22, s15
	v_mov_b32_e32 v16, s15
	ds_add_rtn_u32 v16, v13, v16 offset:4104
; %bb.17:                               ;   in Loop: Header=BB36_12 Depth=2
	s_or_b32 exec_lo, exec_lo, s23
	s_wait_dscnt 0x0
	v_readfirstlane_b32 s15, v16
	s_delay_alu instid0(VALU_DEP_1)
	v_mad_u32_u24 v12, s22, v12, s15
.LBB36_18:                              ;   in Loop: Header=BB36_12 Depth=2
	s_or_b32 exec_lo, exec_lo, s21
	ds_bpermute_b32 v12, v13, v12
	s_and_b32 s15, exec_lo, vcc_lo
	s_delay_alu instid0(SALU_CYCLE_1)
	s_or_b32 s20, s15, s20
	s_and_saveexec_b32 s15, s14
	s_cbranch_execz .LBB36_11
; %bb.19:                               ;   in Loop: Header=BB36_12 Depth=2
	v_and_b32_e32 v16, s14, v8
	s_delay_alu instid0(VALU_DEP_1) | instskip(NEXT) | instid1(VALU_DEP_1)
	v_bcnt_u32_b32 v16, v16, 0
	v_lshlrev_b32_e32 v16, 2, v16
	s_wait_dscnt 0x0
	s_delay_alu instid0(VALU_DEP_1)
	v_lshl_add_u32 v12, v12, 2, v16
	ds_store_b32 v12, v3
	s_branch .LBB36_11
.LBB36_20:                              ;   in Loop: Header=BB36_6 Depth=1
	s_mov_b32 s16, -1
	s_mov_b32 s14, 0
.LBB36_21:                              ;   in Loop: Header=BB36_6 Depth=1
	s_and_b32 vcc_lo, exec_lo, s16
	s_cbranch_vccz .LBB36_50
.LBB36_22:                              ;   in Loop: Header=BB36_6 Depth=1
	s_and_saveexec_b32 s15, s3
	s_cbranch_execz .LBB36_47
; %bb.23:                               ;   in Loop: Header=BB36_6 Depth=1
	global_load_b32 v16, v[10:11], off
	s_load_u16 s17, s[66:67], 0x0
	s_mov_b32 s16, exec_lo
	s_wait_kmcnt 0x0
	v_dual_mov_b32 v4, v0 :: v_dual_add_nc_u32 v2, s17, v0
	s_delay_alu instid0(VALU_DEP_1)
	v_cmpx_gt_u32_e64 s36, v2
	s_cbranch_execz .LBB36_46
; %bb.24:                               ;   in Loop: Header=BB36_6 Depth=1
	s_mov_b32 s14, 0
	s_mul_i32 s18, s43, s17
                                        ; implicit-def: $vgpr4
                                        ; implicit-def: $vgpr12
                                        ; implicit-def: $vgpr3
                                        ; implicit-def: $vgpr5
	s_and_saveexec_b32 s19, s7
	s_delay_alu instid0(SALU_CYCLE_1)
	s_xor_b32 s19, exec_lo, s19
	s_cbranch_execnz .LBB36_30
; %bb.25:                               ;   in Loop: Header=BB36_6 Depth=1
	s_and_not1_saveexec_b32 s19, s19
	s_cbranch_execnz .LBB36_41
.LBB36_26:                              ;   in Loop: Header=BB36_6 Depth=1
	s_or_b32 exec_lo, exec_lo, s19
	s_and_saveexec_b32 s18, s14
	s_cbranch_execnz .LBB36_42
	s_branch .LBB36_45
.LBB36_27:                              ;   in Loop: Header=BB36_6 Depth=1
	s_or_b32 exec_lo, exec_lo, s17
	s_wait_dscnt 0x0
	s_barrier_signal -1
	s_barrier_wait -1
	s_and_saveexec_b32 s14, s5
	s_cbranch_execz .LBB36_29
; %bb.28:                               ;   in Loop: Header=BB36_6 Depth=1
	ds_load_b32 v2, v13 offset:4104
	s_wait_dscnt 0x0
	ds_store_b32 v13, v2 offset:4096
.LBB36_29:                              ;   in Loop: Header=BB36_6 Depth=1
	s_or_b32 exec_lo, exec_lo, s14
	s_wait_dscnt 0x0
	s_barrier_signal -1
	s_mov_b32 s14, -1
	s_barrier_wait -1
	s_and_b32 vcc_lo, exec_lo, s16
	s_cbranch_vccnz .LBB36_22
	s_branch .LBB36_50
.LBB36_30:                              ;   in Loop: Header=BB36_6 Depth=1
	s_cvt_f32_u32 s14, s17
	v_add_max_u32_e64 v3, v2, s17, s36
	s_delay_alu instid0(SALU_CYCLE_2) | instskip(SKIP_1) | instid1(VALU_DEP_1)
	v_rcp_iflag_f32_e32 v4, s14
	s_lshl_b32 s14, s17, 1
	v_sub_nc_u32_e32 v3, v3, v0
	s_delay_alu instid0(VALU_DEP_1) | instskip(NEXT) | instid1(TRANS32_DEP_1)
	v_cmp_ne_u32_e32 vcc_lo, s14, v3
	v_readfirstlane_b32 s20, v4
	v_cndmask_b32_e64 v4, 0, 1, vcc_lo
	s_mul_f32 s20, s20, 0x4f7ffffe
	s_delay_alu instid0(VALU_DEP_1) | instskip(NEXT) | instid1(SALU_CYCLE_2)
	v_or_b32_e32 v4, s14, v4
	s_cvt_u32_f32 s14, s20
	s_sub_co_i32 s20, 0, s17
	s_delay_alu instid0(SALU_CYCLE_2) | instskip(NEXT) | instid1(VALU_DEP_1)
	s_mul_i32 s20, s20, s14
	v_sub_nc_u32_e32 v3, v3, v4
	s_mul_hi_u32 s20, s14, s20
	s_delay_alu instid0(SALU_CYCLE_1)
	s_add_co_i32 s14, s14, s20
	s_delay_alu instid0(VALU_DEP_1) | instid1(SALU_CYCLE_1)
	v_mul_hi_u32 v4, v3, s14
	s_delay_alu instid0(VALU_DEP_1) | instskip(NEXT) | instid1(VALU_DEP_1)
	v_mul_lo_u32 v5, v4, s17
	v_dual_sub_nc_u32 v3, v3, v5 :: v_dual_add_nc_u32 v5, 1, v4
	s_delay_alu instid0(VALU_DEP_1) | instskip(SKIP_1) | instid1(VALU_DEP_1)
	v_subrev_nc_u32_e32 v12, s17, v3
	v_cmp_le_u32_e64 s14, s17, v3
	v_dual_cndmask_b32 v4, v4, v5, s14 :: v_dual_cndmask_b32 v3, v3, v12, s14
	s_delay_alu instid0(VALU_DEP_1) | instskip(NEXT) | instid1(VALU_DEP_2)
	v_add_nc_u32_e32 v5, 1, v4
	v_cmp_le_u32_e64 s14, s17, v3
	s_delay_alu instid0(VALU_DEP_1) | instskip(SKIP_2) | instid1(VALU_DEP_2)
	v_cndmask_b32_e64 v3, v4, v5, s14
	v_mul_lo_u32 v4, s43, v2
	s_abs_i32 s14, s18
	v_add_co_ci_u32_e64 v3, null, 0, v3, vcc_lo
	s_delay_alu instid0(VALU_DEP_1) | instskip(SKIP_2) | instid1(SALU_CYCLE_1)
	v_mul_hi_u32 v5, s14, v3
	v_mul_lo_u32 v3, s14, v3
	s_not_b32 s14, s18
	s_ashr_i32 s14, s14, 31
	s_cmp_eq_u32 s17, 1
	s_delay_alu instid0(VALU_DEP_4) | instskip(SKIP_1) | instid1(VALU_DEP_3)
	v_xor_b32_e32 v4, s14, v4
	s_cselect_b32 s20, -1, 0
	v_cmp_eq_u32_e32 vcc_lo, 0, v5
	s_delay_alu instid0(VALU_DEP_2) | instskip(SKIP_2) | instid1(SALU_CYCLE_1)
	v_cmp_le_u32_e64 s14, v3, v4
	v_mov_b32_e32 v3, v0
                                        ; implicit-def: $vgpr4
	s_and_b32 s20, vcc_lo, s20
	s_and_b32 s21, s20, s14
	s_mov_b32 s20, -1
	s_and_saveexec_b32 s14, s21
	s_cbranch_execz .LBB36_40
; %bb.31:                               ;   in Loop: Header=BB36_6 Depth=1
	v_dual_mov_b32 v12, 0 :: v_dual_add_nc_u32 v3, 1, v2
	s_delay_alu instid0(VALU_DEP_1)
	v_mov_b64_e32 v[4:5], v[2:3]
	s_and_saveexec_b32 s20, s8
	s_cbranch_execz .LBB36_35
; %bb.32:                               ;   in Loop: Header=BB36_6 Depth=1
	v_mov_b64_e32 v[4:5], v[2:3]
	v_dual_mov_b32 v21, v26 :: v_dual_mov_b32 v38, v1
	s_mov_b32 s21, 0
	s_mov_b32 s22, 0
.LBB36_33:                              ;   Parent Loop BB36_6 Depth=1
                                        ; =>  This Inner Loop Header: Depth=2
	s_delay_alu instid0(VALU_DEP_2) | instskip(NEXT) | instid1(VALU_DEP_3)
	v_mul_lo_u32 v12, v4, s43
	v_dual_add_nc_u32 v42, 4, v4 :: v_dual_add_nc_u32 v44, 4, v5
	v_dual_mov_b32 v45, v13 :: v_dual_add_nc_u32 v48, 6, v4
	v_dual_mov_b32 v53, v13 :: v_dual_add_nc_u32 v39, 2, v5
	;; [unrolled: 1-line block ×4, first 2 shown]
	v_mov_b32_e32 v55, v13
	v_lshl_add_u64 v[40:41], v[12:13], 2, v[6:7]
	v_dual_add_nc_u32 v12, 2, v4 :: v_dual_add_nc_u32 v66, 12, v4
	v_dual_add_nc_u32 v60, 12, v5 :: v_dual_add_nc_u32 v64, 14, v5
	v_mov_b32_e32 v61, v13
	global_load_b32 v3, v[40:41], off
	s_wait_xcnt 0x0
	v_mov_b32_e32 v41, v13
	v_mul_lo_u32 v12, v12, s43
	v_mul_lo_u32 v40, v5, s81
	;; [unrolled: 1-line block ×3, first 2 shown]
	v_dual_mov_b32 v59, v13 :: v_dual_add_nc_u32 v67, 14, v4
	v_add_nc_u32_e32 v21, -8, v21
	s_add_co_i32 s22, s22, 16
	v_dual_add_nc_u32 v54, 8, v5 :: v_dual_add_nc_u32 v5, 16, v5
	v_lshl_add_u64 v[46:47], v[12:13], 2, v[6:7]
	v_mul_lo_u32 v12, v42, s43
	v_add_nc_u32_e32 v42, 8, v4
	v_lshl_add_u64 v[40:41], v[40:41], 2, v[6:7]
	s_delay_alu instid0(VALU_DEP_3) | instskip(SKIP_4) | instid1(VALU_DEP_3)
	v_lshl_add_u64 v[50:51], v[12:13], 2, v[6:7]
	v_mul_lo_u32 v12, v48, s43
	v_dual_add_nc_u32 v48, 10, v4 :: v_dual_add_nc_u32 v4, 16, v4
	v_cmp_eq_u32_e32 vcc_lo, 0, v21
	s_or_b32 s21, vcc_lo, s21
	v_lshl_add_u64 v[56:57], v[12:13], 2, v[6:7]
	v_mul_lo_u32 v12, v42, s43
	v_mul_lo_u32 v42, v39, s81
	global_load_b32 v39, v[40:41], off
	v_lshl_add_u64 v[62:63], v[12:13], 2, v[6:7]
	v_mul_lo_u32 v12, v48, s43
	v_mul_lo_u32 v48, v52, s81
	v_mul_lo_u32 v52, v54, s81
	v_mul_lo_u32 v54, v58, s81
	v_mul_lo_u32 v58, v60, s81
	v_mul_lo_u32 v60, v64, s81
	s_wait_xcnt 0x0
	v_lshl_add_u64 v[40:41], v[42:43], 2, v[6:7]
	v_lshl_add_u64 v[42:43], v[44:45], 2, v[6:7]
	;; [unrolled: 1-line block ×3, first 2 shown]
	v_mul_lo_u32 v12, v66, s43
	v_lshl_add_u64 v[44:45], v[48:49], 2, v[6:7]
	v_lshl_add_u64 v[48:49], v[52:53], 2, v[6:7]
	;; [unrolled: 1-line block ×5, first 2 shown]
	s_clause 0x8
	global_load_b32 v66, v[40:41], off
	global_load_b32 v42, v[42:43], off
	;; [unrolled: 1-line block ×9, first 2 shown]
	v_lshl_add_u64 v[60:61], v[12:13], 2, v[6:7]
	v_mul_lo_u32 v12, v67, s43
	s_delay_alu instid0(VALU_DEP_1)
	v_lshl_add_u64 v[40:41], v[12:13], 2, v[6:7]
	s_clause 0x3
	global_load_b32 v50, v[62:63], off
	global_load_b32 v51, v[64:65], off
	;; [unrolled: 1-line block ×4, first 2 shown]
	v_mov_b32_e32 v12, s22
	s_wait_loadcnt 0xe
	ds_store_2addr_b32 v38, v16, v3 offset1:1
	global_load_b32 v16, v[58:59], off
	s_wait_loadcnt 0x7
	ds_store_2addr_b32 v38, v39, v46 offset0:2 offset1:3
	s_wait_loadcnt 0x6
	ds_store_2addr_b32 v38, v66, v47 offset0:4 offset1:5
	;; [unrolled: 2-line block ×7, first 2 shown]
	v_add_nc_u32_e32 v38, 64, v38
	s_wait_xcnt 0x0
	s_and_not1_b32 exec_lo, exec_lo, s21
	s_cbranch_execnz .LBB36_33
; %bb.34:                               ;   in Loop: Header=BB36_6 Depth=1
	s_or_b32 exec_lo, exec_lo, s21
.LBB36_35:                              ;   in Loop: Header=BB36_6 Depth=1
	s_delay_alu instid0(SALU_CYCLE_1)
	s_or_b32 exec_lo, exec_lo, s20
	s_and_saveexec_b32 s20, s9
	s_cbranch_execz .LBB36_39
; %bb.36:                               ;   in Loop: Header=BB36_6 Depth=1
	v_lshl_add_u32 v3, v12, 2, v1
	v_mov_b32_e32 v21, v27
	s_mov_b32 s21, 0
.LBB36_37:                              ;   Parent Loop BB36_6 Depth=1
                                        ; =>  This Inner Loop Header: Depth=2
	v_mul_lo_u32 v12, v4, s43
	v_mul_lo_u32 v38, v5, s81
	s_delay_alu instid0(VALU_DEP_3) | instskip(SKIP_1) | instid1(VALU_DEP_2)
	v_dual_mov_b32 v39, v13 :: v_dual_add_nc_u32 v21, -8, v21
	v_dual_add_nc_u32 v5, 2, v5 :: v_dual_add_nc_u32 v4, 2, v4
	v_cmp_eq_u32_e32 vcc_lo, 0, v21
	v_lshl_add_u64 v[40:41], v[12:13], 2, v[6:7]
	s_delay_alu instid0(VALU_DEP_4)
	v_lshl_add_u64 v[38:39], v[38:39], 2, v[6:7]
	s_or_b32 s21, vcc_lo, s21
	s_clause 0x1
	global_load_b32 v40, v[40:41], off
	global_load_b32 v12, v[38:39], off
	s_wait_loadcnt 0x1
	ds_store_2addr_b32 v3, v16, v40 offset1:1
	s_wait_loadcnt 0x0
	v_dual_mov_b32 v16, v12 :: v_dual_add_nc_u32 v3, 8, v3
	s_and_not1_b32 exec_lo, exec_lo, s21
	s_cbranch_execnz .LBB36_37
; %bb.38:                               ;   in Loop: Header=BB36_6 Depth=1
	s_or_b32 exec_lo, exec_lo, s21
	v_mov_b32_e32 v16, v12
.LBB36_39:                              ;   in Loop: Header=BB36_6 Depth=1
	s_or_b32 exec_lo, exec_lo, s20
	v_dual_mov_b32 v3, v24 :: v_dual_add_nc_u32 v2, v2, v15
	s_or_not1_b32 s20, s10, exec_lo
	s_delay_alu instid0(VALU_DEP_1)
	v_add_nc_u32_e32 v4, -1, v2
.LBB36_40:                              ;   in Loop: Header=BB36_6 Depth=1
	s_or_b32 exec_lo, exec_lo, s14
	s_wait_loadcnt 0x0
	v_dual_mov_b32 v5, s18 :: v_dual_mov_b32 v12, v16
	s_and_b32 s14, s20, exec_lo
	s_and_not1_saveexec_b32 s19, s19
	s_cbranch_execz .LBB36_26
.LBB36_41:                              ;   in Loop: Header=BB36_6 Depth=1
	s_wait_loadcnt 0x0
	v_dual_mov_b32 v5, s18 :: v_dual_mov_b32 v12, v16
	v_mov_b32_e32 v3, v0
	s_or_b32 s14, s14, exec_lo
	s_or_b32 exec_lo, exec_lo, s19
	s_and_saveexec_b32 s18, s14
	s_cbranch_execz .LBB36_45
.LBB36_42:                              ;   in Loop: Header=BB36_6 Depth=1
	v_mul_lo_u32 v4, s43, v2
	s_mov_b32 s19, 0
	s_sub_co_i32 s14, 0, s17
.LBB36_43:                              ;   Parent Loop BB36_6 Depth=1
                                        ; =>  This Inner Loop Header: Depth=2
	v_readfirstlane_b32 s20, v6
	v_readfirstlane_b32 s21, v7
	v_dual_mov_b32 v21, v2 :: v_dual_lshlrev_b32 v3, 2, v3
	s_wait_loadcnt 0x0
	global_load_b32 v16, v4, s[20:21] scale_offset
	v_add_nc_u32_e32 v2, s17, v21
	ds_store_b32 v3, v12
	s_wait_xcnt 0x0
	v_dual_mov_b32 v3, v21 :: v_dual_add_nc_u32 v4, v4, v5
	v_cmp_le_u32_e32 vcc_lo, s36, v2
	s_or_b32 s19, vcc_lo, s19
	s_wait_loadcnt 0x0
	v_mov_b32_e32 v12, v16
	s_and_not1_b32 exec_lo, exec_lo, s19
	s_cbranch_execnz .LBB36_43
; %bb.44:                               ;   in Loop: Header=BB36_6 Depth=1
	s_or_b32 exec_lo, exec_lo, s19
	v_add_nc_u32_e32 v4, s14, v2
.LBB36_45:                              ;   in Loop: Header=BB36_6 Depth=1
	s_or_b32 exec_lo, exec_lo, s18
.LBB36_46:                              ;   in Loop: Header=BB36_6 Depth=1
	s_delay_alu instid0(SALU_CYCLE_1) | instskip(NEXT) | instid1(VALU_DEP_1)
	s_or_b32 exec_lo, exec_lo, s16
	v_lshlrev_b32_e32 v2, 2, v4
	s_wait_loadcnt 0x0
	ds_store_b32 v2, v16
.LBB36_47:                              ;   in Loop: Header=BB36_6 Depth=1
	s_or_b32 exec_lo, exec_lo, s15
	s_wait_dscnt 0x0
	s_barrier_signal -1
	s_barrier_wait -1
	s_and_saveexec_b32 s14, s5
; %bb.48:                               ;   in Loop: Header=BB36_6 Depth=1
	v_mov_b32_e32 v2, s36
	ds_store_b32 v13, v2 offset:4096
; %bb.49:                               ;   in Loop: Header=BB36_6 Depth=1
	s_or_b32 exec_lo, exec_lo, s14
	s_mov_b32 s14, -1
	s_wait_dscnt 0x0
	s_barrier_signal -1
	s_barrier_wait -1
.LBB36_50:                              ;   in Loop: Header=BB36_6 Depth=1
	s_and_b32 vcc_lo, exec_lo, s14
	s_mov_b32 s38, 0
	s_cbranch_vccz .LBB36_52
; %bb.51:                               ;   in Loop: Header=BB36_6 Depth=1
	ds_load_b32 v2, v13 offset:4096
	s_wait_dscnt 0x0
	v_readfirstlane_b32 s38, v2
.LBB36_52:                              ;   in Loop: Header=BB36_6 Depth=1
	s_delay_alu instid0(VALU_DEP_1)
	s_cmp_lt_i32 s38, 1
	s_mov_b32 s14, -1
                                        ; implicit-def: $vgpr5
	s_cbranch_scc1 .LBB36_65
; %bb.53:                               ;   in Loop: Header=BB36_6 Depth=1
	s_and_b32 vcc_lo, exec_lo, s14
	s_cbranch_vccnz .LBB36_76
.LBB36_54:                              ;   in Loop: Header=BB36_6 Depth=1
	s_lshl_b32 s16, s89, 7
	s_and_saveexec_b32 s14, s2
.LBB36_55:                              ;   in Loop: Header=BB36_6 Depth=1
	v_lshl_add_u32 v12, s16, 2, v23
	ds_store_b128 v12, v[2:5]
.LBB36_56:                              ;   in Loop: Header=BB36_6 Depth=1
	s_or_b32 exec_lo, exec_lo, s14
	s_wait_dscnt 0x0
	s_barrier_signal -1
	s_barrier_wait -1
	s_and_saveexec_b32 s17, s60
	s_cbranch_execz .LBB36_89
; %bb.57:                               ;   in Loop: Header=BB36_6 Depth=1
	v_dual_add_nc_u32 v4, s16, v9 :: v_dual_mov_b32 v2, 0
	s_and_not1_b32 vcc_lo, exec_lo, s71
	s_cbranch_vccnz .LBB36_88
; %bb.58:                               ;   in Loop: Header=BB36_6 Depth=1
	s_and_not1_b32 vcc_lo, exec_lo, s74
	s_cbranch_vccnz .LBB36_85
; %bb.59:                               ;   in Loop: Header=BB36_6 Depth=1
	v_lshl_add_u32 v5, v4, 2, 0xc00
	s_and_not1_b32 vcc_lo, exec_lo, s77
	s_cbranch_vccnz .LBB36_113
; %bb.60:                               ;   in Loop: Header=BB36_6 Depth=1
	v_dual_mov_b32 v2, 0 :: v_dual_mov_b32 v3, 0
	s_mov_b32 s15, 1
	s_mov_b32 s14, 0
	s_mov_b32 s18, s78
.LBB36_61:                              ;   Parent Loop BB36_6 Depth=1
                                        ; =>  This Inner Loop Header: Depth=2
	v_lshl_add_u32 v12, s15, 4, v5
	v_lshl_add_u32 v16, s14, 4, v5
	s_add_co_i32 s18, s18, -8
	s_add_co_i32 s15, s15, 16
	s_add_co_i32 s14, s14, 16
	ds_load_2addr_b32 v[38:39], v12 offset1:8
	ds_load_2addr_b32 v[40:41], v16 offset1:8
	ds_load_2addr_b32 v[42:43], v12 offset0:16 offset1:24
	ds_load_2addr_b32 v[44:45], v16 offset0:16 offset1:24
	;; [unrolled: 1-line block ×6, first 2 shown]
	s_cmp_lg_u32 s18, 0
	s_wait_dscnt 0x7
	v_add3_u32 v3, v38, v3, v39
	s_wait_dscnt 0x6
	v_add3_u32 v2, v40, v2, v41
	s_wait_dscnt 0x5
	s_delay_alu instid0(VALU_DEP_2) | instskip(SKIP_1) | instid1(VALU_DEP_2)
	v_add3_u32 v3, v42, v3, v43
	s_wait_dscnt 0x4
	v_add3_u32 v2, v44, v2, v45
	s_wait_dscnt 0x3
	s_delay_alu instid0(VALU_DEP_2) | instskip(SKIP_1) | instid1(VALU_DEP_2)
	;; [unrolled: 5-line block ×3, first 2 shown]
	v_add3_u32 v3, v50, v3, v51
	s_wait_dscnt 0x0
	v_add3_u32 v2, v52, v2, v53
	s_cbranch_scc1 .LBB36_61
; %bb.62:                               ;   in Loop: Header=BB36_6 Depth=1
	s_and_not1_b32 vcc_lo, exec_lo, s79
	s_mov_b32 s18, s76
	s_cbranch_vccnz .LBB36_64
.LBB36_63:                              ;   Parent Loop BB36_6 Depth=1
                                        ; =>  This Inner Loop Header: Depth=2
	v_lshl_add_u32 v12, s15, 4, v5
	v_lshl_add_u32 v16, s14, 4, v5
	s_add_co_i32 s18, s18, -1
	s_add_co_i32 s15, s15, 2
	s_add_co_i32 s14, s14, 2
	ds_load_b32 v12, v12
	ds_load_b32 v16, v16
	s_cmp_lg_u32 s18, 0
	s_wait_dscnt 0x1
	v_add_nc_u32_e32 v3, v12, v3
	s_wait_dscnt 0x0
	v_add_nc_u32_e32 v2, v16, v2
	s_cbranch_scc1 .LBB36_63
.LBB36_64:                              ;   in Loop: Header=BB36_6 Depth=1
	s_delay_alu instid0(VALU_DEP_1) | instskip(SKIP_2) | instid1(SALU_CYCLE_1)
	v_add_nc_u32_e32 v2, v2, v3
	s_mov_b32 s14, s75
	s_mov_b32 s15, s80
	s_and_b32 vcc_lo, exec_lo, s15
	s_cbranch_vccnz .LBB36_86
	s_branch .LBB36_88
.LBB36_65:                              ;   in Loop: Header=BB36_6 Depth=1
	v_dual_mov_b32 v2, 0 :: v_dual_mov_b32 v3, 0
	v_dual_mov_b32 v4, 0 :: v_dual_mov_b32 v5, 0
	s_and_saveexec_b32 s99, s11
	s_cbranch_execz .LBB36_69
; %bb.66:                               ;   in Loop: Header=BB36_6 Depth=1
	v_mov_b32_e32 v12, v1
	s_mov_b32 s100, 0
	s_mov_b32 s101, 0
	s_mov_b32 s102, 0
	s_mov_b32 s103, 0
	s_mov_b32 s104, 0
	s_mov_b32 vcc_hi, 0
.LBB36_67:                              ;   Parent Loop BB36_6 Depth=1
                                        ; =>  This Inner Loop Header: Depth=2
	v_dual_add_nc_u32 v2, s101, v32 :: v_dual_add_nc_u32 v3, s101, v29
	v_readfirstlane_b32 s14, v6
	v_readfirstlane_b32 s15, v7
	v_dual_add_nc_u32 v4, s101, v30 :: v_dual_add_nc_u32 v5, s101, v31
	s_clause 0x3
	global_load_b32 v2, v2, s[14:15] scale_offset
	global_load_b32 v3, v3, s[14:15] scale_offset
	;; [unrolled: 1-line block ×4, first 2 shown]
	s_add_co_i32 s101, s101, s84
	s_wait_loadcnt 0x3
	v_xor_b32_e32 v16, 0x80000000, v2
	v_bitop3_b32 v2, v2, v36, 0x80000000 bitop3:0x48
	s_wait_loadcnt 0x2
	v_xor_b32_e32 v21, 0x80000000, v3
	v_bitop3_b32 v3, v3, v36, 0x80000000 bitop3:0x48
	;; [unrolled: 3-line block ×3, first 2 shown]
	s_wait_xcnt 0x0
	v_cmp_eq_u32_e64 s14, v2, v28
	v_bfe_u32 v2, v16, s86, 2
	s_wait_loadcnt 0x0
	v_xor_b32_e32 v39, 0x80000000, v5
	v_cmp_eq_u32_e64 s15, v3, v28
	v_bfe_u32 v3, v21, s86, 2
	v_cmp_eq_u32_e64 s16, v4, v28
	v_bfe_u32 v4, v38, s86, 2
	v_cmp_eq_u32_e64 s18, 0, v2
	v_bitop3_b32 v5, v5, v36, 0x80000000 bitop3:0x48
	v_bfe_u32 v16, v39, s86, 2
	v_cmp_eq_u32_e64 s19, 0, v3
	v_cmp_eq_u32_e64 s20, 0, v4
	s_and_b32 s18, s14, s18
	v_cmp_eq_u32_e64 s17, v5, v28
	v_cmp_eq_u32_e64 s21, 0, v16
	;; [unrolled: 1-line block ×5, first 2 shown]
	v_cndmask_b32_e64 v2, 0, 1, s18
	s_and_b32 s18, s15, s19
	v_cmp_eq_u32_e64 s23, 1, v3
	v_cmp_eq_u32_e64 s27, 2, v3
	;; [unrolled: 1-line block ×3, first 2 shown]
	v_cndmask_b32_e64 v3, 0, 1, s18
	s_and_b32 s18, s16, s20
	v_cmp_eq_u32_e64 s24, 1, v4
	v_cmp_eq_u32_e64 s28, 2, v4
	;; [unrolled: 1-line block ×3, first 2 shown]
	v_cndmask_b32_e64 v4, 0, 1, s18
	s_and_b32 s18, s17, s21
	v_cmp_eq_u32_e64 s25, 1, v16
	v_cndmask_b32_e64 v5, 0, 1, s18
	s_and_b32 s18, s14, s22
	v_cmp_eq_u32_e64 s29, 2, v16
	v_cmp_eq_u32_e64 s34, 3, v16
	v_cndmask_b32_e64 v16, 0, 1, s18
	s_and_b32 s18, s15, s23
	s_delay_alu instid0(SALU_CYCLE_1) | instskip(SKIP_1) | instid1(SALU_CYCLE_1)
	v_cndmask_b32_e64 v21, 0, 1, s18
	s_and_b32 s18, s16, s24
	v_cndmask_b32_e64 v38, 0, 1, s18
	s_and_b32 s18, s17, s25
	s_delay_alu instid0(VALU_DEP_2)
	v_cmp_ne_u32_e64 s19, 0, v21
	v_cndmask_b32_e64 v39, 0, 1, s18
	s_and_b32 s18, s14, s26
	s_and_b32 s14, s14, s30
	v_cndmask_b32_e64 v40, 0, 1, s18
	v_cndmask_b32_e64 v44, 0, 1, s14
	s_and_b32 s14, s15, s31
	s_and_b32 s18, s15, s27
	v_cndmask_b32_e64 v45, 0, 1, s14
	s_and_b32 s14, s16, s33
	v_cndmask_b32_e64 v41, 0, 1, s18
	v_cndmask_b32_e64 v46, 0, 1, s14
	s_and_b32 s14, s17, s34
	s_and_b32 s18, s16, s28
	v_cndmask_b32_e64 v47, 0, 1, s14
	v_cmp_ne_u32_e64 s14, 0, v2
	v_cmp_ne_u32_e64 s15, 0, v3
	v_cndmask_b32_e64 v42, 0, 1, s18
	s_and_b32 s18, s17, s29
	v_cmp_ne_u32_e64 s16, 0, v4
	v_cndmask_b32_e64 v43, 0, 1, s18
	v_cmp_ne_u32_e64 s18, 0, v16
	v_cmp_ne_u32_e64 s22, 0, v40
	;; [unrolled: 1-line block ×3, first 2 shown]
	s_bcnt1_i32_b32 s14, s14
	v_cmp_ne_u32_e64 s17, 0, v5
	v_cmp_ne_u32_e64 s23, 0, v41
	;; [unrolled: 1-line block ×3, first 2 shown]
	s_bcnt1_i32_b32 s15, s15
	s_add_co_i32 s14, s14, vcc_hi
	v_cmp_ne_u32_e64 s20, 0, v38
	v_cmp_ne_u32_e64 s24, 0, v42
	;; [unrolled: 1-line block ×3, first 2 shown]
	s_bcnt1_i32_b32 s16, s16
	s_add_co_i32 s14, s14, s15
	s_bcnt1_i32_b32 s18, s18
	s_bcnt1_i32_b32 s22, s22
	;; [unrolled: 1-line block ×3, first 2 shown]
	v_cmp_ne_u32_e64 s21, 0, v39
	v_cmp_ne_u32_e64 s25, 0, v43
	;; [unrolled: 1-line block ×3, first 2 shown]
	s_bcnt1_i32_b32 s17, s17
	s_add_co_i32 s14, s14, s16
	s_bcnt1_i32_b32 s19, s19
	s_bcnt1_i32_b32 s23, s23
	;; [unrolled: 1-line block ×3, first 2 shown]
	s_add_co_i32 s18, s18, s104
	s_add_co_i32 s22, s22, s103
	;; [unrolled: 1-line block ×3, first 2 shown]
	s_add_co_i32 vcc_hi, s14, s17
	s_delay_alu instid0(SALU_CYCLE_1)
	v_dual_add_nc_u32 v12, s69, v12 :: v_dual_mov_b32 v2, vcc_hi
	s_bcnt1_i32_b32 s20, s20
	s_bcnt1_i32_b32 s24, s24
	;; [unrolled: 1-line block ×3, first 2 shown]
	s_add_co_i32 s15, s18, s19
	s_add_co_i32 s18, s22, s23
	;; [unrolled: 1-line block ×3, first 2 shown]
	s_bcnt1_i32_b32 s21, s21
	s_bcnt1_i32_b32 s25, s25
	;; [unrolled: 1-line block ×3, first 2 shown]
	s_add_co_i32 s15, s15, s20
	s_add_co_i32 s16, s18, s24
	;; [unrolled: 1-line block ×3, first 2 shown]
	v_cmp_le_u32_e32 vcc_lo, s82, v12
	s_add_co_i32 s104, s15, s21
	s_add_co_i32 s103, s16, s25
	;; [unrolled: 1-line block ×3, first 2 shown]
	v_dual_mov_b32 v3, s104 :: v_dual_mov_b32 v4, s103
	v_mov_b32_e32 v5, s102
	s_or_b32 s100, vcc_lo, s100
	s_delay_alu instid0(SALU_CYCLE_1)
	s_and_not1_b32 exec_lo, exec_lo, s100
	s_cbranch_execnz .LBB36_67
; %bb.68:                               ;   in Loop: Header=BB36_6 Depth=1
	s_or_b32 exec_lo, exec_lo, s100
.LBB36_69:                              ;   in Loop: Header=BB36_6 Depth=1
	s_delay_alu instid0(SALU_CYCLE_1)
	s_or_b32 exec_lo, exec_lo, s99
	s_and_saveexec_b32 s18, s12
	s_cbranch_execz .LBB36_75
; %bb.70:                               ;   in Loop: Header=BB36_6 Depth=1
	global_load_b32 v38, v[18:19], off
	v_dual_mov_b32 v12, v33 :: v_dual_mov_b32 v16, v25
	s_mov_b32 s19, 0
	s_branch .LBB36_72
.LBB36_71:                              ;   in Loop: Header=BB36_72 Depth=2
	s_wait_xcnt 0x0
	s_or_b32 exec_lo, exec_lo, s15
	s_wait_loadcnt 0x0
	v_xor_b32_e32 v39, 0x80000000, v38
	v_bitop3_b32 v38, v38, v36, 0x80000000 bitop3:0x48
	s_and_b32 s15, exec_lo, vcc_lo
	v_add_nc_u32_e32 v12, s51, v12
	s_or_b32 s19, s15, s19
	v_bfe_u32 v39, v39, s86, 2
	v_cmp_eq_u32_e32 vcc_lo, v38, v28
	s_delay_alu instid0(VALU_DEP_2) | instskip(SKIP_4) | instid1(SALU_CYCLE_1)
	v_cmp_eq_u32_e64 s14, 0, v39
	v_cmp_eq_u32_e64 s15, 1, v39
	;; [unrolled: 1-line block ×4, first 2 shown]
	s_and_b32 s14, vcc_lo, s14
	v_cndmask_b32_e64 v38, 0, 1, s14
	s_and_b32 s14, vcc_lo, s15
	s_delay_alu instid0(SALU_CYCLE_1) | instskip(SKIP_1) | instid1(SALU_CYCLE_1)
	v_cndmask_b32_e64 v39, 0, 1, s14
	s_and_b32 s14, vcc_lo, s16
	v_cndmask_b32_e64 v40, 0, 1, s14
	s_and_b32 s14, vcc_lo, s17
	v_cmp_ne_u32_e32 vcc_lo, 0, v38
	v_cndmask_b32_e64 v41, 0, 1, s14
	v_cmp_ne_u32_e64 s14, 0, v39
	v_cmp_ne_u32_e64 s15, 0, v40
	v_mov_b32_e32 v38, v21
	s_bcnt1_i32_b32 s17, vcc_lo
	v_cmp_ne_u32_e64 s16, 0, v41
	s_bcnt1_i32_b32 s14, s14
	s_bcnt1_i32_b32 s15, s15
	v_dual_add_nc_u32 v2, s17, v2 :: v_dual_add_nc_u32 v3, s14, v3
	s_bcnt1_i32_b32 s16, s16
	s_delay_alu instid0(SALU_CYCLE_1)
	v_dual_add_nc_u32 v4, s15, v4 :: v_dual_add_nc_u32 v5, s16, v5
	s_and_not1_b32 exec_lo, exec_lo, s19
	s_cbranch_execz .LBB36_74
.LBB36_72:                              ;   Parent Loop BB36_6 Depth=1
                                        ; =>  This Inner Loop Header: Depth=2
	s_delay_alu instid0(VALU_DEP_1) | instskip(SKIP_1) | instid1(VALU_DEP_1)
	v_dual_mov_b32 v21, 0 :: v_dual_add_nc_u32 v16, s47, v16
	s_mov_b32 s15, exec_lo
	v_cmp_le_u32_e32 vcc_lo, s36, v16
	s_wait_xcnt 0x0
	v_cmpx_gt_u32_e64 s36, v16
	s_cbranch_execz .LBB36_71
; %bb.73:                               ;   in Loop: Header=BB36_72 Depth=2
	v_readfirstlane_b32 s16, v6
	v_readfirstlane_b32 s17, v7
	global_load_b32 v21, v12, s[16:17] scale_offset
	s_branch .LBB36_71
.LBB36_74:                              ;   in Loop: Header=BB36_6 Depth=1
	s_or_b32 exec_lo, exec_lo, s19
.LBB36_75:                              ;   in Loop: Header=BB36_6 Depth=1
	s_delay_alu instid0(SALU_CYCLE_1)
	s_or_b32 exec_lo, exec_lo, s18
	s_branch .LBB36_54
.LBB36_76:                              ;   in Loop: Header=BB36_6 Depth=1
	s_mul_u64 s[14:15], s[38:39], s[62:63]
	v_dual_mov_b32 v2, 0 :: v_dual_mov_b32 v3, 0
	s_mul_i32 s14, s15, s69
	v_dual_mov_b32 v4, 0 :: v_dual_mov_b32 v5, 0
	s_sub_co_i32 s14, s38, s14
	s_mov_b32 s100, exec_lo
	s_sub_co_i32 s15, s14, s69
	s_cmp_ge_u32 s14, s69
	s_cselect_b32 s14, s15, s14
	s_delay_alu instid0(SALU_CYCLE_1) | instskip(SKIP_2) | instid1(SALU_CYCLE_1)
	s_sub_co_i32 s15, s14, s69
	s_cmp_ge_u32 s14, s69
	s_cselect_b32 s14, s15, s14
	s_sub_co_i32 s99, s38, s14
	s_delay_alu instid0(SALU_CYCLE_1)
	v_cmpx_gt_u32_e64 s99, v1
	s_cbranch_execz .LBB36_80
; %bb.77:                               ;   in Loop: Header=BB36_6 Depth=1
	v_dual_mov_b32 v12, v34 :: v_dual_mov_b32 v16, v1
	s_mov_b32 s101, 0
	s_mov_b32 s102, 0
	;; [unrolled: 1-line block ×4, first 2 shown]
	s_mov_b32 vcc_hi, 0
.LBB36_78:                              ;   Parent Loop BB36_6 Depth=1
                                        ; =>  This Inner Loop Header: Depth=2
	ds_load_b128 v[2:5], v12
	s_wait_dscnt 0x0
	v_xor_b32_e32 v21, 0x80000000, v2
	v_bitop3_b32 v2, v2, v36, 0x80000000 bitop3:0x48
	v_xor_b32_e32 v38, 0x80000000, v3
	v_bitop3_b32 v3, v3, v36, 0x80000000 bitop3:0x48
	;; [unrolled: 2-line block ×3, first 2 shown]
	v_cmp_eq_u32_e64 s14, v2, v28
	v_bfe_u32 v2, v21, s86, 2
	v_xor_b32_e32 v40, 0x80000000, v5
	v_cmp_eq_u32_e64 s15, v3, v28
	v_bfe_u32 v3, v38, s86, 2
	v_cmp_eq_u32_e64 s16, v4, v28
	v_bfe_u32 v4, v39, s86, 2
	v_cmp_eq_u32_e64 s18, 0, v2
	v_bitop3_b32 v5, v5, v36, 0x80000000 bitop3:0x48
	v_bfe_u32 v21, v40, s86, 2
	v_cmp_eq_u32_e64 s19, 0, v3
	v_cmp_eq_u32_e64 s20, 0, v4
	s_and_b32 s18, s14, s18
	v_cmp_eq_u32_e64 s17, v5, v28
	v_cmp_eq_u32_e64 s21, 0, v21
	;; [unrolled: 1-line block ×5, first 2 shown]
	v_cndmask_b32_e64 v2, 0, 1, s18
	s_and_b32 s18, s15, s19
	v_cmp_eq_u32_e64 s23, 1, v3
	v_cmp_eq_u32_e64 s27, 2, v3
	;; [unrolled: 1-line block ×3, first 2 shown]
	v_cndmask_b32_e64 v3, 0, 1, s18
	s_and_b32 s18, s16, s20
	v_cmp_eq_u32_e64 s24, 1, v4
	v_cmp_eq_u32_e64 s28, 2, v4
	;; [unrolled: 1-line block ×3, first 2 shown]
	v_cndmask_b32_e64 v4, 0, 1, s18
	s_and_b32 s18, s17, s21
	v_cmp_eq_u32_e64 s25, 1, v21
	v_cndmask_b32_e64 v5, 0, 1, s18
	s_and_b32 s18, s14, s22
	v_cmp_eq_u32_e64 s29, 2, v21
	v_cmp_eq_u32_e64 s34, 3, v21
	v_cndmask_b32_e64 v21, 0, 1, s18
	s_and_b32 s18, s15, s23
	s_delay_alu instid0(SALU_CYCLE_1) | instskip(SKIP_1) | instid1(SALU_CYCLE_1)
	v_cndmask_b32_e64 v38, 0, 1, s18
	s_and_b32 s18, s16, s24
	v_cndmask_b32_e64 v39, 0, 1, s18
	s_and_b32 s18, s17, s25
	s_delay_alu instid0(VALU_DEP_2)
	v_cmp_ne_u32_e64 s19, 0, v38
	v_cndmask_b32_e64 v40, 0, 1, s18
	s_and_b32 s18, s14, s26
	s_and_b32 s14, s14, s30
	v_cndmask_b32_e64 v41, 0, 1, s18
	v_cndmask_b32_e64 v45, 0, 1, s14
	s_and_b32 s14, s15, s31
	s_and_b32 s18, s15, s27
	v_cndmask_b32_e64 v46, 0, 1, s14
	s_and_b32 s14, s16, s33
	v_cndmask_b32_e64 v42, 0, 1, s18
	v_cndmask_b32_e64 v47, 0, 1, s14
	s_and_b32 s14, s17, s34
	s_and_b32 s18, s16, s28
	v_cndmask_b32_e64 v48, 0, 1, s14
	v_cmp_ne_u32_e64 s14, 0, v2
	v_cmp_ne_u32_e64 s15, 0, v3
	v_cndmask_b32_e64 v43, 0, 1, s18
	s_and_b32 s18, s17, s29
	v_cmp_ne_u32_e64 s16, 0, v4
	v_cndmask_b32_e64 v44, 0, 1, s18
	v_cmp_ne_u32_e64 s18, 0, v21
	v_cmp_ne_u32_e64 s22, 0, v41
	v_cmp_ne_u32_e64 s26, 0, v45
	s_bcnt1_i32_b32 s14, s14
	v_cmp_ne_u32_e64 s17, 0, v5
	v_cmp_ne_u32_e64 s23, 0, v42
	;; [unrolled: 1-line block ×3, first 2 shown]
	s_bcnt1_i32_b32 s15, s15
	s_add_co_i32 s14, s14, vcc_hi
	v_cmp_ne_u32_e64 s20, 0, v39
	v_cmp_ne_u32_e64 s24, 0, v43
	;; [unrolled: 1-line block ×3, first 2 shown]
	s_bcnt1_i32_b32 s16, s16
	s_add_co_i32 s14, s14, s15
	s_bcnt1_i32_b32 s18, s18
	s_bcnt1_i32_b32 s22, s22
	;; [unrolled: 1-line block ×3, first 2 shown]
	v_cmp_ne_u32_e64 s21, 0, v40
	v_cmp_ne_u32_e64 s25, 0, v44
	;; [unrolled: 1-line block ×3, first 2 shown]
	s_bcnt1_i32_b32 s17, s17
	s_add_co_i32 s14, s14, s16
	s_bcnt1_i32_b32 s19, s19
	s_bcnt1_i32_b32 s23, s23
	;; [unrolled: 1-line block ×3, first 2 shown]
	s_add_co_i32 s18, s18, s104
	s_add_co_i32 s22, s22, s103
	;; [unrolled: 1-line block ×3, first 2 shown]
	s_add_co_i32 vcc_hi, s14, s17
	s_delay_alu instid0(SALU_CYCLE_1)
	v_dual_add_nc_u32 v16, s69, v16 :: v_dual_mov_b32 v2, vcc_hi
	s_bcnt1_i32_b32 s20, s20
	s_bcnt1_i32_b32 s24, s24
	;; [unrolled: 1-line block ×3, first 2 shown]
	s_add_co_i32 s15, s18, s19
	s_add_co_i32 s18, s22, s23
	;; [unrolled: 1-line block ×3, first 2 shown]
	s_bcnt1_i32_b32 s21, s21
	s_bcnt1_i32_b32 s25, s25
	;; [unrolled: 1-line block ×3, first 2 shown]
	s_add_co_i32 s15, s15, s20
	s_add_co_i32 s16, s18, s24
	;; [unrolled: 1-line block ×3, first 2 shown]
	v_cmp_le_u32_e32 vcc_lo, s99, v16
	s_add_co_i32 s104, s15, s21
	s_add_co_i32 s103, s16, s25
	;; [unrolled: 1-line block ×3, first 2 shown]
	v_dual_mov_b32 v3, s104 :: v_dual_add_nc_u32 v12, s85, v12
	v_dual_mov_b32 v4, s103 :: v_dual_mov_b32 v5, s102
	s_or_b32 s101, vcc_lo, s101
	s_delay_alu instid0(SALU_CYCLE_1)
	s_and_not1_b32 exec_lo, exec_lo, s101
	s_cbranch_execnz .LBB36_78
; %bb.79:                               ;   in Loop: Header=BB36_6 Depth=1
	s_or_b32 exec_lo, exec_lo, s101
.LBB36_80:                              ;   in Loop: Header=BB36_6 Depth=1
	s_delay_alu instid0(SALU_CYCLE_1) | instskip(SKIP_2) | instid1(VALU_DEP_1)
	s_or_b32 exec_lo, exec_lo, s100
	v_add_nc_u32_e32 v12, s99, v0
	s_mov_b32 s19, exec_lo
	v_cmpx_gt_u32_e64 s38, v12
	s_cbranch_execz .LBB36_84
; %bb.81:                               ;   in Loop: Header=BB36_6 Depth=1
	v_lshlrev_b32_e32 v16, 2, v12
	s_mov_b32 s20, 0
.LBB36_82:                              ;   Parent Loop BB36_6 Depth=1
                                        ; =>  This Inner Loop Header: Depth=2
	ds_load_b32 v21, v16
	s_wait_dscnt 0x0
	v_xor_b32_e32 v38, 0x80000000, v21
	v_bitop3_b32 v21, v21, v36, 0x80000000 bitop3:0x48
	s_delay_alu instid0(VALU_DEP_2) | instskip(NEXT) | instid1(VALU_DEP_2)
	v_bfe_u32 v38, v38, s86, 2
	v_cmp_eq_u32_e64 s14, v21, v28
	s_delay_alu instid0(VALU_DEP_2) | instskip(SKIP_4) | instid1(SALU_CYCLE_1)
	v_cmp_eq_u32_e64 s15, 0, v38
	v_cmp_eq_u32_e64 s16, 1, v38
	;; [unrolled: 1-line block ×4, first 2 shown]
	s_and_b32 s15, s14, s15
	v_cndmask_b32_e64 v21, 0, 1, s15
	s_and_b32 s15, s14, s16
	s_delay_alu instid0(SALU_CYCLE_1)
	v_cndmask_b32_e64 v38, 0, 1, s15
	s_and_b32 s15, s14, s17
	s_and_b32 s14, s14, s18
	v_cndmask_b32_e64 v39, 0, 1, s15
	v_cndmask_b32_e64 v40, 0, 1, s14
	v_cmp_ne_u32_e64 s14, 0, v21
	v_cmp_ne_u32_e64 s15, 0, v38
	s_delay_alu instid0(VALU_DEP_4) | instskip(NEXT) | instid1(VALU_DEP_4)
	v_cmp_ne_u32_e64 s16, 0, v39
	v_cmp_ne_u32_e64 s17, 0, v40
	s_bcnt1_i32_b32 s14, s14
	s_delay_alu instid0(SALU_CYCLE_1) | instskip(SKIP_3) | instid1(VALU_DEP_1)
	v_dual_add_nc_u32 v12, s47, v12 :: v_dual_add_nc_u32 v2, s14, v2
	s_bcnt1_i32_b32 s15, s15
	s_bcnt1_i32_b32 s16, s16
	;; [unrolled: 1-line block ×3, first 2 shown]
	v_cmp_le_u32_e32 vcc_lo, s38, v12
	v_dual_add_nc_u32 v16, s69, v16 :: v_dual_add_nc_u32 v3, s15, v3
	v_dual_add_nc_u32 v4, s16, v4 :: v_dual_add_nc_u32 v5, s17, v5
	s_or_b32 s20, vcc_lo, s20
	s_delay_alu instid0(SALU_CYCLE_1)
	s_and_not1_b32 exec_lo, exec_lo, s20
	s_cbranch_execnz .LBB36_82
; %bb.83:                               ;   in Loop: Header=BB36_6 Depth=1
	s_or_b32 exec_lo, exec_lo, s20
.LBB36_84:                              ;   in Loop: Header=BB36_6 Depth=1
	s_delay_alu instid0(SALU_CYCLE_1)
	s_or_b32 exec_lo, exec_lo, s19
	s_lshl_b32 s16, s89, 7
	s_and_saveexec_b32 s14, s2
	s_cbranch_execnz .LBB36_55
	s_branch .LBB36_56
.LBB36_85:                              ;   in Loop: Header=BB36_6 Depth=1
	v_mov_b32_e32 v2, 0
	s_mov_b32 s14, 0
	s_cbranch_execz .LBB36_88
.LBB36_86:                              ;   in Loop: Header=BB36_6 Depth=1
	s_lshl_b32 s15, s89, 9
	s_lshl_b32 s18, s14, 4
	s_sub_co_i32 s14, s73, s14
	v_add3_u32 v3, s15, s18, v35
.LBB36_87:                              ;   Parent Loop BB36_6 Depth=1
                                        ; =>  This Inner Loop Header: Depth=2
	ds_load_b32 v5, v3
	v_add_nc_u32_e32 v3, 16, v3
	s_add_co_i32 s14, s14, -1
	s_delay_alu instid0(SALU_CYCLE_1)
	s_cmp_eq_u32 s14, 0
	s_wait_dscnt 0x0
	v_add_nc_u32_e32 v2, v5, v2
	s_cbranch_scc0 .LBB36_87
.LBB36_88:                              ;   in Loop: Header=BB36_6 Depth=1
	s_delay_alu instid0(VALU_DEP_1)
	v_lshlrev_b32_e32 v3, 2, v4
	ds_store_b32 v3, v2 offset:3072
.LBB36_89:                              ;   in Loop: Header=BB36_6 Depth=1
	s_or_b32 exec_lo, exec_lo, s17
	s_lshl_b32 s14, s16, 2
	s_wait_dscnt 0x0
	v_mov_b32_e32 v2, s14
	s_barrier_signal -1
	s_barrier_wait -1
	v_cmp_eq_u32_e64 s14, 1, v37
	ds_load_b128 v[2:5], v2 offset:3072
	s_lshl_b32 s18, 3, s86
	s_mov_b32 s26, -1
	s_not_b32 s19, s18
	s_mov_b32 s16, 0
	s_and_not1_b32 vcc_lo, exec_lo, s55
	s_mov_b32 s23, 0
	s_mov_b32 s15, 0
                                        ; implicit-def: $sgpr24
                                        ; implicit-def: $sgpr25
                                        ; implicit-def: $vgpr38
                                        ; implicit-def: $vgpr12
	s_wait_dscnt 0x0
	v_readfirstlane_b32 s17, v2
	v_readfirstlane_b32 s20, v3
	;; [unrolled: 1-line block ×4, first 2 shown]
                                        ; implicit-def: $vgpr4
                                        ; implicit-def: $vgpr5
                                        ; implicit-def: $vgpr3
	s_cbranch_vccnz .LBB36_248
; %bb.90:                               ;   in Loop: Header=BB36_6 Depth=1
	s_cmp_eq_u32 s17, 1
	v_dual_mov_b32 v5, v28 :: v_dual_mov_b32 v12, v36
	v_mov_b32_e32 v3, v17
	s_cselect_b32 s15, -1, 0
	s_mov_b32 s29, -1
	s_and_b32 s28, s15, s14
                                        ; implicit-def: $sgpr25
                                        ; implicit-def: $sgpr24
	s_delay_alu instid0(SALU_CYCLE_1)
	s_and_saveexec_b32 s15, s28
	s_cbranch_execz .LBB36_117
; %bb.91:                               ;   in Loop: Header=BB36_6 Depth=1
	ds_load_b32 v2, v13 offset:4096
	s_wait_dscnt 0x0
	s_barrier_signal -1
	s_barrier_wait -1
	v_readfirstlane_b32 s26, v2
	s_and_saveexec_b32 s23, s6
; %bb.92:                               ;   in Loop: Header=BB36_6 Depth=1
	ds_store_b32 v22, v13
; %bb.93:                               ;   in Loop: Header=BB36_6 Depth=1
	s_or_b32 exec_lo, exec_lo, s23
	v_and_b32_e32 v5, s19, v28
	v_or_b32_e32 v12, s18, v36
	s_mov_b32 s24, -1
	s_mov_b32 s25, 0
	s_cmp_eq_u32 s26, 0
	s_mov_b32 s23, 0
	s_mov_b32 s27, -1
	s_wait_dscnt 0x0
	s_barrier_signal -1
	s_barrier_wait -1
                                        ; implicit-def: $vgpr3
	s_cbranch_scc1 .LBB36_104
; %bb.94:                               ;   in Loop: Header=BB36_6 Depth=1
	s_add_co_i32 s38, s26, s72
	s_mov_b32 s29, exec_lo
	s_mul_u64 s[30:31], s[38:39], s[64:65]
                                        ; implicit-def: $vgpr3
	s_delay_alu instid0(SALU_CYCLE_1) | instskip(NEXT) | instid1(SALU_CYCLE_1)
	s_mul_i32 s23, s31, s47
	s_sub_co_i32 s23, s38, s23
	s_delay_alu instid0(SALU_CYCLE_1) | instskip(SKIP_2) | instid1(SALU_CYCLE_1)
	s_sub_co_i32 s27, s23, s47
	s_cmp_ge_u32 s23, s47
	s_cselect_b32 s23, s27, s23
	s_sub_co_i32 s27, s23, s47
	s_cmp_ge_u32 s23, s47
	s_cselect_b32 s23, s27, s23
	s_mov_b32 s27, 0
	s_sub_co_i32 s30, s38, s23
	s_mov_b32 s23, 0
	v_cmpx_gt_u32_e64 s30, v0
	s_cbranch_execz .LBB36_103
; %bb.95:                               ;   in Loop: Header=BB36_6 Depth=1
	v_dual_mov_b32 v4, v1 :: v_dual_mov_b32 v16, v0
                                        ; implicit-def: $sgpr31
	s_branch .LBB36_98
.LBB36_96:                              ;   in Loop: Header=BB36_98 Depth=2
	s_or_b32 exec_lo, exec_lo, s33
	s_wait_dscnt 0x0
	s_barrier_signal -1
	s_barrier_wait -1
	ds_load_b64 v[2:3], v13 offset:3072
	s_mov_b32 s33, -1
	s_mov_b32 s34, -1
	s_wait_dscnt 0x0
	s_barrier_signal -1
	s_barrier_wait -1
	v_cmp_ne_u32_e32 vcc_lo, 0, v2
	s_cbranch_vccz .LBB36_101
.LBB36_97:                              ;   in Loop: Header=BB36_98 Depth=2
	s_and_b32 s33, exec_lo, s33
	s_delay_alu instid0(SALU_CYCLE_1) | instskip(SKIP_2) | instid1(SALU_CYCLE_1)
	s_or_b32 s23, s33, s23
	s_and_not1_b32 s31, s31, exec_lo
	s_and_b32 s33, s34, exec_lo
	s_or_b32 s31, s31, s33
	s_and_not1_b32 exec_lo, exec_lo, s23
	s_cbranch_execz .LBB36_102
.LBB36_98:                              ;   Parent Loop BB36_6 Depth=1
                                        ; =>  This Inner Loop Header: Depth=2
	s_mov_b32 s33, exec_lo
	s_delay_alu instid0(VALU_DEP_1)
	v_cmpx_gt_u32_e64 s26, v16
	s_cbranch_execz .LBB36_96
; %bb.99:                               ;   in Loop: Header=BB36_98 Depth=2
	ds_load_b32 v21, v4
	s_wait_dscnt 0x0
	v_bitop3_b32 v2, v21, v12, 0x80000000 bitop3:0x48
	s_delay_alu instid0(VALU_DEP_1)
	v_cmp_eq_u32_e32 vcc_lo, v2, v5
	s_and_b32 exec_lo, exec_lo, vcc_lo
	s_cbranch_execz .LBB36_96
; %bb.100:                              ;   in Loop: Header=BB36_98 Depth=2
	ds_store_b64 v13, v[20:21] offset:3072
	s_branch .LBB36_96
.LBB36_101:                             ;   in Loop: Header=BB36_98 Depth=2
	v_add_nc_u32_e32 v16, s47, v16
	v_add_nc_u32_e32 v4, s69, v4
	s_mov_b32 s34, 0
	s_delay_alu instid0(VALU_DEP_2)
	v_cmp_le_u32_e32 vcc_lo, s30, v16
	s_or_not1_b32 s33, vcc_lo, exec_lo
	s_branch .LBB36_97
.LBB36_102:                             ;   in Loop: Header=BB36_6 Depth=1
	s_or_b32 exec_lo, exec_lo, s23
	s_delay_alu instid0(SALU_CYCLE_1)
	s_and_b32 s23, s31, exec_lo
.LBB36_103:                             ;   in Loop: Header=BB36_6 Depth=1
	s_or_b32 exec_lo, exec_lo, s29
.LBB36_104:                             ;   in Loop: Header=BB36_6 Depth=1
	s_delay_alu instid0(SALU_CYCLE_1)
	s_and_b32 vcc_lo, exec_lo, s27
	s_cbranch_vccz .LBB36_116
; %bb.105:                              ;   in Loop: Header=BB36_6 Depth=1
                                        ; implicit-def: $vgpr3
	s_and_saveexec_b32 s24, s13
	s_cbranch_execz .LBB36_115
; %bb.106:                              ;   in Loop: Header=BB36_6 Depth=1
	v_dual_mov_b32 v4, v14 :: v_dual_mov_b32 v16, v0
	s_mov_b32 s25, 0
                                        ; implicit-def: $sgpr26
	s_branch .LBB36_109
.LBB36_107:                             ;   in Loop: Header=BB36_109 Depth=2
	s_or_b32 exec_lo, exec_lo, s27
	s_wait_dscnt 0x0
	s_barrier_signal -1
	s_barrier_wait -1
	ds_load_b64 v[2:3], v13 offset:3072
	s_mov_b32 s27, -1
	s_mov_b32 s29, -1
	s_wait_dscnt 0x0
	s_barrier_signal -1
	s_barrier_wait -1
	v_cmp_ne_u32_e32 vcc_lo, 0, v2
	s_cbranch_vccz .LBB36_112
.LBB36_108:                             ;   in Loop: Header=BB36_109 Depth=2
	s_and_b32 s27, exec_lo, s27
	s_delay_alu instid0(SALU_CYCLE_1) | instskip(SKIP_2) | instid1(SALU_CYCLE_1)
	s_or_b32 s25, s27, s25
	s_and_not1_b32 s26, s26, exec_lo
	s_and_b32 s27, s29, exec_lo
	s_or_b32 s26, s26, s27
	s_and_not1_b32 exec_lo, exec_lo, s25
	s_cbranch_execz .LBB36_114
.LBB36_109:                             ;   Parent Loop BB36_6 Depth=1
                                        ; =>  This Inner Loop Header: Depth=2
	s_mov_b32 s27, exec_lo
	s_delay_alu instid0(VALU_DEP_1)
	v_cmpx_gt_u32_e64 s36, v16
	s_cbranch_execz .LBB36_107
; %bb.110:                              ;   in Loop: Header=BB36_109 Depth=2
	v_readfirstlane_b32 s30, v6
	v_readfirstlane_b32 s31, v7
	global_load_b32 v21, v4, s[30:31] scale_offset
	s_wait_loadcnt 0x0
	v_bitop3_b32 v2, v21, v12, 0x80000000 bitop3:0x48
	s_delay_alu instid0(VALU_DEP_1)
	v_cmp_eq_u32_e32 vcc_lo, v2, v5
	s_and_b32 exec_lo, exec_lo, vcc_lo
	s_cbranch_execz .LBB36_107
; %bb.111:                              ;   in Loop: Header=BB36_109 Depth=2
	ds_store_b64 v13, v[20:21] offset:3072
	s_branch .LBB36_107
.LBB36_112:                             ;   in Loop: Header=BB36_109 Depth=2
	v_add_nc_u32_e32 v16, s47, v16
	v_add_nc_u32_e32 v4, s51, v4
	s_mov_b32 s29, 0
	s_delay_alu instid0(VALU_DEP_2)
	v_cmp_le_u32_e32 vcc_lo, s83, v16
	s_or_not1_b32 s27, vcc_lo, exec_lo
	s_branch .LBB36_108
.LBB36_113:                             ;   in Loop: Header=BB36_6 Depth=1
	s_mov_b64 s[14:15], 0x100000000
	v_mov_b64_e32 v[2:3], 0
	s_and_not1_b32 vcc_lo, exec_lo, s79
	s_mov_b32 s18, s76
	s_cbranch_vccz .LBB36_63
	s_branch .LBB36_64
.LBB36_114:                             ;   in Loop: Header=BB36_6 Depth=1
	s_or_b32 exec_lo, exec_lo, s25
	s_delay_alu instid0(SALU_CYCLE_1) | instskip(SKIP_1) | instid1(SALU_CYCLE_1)
	s_and_not1_b32 s23, s23, exec_lo
	s_and_b32 s25, s26, exec_lo
	s_or_b32 s23, s23, s25
.LBB36_115:                             ;   in Loop: Header=BB36_6 Depth=1
	s_or_b32 exec_lo, exec_lo, s24
	s_mov_b32 s24, 0
	s_mov_b32 s25, -1
.LBB36_116:                             ;   in Loop: Header=BB36_6 Depth=1
	s_or_not1_b32 s29, s23, exec_lo
.LBB36_117:                             ;   in Loop: Header=BB36_6 Depth=1
	s_or_b32 exec_lo, exec_lo, s15
	s_mov_b32 s26, 0
	s_mov_b32 s23, 0
	s_mov_b32 s15, 0
                                        ; implicit-def: $vgpr38
                                        ; implicit-def: $vgpr4
	s_and_saveexec_b32 s27, s29
	s_cbranch_execz .LBB36_247
; %bb.118:                              ;   in Loop: Header=BB36_6 Depth=1
	v_dual_mov_b32 v38, 1 :: v_dual_mov_b32 v4, 1
	s_xor_b32 s23, s28, -1
	s_mov_b32 s30, 0
	s_and_saveexec_b32 s15, s23
	s_cbranch_execz .LBB36_127
; %bb.119:                              ;   in Loop: Header=BB36_6 Depth=1
	s_mov_b32 s23, exec_lo
	v_cmpx_ge_u32_e64 s17, v37
	s_xor_b32 s23, exec_lo, s23
	s_cbranch_execz .LBB36_124
; %bb.120:                              ;   in Loop: Header=BB36_6 Depth=1
	ds_load_b32 v2, v13 offset:4096
	v_and_b32_e32 v5, s19, v5
	v_or_b32_e32 v12, s18, v12
	s_wait_dscnt 0x0
	v_cmp_ne_u32_e32 vcc_lo, 0, v2
	s_cbranch_vccnz .LBB36_124
; %bb.121:                              ;   in Loop: Header=BB36_6 Depth=1
	s_and_saveexec_b32 s28, s5
; %bb.122:                              ;   in Loop: Header=BB36_6 Depth=1
	v_mov_b32_e32 v2, s17
	ds_store_b32 v13, v2 offset:4100
; %bb.123:                              ;   in Loop: Header=BB36_6 Depth=1
	s_or_b32 exec_lo, exec_lo, s28
	s_wait_dscnt 0x0
	s_barrier_signal -1
	s_barrier_wait -1
.LBB36_124:                             ;   in Loop: Header=BB36_6 Depth=1
	s_or_saveexec_b32 s23, s23
	v_dual_mov_b32 v4, 8 :: v_dual_mov_b32 v38, v37
	s_mov_b32 s28, 0
	s_xor_b32 exec_lo, exec_lo, s23
; %bb.125:                              ;   in Loop: Header=BB36_6 Depth=1
	v_subrev_nc_u32_e32 v38, s17, v37
	v_mov_b32_e32 v4, 0
	s_mov_b32 s28, exec_lo
; %bb.126:                              ;   in Loop: Header=BB36_6 Depth=1
	s_or_b32 exec_lo, exec_lo, s23
	s_delay_alu instid0(SALU_CYCLE_1)
	s_and_b32 s30, s28, exec_lo
.LBB36_127:                             ;   in Loop: Header=BB36_6 Depth=1
	s_or_b32 exec_lo, exec_lo, s15
	s_mov_b32 s29, -1
                                        ; implicit-def: $sgpr23
                                        ; implicit-def: $sgpr28
	s_and_saveexec_b32 s15, s30
	s_delay_alu instid0(SALU_CYCLE_1)
	s_xor_b32 s15, exec_lo, s15
	s_cbranch_execz .LBB36_244
; %bb.128:                              ;   in Loop: Header=BB36_6 Depth=1
	v_cmp_eq_u32_e32 vcc_lo, 1, v38
	s_cmp_eq_u32 s20, 1
	s_mov_b32 s31, -1
	s_cselect_b32 s23, -1, 0
                                        ; implicit-def: $sgpr28
	s_delay_alu instid0(SALU_CYCLE_1) | instskip(NEXT) | instid1(SALU_CYCLE_1)
	s_and_b32 s30, s23, vcc_lo
                                        ; implicit-def: $sgpr23
	s_and_saveexec_b32 s29, s30
	s_cbranch_execz .LBB36_154
; %bb.129:                              ;   in Loop: Header=BB36_6 Depth=1
	ds_load_b32 v2, v13 offset:4096
	s_wait_dscnt 0x0
	s_barrier_signal -1
	s_barrier_wait -1
	v_readfirstlane_b32 s33, v2
	s_and_saveexec_b32 s23, s6
; %bb.130:                              ;   in Loop: Header=BB36_6 Depth=1
	ds_store_b32 v22, v13
; %bb.131:                              ;   in Loop: Header=BB36_6 Depth=1
	s_or_b32 exec_lo, exec_lo, s23
	s_lshl_b32 s23, 1, s86
	v_or_b32_e32 v12, s18, v12
	v_and_or_b32 v5, v5, s19, s23
	s_mov_b32 s23, -1
	s_mov_b32 s28, 0
	s_cmp_eq_u32 s33, 0
	s_mov_b32 s31, 0
	s_mov_b32 s34, -1
	s_wait_dscnt 0x0
	s_barrier_signal -1
	s_barrier_wait -1
                                        ; implicit-def: $vgpr3
	s_cbranch_scc1 .LBB36_142
; %bb.132:                              ;   in Loop: Header=BB36_6 Depth=1
	s_add_co_i32 s38, s33, s72
                                        ; implicit-def: $vgpr3
	s_delay_alu instid0(SALU_CYCLE_1) | instskip(NEXT) | instid1(SALU_CYCLE_1)
	s_mul_u64 s[44:45], s[38:39], s[64:65]
	s_mul_i32 s31, s45, s47
	s_delay_alu instid0(SALU_CYCLE_1) | instskip(NEXT) | instid1(SALU_CYCLE_1)
	s_sub_co_i32 s31, s38, s31
	s_sub_co_i32 s34, s31, s47
	s_cmp_ge_u32 s31, s47
	s_cselect_b32 s31, s34, s31
	s_delay_alu instid0(SALU_CYCLE_1)
	s_sub_co_i32 s34, s31, s47
	s_cmp_ge_u32 s31, s47
	s_cselect_b32 s31, s34, s31
	s_mov_b32 s34, 0
	s_sub_co_i32 s44, s38, s31
	s_mov_b32 s31, 0
	s_mov_b32 s38, exec_lo
	v_cmpx_gt_u32_e64 s44, v0
	s_cbranch_execz .LBB36_141
; %bb.133:                              ;   in Loop: Header=BB36_6 Depth=1
	v_dual_mov_b32 v16, v1 :: v_dual_mov_b32 v39, v0
                                        ; implicit-def: $sgpr45
	s_branch .LBB36_136
.LBB36_134:                             ;   in Loop: Header=BB36_136 Depth=2
	s_or_b32 exec_lo, exec_lo, s46
	s_wait_dscnt 0x0
	s_barrier_signal -1
	s_barrier_wait -1
	ds_load_b64 v[2:3], v13 offset:3072
	s_mov_b32 s46, -1
	s_mov_b32 s56, -1
	s_wait_dscnt 0x0
	s_barrier_signal -1
	s_barrier_wait -1
	v_cmp_ne_u32_e32 vcc_lo, 0, v2
	s_cbranch_vccz .LBB36_139
.LBB36_135:                             ;   in Loop: Header=BB36_136 Depth=2
	s_and_b32 s46, exec_lo, s46
	s_delay_alu instid0(SALU_CYCLE_1) | instskip(SKIP_2) | instid1(SALU_CYCLE_1)
	s_or_b32 s31, s46, s31
	s_and_not1_b32 s45, s45, exec_lo
	s_and_b32 s46, s56, exec_lo
	s_or_b32 s45, s45, s46
	s_and_not1_b32 exec_lo, exec_lo, s31
	s_cbranch_execz .LBB36_140
.LBB36_136:                             ;   Parent Loop BB36_6 Depth=1
                                        ; =>  This Inner Loop Header: Depth=2
	s_mov_b32 s46, exec_lo
	s_delay_alu instid0(VALU_DEP_1)
	v_cmpx_gt_u32_e64 s33, v39
	s_cbranch_execz .LBB36_134
; %bb.137:                              ;   in Loop: Header=BB36_136 Depth=2
	ds_load_b32 v21, v16
	s_wait_dscnt 0x0
	v_bitop3_b32 v2, v21, v12, 0x80000000 bitop3:0x48
	s_delay_alu instid0(VALU_DEP_1)
	v_cmp_eq_u32_e32 vcc_lo, v2, v5
	s_and_b32 exec_lo, exec_lo, vcc_lo
	s_cbranch_execz .LBB36_134
; %bb.138:                              ;   in Loop: Header=BB36_136 Depth=2
	ds_store_b64 v13, v[20:21] offset:3072
	s_branch .LBB36_134
.LBB36_139:                             ;   in Loop: Header=BB36_136 Depth=2
	v_dual_add_nc_u32 v39, s47, v39 :: v_dual_add_nc_u32 v16, s69, v16
	s_mov_b32 s56, 0
	s_delay_alu instid0(VALU_DEP_1)
	v_cmp_le_u32_e32 vcc_lo, s44, v39
	s_or_not1_b32 s46, vcc_lo, exec_lo
	s_branch .LBB36_135
.LBB36_140:                             ;   in Loop: Header=BB36_6 Depth=1
	s_or_b32 exec_lo, exec_lo, s31
	s_delay_alu instid0(SALU_CYCLE_1)
	s_and_b32 s31, s45, exec_lo
.LBB36_141:                             ;   in Loop: Header=BB36_6 Depth=1
	s_or_b32 exec_lo, exec_lo, s38
.LBB36_142:                             ;   in Loop: Header=BB36_6 Depth=1
	s_delay_alu instid0(SALU_CYCLE_1)
	s_and_b32 vcc_lo, exec_lo, s34
	s_cbranch_vccz .LBB36_153
; %bb.143:                              ;   in Loop: Header=BB36_6 Depth=1
                                        ; implicit-def: $vgpr3
	s_and_saveexec_b32 s23, s13
	s_cbranch_execz .LBB36_152
; %bb.144:                              ;   in Loop: Header=BB36_6 Depth=1
	v_dual_mov_b32 v16, v14 :: v_dual_mov_b32 v39, v0
	s_mov_b32 s28, 0
                                        ; implicit-def: $sgpr33
	s_branch .LBB36_147
.LBB36_145:                             ;   in Loop: Header=BB36_147 Depth=2
	s_or_b32 exec_lo, exec_lo, s34
	s_wait_dscnt 0x0
	s_barrier_signal -1
	s_barrier_wait -1
	ds_load_b64 v[2:3], v13 offset:3072
	s_mov_b32 s34, -1
	s_mov_b32 s38, -1
	s_wait_dscnt 0x0
	s_barrier_signal -1
	s_barrier_wait -1
	v_cmp_eq_u32_e32 vcc_lo, 0, v2
	s_cbranch_vccnz .LBB36_150
.LBB36_146:                             ;   in Loop: Header=BB36_147 Depth=2
	s_and_b32 s34, exec_lo, s34
	s_delay_alu instid0(SALU_CYCLE_1) | instskip(SKIP_2) | instid1(SALU_CYCLE_1)
	s_or_b32 s28, s34, s28
	s_and_not1_b32 s33, s33, exec_lo
	s_and_b32 s34, s38, exec_lo
	s_or_b32 s33, s33, s34
	s_and_not1_b32 exec_lo, exec_lo, s28
	s_cbranch_execz .LBB36_151
.LBB36_147:                             ;   Parent Loop BB36_6 Depth=1
                                        ; =>  This Inner Loop Header: Depth=2
	s_mov_b32 s34, exec_lo
	s_delay_alu instid0(VALU_DEP_1)
	v_cmpx_gt_u32_e64 s36, v39
	s_cbranch_execz .LBB36_145
; %bb.148:                              ;   in Loop: Header=BB36_147 Depth=2
	v_readfirstlane_b32 s44, v6
	v_readfirstlane_b32 s45, v7
	global_load_b32 v21, v16, s[44:45] scale_offset
	s_wait_loadcnt 0x0
	v_bitop3_b32 v2, v21, v12, 0x80000000 bitop3:0x48
	s_delay_alu instid0(VALU_DEP_1)
	v_cmp_eq_u32_e32 vcc_lo, v2, v5
	s_and_b32 exec_lo, exec_lo, vcc_lo
	s_cbranch_execz .LBB36_145
; %bb.149:                              ;   in Loop: Header=BB36_147 Depth=2
	ds_store_b64 v13, v[20:21] offset:3072
	s_branch .LBB36_145
.LBB36_150:                             ;   in Loop: Header=BB36_147 Depth=2
	v_dual_add_nc_u32 v39, s47, v39 :: v_dual_add_nc_u32 v16, s51, v16
	s_mov_b32 s38, 0
	s_delay_alu instid0(VALU_DEP_1)
	v_cmp_le_u32_e32 vcc_lo, s83, v39
	s_or_not1_b32 s34, vcc_lo, exec_lo
	s_branch .LBB36_146
.LBB36_151:                             ;   in Loop: Header=BB36_6 Depth=1
	s_or_b32 exec_lo, exec_lo, s28
	s_delay_alu instid0(SALU_CYCLE_1) | instskip(SKIP_1) | instid1(SALU_CYCLE_1)
	s_and_not1_b32 s28, s31, exec_lo
	s_and_b32 s31, s33, exec_lo
	s_or_b32 s31, s28, s31
.LBB36_152:                             ;   in Loop: Header=BB36_6 Depth=1
	s_or_b32 exec_lo, exec_lo, s23
	s_mov_b32 s23, 0
	s_mov_b32 s28, -1
.LBB36_153:                             ;   in Loop: Header=BB36_6 Depth=1
	s_or_not1_b32 s31, s31, exec_lo
.LBB36_154:                             ;   in Loop: Header=BB36_6 Depth=1
	s_or_b32 exec_lo, exec_lo, s29
	s_mov_b32 s33, 0
	s_and_saveexec_b32 s29, s31
	s_cbranch_execz .LBB36_243
; %bb.155:                              ;   in Loop: Header=BB36_6 Depth=1
	v_dual_mov_b32 v16, 1 :: v_dual_mov_b32 v4, 1
	s_xor_b32 s31, s30, -1
	s_mov_b32 s38, 0
	s_and_saveexec_b32 s30, s31
	s_cbranch_execz .LBB36_164
; %bb.156:                              ;   in Loop: Header=BB36_6 Depth=1
	s_mov_b32 s31, exec_lo
	v_cmpx_ge_u32_e64 s20, v38
	s_xor_b32 s31, exec_lo, s31
	s_cbranch_execz .LBB36_161
; %bb.157:                              ;   in Loop: Header=BB36_6 Depth=1
	ds_load_b32 v2, v13 offset:4096
	s_lshl_b32 s33, 1, s86
	v_or_b32_e32 v12, s18, v12
	v_and_or_b32 v5, v5, s19, s33
	s_wait_dscnt 0x0
	v_cmp_ne_u32_e32 vcc_lo, 0, v2
	s_cbranch_vccnz .LBB36_161
; %bb.158:                              ;   in Loop: Header=BB36_6 Depth=1
	s_and_saveexec_b32 s33, s5
; %bb.159:                              ;   in Loop: Header=BB36_6 Depth=1
	v_mov_b32_e32 v2, s20
	ds_store_b32 v13, v2 offset:4100
; %bb.160:                              ;   in Loop: Header=BB36_6 Depth=1
	s_or_b32 exec_lo, exec_lo, s33
	s_wait_dscnt 0x0
	s_barrier_signal -1
	s_barrier_wait -1
.LBB36_161:                             ;   in Loop: Header=BB36_6 Depth=1
	s_or_saveexec_b32 s31, s31
	v_mov_b32_e32 v4, 8
	s_mov_b32 s33, 0
	s_xor_b32 exec_lo, exec_lo, s31
; %bb.162:                              ;   in Loop: Header=BB36_6 Depth=1
	v_subrev_nc_u32_e32 v38, s20, v38
	v_mov_b32_e32 v4, 0
	s_mov_b32 s33, exec_lo
; %bb.163:                              ;   in Loop: Header=BB36_6 Depth=1
	s_or_b32 exec_lo, exec_lo, s31
	s_delay_alu instid0(VALU_DEP_2)
	v_mov_b32_e32 v16, v38
	s_and_b32 s38, s33, exec_lo
.LBB36_164:                             ;   in Loop: Header=BB36_6 Depth=1
	s_or_b32 exec_lo, exec_lo, s30
	s_mov_b32 s34, -1
                                        ; implicit-def: $sgpr31
                                        ; implicit-def: $sgpr33
	s_and_saveexec_b32 s30, s38
	s_cbranch_execz .LBB36_242
; %bb.165:                              ;   in Loop: Header=BB36_6 Depth=1
	v_cmp_eq_u32_e32 vcc_lo, 1, v16
	s_cmp_eq_u32 s21, 1
	s_mov_b32 s38, -1
	s_cselect_b32 s31, -1, 0
                                        ; implicit-def: $sgpr33
	s_delay_alu instid0(SALU_CYCLE_1) | instskip(NEXT) | instid1(SALU_CYCLE_1)
	s_and_b32 s99, s31, vcc_lo
                                        ; implicit-def: $sgpr31
	s_and_saveexec_b32 s34, s99
	s_cbranch_execz .LBB36_191
; %bb.166:                              ;   in Loop: Header=BB36_6 Depth=1
	ds_load_b32 v2, v13 offset:4096
	s_wait_dscnt 0x0
	s_barrier_signal -1
	s_barrier_wait -1
	v_readfirstlane_b32 s100, v2
	s_and_saveexec_b32 s31, s6
; %bb.167:                              ;   in Loop: Header=BB36_6 Depth=1
	ds_store_b32 v22, v13
; %bb.168:                              ;   in Loop: Header=BB36_6 Depth=1
	s_or_b32 exec_lo, exec_lo, s31
	s_lshl_b32 s31, 2, s86
	v_or_b32_e32 v12, s18, v12
	v_and_or_b32 v5, v5, s19, s31
	s_mov_b32 s31, -1
	s_mov_b32 s33, 0
	s_cmp_eq_u32 s100, 0
	s_mov_b32 s38, 0
	s_mov_b32 s101, -1
	s_wait_dscnt 0x0
	s_barrier_signal -1
	s_barrier_wait -1
                                        ; implicit-def: $vgpr3
	s_cbranch_scc1 .LBB36_179
; %bb.169:                              ;   in Loop: Header=BB36_6 Depth=1
	s_add_co_i32 s38, s100, s72
	s_mov_b32 s101, 0
	s_mul_u64 s[44:45], s[38:39], s[64:65]
	s_mov_b32 s102, exec_lo
	s_mul_i32 s44, s45, s47
                                        ; implicit-def: $vgpr3
	s_delay_alu instid0(SALU_CYCLE_1) | instskip(NEXT) | instid1(SALU_CYCLE_1)
	s_sub_co_i32 s44, s38, s44
	s_sub_co_i32 s45, s44, s47
	s_cmp_ge_u32 s44, s47
	s_cselect_b32 s44, s45, s44
	s_delay_alu instid0(SALU_CYCLE_1) | instskip(SKIP_2) | instid1(SALU_CYCLE_1)
	s_sub_co_i32 s45, s44, s47
	s_cmp_ge_u32 s44, s47
	s_cselect_b32 s44, s45, s44
	s_sub_co_i32 s44, s38, s44
	s_mov_b32 s38, 0
	v_cmpx_gt_u32_e64 s44, v0
	s_cbranch_execz .LBB36_178
; %bb.170:                              ;   in Loop: Header=BB36_6 Depth=1
	v_dual_mov_b32 v38, v1 :: v_dual_mov_b32 v39, v0
                                        ; implicit-def: $sgpr45
	s_branch .LBB36_173
.LBB36_171:                             ;   in Loop: Header=BB36_173 Depth=2
	s_or_b32 exec_lo, exec_lo, s46
	s_wait_dscnt 0x0
	s_barrier_signal -1
	s_barrier_wait -1
	ds_load_b64 v[2:3], v13 offset:3072
	s_mov_b32 s46, -1
	s_mov_b32 s56, -1
	s_wait_dscnt 0x0
	s_barrier_signal -1
	s_barrier_wait -1
	v_cmp_ne_u32_e32 vcc_lo, 0, v2
	s_cbranch_vccz .LBB36_176
.LBB36_172:                             ;   in Loop: Header=BB36_173 Depth=2
	s_and_b32 s46, exec_lo, s46
	s_delay_alu instid0(SALU_CYCLE_1) | instskip(SKIP_2) | instid1(SALU_CYCLE_1)
	s_or_b32 s38, s46, s38
	s_and_not1_b32 s45, s45, exec_lo
	s_and_b32 s46, s56, exec_lo
	s_or_b32 s45, s45, s46
	s_and_not1_b32 exec_lo, exec_lo, s38
	s_cbranch_execz .LBB36_177
.LBB36_173:                             ;   Parent Loop BB36_6 Depth=1
                                        ; =>  This Inner Loop Header: Depth=2
	s_mov_b32 s46, exec_lo
	s_delay_alu instid0(VALU_DEP_1)
	v_cmpx_gt_u32_e64 s100, v39
	s_cbranch_execz .LBB36_171
; %bb.174:                              ;   in Loop: Header=BB36_173 Depth=2
	ds_load_b32 v21, v38
	s_wait_dscnt 0x0
	v_bitop3_b32 v2, v21, v12, 0x80000000 bitop3:0x48
	s_delay_alu instid0(VALU_DEP_1)
	v_cmp_eq_u32_e32 vcc_lo, v2, v5
	s_and_b32 exec_lo, exec_lo, vcc_lo
	s_cbranch_execz .LBB36_171
; %bb.175:                              ;   in Loop: Header=BB36_173 Depth=2
	ds_store_b64 v13, v[20:21] offset:3072
	s_branch .LBB36_171
.LBB36_176:                             ;   in Loop: Header=BB36_173 Depth=2
	v_dual_add_nc_u32 v39, s47, v39 :: v_dual_add_nc_u32 v38, s69, v38
	s_mov_b32 s56, 0
	s_delay_alu instid0(VALU_DEP_1)
	v_cmp_le_u32_e32 vcc_lo, s44, v39
	s_or_not1_b32 s46, vcc_lo, exec_lo
	s_branch .LBB36_172
.LBB36_177:                             ;   in Loop: Header=BB36_6 Depth=1
	s_or_b32 exec_lo, exec_lo, s38
	s_delay_alu instid0(SALU_CYCLE_1)
	s_and_b32 s38, s45, exec_lo
.LBB36_178:                             ;   in Loop: Header=BB36_6 Depth=1
	s_or_b32 exec_lo, exec_lo, s102
.LBB36_179:                             ;   in Loop: Header=BB36_6 Depth=1
	s_delay_alu instid0(SALU_CYCLE_1)
	s_and_b32 vcc_lo, exec_lo, s101
	s_cbranch_vccz .LBB36_190
; %bb.180:                              ;   in Loop: Header=BB36_6 Depth=1
                                        ; implicit-def: $vgpr3
	s_and_saveexec_b32 s31, s13
	s_cbranch_execz .LBB36_189
; %bb.181:                              ;   in Loop: Header=BB36_6 Depth=1
	v_dual_mov_b32 v38, v14 :: v_dual_mov_b32 v39, v0
	s_mov_b32 s33, 0
                                        ; implicit-def: $sgpr44
	s_branch .LBB36_184
.LBB36_182:                             ;   in Loop: Header=BB36_184 Depth=2
	s_or_b32 exec_lo, exec_lo, s45
	s_wait_dscnt 0x0
	s_barrier_signal -1
	s_barrier_wait -1
	ds_load_b64 v[2:3], v13 offset:3072
	s_mov_b32 s45, -1
	s_mov_b32 s46, -1
	s_wait_dscnt 0x0
	s_barrier_signal -1
	s_barrier_wait -1
	v_cmp_eq_u32_e32 vcc_lo, 0, v2
	s_cbranch_vccnz .LBB36_187
.LBB36_183:                             ;   in Loop: Header=BB36_184 Depth=2
	s_and_b32 s45, exec_lo, s45
	s_delay_alu instid0(SALU_CYCLE_1) | instskip(SKIP_2) | instid1(SALU_CYCLE_1)
	s_or_b32 s33, s45, s33
	s_and_not1_b32 s44, s44, exec_lo
	s_and_b32 s45, s46, exec_lo
	s_or_b32 s44, s44, s45
	s_and_not1_b32 exec_lo, exec_lo, s33
	s_cbranch_execz .LBB36_188
.LBB36_184:                             ;   Parent Loop BB36_6 Depth=1
                                        ; =>  This Inner Loop Header: Depth=2
	s_mov_b32 s45, exec_lo
	s_delay_alu instid0(VALU_DEP_1)
	v_cmpx_gt_u32_e64 s36, v39
	s_cbranch_execz .LBB36_182
; %bb.185:                              ;   in Loop: Header=BB36_184 Depth=2
	v_readfirstlane_b32 s56, v6
	v_readfirstlane_b32 s57, v7
	global_load_b32 v21, v38, s[56:57] scale_offset
	s_wait_loadcnt 0x0
	v_bitop3_b32 v2, v21, v12, 0x80000000 bitop3:0x48
	s_delay_alu instid0(VALU_DEP_1)
	v_cmp_eq_u32_e32 vcc_lo, v2, v5
	s_and_b32 exec_lo, exec_lo, vcc_lo
	s_cbranch_execz .LBB36_182
; %bb.186:                              ;   in Loop: Header=BB36_184 Depth=2
	ds_store_b64 v13, v[20:21] offset:3072
	s_branch .LBB36_182
.LBB36_187:                             ;   in Loop: Header=BB36_184 Depth=2
	v_dual_add_nc_u32 v39, s47, v39 :: v_dual_add_nc_u32 v38, s51, v38
	s_mov_b32 s46, 0
	s_delay_alu instid0(VALU_DEP_1)
	v_cmp_le_u32_e32 vcc_lo, s83, v39
	s_or_not1_b32 s45, vcc_lo, exec_lo
	s_branch .LBB36_183
.LBB36_188:                             ;   in Loop: Header=BB36_6 Depth=1
	s_or_b32 exec_lo, exec_lo, s33
	s_delay_alu instid0(SALU_CYCLE_1) | instskip(SKIP_1) | instid1(SALU_CYCLE_1)
	s_and_not1_b32 s33, s38, exec_lo
	s_and_b32 s38, s44, exec_lo
	s_or_b32 s38, s33, s38
.LBB36_189:                             ;   in Loop: Header=BB36_6 Depth=1
	s_or_b32 exec_lo, exec_lo, s31
	s_mov_b32 s31, 0
	s_mov_b32 s33, -1
.LBB36_190:                             ;   in Loop: Header=BB36_6 Depth=1
	s_or_not1_b32 s38, s38, exec_lo
.LBB36_191:                             ;   in Loop: Header=BB36_6 Depth=1
	s_or_b32 exec_lo, exec_lo, s34
	s_mov_b32 s44, 0
	s_and_saveexec_b32 s34, s38
	s_cbranch_execz .LBB36_241
; %bb.192:                              ;   in Loop: Header=BB36_6 Depth=1
	v_dual_mov_b32 v38, 1 :: v_dual_mov_b32 v4, 1
	s_xor_b32 s45, s99, -1
	s_delay_alu instid0(SALU_CYCLE_1)
	s_and_saveexec_b32 s38, s45
	s_cbranch_execz .LBB36_201
; %bb.193:                              ;   in Loop: Header=BB36_6 Depth=1
	s_mov_b32 s44, exec_lo
	v_cmpx_ge_u32_e64 s21, v16
	s_xor_b32 s44, exec_lo, s44
	s_cbranch_execz .LBB36_198
; %bb.194:                              ;   in Loop: Header=BB36_6 Depth=1
	ds_load_b32 v2, v13 offset:4096
	s_lshl_b32 s45, 2, s86
	v_or_b32_e32 v12, s18, v12
	v_and_or_b32 v5, v5, s19, s45
	s_wait_dscnt 0x0
	v_cmp_ne_u32_e32 vcc_lo, 0, v2
	s_cbranch_vccnz .LBB36_198
; %bb.195:                              ;   in Loop: Header=BB36_6 Depth=1
	s_and_saveexec_b32 s45, s5
; %bb.196:                              ;   in Loop: Header=BB36_6 Depth=1
	v_mov_b32_e32 v2, s21
	ds_store_b32 v13, v2 offset:4100
; %bb.197:                              ;   in Loop: Header=BB36_6 Depth=1
	s_or_b32 exec_lo, exec_lo, s45
	s_wait_dscnt 0x0
	s_barrier_signal -1
	s_barrier_wait -1
.LBB36_198:                             ;   in Loop: Header=BB36_6 Depth=1
	s_or_saveexec_b32 s44, s44
	v_mov_b32_e32 v4, 8
	s_mov_b32 s45, 0
	s_xor_b32 exec_lo, exec_lo, s44
; %bb.199:                              ;   in Loop: Header=BB36_6 Depth=1
	v_subrev_nc_u32_e32 v16, s21, v16
	v_mov_b32_e32 v4, 0
	s_mov_b32 s45, exec_lo
; %bb.200:                              ;   in Loop: Header=BB36_6 Depth=1
	s_or_b32 exec_lo, exec_lo, s44
	s_delay_alu instid0(VALU_DEP_2)
	v_mov_b32_e32 v38, v16
	s_and_b32 s44, s45, exec_lo
.LBB36_201:                             ;   in Loop: Header=BB36_6 Depth=1
	s_or_b32 exec_lo, exec_lo, s38
	s_mov_b32 s38, -1
                                        ; implicit-def: $sgpr102
                                        ; implicit-def: $sgpr101
	s_and_saveexec_b32 s99, s44
	s_cbranch_execz .LBB36_240
; %bb.202:                              ;   in Loop: Header=BB36_6 Depth=1
	v_cmp_eq_u32_e32 vcc_lo, 1, v38
	s_cmp_eq_u32 s22, 1
	s_mov_b32 s44, -1
	s_cselect_b32 s38, -1, 0
                                        ; implicit-def: $sgpr102
                                        ; implicit-def: $sgpr101
	s_delay_alu instid0(SALU_CYCLE_1) | instskip(NEXT) | instid1(SALU_CYCLE_1)
	s_and_b32 s100, s38, vcc_lo
	s_and_saveexec_b32 s103, s100
	s_cbranch_execz .LBB36_228
; %bb.203:                              ;   in Loop: Header=BB36_6 Depth=1
	ds_load_b32 v2, v13 offset:4096
	s_wait_dscnt 0x0
	s_barrier_signal -1
	s_barrier_wait -1
	v_readfirstlane_b32 s104, v2
	s_and_saveexec_b32 s38, s6
; %bb.204:                              ;   in Loop: Header=BB36_6 Depth=1
	ds_store_b32 v22, v13
; %bb.205:                              ;   in Loop: Header=BB36_6 Depth=1
	s_or_b32 exec_lo, exec_lo, s38
	v_or_b32_e32 v5, s18, v5
	v_or_b32_e32 v12, s18, v12
	s_mov_b32 s101, -1
	s_mov_b32 s102, 0
	s_cmp_eq_u32 s104, 0
	s_mov_b32 s38, 0
	s_mov_b32 vcc_hi, -1
	s_wait_dscnt 0x0
	s_barrier_signal -1
	s_barrier_wait -1
                                        ; implicit-def: $vgpr3
	s_cbranch_scc1 .LBB36_216
; %bb.206:                              ;   in Loop: Header=BB36_6 Depth=1
	s_add_co_i32 s38, s104, s72
	s_mov_b32 vcc_hi, 0
	s_mul_u64 s[44:45], s[38:39], s[64:65]
                                        ; implicit-def: $vgpr3
	s_delay_alu instid0(SALU_CYCLE_1) | instskip(NEXT) | instid1(SALU_CYCLE_1)
	s_mul_i32 s44, s45, s47
	s_sub_co_i32 s44, s38, s44
	s_delay_alu instid0(SALU_CYCLE_1) | instskip(SKIP_2) | instid1(SALU_CYCLE_1)
	s_sub_co_i32 s45, s44, s47
	s_cmp_ge_u32 s44, s47
	s_cselect_b32 s44, s45, s44
	s_sub_co_i32 s45, s44, s47
	s_cmp_ge_u32 s44, s47
	s_cselect_b32 s44, s45, s44
	s_delay_alu instid0(SALU_CYCLE_1)
	s_sub_co_i32 s45, s38, s44
	s_mov_b32 s38, 0
	s_mov_b32 s44, exec_lo
	v_cmpx_gt_u32_e64 s45, v0
	s_cbranch_execz .LBB36_215
; %bb.207:                              ;   in Loop: Header=BB36_6 Depth=1
	v_dual_mov_b32 v16, v1 :: v_dual_mov_b32 v39, v0
                                        ; implicit-def: $sgpr46
	s_branch .LBB36_210
.LBB36_208:                             ;   in Loop: Header=BB36_210 Depth=2
	s_or_b32 exec_lo, exec_lo, s56
	s_wait_dscnt 0x0
	s_barrier_signal -1
	s_barrier_wait -1
	ds_load_b64 v[2:3], v13 offset:3072
	s_mov_b32 s56, -1
	s_mov_b32 s57, -1
	s_wait_dscnt 0x0
	s_barrier_signal -1
	s_barrier_wait -1
	v_cmp_ne_u32_e32 vcc_lo, 0, v2
	s_cbranch_vccz .LBB36_213
.LBB36_209:                             ;   in Loop: Header=BB36_210 Depth=2
	s_and_b32 s56, exec_lo, s56
	s_delay_alu instid0(SALU_CYCLE_1) | instskip(SKIP_2) | instid1(SALU_CYCLE_1)
	s_or_b32 s38, s56, s38
	s_and_not1_b32 s46, s46, exec_lo
	s_and_b32 s56, s57, exec_lo
	s_or_b32 s46, s46, s56
	s_and_not1_b32 exec_lo, exec_lo, s38
	s_cbranch_execz .LBB36_214
.LBB36_210:                             ;   Parent Loop BB36_6 Depth=1
                                        ; =>  This Inner Loop Header: Depth=2
	s_mov_b32 s56, exec_lo
	s_delay_alu instid0(VALU_DEP_1)
	v_cmpx_gt_u32_e64 s104, v39
	s_cbranch_execz .LBB36_208
; %bb.211:                              ;   in Loop: Header=BB36_210 Depth=2
	ds_load_b32 v21, v16
	s_wait_dscnt 0x0
	v_bitop3_b32 v2, v21, v12, 0x80000000 bitop3:0x48
	s_delay_alu instid0(VALU_DEP_1)
	v_cmp_eq_u32_e32 vcc_lo, v2, v5
	s_and_b32 exec_lo, exec_lo, vcc_lo
	s_cbranch_execz .LBB36_208
; %bb.212:                              ;   in Loop: Header=BB36_210 Depth=2
	ds_store_b64 v13, v[20:21] offset:3072
	s_branch .LBB36_208
.LBB36_213:                             ;   in Loop: Header=BB36_210 Depth=2
	v_dual_add_nc_u32 v39, s47, v39 :: v_dual_add_nc_u32 v16, s69, v16
	s_mov_b32 s57, 0
	s_delay_alu instid0(VALU_DEP_1)
	v_cmp_le_u32_e32 vcc_lo, s45, v39
	s_or_not1_b32 s56, vcc_lo, exec_lo
	s_branch .LBB36_209
.LBB36_214:                             ;   in Loop: Header=BB36_6 Depth=1
	s_or_b32 exec_lo, exec_lo, s38
	s_delay_alu instid0(SALU_CYCLE_1)
	s_and_b32 s38, s46, exec_lo
.LBB36_215:                             ;   in Loop: Header=BB36_6 Depth=1
	s_or_b32 exec_lo, exec_lo, s44
.LBB36_216:                             ;   in Loop: Header=BB36_6 Depth=1
	s_delay_alu instid0(SALU_CYCLE_1)
	s_and_b32 vcc_lo, exec_lo, vcc_hi
	s_cbranch_vccz .LBB36_227
; %bb.217:                              ;   in Loop: Header=BB36_6 Depth=1
                                        ; implicit-def: $vgpr3
	s_and_saveexec_b32 s101, s13
	s_cbranch_execz .LBB36_226
; %bb.218:                              ;   in Loop: Header=BB36_6 Depth=1
	v_dual_mov_b32 v16, v14 :: v_dual_mov_b32 v39, v0
	s_mov_b32 s44, 0
                                        ; implicit-def: $sgpr45
	s_branch .LBB36_221
.LBB36_219:                             ;   in Loop: Header=BB36_221 Depth=2
	s_or_b32 exec_lo, exec_lo, s46
	s_wait_dscnt 0x0
	s_barrier_signal -1
	s_barrier_wait -1
	ds_load_b64 v[2:3], v13 offset:3072
	s_mov_b32 s46, -1
	s_mov_b32 s56, -1
	s_wait_dscnt 0x0
	s_barrier_signal -1
	s_barrier_wait -1
	v_cmp_eq_u32_e32 vcc_lo, 0, v2
	s_cbranch_vccnz .LBB36_224
.LBB36_220:                             ;   in Loop: Header=BB36_221 Depth=2
	s_and_b32 s46, exec_lo, s46
	s_delay_alu instid0(SALU_CYCLE_1) | instskip(SKIP_2) | instid1(SALU_CYCLE_1)
	s_or_b32 s44, s46, s44
	s_and_not1_b32 s45, s45, exec_lo
	s_and_b32 s46, s56, exec_lo
	s_or_b32 s45, s45, s46
	s_and_not1_b32 exec_lo, exec_lo, s44
	s_cbranch_execz .LBB36_225
.LBB36_221:                             ;   Parent Loop BB36_6 Depth=1
                                        ; =>  This Inner Loop Header: Depth=2
	s_mov_b32 s46, exec_lo
	s_delay_alu instid0(VALU_DEP_1)
	v_cmpx_gt_u32_e64 s36, v39
	s_cbranch_execz .LBB36_219
; %bb.222:                              ;   in Loop: Header=BB36_221 Depth=2
	v_readfirstlane_b32 s56, v6
	v_readfirstlane_b32 s57, v7
	global_load_b32 v21, v16, s[56:57] scale_offset
	s_wait_loadcnt 0x0
	v_bitop3_b32 v2, v21, v12, 0x80000000 bitop3:0x48
	s_delay_alu instid0(VALU_DEP_1)
	v_cmp_eq_u32_e32 vcc_lo, v2, v5
	s_and_b32 exec_lo, exec_lo, vcc_lo
	s_cbranch_execz .LBB36_219
; %bb.223:                              ;   in Loop: Header=BB36_221 Depth=2
	ds_store_b64 v13, v[20:21] offset:3072
	s_branch .LBB36_219
.LBB36_224:                             ;   in Loop: Header=BB36_221 Depth=2
	v_dual_add_nc_u32 v39, s47, v39 :: v_dual_add_nc_u32 v16, s51, v16
	s_mov_b32 s56, 0
	s_delay_alu instid0(VALU_DEP_1)
	v_cmp_le_u32_e32 vcc_lo, s83, v39
	s_or_not1_b32 s46, vcc_lo, exec_lo
	s_branch .LBB36_220
.LBB36_225:                             ;   in Loop: Header=BB36_6 Depth=1
	s_or_b32 exec_lo, exec_lo, s44
	s_delay_alu instid0(SALU_CYCLE_1) | instskip(SKIP_1) | instid1(SALU_CYCLE_1)
	s_and_not1_b32 s38, s38, exec_lo
	s_and_b32 s44, s45, exec_lo
	s_or_b32 s38, s38, s44
.LBB36_226:                             ;   in Loop: Header=BB36_6 Depth=1
	s_or_b32 exec_lo, exec_lo, s101
	s_mov_b32 s101, 0
	s_mov_b32 s102, -1
.LBB36_227:                             ;   in Loop: Header=BB36_6 Depth=1
	s_or_not1_b32 s44, s38, exec_lo
.LBB36_228:                             ;   in Loop: Header=BB36_6 Depth=1
	s_or_b32 exec_lo, exec_lo, s103
	s_mov_b32 s45, 0
	s_and_saveexec_b32 s38, s44
	s_cbranch_execz .LBB36_239
; %bb.229:                              ;   in Loop: Header=BB36_6 Depth=1
	v_dual_mov_b32 v4, 1 :: v_dual_mov_b32 v2, 1
	s_xor_b32 s45, s100, -1
	s_delay_alu instid0(SALU_CYCLE_1)
	s_and_saveexec_b32 s44, s45
	s_cbranch_execz .LBB36_238
; %bb.230:                              ;   in Loop: Header=BB36_6 Depth=1
	s_mov_b32 s45, exec_lo
	v_cmpx_ge_u32_e64 s22, v38
	s_xor_b32 s45, exec_lo, s45
	s_cbranch_execz .LBB36_235
; %bb.231:                              ;   in Loop: Header=BB36_6 Depth=1
	ds_load_b32 v2, v13 offset:4096
	v_or_b32_e32 v5, s18, v5
	v_or_b32_e32 v12, s18, v12
	s_wait_dscnt 0x0
	v_cmp_ne_u32_e32 vcc_lo, 0, v2
	s_cbranch_vccnz .LBB36_235
; %bb.232:                              ;   in Loop: Header=BB36_6 Depth=1
	s_and_saveexec_b32 s46, s5
; %bb.233:                              ;   in Loop: Header=BB36_6 Depth=1
	v_mov_b32_e32 v2, s22
	ds_store_b32 v13, v2 offset:4100
; %bb.234:                              ;   in Loop: Header=BB36_6 Depth=1
	s_or_b32 exec_lo, exec_lo, s46
	s_wait_dscnt 0x0
	s_barrier_signal -1
	s_barrier_wait -1
.LBB36_235:                             ;   in Loop: Header=BB36_6 Depth=1
	s_and_not1_saveexec_b32 s45, s45
; %bb.236:                              ;   in Loop: Header=BB36_6 Depth=1
	v_subrev_nc_u32_e32 v38, s22, v38
; %bb.237:                              ;   in Loop: Header=BB36_6 Depth=1
	s_or_b32 exec_lo, exec_lo, s45
	s_delay_alu instid0(VALU_DEP_1)
	v_dual_mov_b32 v4, 8 :: v_dual_mov_b32 v2, v38
.LBB36_238:                             ;   in Loop: Header=BB36_6 Depth=1
	s_or_b32 exec_lo, exec_lo, s44
	s_delay_alu instid0(VALU_DEP_1)
	v_mov_b32_e32 v38, v2
	s_mov_b32 s45, exec_lo
.LBB36_239:                             ;   in Loop: Header=BB36_6 Depth=1
	s_or_b32 exec_lo, exec_lo, s38
	s_delay_alu instid0(SALU_CYCLE_1)
	s_or_not1_b32 s38, s45, exec_lo
.LBB36_240:                             ;   in Loop: Header=BB36_6 Depth=1
	s_or_b32 exec_lo, exec_lo, s99
	v_mov_b32_e32 v16, v38
	s_and_not1_b32 s33, s33, exec_lo
	s_and_b32 s44, s102, exec_lo
	s_and_not1_b32 s31, s31, exec_lo
	s_and_b32 s45, s101, exec_lo
	s_or_b32 s33, s33, s44
	s_or_b32 s31, s31, s45
	s_and_b32 s44, s38, exec_lo
.LBB36_241:                             ;   in Loop: Header=BB36_6 Depth=1
	s_or_b32 exec_lo, exec_lo, s34
	s_delay_alu instid0(SALU_CYCLE_1)
	s_or_not1_b32 s34, s44, exec_lo
.LBB36_242:                             ;   in Loop: Header=BB36_6 Depth=1
	s_or_b32 exec_lo, exec_lo, s30
	v_mov_b32_e32 v38, v16
	s_and_not1_b32 s28, s28, exec_lo
	s_and_b32 s30, s33, exec_lo
	s_and_not1_b32 s23, s23, exec_lo
	s_and_b32 s31, s31, exec_lo
	s_or_b32 s28, s28, s30
	s_or_b32 s23, s23, s31
	s_and_b32 s33, s34, exec_lo
.LBB36_243:                             ;   in Loop: Header=BB36_6 Depth=1
	s_or_b32 exec_lo, exec_lo, s29
	s_delay_alu instid0(SALU_CYCLE_1)
	s_or_not1_b32 s29, s33, exec_lo
.LBB36_244:                             ;   in Loop: Header=BB36_6 Depth=1
	s_or_b32 exec_lo, exec_lo, s15
	s_mov_b32 s30, 0
	s_mov_b32 s31, 0
	s_and_saveexec_b32 s15, s29
	s_delay_alu instid0(SALU_CYCLE_1)
	s_xor_b32 s29, exec_lo, s15
; %bb.245:                              ;   in Loop: Header=BB36_6 Depth=1
	v_cmp_ne_u32_e32 vcc_lo, 8, v4
	v_cmp_eq_u32_e64 s15, 8, v4
	s_and_b32 s31, vcc_lo, exec_lo
	s_and_b32 s30, s15, exec_lo
; %bb.246:                              ;   in Loop: Header=BB36_6 Depth=1
	s_or_b32 exec_lo, exec_lo, s29
	s_delay_alu instid0(SALU_CYCLE_1)
	s_and_not1_b32 s15, s25, exec_lo
	s_and_b32 s25, s28, exec_lo
	s_and_not1_b32 s24, s24, exec_lo
	s_and_b32 s23, s23, exec_lo
	s_or_b32 s25, s15, s25
	s_or_b32 s24, s24, s23
	s_and_b32 s15, s31, exec_lo
	s_and_b32 s23, s30, exec_lo
.LBB36_247:                             ;   in Loop: Header=BB36_6 Depth=1
	s_or_b32 exec_lo, exec_lo, s27
.LBB36_248:                             ;   in Loop: Header=BB36_6 Depth=1
	s_delay_alu instid0(SALU_CYCLE_1)
	s_and_b32 vcc_lo, exec_lo, s26
	s_cbranch_vccz .LBB36_261
; %bb.249:                              ;   in Loop: Header=BB36_6 Depth=1
	s_cmp_eq_u32 s22, 1
	s_mov_b32 s25, -1
	s_cselect_b32 s16, -1, 0
                                        ; implicit-def: $sgpr26
	s_delay_alu instid0(SALU_CYCLE_1) | instskip(NEXT) | instid1(SALU_CYCLE_1)
	s_and_b32 s14, s16, s14
                                        ; implicit-def: $sgpr16
	s_and_saveexec_b32 s24, s14
	s_cbranch_execz .LBB36_276
; %bb.250:                              ;   in Loop: Header=BB36_6 Depth=1
	ds_load_b32 v2, v13 offset:4096
	s_wait_dscnt 0x0
	s_barrier_signal -1
	s_barrier_wait -1
	v_readfirstlane_b32 s27, v2
	s_and_saveexec_b32 s16, s6
; %bb.251:                              ;   in Loop: Header=BB36_6 Depth=1
	ds_store_b32 v22, v13
; %bb.252:                              ;   in Loop: Header=BB36_6 Depth=1
	s_or_b32 exec_lo, exec_lo, s16
	v_or_b32_e32 v28, s18, v28
	v_or_b32_e32 v36, s18, v36
	s_mov_b32 s16, -1
	s_mov_b32 s26, 0
	s_cmp_eq_u32 s27, 0
	s_mov_b32 s25, 0
	s_mov_b32 s28, -1
	s_wait_dscnt 0x0
	s_barrier_signal -1
	s_barrier_wait -1
                                        ; implicit-def: $vgpr17
	s_cbranch_scc1 .LBB36_264
; %bb.253:                              ;   in Loop: Header=BB36_6 Depth=1
	s_add_co_i32 s38, s27, s72
                                        ; implicit-def: $vgpr17
	s_delay_alu instid0(SALU_CYCLE_1) | instskip(NEXT) | instid1(SALU_CYCLE_1)
	s_mul_u64 s[28:29], s[38:39], s[64:65]
	s_mul_i32 s25, s29, s47
	s_mov_b32 s29, exec_lo
	s_sub_co_i32 s25, s38, s25
	s_delay_alu instid0(SALU_CYCLE_1) | instskip(SKIP_2) | instid1(SALU_CYCLE_1)
	s_sub_co_i32 s28, s25, s47
	s_cmp_ge_u32 s25, s47
	s_cselect_b32 s25, s28, s25
	s_sub_co_i32 s28, s25, s47
	s_cmp_ge_u32 s25, s47
	s_cselect_b32 s25, s28, s25
	s_mov_b32 s28, 0
	s_sub_co_i32 s30, s38, s25
	s_mov_b32 s25, 0
	v_cmpx_gt_u32_e64 s30, v0
	s_cbranch_execz .LBB36_263
; %bb.254:                              ;   in Loop: Header=BB36_6 Depth=1
	v_dual_mov_b32 v2, v1 :: v_dual_mov_b32 v3, v0
                                        ; implicit-def: $sgpr31
	s_branch .LBB36_257
.LBB36_255:                             ;   in Loop: Header=BB36_257 Depth=2
	s_or_b32 exec_lo, exec_lo, s33
	s_wait_dscnt 0x0
	s_barrier_signal -1
	s_barrier_wait -1
	ds_load_b64 v[16:17], v13 offset:3072
	s_mov_b32 s33, -1
	s_mov_b32 s34, -1
	s_wait_dscnt 0x0
	s_barrier_signal -1
	s_barrier_wait -1
	v_cmp_ne_u32_e32 vcc_lo, 0, v16
	s_cbranch_vccz .LBB36_260
.LBB36_256:                             ;   in Loop: Header=BB36_257 Depth=2
	s_and_b32 s33, exec_lo, s33
	s_delay_alu instid0(SALU_CYCLE_1) | instskip(SKIP_2) | instid1(SALU_CYCLE_1)
	s_or_b32 s25, s33, s25
	s_and_not1_b32 s31, s31, exec_lo
	s_and_b32 s33, s34, exec_lo
	s_or_b32 s31, s31, s33
	s_and_not1_b32 exec_lo, exec_lo, s25
	s_cbranch_execz .LBB36_262
.LBB36_257:                             ;   Parent Loop BB36_6 Depth=1
                                        ; =>  This Inner Loop Header: Depth=2
	s_mov_b32 s33, exec_lo
	s_delay_alu instid0(VALU_DEP_1)
	v_cmpx_gt_u32_e64 s27, v3
	s_cbranch_execz .LBB36_255
; %bb.258:                              ;   in Loop: Header=BB36_257 Depth=2
	ds_load_b32 v21, v2
	s_wait_dscnt 0x0
	v_bitop3_b32 v4, v21, v36, 0x80000000 bitop3:0x48
	s_delay_alu instid0(VALU_DEP_1)
	v_cmp_eq_u32_e32 vcc_lo, v4, v28
	s_and_b32 exec_lo, exec_lo, vcc_lo
	s_cbranch_execz .LBB36_255
; %bb.259:                              ;   in Loop: Header=BB36_257 Depth=2
	ds_store_b64 v13, v[20:21] offset:3072
	s_branch .LBB36_255
.LBB36_260:                             ;   in Loop: Header=BB36_257 Depth=2
	v_dual_add_nc_u32 v3, s47, v3 :: v_dual_add_nc_u32 v2, s69, v2
	s_mov_b32 s34, 0
	s_delay_alu instid0(VALU_DEP_1)
	v_cmp_le_u32_e32 vcc_lo, s30, v3
	s_or_not1_b32 s33, vcc_lo, exec_lo
	s_branch .LBB36_256
.LBB36_261:                             ;   in Loop: Header=BB36_6 Depth=1
	v_dual_mov_b32 v28, v5 :: v_dual_mov_b32 v36, v12
	v_mov_b32_e32 v17, v3
	s_mov_b32 s26, 0
	s_and_saveexec_b32 s14, s23
	s_cbranch_execnz .LBB36_407
	s_branch .LBB36_408
.LBB36_262:                             ;   in Loop: Header=BB36_6 Depth=1
	s_or_b32 exec_lo, exec_lo, s25
	s_delay_alu instid0(SALU_CYCLE_1)
	s_and_b32 s25, s31, exec_lo
.LBB36_263:                             ;   in Loop: Header=BB36_6 Depth=1
	s_or_b32 exec_lo, exec_lo, s29
.LBB36_264:                             ;   in Loop: Header=BB36_6 Depth=1
	s_delay_alu instid0(SALU_CYCLE_1)
	s_and_b32 vcc_lo, exec_lo, s28
	s_cbranch_vccz .LBB36_275
; %bb.265:                              ;   in Loop: Header=BB36_6 Depth=1
                                        ; implicit-def: $vgpr17
	s_and_saveexec_b32 s16, s13
	s_cbranch_execz .LBB36_274
; %bb.266:                              ;   in Loop: Header=BB36_6 Depth=1
	v_dual_mov_b32 v2, v14 :: v_dual_mov_b32 v3, v0
	s_mov_b32 s26, 0
                                        ; implicit-def: $sgpr27
	s_branch .LBB36_269
.LBB36_267:                             ;   in Loop: Header=BB36_269 Depth=2
	s_or_b32 exec_lo, exec_lo, s28
	s_wait_dscnt 0x0
	s_barrier_signal -1
	s_barrier_wait -1
	ds_load_b64 v[16:17], v13 offset:3072
	s_mov_b32 s28, -1
	s_mov_b32 s29, -1
	s_wait_dscnt 0x0
	s_barrier_signal -1
	s_barrier_wait -1
	v_cmp_ne_u32_e32 vcc_lo, 0, v16
	s_cbranch_vccz .LBB36_272
.LBB36_268:                             ;   in Loop: Header=BB36_269 Depth=2
	s_and_b32 s28, exec_lo, s28
	s_delay_alu instid0(SALU_CYCLE_1) | instskip(SKIP_2) | instid1(SALU_CYCLE_1)
	s_or_b32 s26, s28, s26
	s_and_not1_b32 s27, s27, exec_lo
	s_and_b32 s28, s29, exec_lo
	s_or_b32 s27, s27, s28
	s_and_not1_b32 exec_lo, exec_lo, s26
	s_cbranch_execz .LBB36_273
.LBB36_269:                             ;   Parent Loop BB36_6 Depth=1
                                        ; =>  This Inner Loop Header: Depth=2
	s_mov_b32 s28, exec_lo
	s_delay_alu instid0(VALU_DEP_1)
	v_cmpx_gt_u32_e64 s36, v3
	s_cbranch_execz .LBB36_267
; %bb.270:                              ;   in Loop: Header=BB36_269 Depth=2
	v_readfirstlane_b32 s30, v6
	v_readfirstlane_b32 s31, v7
	global_load_b32 v21, v2, s[30:31] scale_offset
	s_wait_loadcnt 0x0
	v_bitop3_b32 v4, v21, v36, 0x80000000 bitop3:0x48
	s_delay_alu instid0(VALU_DEP_1)
	v_cmp_eq_u32_e32 vcc_lo, v4, v28
	s_and_b32 exec_lo, exec_lo, vcc_lo
	s_cbranch_execz .LBB36_267
; %bb.271:                              ;   in Loop: Header=BB36_269 Depth=2
	ds_store_b64 v13, v[20:21] offset:3072
	s_branch .LBB36_267
.LBB36_272:                             ;   in Loop: Header=BB36_269 Depth=2
	v_dual_add_nc_u32 v3, s47, v3 :: v_dual_add_nc_u32 v2, s51, v2
	s_mov_b32 s29, 0
	s_delay_alu instid0(VALU_DEP_1)
	v_cmp_le_u32_e32 vcc_lo, s83, v3
	s_or_not1_b32 s28, vcc_lo, exec_lo
	s_branch .LBB36_268
.LBB36_273:                             ;   in Loop: Header=BB36_6 Depth=1
	s_or_b32 exec_lo, exec_lo, s26
	s_delay_alu instid0(SALU_CYCLE_1) | instskip(SKIP_1) | instid1(SALU_CYCLE_1)
	s_and_not1_b32 s25, s25, exec_lo
	s_and_b32 s26, s27, exec_lo
	s_or_b32 s25, s25, s26
.LBB36_274:                             ;   in Loop: Header=BB36_6 Depth=1
	s_or_b32 exec_lo, exec_lo, s16
	s_mov_b32 s16, 0
	s_mov_b32 s26, -1
.LBB36_275:                             ;   in Loop: Header=BB36_6 Depth=1
	s_or_not1_b32 s25, s25, exec_lo
.LBB36_276:                             ;   in Loop: Header=BB36_6 Depth=1
	s_or_b32 exec_lo, exec_lo, s24
                                        ; implicit-def: $vgpr38
                                        ; implicit-def: $vgpr4
	s_and_saveexec_b32 s24, s25
	s_cbranch_execz .LBB36_406
; %bb.277:                              ;   in Loop: Header=BB36_6 Depth=1
	v_dual_mov_b32 v38, 1 :: v_dual_mov_b32 v4, 1
	s_xor_b32 s25, s14, -1
	s_mov_b32 s28, 0
	s_and_saveexec_b32 s14, s25
	s_cbranch_execz .LBB36_286
; %bb.278:                              ;   in Loop: Header=BB36_6 Depth=1
	s_mov_b32 s25, exec_lo
	v_cmpx_ge_u32_e64 s22, v37
	s_xor_b32 s25, exec_lo, s25
	s_cbranch_execz .LBB36_283
; %bb.279:                              ;   in Loop: Header=BB36_6 Depth=1
	ds_load_b32 v2, v13 offset:4096
	v_or_b32_e32 v28, s18, v28
	v_or_b32_e32 v36, s18, v36
	s_wait_dscnt 0x0
	v_cmp_ne_u32_e32 vcc_lo, 0, v2
	s_cbranch_vccnz .LBB36_283
; %bb.280:                              ;   in Loop: Header=BB36_6 Depth=1
	s_and_saveexec_b32 s27, s5
; %bb.281:                              ;   in Loop: Header=BB36_6 Depth=1
	v_mov_b32_e32 v2, s22
	ds_store_b32 v13, v2 offset:4100
; %bb.282:                              ;   in Loop: Header=BB36_6 Depth=1
	s_or_b32 exec_lo, exec_lo, s27
	s_wait_dscnt 0x0
	s_barrier_signal -1
	s_barrier_wait -1
.LBB36_283:                             ;   in Loop: Header=BB36_6 Depth=1
	s_or_saveexec_b32 s25, s25
	v_mov_b32_e32 v4, 5
	s_mov_b32 s27, 0
	s_xor_b32 exec_lo, exec_lo, s25
; %bb.284:                              ;   in Loop: Header=BB36_6 Depth=1
	v_subrev_nc_u32_e32 v37, s22, v37
	v_mov_b32_e32 v4, 0
	s_mov_b32 s27, exec_lo
; %bb.285:                              ;   in Loop: Header=BB36_6 Depth=1
	s_or_b32 exec_lo, exec_lo, s25
	s_delay_alu instid0(VALU_DEP_2)
	v_mov_b32_e32 v38, v37
	s_and_b32 s28, s27, exec_lo
.LBB36_286:                             ;   in Loop: Header=BB36_6 Depth=1
	s_or_b32 exec_lo, exec_lo, s14
	s_mov_b32 s27, -1
                                        ; implicit-def: $sgpr22
                                        ; implicit-def: $sgpr25
	s_and_saveexec_b32 s14, s28
	s_delay_alu instid0(SALU_CYCLE_1)
	s_xor_b32 s14, exec_lo, s14
	s_cbranch_execz .LBB36_403
; %bb.287:                              ;   in Loop: Header=BB36_6 Depth=1
	v_cmp_eq_u32_e32 vcc_lo, 1, v38
	s_cmp_eq_u32 s21, 1
	s_mov_b32 s29, -1
	s_cselect_b32 s22, -1, 0
                                        ; implicit-def: $sgpr25
	s_delay_alu instid0(SALU_CYCLE_1) | instskip(NEXT) | instid1(SALU_CYCLE_1)
	s_and_b32 s28, s22, vcc_lo
                                        ; implicit-def: $sgpr22
	s_and_saveexec_b32 s27, s28
	s_cbranch_execz .LBB36_313
; %bb.288:                              ;   in Loop: Header=BB36_6 Depth=1
	ds_load_b32 v2, v13 offset:4096
	s_wait_dscnt 0x0
	s_barrier_signal -1
	s_barrier_wait -1
	v_readfirstlane_b32 s30, v2
	s_and_saveexec_b32 s22, s6
; %bb.289:                              ;   in Loop: Header=BB36_6 Depth=1
	ds_store_b32 v22, v13
; %bb.290:                              ;   in Loop: Header=BB36_6 Depth=1
	s_or_b32 exec_lo, exec_lo, s22
	s_lshl_b32 s22, 2, s86
	v_or_b32_e32 v36, s18, v36
	v_and_or_b32 v28, v28, s19, s22
	s_mov_b32 s22, -1
	s_mov_b32 s25, 0
	s_cmp_eq_u32 s30, 0
	s_mov_b32 s29, 0
	s_mov_b32 s31, -1
	s_wait_dscnt 0x0
	s_barrier_signal -1
	s_barrier_wait -1
                                        ; implicit-def: $vgpr17
	s_cbranch_scc1 .LBB36_301
; %bb.291:                              ;   in Loop: Header=BB36_6 Depth=1
	s_add_co_i32 s38, s30, s72
	s_mov_b32 s33, exec_lo
	s_mul_u64 s[44:45], s[38:39], s[64:65]
                                        ; implicit-def: $vgpr17
	s_delay_alu instid0(SALU_CYCLE_1) | instskip(NEXT) | instid1(SALU_CYCLE_1)
	s_mul_i32 s29, s45, s47
	s_sub_co_i32 s29, s38, s29
	s_delay_alu instid0(SALU_CYCLE_1) | instskip(SKIP_2) | instid1(SALU_CYCLE_1)
	s_sub_co_i32 s31, s29, s47
	s_cmp_ge_u32 s29, s47
	s_cselect_b32 s29, s31, s29
	s_sub_co_i32 s31, s29, s47
	s_cmp_ge_u32 s29, s47
	s_cselect_b32 s29, s31, s29
	s_mov_b32 s31, 0
	s_sub_co_i32 s34, s38, s29
	s_mov_b32 s29, 0
	v_cmpx_gt_u32_e64 s34, v0
	s_cbranch_execz .LBB36_300
; %bb.292:                              ;   in Loop: Header=BB36_6 Depth=1
	v_dual_mov_b32 v2, v1 :: v_dual_mov_b32 v3, v0
                                        ; implicit-def: $sgpr38
	s_branch .LBB36_295
.LBB36_293:                             ;   in Loop: Header=BB36_295 Depth=2
	s_or_b32 exec_lo, exec_lo, s44
	s_wait_dscnt 0x0
	s_barrier_signal -1
	s_barrier_wait -1
	ds_load_b64 v[16:17], v13 offset:3072
	s_mov_b32 s44, -1
	s_mov_b32 s45, -1
	s_wait_dscnt 0x0
	s_barrier_signal -1
	s_barrier_wait -1
	v_cmp_ne_u32_e32 vcc_lo, 0, v16
	s_cbranch_vccz .LBB36_298
.LBB36_294:                             ;   in Loop: Header=BB36_295 Depth=2
	s_and_b32 s44, exec_lo, s44
	s_delay_alu instid0(SALU_CYCLE_1) | instskip(SKIP_2) | instid1(SALU_CYCLE_1)
	s_or_b32 s29, s44, s29
	s_and_not1_b32 s38, s38, exec_lo
	s_and_b32 s44, s45, exec_lo
	s_or_b32 s38, s38, s44
	s_and_not1_b32 exec_lo, exec_lo, s29
	s_cbranch_execz .LBB36_299
.LBB36_295:                             ;   Parent Loop BB36_6 Depth=1
                                        ; =>  This Inner Loop Header: Depth=2
	s_mov_b32 s44, exec_lo
	s_delay_alu instid0(VALU_DEP_1)
	v_cmpx_gt_u32_e64 s30, v3
	s_cbranch_execz .LBB36_293
; %bb.296:                              ;   in Loop: Header=BB36_295 Depth=2
	ds_load_b32 v21, v2
	s_wait_dscnt 0x0
	v_bitop3_b32 v5, v21, v36, 0x80000000 bitop3:0x48
	s_delay_alu instid0(VALU_DEP_1)
	v_cmp_eq_u32_e32 vcc_lo, v5, v28
	s_and_b32 exec_lo, exec_lo, vcc_lo
	s_cbranch_execz .LBB36_293
; %bb.297:                              ;   in Loop: Header=BB36_295 Depth=2
	ds_store_b64 v13, v[20:21] offset:3072
	s_branch .LBB36_293
.LBB36_298:                             ;   in Loop: Header=BB36_295 Depth=2
	v_dual_add_nc_u32 v3, s47, v3 :: v_dual_add_nc_u32 v2, s69, v2
	s_mov_b32 s45, 0
	s_delay_alu instid0(VALU_DEP_1)
	v_cmp_le_u32_e32 vcc_lo, s34, v3
	s_or_not1_b32 s44, vcc_lo, exec_lo
	s_branch .LBB36_294
.LBB36_299:                             ;   in Loop: Header=BB36_6 Depth=1
	s_or_b32 exec_lo, exec_lo, s29
	s_delay_alu instid0(SALU_CYCLE_1)
	s_and_b32 s29, s38, exec_lo
.LBB36_300:                             ;   in Loop: Header=BB36_6 Depth=1
	s_or_b32 exec_lo, exec_lo, s33
.LBB36_301:                             ;   in Loop: Header=BB36_6 Depth=1
	s_delay_alu instid0(SALU_CYCLE_1)
	s_and_b32 vcc_lo, exec_lo, s31
	s_cbranch_vccz .LBB36_312
; %bb.302:                              ;   in Loop: Header=BB36_6 Depth=1
                                        ; implicit-def: $vgpr17
	s_and_saveexec_b32 s22, s13
	s_cbranch_execz .LBB36_311
; %bb.303:                              ;   in Loop: Header=BB36_6 Depth=1
	v_dual_mov_b32 v2, v14 :: v_dual_mov_b32 v3, v0
	s_mov_b32 s25, 0
                                        ; implicit-def: $sgpr30
	s_branch .LBB36_306
.LBB36_304:                             ;   in Loop: Header=BB36_306 Depth=2
	s_or_b32 exec_lo, exec_lo, s31
	s_wait_dscnt 0x0
	s_barrier_signal -1
	s_barrier_wait -1
	ds_load_b64 v[16:17], v13 offset:3072
	s_mov_b32 s31, -1
	s_mov_b32 s33, -1
	s_wait_dscnt 0x0
	s_barrier_signal -1
	s_barrier_wait -1
	v_cmp_eq_u32_e32 vcc_lo, 0, v16
	s_cbranch_vccnz .LBB36_309
.LBB36_305:                             ;   in Loop: Header=BB36_306 Depth=2
	s_and_b32 s31, exec_lo, s31
	s_delay_alu instid0(SALU_CYCLE_1) | instskip(SKIP_2) | instid1(SALU_CYCLE_1)
	s_or_b32 s25, s31, s25
	s_and_not1_b32 s30, s30, exec_lo
	s_and_b32 s31, s33, exec_lo
	s_or_b32 s30, s30, s31
	s_and_not1_b32 exec_lo, exec_lo, s25
	s_cbranch_execz .LBB36_310
.LBB36_306:                             ;   Parent Loop BB36_6 Depth=1
                                        ; =>  This Inner Loop Header: Depth=2
	s_mov_b32 s31, exec_lo
	s_delay_alu instid0(VALU_DEP_1)
	v_cmpx_gt_u32_e64 s36, v3
	s_cbranch_execz .LBB36_304
; %bb.307:                              ;   in Loop: Header=BB36_306 Depth=2
	v_readfirstlane_b32 s44, v6
	v_readfirstlane_b32 s45, v7
	global_load_b32 v21, v2, s[44:45] scale_offset
	s_wait_loadcnt 0x0
	v_bitop3_b32 v5, v21, v36, 0x80000000 bitop3:0x48
	s_delay_alu instid0(VALU_DEP_1)
	v_cmp_eq_u32_e32 vcc_lo, v5, v28
	s_and_b32 exec_lo, exec_lo, vcc_lo
	s_cbranch_execz .LBB36_304
; %bb.308:                              ;   in Loop: Header=BB36_306 Depth=2
	ds_store_b64 v13, v[20:21] offset:3072
	s_branch .LBB36_304
.LBB36_309:                             ;   in Loop: Header=BB36_306 Depth=2
	v_dual_add_nc_u32 v3, s47, v3 :: v_dual_add_nc_u32 v2, s51, v2
	s_mov_b32 s33, 0
	s_delay_alu instid0(VALU_DEP_1)
	v_cmp_le_u32_e32 vcc_lo, s83, v3
	s_or_not1_b32 s31, vcc_lo, exec_lo
	s_branch .LBB36_305
.LBB36_310:                             ;   in Loop: Header=BB36_6 Depth=1
	s_or_b32 exec_lo, exec_lo, s25
	s_delay_alu instid0(SALU_CYCLE_1) | instskip(SKIP_1) | instid1(SALU_CYCLE_1)
	s_and_not1_b32 s25, s29, exec_lo
	s_and_b32 s29, s30, exec_lo
	s_or_b32 s29, s25, s29
.LBB36_311:                             ;   in Loop: Header=BB36_6 Depth=1
	s_or_b32 exec_lo, exec_lo, s22
	s_mov_b32 s22, 0
	s_mov_b32 s25, -1
.LBB36_312:                             ;   in Loop: Header=BB36_6 Depth=1
	s_or_not1_b32 s29, s29, exec_lo
.LBB36_313:                             ;   in Loop: Header=BB36_6 Depth=1
	s_or_b32 exec_lo, exec_lo, s27
	s_mov_b32 s30, 0
	s_and_saveexec_b32 s27, s29
	s_cbranch_execz .LBB36_402
; %bb.314:                              ;   in Loop: Header=BB36_6 Depth=1
	v_dual_mov_b32 v2, 1 :: v_dual_mov_b32 v4, 1
	s_xor_b32 s29, s28, -1
	s_mov_b32 s31, 0
	s_and_saveexec_b32 s28, s29
	s_cbranch_execz .LBB36_323
; %bb.315:                              ;   in Loop: Header=BB36_6 Depth=1
	s_mov_b32 s29, exec_lo
	v_cmpx_ge_u32_e64 s21, v38
	s_xor_b32 s29, exec_lo, s29
	s_cbranch_execz .LBB36_320
; %bb.316:                              ;   in Loop: Header=BB36_6 Depth=1
	ds_load_b32 v2, v13 offset:4096
	s_lshl_b32 s30, 2, s86
	v_or_b32_e32 v36, s18, v36
	v_and_or_b32 v28, v28, s19, s30
	s_wait_dscnt 0x0
	v_cmp_ne_u32_e32 vcc_lo, 0, v2
	s_cbranch_vccnz .LBB36_320
; %bb.317:                              ;   in Loop: Header=BB36_6 Depth=1
	s_and_saveexec_b32 s30, s5
; %bb.318:                              ;   in Loop: Header=BB36_6 Depth=1
	v_mov_b32_e32 v2, s21
	ds_store_b32 v13, v2 offset:4100
; %bb.319:                              ;   in Loop: Header=BB36_6 Depth=1
	s_or_b32 exec_lo, exec_lo, s30
	s_wait_dscnt 0x0
	s_barrier_signal -1
	s_barrier_wait -1
.LBB36_320:                             ;   in Loop: Header=BB36_6 Depth=1
	s_or_saveexec_b32 s29, s29
	v_mov_b32_e32 v4, 5
	s_mov_b32 s30, 0
	s_xor_b32 exec_lo, exec_lo, s29
; %bb.321:                              ;   in Loop: Header=BB36_6 Depth=1
	v_subrev_nc_u32_e32 v38, s21, v38
	v_mov_b32_e32 v4, 0
	s_mov_b32 s30, exec_lo
; %bb.322:                              ;   in Loop: Header=BB36_6 Depth=1
	s_or_b32 exec_lo, exec_lo, s29
	s_delay_alu instid0(VALU_DEP_2)
	v_mov_b32_e32 v2, v38
	s_and_b32 s31, s30, exec_lo
.LBB36_323:                             ;   in Loop: Header=BB36_6 Depth=1
	s_or_b32 exec_lo, exec_lo, s28
	s_mov_b32 s30, -1
                                        ; implicit-def: $sgpr28
                                        ; implicit-def: $sgpr29
	s_and_saveexec_b32 s21, s31
	s_cbranch_execz .LBB36_401
; %bb.324:                              ;   in Loop: Header=BB36_6 Depth=1
	v_cmp_eq_u32_e32 vcc_lo, 1, v2
	s_cmp_eq_u32 s20, 1
	s_mov_b32 s33, -1
	s_cselect_b32 s28, -1, 0
                                        ; implicit-def: $sgpr29
	s_delay_alu instid0(SALU_CYCLE_1) | instskip(NEXT) | instid1(SALU_CYCLE_1)
	s_and_b32 s31, s28, vcc_lo
                                        ; implicit-def: $sgpr28
	s_and_saveexec_b32 s30, s31
	s_cbranch_execz .LBB36_350
; %bb.325:                              ;   in Loop: Header=BB36_6 Depth=1
	ds_load_b32 v3, v13 offset:4096
	s_wait_dscnt 0x0
	s_barrier_signal -1
	s_barrier_wait -1
	v_readfirstlane_b32 s34, v3
	s_and_saveexec_b32 s28, s6
; %bb.326:                              ;   in Loop: Header=BB36_6 Depth=1
	ds_store_b32 v22, v13
; %bb.327:                              ;   in Loop: Header=BB36_6 Depth=1
	s_or_b32 exec_lo, exec_lo, s28
	s_lshl_b32 s28, 1, s86
	v_or_b32_e32 v36, s18, v36
	v_and_or_b32 v28, v28, s19, s28
	s_mov_b32 s28, -1
	s_mov_b32 s29, 0
	s_cmp_eq_u32 s34, 0
	s_mov_b32 s33, 0
	s_mov_b32 s38, -1
	s_wait_dscnt 0x0
	s_barrier_signal -1
	s_barrier_wait -1
                                        ; implicit-def: $vgpr17
	s_cbranch_scc1 .LBB36_338
; %bb.328:                              ;   in Loop: Header=BB36_6 Depth=1
	s_add_co_i32 s38, s34, s72
	s_mov_b32 s99, exec_lo
	s_mul_u64 s[44:45], s[38:39], s[64:65]
                                        ; implicit-def: $vgpr17
	s_delay_alu instid0(SALU_CYCLE_1) | instskip(NEXT) | instid1(SALU_CYCLE_1)
	s_mul_i32 s33, s45, s47
	s_sub_co_i32 s33, s38, s33
	s_delay_alu instid0(SALU_CYCLE_1) | instskip(SKIP_2) | instid1(SALU_CYCLE_1)
	s_sub_co_i32 s44, s33, s47
	s_cmp_ge_u32 s33, s47
	s_cselect_b32 s33, s44, s33
	s_sub_co_i32 s44, s33, s47
	s_cmp_ge_u32 s33, s47
	s_cselect_b32 s33, s44, s33
	s_delay_alu instid0(SALU_CYCLE_1)
	s_sub_co_i32 s44, s38, s33
	s_mov_b32 s38, 0
	s_mov_b32 s33, 0
	v_cmpx_gt_u32_e64 s44, v0
	s_cbranch_execz .LBB36_337
; %bb.329:                              ;   in Loop: Header=BB36_6 Depth=1
	v_dual_mov_b32 v3, v1 :: v_dual_mov_b32 v5, v0
                                        ; implicit-def: $sgpr45
	s_branch .LBB36_332
.LBB36_330:                             ;   in Loop: Header=BB36_332 Depth=2
	s_or_b32 exec_lo, exec_lo, s46
	s_wait_dscnt 0x0
	s_barrier_signal -1
	s_barrier_wait -1
	ds_load_b64 v[16:17], v13 offset:3072
	s_mov_b32 s46, -1
	s_mov_b32 s56, -1
	s_wait_dscnt 0x0
	s_barrier_signal -1
	s_barrier_wait -1
	v_cmp_ne_u32_e32 vcc_lo, 0, v16
	s_cbranch_vccz .LBB36_335
.LBB36_331:                             ;   in Loop: Header=BB36_332 Depth=2
	s_and_b32 s46, exec_lo, s46
	s_delay_alu instid0(SALU_CYCLE_1) | instskip(SKIP_2) | instid1(SALU_CYCLE_1)
	s_or_b32 s33, s46, s33
	s_and_not1_b32 s45, s45, exec_lo
	s_and_b32 s46, s56, exec_lo
	s_or_b32 s45, s45, s46
	s_and_not1_b32 exec_lo, exec_lo, s33
	s_cbranch_execz .LBB36_336
.LBB36_332:                             ;   Parent Loop BB36_6 Depth=1
                                        ; =>  This Inner Loop Header: Depth=2
	s_mov_b32 s46, exec_lo
	s_delay_alu instid0(VALU_DEP_1)
	v_cmpx_gt_u32_e64 s34, v5
	s_cbranch_execz .LBB36_330
; %bb.333:                              ;   in Loop: Header=BB36_332 Depth=2
	ds_load_b32 v21, v3
	s_wait_dscnt 0x0
	v_bitop3_b32 v12, v21, v36, 0x80000000 bitop3:0x48
	s_delay_alu instid0(VALU_DEP_1)
	v_cmp_eq_u32_e32 vcc_lo, v12, v28
	s_and_b32 exec_lo, exec_lo, vcc_lo
	s_cbranch_execz .LBB36_330
; %bb.334:                              ;   in Loop: Header=BB36_332 Depth=2
	ds_store_b64 v13, v[20:21] offset:3072
	s_branch .LBB36_330
.LBB36_335:                             ;   in Loop: Header=BB36_332 Depth=2
	v_dual_add_nc_u32 v5, s47, v5 :: v_dual_add_nc_u32 v3, s69, v3
	s_mov_b32 s56, 0
	s_delay_alu instid0(VALU_DEP_1)
	v_cmp_le_u32_e32 vcc_lo, s44, v5
	s_or_not1_b32 s46, vcc_lo, exec_lo
	s_branch .LBB36_331
.LBB36_336:                             ;   in Loop: Header=BB36_6 Depth=1
	s_or_b32 exec_lo, exec_lo, s33
	s_delay_alu instid0(SALU_CYCLE_1)
	s_and_b32 s33, s45, exec_lo
.LBB36_337:                             ;   in Loop: Header=BB36_6 Depth=1
	s_or_b32 exec_lo, exec_lo, s99
.LBB36_338:                             ;   in Loop: Header=BB36_6 Depth=1
	s_delay_alu instid0(SALU_CYCLE_1)
	s_and_b32 vcc_lo, exec_lo, s38
	s_cbranch_vccz .LBB36_349
; %bb.339:                              ;   in Loop: Header=BB36_6 Depth=1
                                        ; implicit-def: $vgpr17
	s_and_saveexec_b32 s28, s13
	s_cbranch_execz .LBB36_348
; %bb.340:                              ;   in Loop: Header=BB36_6 Depth=1
	v_dual_mov_b32 v3, v14 :: v_dual_mov_b32 v5, v0
	s_mov_b32 s29, 0
                                        ; implicit-def: $sgpr34
	s_branch .LBB36_343
.LBB36_341:                             ;   in Loop: Header=BB36_343 Depth=2
	s_or_b32 exec_lo, exec_lo, s38
	s_wait_dscnt 0x0
	s_barrier_signal -1
	s_barrier_wait -1
	ds_load_b64 v[16:17], v13 offset:3072
	s_mov_b32 s38, -1
	s_mov_b32 s44, -1
	s_wait_dscnt 0x0
	s_barrier_signal -1
	s_barrier_wait -1
	v_cmp_eq_u32_e32 vcc_lo, 0, v16
	s_cbranch_vccnz .LBB36_346
.LBB36_342:                             ;   in Loop: Header=BB36_343 Depth=2
	s_and_b32 s38, exec_lo, s38
	s_delay_alu instid0(SALU_CYCLE_1) | instskip(SKIP_2) | instid1(SALU_CYCLE_1)
	s_or_b32 s29, s38, s29
	s_and_not1_b32 s34, s34, exec_lo
	s_and_b32 s38, s44, exec_lo
	s_or_b32 s34, s34, s38
	s_and_not1_b32 exec_lo, exec_lo, s29
	s_cbranch_execz .LBB36_347
.LBB36_343:                             ;   Parent Loop BB36_6 Depth=1
                                        ; =>  This Inner Loop Header: Depth=2
	s_mov_b32 s38, exec_lo
	s_delay_alu instid0(VALU_DEP_1)
	v_cmpx_gt_u32_e64 s36, v5
	s_cbranch_execz .LBB36_341
; %bb.344:                              ;   in Loop: Header=BB36_343 Depth=2
	v_readfirstlane_b32 s44, v6
	v_readfirstlane_b32 s45, v7
	global_load_b32 v21, v3, s[44:45] scale_offset
	s_wait_loadcnt 0x0
	v_bitop3_b32 v12, v21, v36, 0x80000000 bitop3:0x48
	s_delay_alu instid0(VALU_DEP_1)
	v_cmp_eq_u32_e32 vcc_lo, v12, v28
	s_and_b32 exec_lo, exec_lo, vcc_lo
	s_cbranch_execz .LBB36_341
; %bb.345:                              ;   in Loop: Header=BB36_343 Depth=2
	ds_store_b64 v13, v[20:21] offset:3072
	s_branch .LBB36_341
.LBB36_346:                             ;   in Loop: Header=BB36_343 Depth=2
	v_dual_add_nc_u32 v5, s47, v5 :: v_dual_add_nc_u32 v3, s51, v3
	s_mov_b32 s44, 0
	s_delay_alu instid0(VALU_DEP_1)
	v_cmp_le_u32_e32 vcc_lo, s83, v5
	s_or_not1_b32 s38, vcc_lo, exec_lo
	s_branch .LBB36_342
.LBB36_347:                             ;   in Loop: Header=BB36_6 Depth=1
	s_or_b32 exec_lo, exec_lo, s29
	s_delay_alu instid0(SALU_CYCLE_1) | instskip(SKIP_1) | instid1(SALU_CYCLE_1)
	s_and_not1_b32 s29, s33, exec_lo
	s_and_b32 s33, s34, exec_lo
	s_or_b32 s33, s29, s33
.LBB36_348:                             ;   in Loop: Header=BB36_6 Depth=1
	s_or_b32 exec_lo, exec_lo, s28
	s_mov_b32 s28, 0
	s_mov_b32 s29, -1
.LBB36_349:                             ;   in Loop: Header=BB36_6 Depth=1
	s_or_not1_b32 s33, s33, exec_lo
.LBB36_350:                             ;   in Loop: Header=BB36_6 Depth=1
	s_or_b32 exec_lo, exec_lo, s30
	s_mov_b32 s34, 0
	s_and_saveexec_b32 s30, s33
	s_cbranch_execz .LBB36_400
; %bb.351:                              ;   in Loop: Header=BB36_6 Depth=1
	v_dual_mov_b32 v3, 1 :: v_dual_mov_b32 v4, 1
	s_xor_b32 s33, s31, -1
	s_mov_b32 s38, 0
	s_and_saveexec_b32 s31, s33
	s_cbranch_execz .LBB36_360
; %bb.352:                              ;   in Loop: Header=BB36_6 Depth=1
	s_mov_b32 s33, exec_lo
	v_cmpx_ge_u32_e64 s20, v2
	s_xor_b32 s33, exec_lo, s33
	s_cbranch_execz .LBB36_357
; %bb.353:                              ;   in Loop: Header=BB36_6 Depth=1
	ds_load_b32 v3, v13 offset:4096
	s_lshl_b32 s34, 1, s86
	v_or_b32_e32 v36, s18, v36
	v_and_or_b32 v28, v28, s19, s34
	s_wait_dscnt 0x0
	v_cmp_ne_u32_e32 vcc_lo, 0, v3
	s_cbranch_vccnz .LBB36_357
; %bb.354:                              ;   in Loop: Header=BB36_6 Depth=1
	s_and_saveexec_b32 s34, s5
; %bb.355:                              ;   in Loop: Header=BB36_6 Depth=1
	v_mov_b32_e32 v3, s20
	ds_store_b32 v13, v3 offset:4100
; %bb.356:                              ;   in Loop: Header=BB36_6 Depth=1
	s_or_b32 exec_lo, exec_lo, s34
	s_wait_dscnt 0x0
	s_barrier_signal -1
	s_barrier_wait -1
.LBB36_357:                             ;   in Loop: Header=BB36_6 Depth=1
	s_or_saveexec_b32 s33, s33
	v_mov_b32_e32 v4, 5
	s_mov_b32 s34, 0
	s_xor_b32 exec_lo, exec_lo, s33
; %bb.358:                              ;   in Loop: Header=BB36_6 Depth=1
	v_subrev_nc_u32_e32 v2, s20, v2
	v_mov_b32_e32 v4, 0
	s_mov_b32 s34, exec_lo
; %bb.359:                              ;   in Loop: Header=BB36_6 Depth=1
	s_or_b32 exec_lo, exec_lo, s33
	s_delay_alu instid0(VALU_DEP_2)
	v_mov_b32_e32 v3, v2
	s_and_b32 s38, s34, exec_lo
.LBB36_360:                             ;   in Loop: Header=BB36_6 Depth=1
	s_or_b32 exec_lo, exec_lo, s31
	s_mov_b32 s31, -1
                                        ; implicit-def: $sgpr34
                                        ; implicit-def: $sgpr33
	s_and_saveexec_b32 s20, s38
	s_cbranch_execz .LBB36_399
; %bb.361:                              ;   in Loop: Header=BB36_6 Depth=1
	v_cmp_eq_u32_e32 vcc_lo, 1, v3
	s_cmp_eq_u32 s17, 1
	s_mov_b32 s44, -1
	s_cselect_b32 s31, -1, 0
                                        ; implicit-def: $sgpr34
                                        ; implicit-def: $sgpr33
	s_delay_alu instid0(SALU_CYCLE_1) | instskip(NEXT) | instid1(SALU_CYCLE_1)
	s_and_b32 s31, s31, vcc_lo
	s_and_saveexec_b32 s99, s31
	s_cbranch_execz .LBB36_387
; %bb.362:                              ;   in Loop: Header=BB36_6 Depth=1
	ds_load_b32 v2, v13 offset:4096
	s_wait_dscnt 0x0
	s_barrier_signal -1
	s_barrier_wait -1
	v_readfirstlane_b32 s100, v2
	s_and_saveexec_b32 s33, s6
; %bb.363:                              ;   in Loop: Header=BB36_6 Depth=1
	ds_store_b32 v22, v13
; %bb.364:                              ;   in Loop: Header=BB36_6 Depth=1
	s_or_b32 exec_lo, exec_lo, s33
	v_and_b32_e32 v28, s19, v28
	v_or_b32_e32 v36, s18, v36
	s_mov_b32 s33, -1
	s_mov_b32 s34, 0
	s_cmp_eq_u32 s100, 0
	s_mov_b32 s38, 0
	s_mov_b32 s101, -1
	s_wait_dscnt 0x0
	s_barrier_signal -1
	s_barrier_wait -1
                                        ; implicit-def: $vgpr17
	s_cbranch_scc1 .LBB36_375
; %bb.365:                              ;   in Loop: Header=BB36_6 Depth=1
	s_add_co_i32 s38, s100, s72
	s_mov_b32 s101, 0
	s_mul_u64 s[44:45], s[38:39], s[64:65]
	s_mov_b32 s102, exec_lo
	s_mul_i32 s44, s45, s47
                                        ; implicit-def: $vgpr17
	s_delay_alu instid0(SALU_CYCLE_1) | instskip(NEXT) | instid1(SALU_CYCLE_1)
	s_sub_co_i32 s44, s38, s44
	s_sub_co_i32 s45, s44, s47
	s_cmp_ge_u32 s44, s47
	s_cselect_b32 s44, s45, s44
	s_delay_alu instid0(SALU_CYCLE_1) | instskip(SKIP_2) | instid1(SALU_CYCLE_1)
	s_sub_co_i32 s45, s44, s47
	s_cmp_ge_u32 s44, s47
	s_cselect_b32 s44, s45, s44
	s_sub_co_i32 s44, s38, s44
	s_mov_b32 s38, 0
	v_cmpx_gt_u32_e64 s44, v0
	s_cbranch_execz .LBB36_374
; %bb.366:                              ;   in Loop: Header=BB36_6 Depth=1
	v_dual_mov_b32 v2, v1 :: v_dual_mov_b32 v5, v0
                                        ; implicit-def: $sgpr45
	s_branch .LBB36_369
.LBB36_367:                             ;   in Loop: Header=BB36_369 Depth=2
	s_or_b32 exec_lo, exec_lo, s46
	s_wait_dscnt 0x0
	s_barrier_signal -1
	s_barrier_wait -1
	ds_load_b64 v[16:17], v13 offset:3072
	s_mov_b32 s46, -1
	s_mov_b32 s56, -1
	s_wait_dscnt 0x0
	s_barrier_signal -1
	s_barrier_wait -1
	v_cmp_ne_u32_e32 vcc_lo, 0, v16
	s_cbranch_vccz .LBB36_372
.LBB36_368:                             ;   in Loop: Header=BB36_369 Depth=2
	s_and_b32 s46, exec_lo, s46
	s_delay_alu instid0(SALU_CYCLE_1) | instskip(SKIP_2) | instid1(SALU_CYCLE_1)
	s_or_b32 s38, s46, s38
	s_and_not1_b32 s45, s45, exec_lo
	s_and_b32 s46, s56, exec_lo
	s_or_b32 s45, s45, s46
	s_and_not1_b32 exec_lo, exec_lo, s38
	s_cbranch_execz .LBB36_373
.LBB36_369:                             ;   Parent Loop BB36_6 Depth=1
                                        ; =>  This Inner Loop Header: Depth=2
	s_mov_b32 s46, exec_lo
	s_delay_alu instid0(VALU_DEP_1)
	v_cmpx_gt_u32_e64 s100, v5
	s_cbranch_execz .LBB36_367
; %bb.370:                              ;   in Loop: Header=BB36_369 Depth=2
	ds_load_b32 v21, v2
	s_wait_dscnt 0x0
	v_bitop3_b32 v12, v21, v36, 0x80000000 bitop3:0x48
	s_delay_alu instid0(VALU_DEP_1)
	v_cmp_eq_u32_e32 vcc_lo, v12, v28
	s_and_b32 exec_lo, exec_lo, vcc_lo
	s_cbranch_execz .LBB36_367
; %bb.371:                              ;   in Loop: Header=BB36_369 Depth=2
	ds_store_b64 v13, v[20:21] offset:3072
	s_branch .LBB36_367
.LBB36_372:                             ;   in Loop: Header=BB36_369 Depth=2
	v_dual_add_nc_u32 v5, s47, v5 :: v_dual_add_nc_u32 v2, s69, v2
	s_mov_b32 s56, 0
	s_delay_alu instid0(VALU_DEP_1)
	v_cmp_le_u32_e32 vcc_lo, s44, v5
	s_or_not1_b32 s46, vcc_lo, exec_lo
	s_branch .LBB36_368
.LBB36_373:                             ;   in Loop: Header=BB36_6 Depth=1
	s_or_b32 exec_lo, exec_lo, s38
	s_delay_alu instid0(SALU_CYCLE_1)
	s_and_b32 s38, s45, exec_lo
.LBB36_374:                             ;   in Loop: Header=BB36_6 Depth=1
	s_or_b32 exec_lo, exec_lo, s102
.LBB36_375:                             ;   in Loop: Header=BB36_6 Depth=1
	s_delay_alu instid0(SALU_CYCLE_1)
	s_and_b32 vcc_lo, exec_lo, s101
	s_cbranch_vccz .LBB36_386
; %bb.376:                              ;   in Loop: Header=BB36_6 Depth=1
                                        ; implicit-def: $vgpr17
	s_and_saveexec_b32 s33, s13
	s_cbranch_execz .LBB36_385
; %bb.377:                              ;   in Loop: Header=BB36_6 Depth=1
	v_dual_mov_b32 v2, v14 :: v_dual_mov_b32 v5, v0
	s_mov_b32 s34, 0
                                        ; implicit-def: $sgpr44
	s_branch .LBB36_380
.LBB36_378:                             ;   in Loop: Header=BB36_380 Depth=2
	s_or_b32 exec_lo, exec_lo, s45
	s_wait_dscnt 0x0
	s_barrier_signal -1
	s_barrier_wait -1
	ds_load_b64 v[16:17], v13 offset:3072
	s_mov_b32 s45, -1
	s_mov_b32 s46, -1
	s_wait_dscnt 0x0
	s_barrier_signal -1
	s_barrier_wait -1
	v_cmp_eq_u32_e32 vcc_lo, 0, v16
	s_cbranch_vccnz .LBB36_383
.LBB36_379:                             ;   in Loop: Header=BB36_380 Depth=2
	s_and_b32 s45, exec_lo, s45
	s_delay_alu instid0(SALU_CYCLE_1) | instskip(SKIP_2) | instid1(SALU_CYCLE_1)
	s_or_b32 s34, s45, s34
	s_and_not1_b32 s44, s44, exec_lo
	s_and_b32 s45, s46, exec_lo
	s_or_b32 s44, s44, s45
	s_and_not1_b32 exec_lo, exec_lo, s34
	s_cbranch_execz .LBB36_384
.LBB36_380:                             ;   Parent Loop BB36_6 Depth=1
                                        ; =>  This Inner Loop Header: Depth=2
	s_mov_b32 s45, exec_lo
	s_delay_alu instid0(VALU_DEP_1)
	v_cmpx_gt_u32_e64 s36, v5
	s_cbranch_execz .LBB36_378
; %bb.381:                              ;   in Loop: Header=BB36_380 Depth=2
	v_readfirstlane_b32 s56, v6
	v_readfirstlane_b32 s57, v7
	global_load_b32 v21, v2, s[56:57] scale_offset
	s_wait_loadcnt 0x0
	v_bitop3_b32 v12, v21, v36, 0x80000000 bitop3:0x48
	s_delay_alu instid0(VALU_DEP_1)
	v_cmp_eq_u32_e32 vcc_lo, v12, v28
	s_and_b32 exec_lo, exec_lo, vcc_lo
	s_cbranch_execz .LBB36_378
; %bb.382:                              ;   in Loop: Header=BB36_380 Depth=2
	ds_store_b64 v13, v[20:21] offset:3072
	s_branch .LBB36_378
.LBB36_383:                             ;   in Loop: Header=BB36_380 Depth=2
	v_dual_add_nc_u32 v5, s47, v5 :: v_dual_add_nc_u32 v2, s51, v2
	s_mov_b32 s46, 0
	s_delay_alu instid0(VALU_DEP_1)
	v_cmp_le_u32_e32 vcc_lo, s83, v5
	s_or_not1_b32 s45, vcc_lo, exec_lo
	s_branch .LBB36_379
.LBB36_384:                             ;   in Loop: Header=BB36_6 Depth=1
	s_or_b32 exec_lo, exec_lo, s34
	s_delay_alu instid0(SALU_CYCLE_1) | instskip(SKIP_1) | instid1(SALU_CYCLE_1)
	s_and_not1_b32 s34, s38, exec_lo
	s_and_b32 s38, s44, exec_lo
	s_or_b32 s38, s34, s38
.LBB36_385:                             ;   in Loop: Header=BB36_6 Depth=1
	s_or_b32 exec_lo, exec_lo, s33
	s_mov_b32 s33, 0
	s_mov_b32 s34, -1
.LBB36_386:                             ;   in Loop: Header=BB36_6 Depth=1
	s_or_not1_b32 s44, s38, exec_lo
.LBB36_387:                             ;   in Loop: Header=BB36_6 Depth=1
	s_or_b32 exec_lo, exec_lo, s99
	s_mov_b32 s45, 0
	s_and_saveexec_b32 s38, s44
	s_cbranch_execz .LBB36_398
; %bb.388:                              ;   in Loop: Header=BB36_6 Depth=1
	v_dual_mov_b32 v4, 1 :: v_dual_mov_b32 v2, 1
	s_xor_b32 s44, s31, -1
	s_delay_alu instid0(SALU_CYCLE_1)
	s_and_saveexec_b32 s31, s44
	s_cbranch_execz .LBB36_397
; %bb.389:                              ;   in Loop: Header=BB36_6 Depth=1
	s_mov_b32 s44, exec_lo
	v_cmpx_ge_u32_e64 s17, v3
	s_xor_b32 s44, exec_lo, s44
	s_cbranch_execz .LBB36_394
; %bb.390:                              ;   in Loop: Header=BB36_6 Depth=1
	ds_load_b32 v2, v13 offset:4096
	v_and_b32_e32 v28, s19, v28
	v_or_b32_e32 v36, s18, v36
	s_wait_dscnt 0x0
	v_cmp_ne_u32_e32 vcc_lo, 0, v2
	s_cbranch_vccnz .LBB36_394
; %bb.391:                              ;   in Loop: Header=BB36_6 Depth=1
	s_and_saveexec_b32 s18, s5
; %bb.392:                              ;   in Loop: Header=BB36_6 Depth=1
	v_mov_b32_e32 v2, s17
	ds_store_b32 v13, v2 offset:4100
; %bb.393:                              ;   in Loop: Header=BB36_6 Depth=1
	s_or_b32 exec_lo, exec_lo, s18
	s_wait_dscnt 0x0
	s_barrier_signal -1
	s_barrier_wait -1
.LBB36_394:                             ;   in Loop: Header=BB36_6 Depth=1
	s_and_not1_saveexec_b32 s18, s44
; %bb.395:                              ;   in Loop: Header=BB36_6 Depth=1
	v_subrev_nc_u32_e32 v3, s17, v3
; %bb.396:                              ;   in Loop: Header=BB36_6 Depth=1
	s_or_b32 exec_lo, exec_lo, s18
	s_delay_alu instid0(VALU_DEP_1)
	v_dual_mov_b32 v4, 5 :: v_dual_mov_b32 v2, v3
.LBB36_397:                             ;   in Loop: Header=BB36_6 Depth=1
	s_or_b32 exec_lo, exec_lo, s31
	s_delay_alu instid0(VALU_DEP_1)
	v_mov_b32_e32 v3, v2
	s_mov_b32 s45, exec_lo
.LBB36_398:                             ;   in Loop: Header=BB36_6 Depth=1
	s_or_b32 exec_lo, exec_lo, s38
	s_delay_alu instid0(SALU_CYCLE_1)
	s_or_not1_b32 s31, s45, exec_lo
.LBB36_399:                             ;   in Loop: Header=BB36_6 Depth=1
	s_or_b32 exec_lo, exec_lo, s20
	v_mov_b32_e32 v2, v3
	s_and_not1_b32 s17, s29, exec_lo
	s_and_b32 s18, s34, exec_lo
	s_and_not1_b32 s19, s28, exec_lo
	s_and_b32 s20, s33, exec_lo
	s_or_b32 s29, s17, s18
	s_or_b32 s28, s19, s20
	s_and_b32 s34, s31, exec_lo
.LBB36_400:                             ;   in Loop: Header=BB36_6 Depth=1
	s_or_b32 exec_lo, exec_lo, s30
	s_delay_alu instid0(SALU_CYCLE_1)
	s_or_not1_b32 s30, s34, exec_lo
.LBB36_401:                             ;   in Loop: Header=BB36_6 Depth=1
	s_or_b32 exec_lo, exec_lo, s21
	v_mov_b32_e32 v38, v2
	s_and_not1_b32 s17, s25, exec_lo
	s_and_b32 s18, s29, exec_lo
	s_and_not1_b32 s19, s22, exec_lo
	s_and_b32 s20, s28, exec_lo
	s_or_b32 s25, s17, s18
	s_or_b32 s22, s19, s20
	s_and_b32 s30, s30, exec_lo
.LBB36_402:                             ;   in Loop: Header=BB36_6 Depth=1
	s_or_b32 exec_lo, exec_lo, s27
	s_delay_alu instid0(SALU_CYCLE_1)
	s_or_not1_b32 s27, s30, exec_lo
.LBB36_403:                             ;   in Loop: Header=BB36_6 Depth=1
	s_or_b32 exec_lo, exec_lo, s14
	s_mov_b32 s14, s23
	s_mov_b32 s17, s15
	s_and_saveexec_b32 s18, s27
; %bb.404:                              ;   in Loop: Header=BB36_6 Depth=1
	v_cmp_ne_u32_e32 vcc_lo, 5, v4
	v_cmp_eq_u32_e64 s14, 5, v4
	s_and_not1_b32 s17, s15, exec_lo
	s_and_not1_b32 s19, s23, exec_lo
	s_and_b32 s20, vcc_lo, exec_lo
	s_and_b32 s14, s14, exec_lo
	s_or_b32 s17, s17, s20
	s_or_b32 s14, s19, s14
; %bb.405:                              ;   in Loop: Header=BB36_6 Depth=1
	s_or_b32 exec_lo, exec_lo, s18
	s_delay_alu instid0(SALU_CYCLE_1)
	s_and_not1_b32 s18, s26, exec_lo
	s_and_b32 s19, s25, exec_lo
	s_and_not1_b32 s16, s16, exec_lo
	s_and_b32 s20, s22, exec_lo
	s_or_b32 s26, s18, s19
	s_and_not1_b32 s15, s15, exec_lo
	s_and_b32 s17, s17, exec_lo
	s_and_not1_b32 s18, s23, exec_lo
	s_and_b32 s14, s14, exec_lo
	s_or_b32 s16, s16, s20
	s_or_b32 s15, s15, s17
	;; [unrolled: 1-line block ×3, first 2 shown]
.LBB36_406:                             ;   in Loop: Header=BB36_6 Depth=1
	s_or_b32 exec_lo, exec_lo, s24
	s_mov_b32 s24, 0
	s_mov_b32 s25, 0
	s_and_saveexec_b32 s14, s23
.LBB36_407:                             ;   in Loop: Header=BB36_6 Depth=1
	v_mov_b32_e32 v4, 0
	s_or_b32 s15, s15, exec_lo
.LBB36_408:                             ;   in Loop: Header=BB36_6 Depth=1
	s_or_b32 exec_lo, exec_lo, s14
	s_delay_alu instid0(SALU_CYCLE_1)
	s_and_not1_b32 s14, s96, exec_lo
	s_and_b32 s18, s26, exec_lo
	s_and_not1_b32 s19, s94, exec_lo
	s_and_b32 s16, s16, exec_lo
	v_mov_b32_e32 v37, v38
	s_or_b32 s96, s14, s18
	s_or_b32 s94, s19, s16
	s_and_not1_b32 s14, s98, exec_lo
	s_and_b32 s16, s25, exec_lo
	s_and_not1_b32 s18, s97, exec_lo
	s_and_b32 s19, s24, exec_lo
	s_mov_b32 s17, -1
	s_and_not1_b32 s95, s95, exec_lo
	s_or_b32 s98, s14, s16
	s_or_b32 s97, s18, s19
	s_and_saveexec_b32 s14, s15
	s_delay_alu instid0(SALU_CYCLE_1)
	s_xor_b32 s14, exec_lo, s14
	s_cbranch_execz .LBB36_5
; %bb.409:                              ;   in Loop: Header=BB36_6 Depth=1
	s_mov_b32 s15, -1
	s_mov_b32 s16, -1
	s_mov_b32 s17, exec_lo
	v_cmpx_eq_u32_e32 0, v4
	s_cbranch_execz .LBB36_4
; %bb.410:                              ;   in Loop: Header=BB36_6 Depth=1
	s_xor_b32 s89, s89, 1
	s_add_co_i32 s18, s86, -2
	s_cmp_eq_u32 s86, 0
	s_mov_b32 s86, s18
	s_cselect_b32 s15, -1, 0
	s_xor_b32 s16, exec_lo, -1
	s_or_not1_b32 s15, s15, exec_lo
	s_branch .LBB36_4
.LBB36_411:
	s_or_b32 exec_lo, exec_lo, s87
	s_xor_b32 s7, s93, -1
	s_xor_b32 s9, s91, -1
	;; [unrolled: 1-line block ×5, first 2 shown]
	s_mov_b32 s8, 0
	s_and_saveexec_b32 s12, s11
	s_delay_alu instid0(SALU_CYCLE_1)
	s_xor_b32 s12, exec_lo, s12
	s_cbranch_execnz .LBB36_416
; %bb.412:
	s_wait_xcnt 0x0
	s_and_not1_saveexec_b32 s0, s12
	s_cbranch_execnz .LBB36_435
.LBB36_413:
	s_or_b32 exec_lo, exec_lo, s0
	s_and_saveexec_b32 s0, s8
.LBB36_414:
	; divergent unreachable
.LBB36_415:
	s_sendmsg sendmsg(MSG_DEALLOC_VGPRS)
	s_endpgm
.LBB36_416:
	s_and_saveexec_b32 s11, s10
	s_delay_alu instid0(SALU_CYCLE_1)
	s_xor_b32 s13, exec_lo, s11
	s_cbranch_execz .LBB36_433
; %bb.417:
	s_and_saveexec_b32 s10, s9
	s_delay_alu instid0(SALU_CYCLE_1)
	s_xor_b32 s14, exec_lo, s10
	s_cbranch_execz .LBB36_431
; %bb.418:
	;; [unrolled: 5-line block ×3, first 2 shown]
	s_and_saveexec_b32 s7, s6
	s_delay_alu instid0(SALU_CYCLE_1)
	s_xor_b32 s6, exec_lo, s7
; %bb.420:
	v_xor_b32_e32 v17, 0x80000000, v28
; %bb.421:
	s_or_b32 exec_lo, exec_lo, s6
	s_and_saveexec_b32 s6, s5
; %bb.422:
	v_mov_b32_e32 v1, 0
	ds_store_b32 v1, v1 offset:4108
; %bb.423:
	s_or_b32 exec_lo, exec_lo, s6
	v_mov_b32_e32 v1, 0
	s_wait_dscnt 0x0
	s_barrier_signal -1
	s_barrier_wait -1
	s_and_saveexec_b32 s5, s3
	s_cbranch_execz .LBB36_425
; %bb.424:
	global_load_b32 v1, v[10:11], off
.LBB36_425:
	s_wait_xcnt 0x0
	s_or_b32 exec_lo, exec_lo, s5
	s_load_b96 s[16:18], s[0:1], 0x15c
	s_mul_i32 s7, s61, s52
	s_add_co_i32 s5, s36, 31
	s_mul_i32 s6, s50, s53
	s_sub_co_i32 s7, s50, s7
	s_and_not1_b32 s5, s5, 31
	s_sub_co_i32 s6, s68, s6
	s_add_co_i32 s8, s61, 1
	s_sub_co_i32 s9, s7, s52
	s_cmp_ge_u32 s7, s52
	s_mov_b32 s11, 0
	s_cselect_b32 s8, s8, s61
	s_cselect_b32 s7, s9, s7
	s_add_co_i32 s9, s8, 1
	s_cmp_ge_u32 s7, s52
	v_cmp_gt_u32_e32 vcc_lo, s5, v0
	s_cselect_b32 s7, s9, s8
	s_mul_i32 s9, s54, s49
	s_mul_i32 s8, s7, s52
	s_delay_alu instid0(SALU_CYCLE_1)
	s_sub_co_i32 s8, s50, s8
	s_wait_kmcnt 0x0
	s_mul_i32 s6, s6, s18
	s_mul_i32 s8, s8, s17
	;; [unrolled: 1-line block ×3, first 2 shown]
	s_add_co_i32 s6, s8, s6
	s_mul_i32 s8, s35, s48
	s_add_co_i32 s10, s6, s7
	s_sub_co_i32 s7, s54, s8
	s_sub_co_i32 s6, s68, s9
	s_add_co_i32 s8, s35, 1
	s_sub_co_i32 s9, s7, s48
	s_cmp_ge_u32 s7, s48
	s_clause 0x1
	s_load_b32 s16, s[0:1], 0x1c8
	s_load_b32 s17, s[0:1], 0x2a8
	s_cselect_b32 s8, s8, s35
	s_cselect_b32 s7, s9, s7
	s_add_co_i32 s9, s8, 1
	s_cmp_ge_u32 s7, s48
	s_mul_i32 s6, s6, s42
	s_cselect_b32 s7, s9, s8
	v_readlane_b32 s8, v68, 0
	s_wait_xcnt 0x0
	s_mul_i32 s0, s7, s48
	s_mul_i32 s7, s7, s40
	s_sub_co_i32 s0, s54, s0
	v_readlane_b32 s9, v68, 1
	s_mul_i32 s0, s0, s41
	s_mov_b32 s1, s11
	s_add_co_i32 s0, s0, s6
	s_delay_alu instid0(SALU_CYCLE_1)
	s_add_co_i32 s0, s0, s7
	s_lshl_b64 s[6:7], s[10:11], 2
	s_lshl_b64 s[0:1], s[0:1], 3
	s_add_nc_u64 s[6:7], s[58:59], s[6:7]
	s_add_nc_u64 s[8:9], s[8:9], s[0:1]
	s_mov_b32 s0, -1
	s_mov_b32 s1, 0
	s_and_saveexec_b32 s10, vcc_lo
	s_cbranch_execnz .LBB36_436
; %bb.426:
	s_or_b32 exec_lo, exec_lo, s10
	s_and_saveexec_b32 s4, s0
	s_cbranch_execnz .LBB36_451
.LBB36_427:
	s_or_b32 exec_lo, exec_lo, s4
	s_and_saveexec_b32 s0, s1
	s_delay_alu instid0(SALU_CYCLE_1)
	s_xor_b32 s0, exec_lo, s0
	s_cbranch_execnz .LBB36_474
.LBB36_428:
	s_or_b32 exec_lo, exec_lo, s0
	s_delay_alu instid0(SALU_CYCLE_1)
	s_and_b32 s8, s11, exec_lo
.LBB36_429:
	s_wait_xcnt 0x0
	s_and_not1_saveexec_b32 s0, s15
	s_cbranch_execnz .LBB36_476
.LBB36_430:
	s_or_b32 exec_lo, exec_lo, s0
	s_delay_alu instid0(SALU_CYCLE_1)
	s_and_b32 s8, s8, exec_lo
.LBB36_431:
	s_wait_xcnt 0x0
	s_and_not1_saveexec_b32 s0, s14
	s_cbranch_execnz .LBB36_475
.LBB36_432:
	s_or_b32 exec_lo, exec_lo, s0
	s_delay_alu instid0(SALU_CYCLE_1)
	s_and_b32 s8, s8, exec_lo
.LBB36_433:
	s_wait_xcnt 0x0
	s_and_not1_saveexec_b32 s0, s13
	s_cbranch_execnz .LBB36_470
.LBB36_434:
	s_or_b32 exec_lo, exec_lo, s0
	s_delay_alu instid0(SALU_CYCLE_1)
	s_and_b32 s8, s8, exec_lo
	s_and_not1_saveexec_b32 s0, s12
	s_cbranch_execz .LBB36_413
.LBB36_435:
	s_or_b32 s8, s8, exec_lo
	s_trap 2
	s_or_b32 exec_lo, exec_lo, s0
	s_and_saveexec_b32 s0, s8
	s_cbranch_execnz .LBB36_414
	s_branch .LBB36_415
.LBB36_436:
	v_dual_mov_b32 v3, 0 :: v_dual_add_nc_u32 v2, s47, v0
	v_xor_b32_e32 v5, 0x80000000, v17
	s_mov_b32 s18, 0
                                        ; implicit-def: $sgpr19
                                        ; implicit-def: $vgpr12
	s_delay_alu instid0(VALU_DEP_2)
	v_mul_lo_u32 v4, s43, v2
	v_mov_b32_e32 v2, v0
	s_branch .LBB36_438
.LBB36_437:                             ;   in Loop: Header=BB36_438 Depth=1
	s_or_b32 exec_lo, exec_lo, s21
	s_xor_b32 s0, s20, -1
	s_and_b32 s1, exec_lo, s1
	v_dual_mov_b32 v1, v13 :: v_dual_mov_b32 v2, v9
	s_or_b32 s18, s1, s18
	s_and_not1_b32 s1, s19, exec_lo
	s_and_b32 s0, s0, exec_lo
	s_delay_alu instid0(SALU_CYCLE_1)
	s_or_b32 s19, s1, s0
	s_and_not1_b32 exec_lo, exec_lo, s18
	s_cbranch_execz .LBB36_450
.LBB36_438:                             ; =>This Inner Loop Header: Depth=1
	s_delay_alu instid0(VALU_DEP_1) | instskip(SKIP_1) | instid1(VALU_DEP_1)
	v_dual_add_nc_u32 v9, s47, v2 :: v_dual_mov_b32 v13, 0
	s_mov_b32 s1, exec_lo
	v_cmpx_gt_u32_e64 s36, v9
	s_cbranch_execz .LBB36_440
; %bb.439:                              ;   in Loop: Header=BB36_438 Depth=1
	v_readfirstlane_b32 s20, v6
	v_readfirstlane_b32 s21, v7
	global_load_b32 v13, v4, s[20:21] scale_offset
.LBB36_440:                             ;   in Loop: Header=BB36_438 Depth=1
	s_wait_xcnt 0x0
	s_or_b32 exec_lo, exec_lo, s1
	s_wait_loadcnt 0x0
	v_xor_b32_e32 v14, 0x80000000, v1
	s_delay_alu instid0(VALU_DEP_1) | instskip(NEXT) | instid1(VALU_DEP_1)
	v_cmp_gt_u32_e64 s0, v14, v5
	v_cndmask_b32_e64 v15, 0, 1, s0
	v_cmp_lt_u32_e64 s0, v14, v5
	s_delay_alu instid0(VALU_DEP_1) | instskip(SKIP_1) | instid1(VALU_DEP_2)
	v_cndmask_b32_e64 v14, 0, 1, s0
	v_cmp_gt_u32_e64 s0, s36, v2
	v_cndmask_b32_e64 v14, v14, v15, s4
	s_delay_alu instid0(VALU_DEP_1) | instskip(NEXT) | instid1(VALU_DEP_1)
	v_and_b32_e32 v14, 1, v14
	v_cmp_eq_u32_e64 s1, 1, v14
	s_and_b32 s20, s0, s1
	s_delay_alu instid0(SALU_CYCLE_1) | instskip(NEXT) | instid1(VALU_DEP_1)
	v_cndmask_b32_e64 v14, 0, 1, s20
	v_cmp_ne_u32_e64 s0, 0, v14
	s_cmp_lg_u32 s0, 0
	s_cselect_b32 s1, -1, 0
	s_delay_alu instid0(SALU_CYCLE_1) | instskip(NEXT) | instid1(SALU_CYCLE_1)
	s_and_b32 s1, s2, s1
	s_and_saveexec_b32 s21, s1
	s_cbranch_execz .LBB36_444
; %bb.441:                              ;   in Loop: Header=BB36_438 Depth=1
	s_mov_b32 s24, exec_lo
	s_bcnt1_i32_b32 s22, s0
	s_wait_dscnt 0x0
	v_mbcnt_lo_u32_b32 v12, s24, 0
	s_mov_b32 s23, exec_lo
                                        ; implicit-def: $vgpr14
	s_delay_alu instid0(VALU_DEP_1)
	v_cmpx_eq_u32_e32 0, v12
; %bb.442:                              ;   in Loop: Header=BB36_438 Depth=1
	s_bcnt1_i32_b32 s1, s24
	s_delay_alu instid0(SALU_CYCLE_1) | instskip(NEXT) | instid1(SALU_CYCLE_1)
	s_mul_i32 s1, s22, s1
	v_mov_b32_e32 v14, s1
	ds_add_rtn_u32 v14, v3, v14 offset:4108
; %bb.443:                              ;   in Loop: Header=BB36_438 Depth=1
	s_or_b32 exec_lo, exec_lo, s23
	s_wait_dscnt 0x0
	v_readfirstlane_b32 s1, v14
	s_delay_alu instid0(VALU_DEP_1)
	v_mad_u32_u24 v12, s22, v12, s1
.LBB36_444:                             ;   in Loop: Header=BB36_438 Depth=1
	s_or_b32 exec_lo, exec_lo, s21
	s_wait_dscnt 0x0
	ds_bpermute_b32 v12, v3, v12
	s_mov_b32 s1, -1
	s_mov_b32 s22, -1
	s_and_saveexec_b32 s21, s20
	s_cbranch_execz .LBB36_448
; %bb.445:                              ;   in Loop: Header=BB36_438 Depth=1
	v_and_b32_e32 v14, s0, v8
	s_mov_b32 s20, 0
	s_mov_b32 s22, exec_lo
	s_wait_dscnt 0x0
	s_delay_alu instid0(VALU_DEP_1) | instskip(NEXT) | instid1(VALU_DEP_1)
	v_bcnt_u32_b32 v14, v14, v12
	v_cmpx_gt_u32_e64 s37, v14
	s_cbranch_execz .LBB36_447
; %bb.446:                              ;   in Loop: Header=BB36_438 Depth=1
	s_wait_kmcnt 0x0
	v_mul_lo_u32 v15, v14, s16
	v_mul_lo_u32 v14, v14, s17
	s_mov_b32 s20, exec_lo
	global_store_b32 v15, v1, s[6:7] scale_offset
	global_store_b64 v14, v[2:3], s[8:9] scale_offset
.LBB36_447:                             ;   in Loop: Header=BB36_438 Depth=1
	s_wait_xcnt 0x0
	s_or_b32 exec_lo, exec_lo, s22
	s_delay_alu instid0(SALU_CYCLE_1)
	s_or_not1_b32 s22, s20, exec_lo
.LBB36_448:                             ;   in Loop: Header=BB36_438 Depth=1
	s_or_b32 exec_lo, exec_lo, s21
	s_mov_b32 s20, -1
	s_and_saveexec_b32 s21, s22
	s_cbranch_execz .LBB36_437
; %bb.449:                              ;   in Loop: Header=BB36_438 Depth=1
	v_cmp_le_u32_e64 s0, s5, v9
	v_add_nc_u32_e32 v4, s51, v4
	s_xor_b32 s20, exec_lo, -1
	s_or_not1_b32 s1, s0, exec_lo
	s_branch .LBB36_437
.LBB36_450:
	s_or_b32 exec_lo, exec_lo, s18
	s_delay_alu instid0(SALU_CYCLE_1)
	s_mov_b32 s1, exec_lo
	s_or_not1_b32 s0, s19, exec_lo
	s_or_b32 exec_lo, exec_lo, s10
	s_and_saveexec_b32 s4, s0
	s_cbranch_execz .LBB36_427
.LBB36_451:
	v_mov_b32_e32 v9, 0
	s_wait_storecnt 0x0
	s_wait_loadcnt_dscnt 0x0
	s_barrier_signal -1
	s_barrier_wait -1
	s_and_saveexec_b32 s0, s3
	s_cbranch_execz .LBB36_453
; %bb.452:
	global_load_b32 v9, v[10:11], off
.LBB36_453:
	s_wait_xcnt 0x0
	s_or_b32 exec_lo, exec_lo, s0
	s_mov_b32 s0, 0
	s_and_saveexec_b32 s3, vcc_lo
	s_cbranch_execz .LBB36_473
; %bb.454:
	v_add_nc_u32_e32 v1, s47, v0
	s_mov_b32 s10, 0
                                        ; implicit-def: $sgpr11
                                        ; implicit-def: $vgpr5
	s_delay_alu instid0(VALU_DEP_1)
	v_mul_lo_u32 v2, s43, v1
	v_mov_b32_e32 v1, 0
	s_branch .LBB36_457
.LBB36_455:                             ;   in Loop: Header=BB36_457 Depth=1
	s_or_b32 exec_lo, exec_lo, s20
	s_delay_alu instid0(SALU_CYCLE_1)
	s_or_not1_b32 s20, s18, exec_lo
	s_or_not1_b32 s19, s19, exec_lo
.LBB36_456:                             ;   in Loop: Header=BB36_457 Depth=1
	s_or_b32 exec_lo, exec_lo, s0
	s_xor_b32 s0, s20, -1
	s_and_b32 s18, exec_lo, s19
	v_dual_mov_b32 v0, v3 :: v_dual_mov_b32 v9, v4
	s_or_b32 s10, s18, s10
	s_and_not1_b32 s11, s11, exec_lo
	s_and_b32 s0, s0, exec_lo
	s_delay_alu instid0(SALU_CYCLE_1)
	s_or_b32 s11, s11, s0
	s_and_not1_b32 exec_lo, exec_lo, s10
	s_cbranch_execz .LBB36_471
.LBB36_457:                             ; =>This Inner Loop Header: Depth=1
	v_dual_mov_b32 v4, 0 :: v_dual_add_nc_u32 v3, s47, v0
	s_mov_b32 s0, exec_lo
	s_delay_alu instid0(VALU_DEP_1)
	v_cmpx_gt_u32_e64 s36, v3
	s_cbranch_execz .LBB36_459
; %bb.458:                              ;   in Loop: Header=BB36_457 Depth=1
	v_readfirstlane_b32 s18, v6
	v_readfirstlane_b32 s19, v7
	global_load_b32 v4, v2, s[18:19] scale_offset
.LBB36_459:                             ;   in Loop: Header=BB36_457 Depth=1
	s_wait_xcnt 0x0
	s_or_b32 exec_lo, exec_lo, s0
	v_cmp_gt_u32_e32 vcc_lo, s36, v0
	s_wait_loadcnt 0x0
	v_cmp_eq_u32_e64 s0, v9, v17
	s_and_b32 s18, vcc_lo, s0
	s_delay_alu instid0(SALU_CYCLE_1) | instskip(NEXT) | instid1(VALU_DEP_1)
	v_cndmask_b32_e64 v9, 0, 1, s18
	v_cmp_ne_u32_e32 vcc_lo, 0, v9
	s_cmp_lg_u32 vcc_lo, 0
	s_cselect_b32 s0, -1, 0
	s_delay_alu instid0(SALU_CYCLE_1) | instskip(NEXT) | instid1(SALU_CYCLE_1)
	s_and_b32 s0, s2, s0
	s_and_saveexec_b32 s19, s0
	s_cbranch_execz .LBB36_463
; %bb.460:                              ;   in Loop: Header=BB36_457 Depth=1
	s_mov_b32 s22, exec_lo
	s_bcnt1_i32_b32 s20, vcc_lo
	v_mbcnt_lo_u32_b32 v5, s22, 0
	s_mov_b32 s21, exec_lo
                                        ; implicit-def: $vgpr9
	s_delay_alu instid0(VALU_DEP_1)
	v_cmpx_eq_u32_e32 0, v5
; %bb.461:                              ;   in Loop: Header=BB36_457 Depth=1
	s_bcnt1_i32_b32 s0, s22
	s_delay_alu instid0(SALU_CYCLE_1) | instskip(NEXT) | instid1(SALU_CYCLE_1)
	s_mul_i32 s0, s20, s0
	v_mov_b32_e32 v9, s0
	ds_add_rtn_u32 v9, v1, v9 offset:4108
; %bb.462:                              ;   in Loop: Header=BB36_457 Depth=1
	s_or_b32 exec_lo, exec_lo, s21
	s_wait_dscnt 0x0
	v_readfirstlane_b32 s0, v9
	s_delay_alu instid0(VALU_DEP_1)
	v_mad_u32_u24 v5, s20, v5, s0
.LBB36_463:                             ;   in Loop: Header=BB36_457 Depth=1
	s_or_b32 exec_lo, exec_lo, s19
	ds_bpermute_b32 v5, v1, v5
	s_cmp_eq_u32 vcc_lo, 0
	s_mov_b32 s19, -1
	s_cselect_b32 s20, -1, 0
	s_wait_dscnt 0x0
	v_cmp_gt_u32_e64 s0, s37, v5
	s_or_b32 s21, s20, s0
	s_mov_b32 s20, -1
	s_and_saveexec_b32 s0, s21
	s_cbranch_execz .LBB36_456
; %bb.464:                              ;   in Loop: Header=BB36_457 Depth=1
	v_dual_sub_nc_u32 v10, s37, v5 :: v_dual_bitop2_b32 v9, vcc_lo, v8 bitop3:0x40
	s_mov_b32 s21, -1
	s_delay_alu instid0(VALU_DEP_1) | instskip(NEXT) | instid1(VALU_DEP_1)
	v_bcnt_u32_b32 v9, v9, 0
	v_bcnt_u32_b32 v9, 0, v9
	s_delay_alu instid0(VALU_DEP_1)
	v_cmp_gt_u32_e32 vcc_lo, v10, v9
	s_and_b32 s22, s18, vcc_lo
	s_mov_b32 s18, -1
	s_and_saveexec_b32 s20, s22
	s_cbranch_execz .LBB36_468
; %bb.465:                              ;   in Loop: Header=BB36_457 Depth=1
	v_add_nc_u32_e32 v9, v5, v9
	s_mov_b32 s21, 0
	s_mov_b32 s18, exec_lo
	s_delay_alu instid0(VALU_DEP_1)
	v_cmpx_gt_u32_e64 s37, v9
	s_cbranch_execz .LBB36_467
; %bb.466:                              ;   in Loop: Header=BB36_457 Depth=1
	s_wait_kmcnt 0x0
	v_mul_lo_u32 v10, v9, s16
	v_mul_lo_u32 v9, v9, s17
	s_mov_b32 s21, exec_lo
	global_store_b32 v10, v17, s[6:7] scale_offset
	global_store_b64 v9, v[0:1], s[8:9] scale_offset
.LBB36_467:                             ;   in Loop: Header=BB36_457 Depth=1
	s_wait_xcnt 0x0
	s_or_b32 exec_lo, exec_lo, s18
	s_delay_alu instid0(SALU_CYCLE_1)
	s_xor_b32 s18, exec_lo, -1
	s_or_not1_b32 s21, s21, exec_lo
.LBB36_468:                             ;   in Loop: Header=BB36_457 Depth=1
	s_or_b32 exec_lo, exec_lo, s20
	s_and_saveexec_b32 s20, s21
	s_cbranch_execz .LBB36_455
; %bb.469:                              ;   in Loop: Header=BB36_457 Depth=1
	v_cmp_le_u32_e32 vcc_lo, s5, v3
	v_add_nc_u32_e32 v2, s51, v2
	s_or_b32 s18, s18, exec_lo
	s_or_not1_b32 s19, vcc_lo, exec_lo
	s_branch .LBB36_455
.LBB36_470:
	s_or_b32 s8, s8, exec_lo
	s_trap 2
	s_branch .LBB36_434
.LBB36_471:
	s_or_b32 exec_lo, exec_lo, s10
	s_mov_b32 s0, 0
	s_and_saveexec_b32 s2, s11
	s_delay_alu instid0(SALU_CYCLE_1)
	s_xor_b32 s2, exec_lo, s2
	s_cbranch_execnz .LBB36_477
.LBB36_472:
	s_or_b32 exec_lo, exec_lo, s2
	s_delay_alu instid0(SALU_CYCLE_1)
	s_and_b32 s0, s0, exec_lo
.LBB36_473:
	s_or_b32 exec_lo, exec_lo, s3
	s_delay_alu instid0(SALU_CYCLE_1) | instskip(SKIP_3) | instid1(SALU_CYCLE_1)
	s_and_b32 s11, s0, exec_lo
	s_and_not1_b32 s1, s1, exec_lo
	s_or_b32 exec_lo, exec_lo, s4
	s_and_saveexec_b32 s0, s1
	s_xor_b32 s0, exec_lo, s0
	s_cbranch_execz .LBB36_428
.LBB36_474:
	s_or_b32 s11, s11, exec_lo
	s_trap 2
	s_branch .LBB36_428
.LBB36_475:
	s_or_b32 s8, s8, exec_lo
	s_trap 2
	s_branch .LBB36_432
.LBB36_476:
	s_or_b32 s8, s8, exec_lo
	s_trap 2
	s_branch .LBB36_430
.LBB36_477:
	s_mov_b32 s0, exec_lo
	s_trap 2
	s_branch .LBB36_472
	.section	.rodata,"a",@progbits
	.p2align	6, 0x0
	.amdhsa_kernel _ZN2at6native6sbtopk10gatherTopKIijLi3ELb0EEEvNS_4cuda6detail10TensorInfoIKT_T0_EES8_S8_bS8_S8_NS5_IS6_S8_EES8_NS5_IlS8_EES8_PS6_
		.amdhsa_group_segment_fixed_size 4112
		.amdhsa_private_segment_fixed_size 0
		.amdhsa_kernarg_size 952
		.amdhsa_user_sgpr_count 2
		.amdhsa_user_sgpr_dispatch_ptr 0
		.amdhsa_user_sgpr_queue_ptr 0
		.amdhsa_user_sgpr_kernarg_segment_ptr 1
		.amdhsa_user_sgpr_dispatch_id 0
		.amdhsa_user_sgpr_kernarg_preload_length 0
		.amdhsa_user_sgpr_kernarg_preload_offset 0
		.amdhsa_user_sgpr_private_segment_size 0
		.amdhsa_wavefront_size32 1
		.amdhsa_uses_dynamic_stack 0
		.amdhsa_enable_private_segment 0
		.amdhsa_system_sgpr_workgroup_id_x 1
		.amdhsa_system_sgpr_workgroup_id_y 1
		.amdhsa_system_sgpr_workgroup_id_z 1
		.amdhsa_system_sgpr_workgroup_info 0
		.amdhsa_system_vgpr_workitem_id 0
		.amdhsa_next_free_vgpr 69
		.amdhsa_next_free_sgpr 105
		.amdhsa_named_barrier_count 0
		.amdhsa_reserve_vcc 1
		.amdhsa_float_round_mode_32 0
		.amdhsa_float_round_mode_16_64 0
		.amdhsa_float_denorm_mode_32 3
		.amdhsa_float_denorm_mode_16_64 3
		.amdhsa_fp16_overflow 0
		.amdhsa_memory_ordered 1
		.amdhsa_forward_progress 1
		.amdhsa_inst_pref_size 130
		.amdhsa_round_robin_scheduling 0
		.amdhsa_exception_fp_ieee_invalid_op 0
		.amdhsa_exception_fp_denorm_src 0
		.amdhsa_exception_fp_ieee_div_zero 0
		.amdhsa_exception_fp_ieee_overflow 0
		.amdhsa_exception_fp_ieee_underflow 0
		.amdhsa_exception_fp_ieee_inexact 0
		.amdhsa_exception_int_div_zero 0
	.end_amdhsa_kernel
	.section	.text._ZN2at6native6sbtopk10gatherTopKIijLi3ELb0EEEvNS_4cuda6detail10TensorInfoIKT_T0_EES8_S8_bS8_S8_NS5_IS6_S8_EES8_NS5_IlS8_EES8_PS6_,"axG",@progbits,_ZN2at6native6sbtopk10gatherTopKIijLi3ELb0EEEvNS_4cuda6detail10TensorInfoIKT_T0_EES8_S8_bS8_S8_NS5_IS6_S8_EES8_NS5_IlS8_EES8_PS6_,comdat
.Lfunc_end36:
	.size	_ZN2at6native6sbtopk10gatherTopKIijLi3ELb0EEEvNS_4cuda6detail10TensorInfoIKT_T0_EES8_S8_bS8_S8_NS5_IS6_S8_EES8_NS5_IlS8_EES8_PS6_, .Lfunc_end36-_ZN2at6native6sbtopk10gatherTopKIijLi3ELb0EEEvNS_4cuda6detail10TensorInfoIKT_T0_EES8_S8_bS8_S8_NS5_IS6_S8_EES8_NS5_IlS8_EES8_PS6_
                                        ; -- End function
	.set _ZN2at6native6sbtopk10gatherTopKIijLi3ELb0EEEvNS_4cuda6detail10TensorInfoIKT_T0_EES8_S8_bS8_S8_NS5_IS6_S8_EES8_NS5_IlS8_EES8_PS6_.num_vgpr, 69
	.set _ZN2at6native6sbtopk10gatherTopKIijLi3ELb0EEEvNS_4cuda6detail10TensorInfoIKT_T0_EES8_S8_bS8_S8_NS5_IS6_S8_EES8_NS5_IlS8_EES8_PS6_.num_agpr, 0
	.set _ZN2at6native6sbtopk10gatherTopKIijLi3ELb0EEEvNS_4cuda6detail10TensorInfoIKT_T0_EES8_S8_bS8_S8_NS5_IS6_S8_EES8_NS5_IlS8_EES8_PS6_.numbered_sgpr, 105
	.set _ZN2at6native6sbtopk10gatherTopKIijLi3ELb0EEEvNS_4cuda6detail10TensorInfoIKT_T0_EES8_S8_bS8_S8_NS5_IS6_S8_EES8_NS5_IlS8_EES8_PS6_.num_named_barrier, 0
	.set _ZN2at6native6sbtopk10gatherTopKIijLi3ELb0EEEvNS_4cuda6detail10TensorInfoIKT_T0_EES8_S8_bS8_S8_NS5_IS6_S8_EES8_NS5_IlS8_EES8_PS6_.private_seg_size, 0
	.set _ZN2at6native6sbtopk10gatherTopKIijLi3ELb0EEEvNS_4cuda6detail10TensorInfoIKT_T0_EES8_S8_bS8_S8_NS5_IS6_S8_EES8_NS5_IlS8_EES8_PS6_.uses_vcc, 1
	.set _ZN2at6native6sbtopk10gatherTopKIijLi3ELb0EEEvNS_4cuda6detail10TensorInfoIKT_T0_EES8_S8_bS8_S8_NS5_IS6_S8_EES8_NS5_IlS8_EES8_PS6_.uses_flat_scratch, 0
	.set _ZN2at6native6sbtopk10gatherTopKIijLi3ELb0EEEvNS_4cuda6detail10TensorInfoIKT_T0_EES8_S8_bS8_S8_NS5_IS6_S8_EES8_NS5_IlS8_EES8_PS6_.has_dyn_sized_stack, 0
	.set _ZN2at6native6sbtopk10gatherTopKIijLi3ELb0EEEvNS_4cuda6detail10TensorInfoIKT_T0_EES8_S8_bS8_S8_NS5_IS6_S8_EES8_NS5_IlS8_EES8_PS6_.has_recursion, 0
	.set _ZN2at6native6sbtopk10gatherTopKIijLi3ELb0EEEvNS_4cuda6detail10TensorInfoIKT_T0_EES8_S8_bS8_S8_NS5_IS6_S8_EES8_NS5_IlS8_EES8_PS6_.has_indirect_call, 0
	.section	.AMDGPU.csdata,"",@progbits
; Kernel info:
; codeLenInByte = 16604
; TotalNumSgprs: 107
; NumVgprs: 69
; ScratchSize: 0
; MemoryBound: 0
; FloatMode: 240
; IeeeMode: 1
; LDSByteSize: 4112 bytes/workgroup (compile time only)
; SGPRBlocks: 0
; VGPRBlocks: 4
; NumSGPRsForWavesPerEU: 107
; NumVGPRsForWavesPerEU: 69
; NamedBarCnt: 0
; Occupancy: 12
; WaveLimiterHint : 1
; COMPUTE_PGM_RSRC2:SCRATCH_EN: 0
; COMPUTE_PGM_RSRC2:USER_SGPR: 2
; COMPUTE_PGM_RSRC2:TRAP_HANDLER: 0
; COMPUTE_PGM_RSRC2:TGID_X_EN: 1
; COMPUTE_PGM_RSRC2:TGID_Y_EN: 1
; COMPUTE_PGM_RSRC2:TGID_Z_EN: 1
; COMPUTE_PGM_RSRC2:TIDIG_COMP_CNT: 0
	.section	.text._ZN2at6native6mbtopk23computeBlockDigitCountsIijjLin1EEEvNS_4cuda6detail10TensorInfoIKT_T0_EEjPjjS8_iijT1_PSB_Ps,"axG",@progbits,_ZN2at6native6mbtopk23computeBlockDigitCountsIijjLin1EEEvNS_4cuda6detail10TensorInfoIKT_T0_EEjPjjS8_iijT1_PSB_Ps,comdat
	.protected	_ZN2at6native6mbtopk23computeBlockDigitCountsIijjLin1EEEvNS_4cuda6detail10TensorInfoIKT_T0_EEjPjjS8_iijT1_PSB_Ps ; -- Begin function _ZN2at6native6mbtopk23computeBlockDigitCountsIijjLin1EEEvNS_4cuda6detail10TensorInfoIKT_T0_EEjPjjS8_iijT1_PSB_Ps
	.globl	_ZN2at6native6mbtopk23computeBlockDigitCountsIijjLin1EEEvNS_4cuda6detail10TensorInfoIKT_T0_EEjPjjS8_iijT1_PSB_Ps
	.p2align	8
	.type	_ZN2at6native6mbtopk23computeBlockDigitCountsIijjLin1EEEvNS_4cuda6detail10TensorInfoIKT_T0_EEjPjjS8_iijT1_PSB_Ps,@function
_ZN2at6native6mbtopk23computeBlockDigitCountsIijjLin1EEEvNS_4cuda6detail10TensorInfoIKT_T0_EEjPjjS8_iijT1_PSB_Ps: ; @_ZN2at6native6mbtopk23computeBlockDigitCountsIijjLin1EEEvNS_4cuda6detail10TensorInfoIKT_T0_EEjPjjS8_iijT1_PSB_Ps
; %bb.0:
	s_load_b64 s[2:3], s[0:1], 0xf8
	s_bfe_u32 s4, ttmp6, 0x40010
	s_and_b32 s6, ttmp7, 0xffff
	s_add_co_i32 s7, s4, 1
	s_bfe_u32 s8, ttmp6, 0x40004
	s_mul_i32 s7, s6, s7
	s_load_b64 s[4:5], s[0:1], 0x110
	s_add_co_i32 s7, s8, s7
	s_bfe_u32 s9, ttmp6, 0x4000c
	s_bfe_u32 s11, ttmp6, 0x40014
	s_add_co_i32 s9, s9, 1
	s_and_b32 s10, ttmp6, 15
	s_mul_i32 s9, ttmp9, s9
	s_add_co_i32 s11, s11, 1
	s_add_co_i32 s12, s10, s9
	s_bfe_u32 s10, ttmp6, 0x40008
	s_mov_b32 s15, 0
	s_wait_kmcnt 0x0
	s_cvt_f32_u32 s8, s2
	s_delay_alu instid0(SALU_CYCLE_3) | instskip(SKIP_1) | instid1(SALU_CYCLE_1)
	v_rcp_iflag_f32_e32 v1, s8
	s_lshr_b32 s8, ttmp7, 16
	s_mul_i32 s9, s8, s11
	s_getreg_b32 s11, hwreg(HW_REG_IB_STS2, 6, 4)
	s_add_co_i32 s10, s10, s9
	s_cmp_eq_u32 s11, 0
	v_nop
	v_readfirstlane_b32 s13, v1
	s_cselect_b32 s14, s8, s10
	s_load_b128 s[8:11], s[0:1], 0xe8
	s_mul_i32 s5, s5, s14
	s_cselect_b32 s12, ttmp9, s12
	s_mul_f32 s13, s13, 0x4f7ffffe
	s_cselect_b32 s6, s6, s7
	s_sub_co_i32 s7, 0, s2
	s_add_co_i32 s5, s5, s6
	s_cvt_u32_f32 s13, s13
	s_mul_i32 s16, s5, s4
	s_delay_alu instid0(SALU_CYCLE_1) | instskip(NEXT) | instid1(SALU_CYCLE_1)
	s_add_co_i32 s16, s16, s12
	s_mul_i32 s7, s7, s13
	s_delay_alu instid0(SALU_CYCLE_1) | instskip(NEXT) | instid1(SALU_CYCLE_1)
	s_mul_hi_u32 s4, s13, s7
	s_add_co_i32 s13, s13, s4
	s_delay_alu instid0(SALU_CYCLE_1) | instskip(NEXT) | instid1(SALU_CYCLE_1)
	s_mul_hi_u32 s4, s16, s13
	s_mul_i32 s5, s4, s2
	s_add_co_i32 s6, s4, 1
	s_sub_co_i32 s5, s16, s5
	s_delay_alu instid0(SALU_CYCLE_1)
	s_sub_co_i32 s7, s5, s2
	s_cmp_ge_u32 s5, s2
	s_cselect_b32 s4, s6, s4
	s_cselect_b32 s5, s7, s5
	s_add_co_i32 s6, s4, 1
	s_cmp_ge_u32 s5, s2
	s_cselect_b32 s17, s6, s4
	s_wait_kmcnt 0x0
	s_cmp_ge_u32 s17, s8
	s_cbranch_scc1 .LBB37_30
; %bb.1:
	s_clause 0x1
	s_load_b32 s8, s[0:1], 0xd0
	s_load_b128 s[4:7], s[0:1], 0x100
	s_mov_b32 s18, s17
	s_wait_kmcnt 0x0
	s_cmp_lt_i32 s8, 2
	s_cbranch_scc1 .LBB37_4
; %bb.2:
	s_add_co_i32 s14, s8, -1
	s_add_co_i32 s8, s8, 1
	s_lshl_b64 s[12:13], s[14:15], 2
	s_mov_b32 s18, s17
	s_add_nc_u64 s[12:13], s[0:1], s[12:13]
	s_delay_alu instid0(SALU_CYCLE_1)
	s_add_nc_u64 s[12:13], s[12:13], 8
.LBB37_3:                               ; =>This Inner Loop Header: Depth=1
	s_clause 0x1
	s_load_b32 s14, s[12:13], 0x0
	s_load_b32 s19, s[12:13], 0x64
	s_mov_b32 s22, s18
	s_wait_xcnt 0x0
	s_add_nc_u64 s[12:13], s[12:13], -4
	s_wait_kmcnt 0x0
	s_cvt_f32_u32 s20, s14
	s_sub_co_i32 s21, 0, s14
	s_delay_alu instid0(SALU_CYCLE_2) | instskip(SKIP_1) | instid1(TRANS32_DEP_1)
	v_rcp_iflag_f32_e32 v1, s20
	v_nop
	v_readfirstlane_b32 s20, v1
	s_mul_f32 s20, s20, 0x4f7ffffe
	s_delay_alu instid0(SALU_CYCLE_3) | instskip(NEXT) | instid1(SALU_CYCLE_3)
	s_cvt_u32_f32 s20, s20
	s_mul_i32 s21, s21, s20
	s_delay_alu instid0(SALU_CYCLE_1) | instskip(NEXT) | instid1(SALU_CYCLE_1)
	s_mul_hi_u32 s21, s20, s21
	s_add_co_i32 s20, s20, s21
	s_delay_alu instid0(SALU_CYCLE_1) | instskip(NEXT) | instid1(SALU_CYCLE_1)
	s_mul_hi_u32 s18, s18, s20
	s_mul_i32 s20, s18, s14
	s_add_co_i32 s21, s18, 1
	s_sub_co_i32 s20, s22, s20
	s_delay_alu instid0(SALU_CYCLE_1)
	s_sub_co_i32 s23, s20, s14
	s_cmp_ge_u32 s20, s14
	s_cselect_b32 s18, s21, s18
	s_cselect_b32 s20, s23, s20
	s_add_co_i32 s21, s18, 1
	s_cmp_ge_u32 s20, s14
	s_cselect_b32 s18, s21, s18
	s_add_co_i32 s8, s8, -1
	s_mul_i32 s14, s18, s14
	s_delay_alu instid0(SALU_CYCLE_1) | instskip(NEXT) | instid1(SALU_CYCLE_1)
	s_sub_co_i32 s14, s22, s14
	s_mul_i32 s14, s19, s14
	s_delay_alu instid0(SALU_CYCLE_1)
	s_add_co_i32 s15, s14, s15
	s_cmp_gt_u32 s8, 2
	s_cbranch_scc1 .LBB37_3
.LBB37_4:
	s_load_b32 s8, s[4:5], s17 offset:0x0 scale_offset
	v_cmp_gt_u32_e32 vcc_lo, 0x100, v0
	v_lshlrev_b32_e32 v1, 2, v0
	s_wait_xcnt 0x0
	s_and_saveexec_b32 s4, vcc_lo
; %bb.5:
	v_mov_b32_e32 v2, 0
	ds_store_b32 v1, v2
; %bb.6:
	s_or_b32 exec_lo, exec_lo, s4
	s_load_b32 s14, s[0:1], 0xd8
	s_mul_i32 s17, s17, s2
	s_mov_b32 s13, 0
	s_sub_co_i32 s19, s16, s17
	s_wait_dscnt 0x0
	s_mul_i32 s4, s11, s19
	s_add_co_i32 s19, s19, 1
	s_lshl_b32 s17, s4, 8
	s_barrier_signal -1
	s_barrier_wait -1
	s_wait_kmcnt 0x0
	s_sub_co_i32 s12, s14, s17
	s_delay_alu instid0(SALU_CYCLE_1) | instskip(NEXT) | instid1(SALU_CYCLE_1)
	s_add_nc_u64 s[4:5], s[12:13], 0xff
	s_lshr_b64 s[4:5], s[4:5], 8
	s_cmp_lt_u32 s19, s2
	s_cselect_b32 s2, s11, s4
	s_delay_alu instid0(SALU_CYCLE_1)
	s_cmp_lt_i32 s2, 1
	s_cbranch_scc1 .LBB37_28
; %bb.7:
	s_clause 0x1
	s_load_b32 s11, s[0:1], 0x6c
	s_load_b64 s[4:5], s[0:1], 0x0
	s_wait_xcnt 0x0
	s_and_b32 s1, s10, 0xff
	s_wait_kmcnt 0x0
	s_mul_i32 s0, s11, s18
	s_delay_alu instid0(SALU_CYCLE_1) | instskip(NEXT) | instid1(SALU_CYCLE_1)
	s_add_co_i32 s12, s0, s15
	s_lshl_b64 s[18:19], s[12:13], 2
	s_cmp_lt_u32 s2, 4
	s_add_nc_u64 s[4:5], s[4:5], s[18:19]
	s_cbranch_scc1 .LBB37_22
; %bb.8:
	v_dual_mov_b32 v7, 1 :: v_dual_add_nc_u32 v6, s17, v0
	s_and_b32 s13, s2, 0x7ffffffc
	s_lshl_b32 s10, s9, 10
	s_mov_b32 s11, 0
	s_delay_alu instid0(VALU_DEP_1)
	v_add_nc_u32_e32 v2, 0x300, v6
	v_add_nc_u32_e32 v4, 0x200, v6
	;; [unrolled: 1-line block ×3, first 2 shown]
	v_mul_lo_u32 v6, s9, v6
	s_mov_b32 s12, 0
	v_mul_lo_u32 v3, s9, v2
	v_mul_lo_u32 v4, s9, v4
	;; [unrolled: 1-line block ×3, first 2 shown]
	s_branch .LBB37_10
.LBB37_9:                               ;   in Loop: Header=BB37_10 Depth=1
	s_or_b32 exec_lo, exec_lo, s15
	v_add_nc_u32_e32 v2, 0x400, v2
	s_add_co_i32 s12, s12, 4
	s_add_co_i32 s11, s11, s10
	s_cmp_eq_u32 s13, s12
	s_cbranch_scc1 .LBB37_22
.LBB37_10:                              ; =>This Inner Loop Header: Depth=1
	v_add_nc_u32_e32 v8, 0xfffffd00, v2
	s_mov_b32 s15, exec_lo
	s_delay_alu instid0(VALU_DEP_1)
	v_cmpx_gt_u32_e64 s14, v8
	s_cbranch_execz .LBB37_13
; %bb.11:                               ;   in Loop: Header=BB37_10 Depth=1
	v_add_nc_u32_e32 v8, s11, v6
	global_load_b32 v8, v8, s[4:5] scale_offset
	s_wait_loadcnt 0x0
	s_wait_xcnt 0x0
	v_xor_b32_e32 v8, 0x80000000, v8
	s_delay_alu instid0(VALU_DEP_1) | instskip(NEXT) | instid1(VALU_DEP_1)
	v_bitop3_b32 v9, v8, s3, s8 bitop3:0x48
	v_cmp_eq_u32_e64 s0, 0, v9
	s_and_b32 exec_lo, exec_lo, s0
; %bb.12:                               ;   in Loop: Header=BB37_10 Depth=1
	v_bfe_u32 v8, v8, s1, 8
	s_delay_alu instid0(VALU_DEP_1)
	v_lshlrev_b32_e32 v8, 2, v8
	ds_add_u32 v8, v7
.LBB37_13:                              ;   in Loop: Header=BB37_10 Depth=1
	s_or_b32 exec_lo, exec_lo, s15
	v_add_nc_u32_e32 v8, 0xfffffe00, v2
	s_mov_b32 s15, exec_lo
	s_delay_alu instid0(VALU_DEP_1)
	v_cmpx_gt_u32_e64 s14, v8
	s_cbranch_execz .LBB37_16
; %bb.14:                               ;   in Loop: Header=BB37_10 Depth=1
	v_add_nc_u32_e32 v8, s11, v5
	global_load_b32 v8, v8, s[4:5] scale_offset
	s_wait_loadcnt 0x0
	v_xor_b32_e32 v8, 0x80000000, v8
	s_delay_alu instid0(VALU_DEP_1) | instskip(NEXT) | instid1(VALU_DEP_1)
	v_bitop3_b32 v9, v8, s3, s8 bitop3:0x48
	v_cmp_eq_u32_e64 s0, 0, v9
	s_and_b32 exec_lo, exec_lo, s0
; %bb.15:                               ;   in Loop: Header=BB37_10 Depth=1
	v_bfe_u32 v8, v8, s1, 8
	s_delay_alu instid0(VALU_DEP_1)
	v_lshlrev_b32_e32 v8, 2, v8
	ds_add_u32 v8, v7
.LBB37_16:                              ;   in Loop: Header=BB37_10 Depth=1
	s_or_b32 exec_lo, exec_lo, s15
	v_add_nc_u32_e32 v8, 0xffffff00, v2
	s_mov_b32 s15, exec_lo
	s_delay_alu instid0(VALU_DEP_1)
	v_cmpx_gt_u32_e64 s14, v8
	s_cbranch_execz .LBB37_19
; %bb.17:                               ;   in Loop: Header=BB37_10 Depth=1
	v_add_nc_u32_e32 v8, s11, v4
	global_load_b32 v8, v8, s[4:5] scale_offset
	s_wait_loadcnt 0x0
	v_xor_b32_e32 v8, 0x80000000, v8
	s_delay_alu instid0(VALU_DEP_1) | instskip(NEXT) | instid1(VALU_DEP_1)
	v_bitop3_b32 v9, v8, s3, s8 bitop3:0x48
	v_cmp_eq_u32_e64 s0, 0, v9
	s_and_b32 exec_lo, exec_lo, s0
; %bb.18:                               ;   in Loop: Header=BB37_10 Depth=1
	v_bfe_u32 v8, v8, s1, 8
	s_delay_alu instid0(VALU_DEP_1)
	v_lshlrev_b32_e32 v8, 2, v8
	ds_add_u32 v8, v7
.LBB37_19:                              ;   in Loop: Header=BB37_10 Depth=1
	s_or_b32 exec_lo, exec_lo, s15
	s_delay_alu instid0(SALU_CYCLE_1)
	s_mov_b32 s15, exec_lo
	v_cmpx_gt_u32_e64 s14, v2
	s_cbranch_execz .LBB37_9
; %bb.20:                               ;   in Loop: Header=BB37_10 Depth=1
	v_add_nc_u32_e32 v8, s11, v3
	global_load_b32 v8, v8, s[4:5] scale_offset
	s_wait_loadcnt 0x0
	v_xor_b32_e32 v8, 0x80000000, v8
	s_delay_alu instid0(VALU_DEP_1) | instskip(NEXT) | instid1(VALU_DEP_1)
	v_bitop3_b32 v9, v8, s3, s8 bitop3:0x48
	v_cmp_eq_u32_e64 s0, 0, v9
	s_and_b32 exec_lo, exec_lo, s0
	s_cbranch_execz .LBB37_9
; %bb.21:                               ;   in Loop: Header=BB37_10 Depth=1
	v_bfe_u32 v8, v8, s1, 8
	s_delay_alu instid0(VALU_DEP_1)
	v_lshlrev_b32_e32 v8, 2, v8
	ds_add_u32 v8, v7
	s_branch .LBB37_9
.LBB37_22:
	s_and_b32 s2, s2, 3
	s_delay_alu instid0(SALU_CYCLE_1)
	s_cmp_eq_u32 s2, 0
	s_cbranch_scc1 .LBB37_28
; %bb.23:
	s_lshl_b32 s0, s13, 8
	v_mov_b32_e32 v4, 1
	v_add3_u32 v2, s0, s17, v0
	s_delay_alu instid0(VALU_DEP_1)
	v_mul_lo_u32 v3, s9, v2
	s_lshl_b32 s9, s9, 8
	s_branch .LBB37_25
.LBB37_24:                              ;   in Loop: Header=BB37_25 Depth=1
	s_or_b32 exec_lo, exec_lo, s10
	s_delay_alu instid0(VALU_DEP_2) | instskip(SKIP_2) | instid1(SALU_CYCLE_1)
	v_add_nc_u32_e32 v3, s9, v3
	v_add_nc_u32_e32 v2, 0x100, v2
	s_add_co_i32 s2, s2, -1
	s_cmp_lg_u32 s2, 0
	s_cbranch_scc0 .LBB37_28
.LBB37_25:                              ; =>This Inner Loop Header: Depth=1
	s_mov_b32 s10, exec_lo
	v_cmpx_gt_u32_e64 s14, v2
	s_cbranch_execz .LBB37_24
; %bb.26:                               ;   in Loop: Header=BB37_25 Depth=1
	global_load_b32 v5, v3, s[4:5] scale_offset
	s_wait_loadcnt 0x0
	v_xor_b32_e32 v5, 0x80000000, v5
	s_delay_alu instid0(VALU_DEP_1) | instskip(NEXT) | instid1(VALU_DEP_1)
	v_bitop3_b32 v6, v5, s3, s8 bitop3:0x48
	v_cmp_eq_u32_e64 s0, 0, v6
	s_and_b32 exec_lo, exec_lo, s0
	s_cbranch_execz .LBB37_24
; %bb.27:                               ;   in Loop: Header=BB37_25 Depth=1
	v_bfe_u32 v5, v5, s1, 8
	s_delay_alu instid0(VALU_DEP_1)
	v_lshlrev_b32_e32 v5, 2, v5
	ds_add_u32 v5, v4
	s_branch .LBB37_24
.LBB37_28:
	s_wait_dscnt 0x0
	s_barrier_signal -1
	s_barrier_wait -1
	s_and_saveexec_b32 s0, vcc_lo
	s_cbranch_execz .LBB37_30
; %bb.29:
	ds_load_b32 v1, v1
	v_lshl_or_b32 v0, s16, 8, v0
	s_wait_dscnt 0x0
	global_store_b16 v0, v1, s[6:7] scale_offset
.LBB37_30:
	s_endpgm
	.section	.rodata,"a",@progbits
	.p2align	6, 0x0
	.amdhsa_kernel _ZN2at6native6mbtopk23computeBlockDigitCountsIijjLin1EEEvNS_4cuda6detail10TensorInfoIKT_T0_EEjPjjS8_iijT1_PSB_Ps
		.amdhsa_group_segment_fixed_size 1024
		.amdhsa_private_segment_fixed_size 0
		.amdhsa_kernarg_size 528
		.amdhsa_user_sgpr_count 2
		.amdhsa_user_sgpr_dispatch_ptr 0
		.amdhsa_user_sgpr_queue_ptr 0
		.amdhsa_user_sgpr_kernarg_segment_ptr 1
		.amdhsa_user_sgpr_dispatch_id 0
		.amdhsa_user_sgpr_kernarg_preload_length 0
		.amdhsa_user_sgpr_kernarg_preload_offset 0
		.amdhsa_user_sgpr_private_segment_size 0
		.amdhsa_wavefront_size32 1
		.amdhsa_uses_dynamic_stack 0
		.amdhsa_enable_private_segment 0
		.amdhsa_system_sgpr_workgroup_id_x 1
		.amdhsa_system_sgpr_workgroup_id_y 1
		.amdhsa_system_sgpr_workgroup_id_z 1
		.amdhsa_system_sgpr_workgroup_info 0
		.amdhsa_system_vgpr_workitem_id 0
		.amdhsa_next_free_vgpr 10
		.amdhsa_next_free_sgpr 24
		.amdhsa_named_barrier_count 0
		.amdhsa_reserve_vcc 1
		.amdhsa_float_round_mode_32 0
		.amdhsa_float_round_mode_16_64 0
		.amdhsa_float_denorm_mode_32 3
		.amdhsa_float_denorm_mode_16_64 3
		.amdhsa_fp16_overflow 0
		.amdhsa_memory_ordered 1
		.amdhsa_forward_progress 1
		.amdhsa_inst_pref_size 12
		.amdhsa_round_robin_scheduling 0
		.amdhsa_exception_fp_ieee_invalid_op 0
		.amdhsa_exception_fp_denorm_src 0
		.amdhsa_exception_fp_ieee_div_zero 0
		.amdhsa_exception_fp_ieee_overflow 0
		.amdhsa_exception_fp_ieee_underflow 0
		.amdhsa_exception_fp_ieee_inexact 0
		.amdhsa_exception_int_div_zero 0
	.end_amdhsa_kernel
	.section	.text._ZN2at6native6mbtopk23computeBlockDigitCountsIijjLin1EEEvNS_4cuda6detail10TensorInfoIKT_T0_EEjPjjS8_iijT1_PSB_Ps,"axG",@progbits,_ZN2at6native6mbtopk23computeBlockDigitCountsIijjLin1EEEvNS_4cuda6detail10TensorInfoIKT_T0_EEjPjjS8_iijT1_PSB_Ps,comdat
.Lfunc_end37:
	.size	_ZN2at6native6mbtopk23computeBlockDigitCountsIijjLin1EEEvNS_4cuda6detail10TensorInfoIKT_T0_EEjPjjS8_iijT1_PSB_Ps, .Lfunc_end37-_ZN2at6native6mbtopk23computeBlockDigitCountsIijjLin1EEEvNS_4cuda6detail10TensorInfoIKT_T0_EEjPjjS8_iijT1_PSB_Ps
                                        ; -- End function
	.set _ZN2at6native6mbtopk23computeBlockDigitCountsIijjLin1EEEvNS_4cuda6detail10TensorInfoIKT_T0_EEjPjjS8_iijT1_PSB_Ps.num_vgpr, 10
	.set _ZN2at6native6mbtopk23computeBlockDigitCountsIijjLin1EEEvNS_4cuda6detail10TensorInfoIKT_T0_EEjPjjS8_iijT1_PSB_Ps.num_agpr, 0
	.set _ZN2at6native6mbtopk23computeBlockDigitCountsIijjLin1EEEvNS_4cuda6detail10TensorInfoIKT_T0_EEjPjjS8_iijT1_PSB_Ps.numbered_sgpr, 24
	.set _ZN2at6native6mbtopk23computeBlockDigitCountsIijjLin1EEEvNS_4cuda6detail10TensorInfoIKT_T0_EEjPjjS8_iijT1_PSB_Ps.num_named_barrier, 0
	.set _ZN2at6native6mbtopk23computeBlockDigitCountsIijjLin1EEEvNS_4cuda6detail10TensorInfoIKT_T0_EEjPjjS8_iijT1_PSB_Ps.private_seg_size, 0
	.set _ZN2at6native6mbtopk23computeBlockDigitCountsIijjLin1EEEvNS_4cuda6detail10TensorInfoIKT_T0_EEjPjjS8_iijT1_PSB_Ps.uses_vcc, 1
	.set _ZN2at6native6mbtopk23computeBlockDigitCountsIijjLin1EEEvNS_4cuda6detail10TensorInfoIKT_T0_EEjPjjS8_iijT1_PSB_Ps.uses_flat_scratch, 0
	.set _ZN2at6native6mbtopk23computeBlockDigitCountsIijjLin1EEEvNS_4cuda6detail10TensorInfoIKT_T0_EEjPjjS8_iijT1_PSB_Ps.has_dyn_sized_stack, 0
	.set _ZN2at6native6mbtopk23computeBlockDigitCountsIijjLin1EEEvNS_4cuda6detail10TensorInfoIKT_T0_EEjPjjS8_iijT1_PSB_Ps.has_recursion, 0
	.set _ZN2at6native6mbtopk23computeBlockDigitCountsIijjLin1EEEvNS_4cuda6detail10TensorInfoIKT_T0_EEjPjjS8_iijT1_PSB_Ps.has_indirect_call, 0
	.section	.AMDGPU.csdata,"",@progbits
; Kernel info:
; codeLenInByte = 1508
; TotalNumSgprs: 26
; NumVgprs: 10
; ScratchSize: 0
; MemoryBound: 0
; FloatMode: 240
; IeeeMode: 1
; LDSByteSize: 1024 bytes/workgroup (compile time only)
; SGPRBlocks: 0
; VGPRBlocks: 0
; NumSGPRsForWavesPerEU: 26
; NumVGPRsForWavesPerEU: 10
; NamedBarCnt: 0
; Occupancy: 16
; WaveLimiterHint : 1
; COMPUTE_PGM_RSRC2:SCRATCH_EN: 0
; COMPUTE_PGM_RSRC2:USER_SGPR: 2
; COMPUTE_PGM_RSRC2:TRAP_HANDLER: 0
; COMPUTE_PGM_RSRC2:TGID_X_EN: 1
; COMPUTE_PGM_RSRC2:TGID_Y_EN: 1
; COMPUTE_PGM_RSRC2:TGID_Z_EN: 1
; COMPUTE_PGM_RSRC2:TIDIG_COMP_CNT: 0
	.section	.text._ZN2at6native6mbtopk10gatherTopKIijLin1EEEvNS_4cuda6detail10TensorInfoIKT_T0_EES8_S8_bjS8_NS5_IS6_S8_EES8_NS5_IlS8_EES8_jjPS6_PjSD_j,"axG",@progbits,_ZN2at6native6mbtopk10gatherTopKIijLin1EEEvNS_4cuda6detail10TensorInfoIKT_T0_EES8_S8_bjS8_NS5_IS6_S8_EES8_NS5_IlS8_EES8_jjPS6_PjSD_j,comdat
	.protected	_ZN2at6native6mbtopk10gatherTopKIijLin1EEEvNS_4cuda6detail10TensorInfoIKT_T0_EES8_S8_bjS8_NS5_IS6_S8_EES8_NS5_IlS8_EES8_jjPS6_PjSD_j ; -- Begin function _ZN2at6native6mbtopk10gatherTopKIijLin1EEEvNS_4cuda6detail10TensorInfoIKT_T0_EES8_S8_bjS8_NS5_IS6_S8_EES8_NS5_IlS8_EES8_jjPS6_PjSD_j
	.globl	_ZN2at6native6mbtopk10gatherTopKIijLin1EEEvNS_4cuda6detail10TensorInfoIKT_T0_EES8_S8_bjS8_NS5_IS6_S8_EES8_NS5_IlS8_EES8_jjPS6_PjSD_j
	.p2align	8
	.type	_ZN2at6native6mbtopk10gatherTopKIijLin1EEEvNS_4cuda6detail10TensorInfoIKT_T0_EES8_S8_bjS8_NS5_IS6_S8_EES8_NS5_IlS8_EES8_jjPS6_PjSD_j,@function
_ZN2at6native6mbtopk10gatherTopKIijLin1EEEvNS_4cuda6detail10TensorInfoIKT_T0_EES8_S8_bjS8_NS5_IS6_S8_EES8_NS5_IlS8_EES8_jjPS6_PjSD_j: ; @_ZN2at6native6mbtopk10gatherTopKIijLin1EEEvNS_4cuda6detail10TensorInfoIKT_T0_EES8_S8_bjS8_NS5_IS6_S8_EES8_NS5_IlS8_EES8_jjPS6_PjSD_j
; %bb.0:
	s_bfe_u32 s2, ttmp6, 0x40010
	s_and_b32 s4, ttmp7, 0xffff
	s_add_co_i32 s5, s2, 1
	s_clause 0x1
	s_load_b32 s6, s[0:1], 0x2d0
	s_load_b64 s[2:3], s[0:1], 0x2d8
	s_bfe_u32 s8, ttmp6, 0x4000c
	s_mul_i32 s5, s4, s5
	s_bfe_u32 s7, ttmp6, 0x40004
	s_add_co_i32 s8, s8, 1
	s_bfe_u32 s9, ttmp6, 0x40014
	s_add_co_i32 s7, s7, s5
	s_and_b32 s5, ttmp6, 15
	s_mul_i32 s8, ttmp9, s8
	s_lshr_b32 s10, ttmp7, 16
	s_add_co_i32 s9, s9, 1
	s_add_co_i32 s5, s5, s8
	s_mul_i32 s8, s10, s9
	s_bfe_u32 s9, ttmp6, 0x40008
	s_getreg_b32 s11, hwreg(HW_REG_IB_STS2, 6, 4)
	s_add_co_i32 s9, s9, s8
	s_cmp_eq_u32 s11, 0
	s_mov_b32 s17, 0
	s_cselect_b32 s8, s10, s9
	s_cselect_b32 s4, s4, s7
	s_wait_kmcnt 0x0
	s_mul_i32 s3, s3, s8
	s_cselect_b32 s5, ttmp9, s5
	s_add_co_i32 s3, s3, s4
	s_delay_alu instid0(SALU_CYCLE_1) | instskip(NEXT) | instid1(SALU_CYCLE_1)
	s_mul_i32 s8, s3, s2
	s_add_co_i32 s8, s8, s5
	s_delay_alu instid0(SALU_CYCLE_1)
	s_cmp_ge_u32 s8, s6
	s_cbranch_scc1 .LBB38_49
; %bb.1:
	s_clause 0x1
	s_load_b96 s[12:14], s[0:1], 0x2a8
	s_load_b32 s2, s[0:1], 0xd0
	s_wait_kmcnt 0x0
	s_cvt_f32_u32 s3, s14
	s_sub_co_i32 s4, 0, s14
	s_delay_alu instid0(SALU_CYCLE_2) | instskip(SKIP_1) | instid1(TRANS32_DEP_1)
	v_rcp_iflag_f32_e32 v1, s3
	v_nop
	v_readfirstlane_b32 s3, v1
	s_mul_f32 s3, s3, 0x4f7ffffe
	s_delay_alu instid0(SALU_CYCLE_3) | instskip(NEXT) | instid1(SALU_CYCLE_3)
	s_cvt_u32_f32 s3, s3
	s_mul_i32 s4, s4, s3
	s_delay_alu instid0(SALU_CYCLE_1) | instskip(NEXT) | instid1(SALU_CYCLE_1)
	s_mul_hi_u32 s4, s3, s4
	s_add_co_i32 s3, s3, s4
	s_delay_alu instid0(SALU_CYCLE_1) | instskip(NEXT) | instid1(SALU_CYCLE_1)
	s_mul_hi_u32 s3, s8, s3
	s_mul_i32 s4, s3, s14
	s_add_co_i32 s5, s3, 1
	s_sub_co_i32 s4, s8, s4
	s_delay_alu instid0(SALU_CYCLE_1)
	s_sub_co_i32 s6, s4, s14
	s_cmp_ge_u32 s4, s14
	s_cselect_b32 s3, s5, s3
	s_cselect_b32 s4, s6, s4
	s_add_co_i32 s5, s3, 1
	s_cmp_ge_u32 s4, s14
	s_cselect_b32 s9, s5, s3
	s_cmp_lt_i32 s2, 2
	s_mov_b32 s16, s9
	s_cbranch_scc1 .LBB38_4
; %bb.2:
	s_add_co_i32 s16, s2, -1
	s_delay_alu instid0(SALU_CYCLE_1)
	s_lshl_b64 s[4:5], s[16:17], 2
	s_mov_b32 s16, s9
	s_add_nc_u64 s[6:7], s[0:1], s[4:5]
	s_add_co_i32 s4, s2, 1
	s_add_nc_u64 s[2:3], s[6:7], 8
.LBB38_3:                               ; =>This Inner Loop Header: Depth=1
	s_clause 0x1
	s_load_b32 s5, s[2:3], 0x0
	s_load_b32 s6, s[2:3], 0x64
	s_mov_b32 s11, s16
	s_wait_xcnt 0x0
	s_add_nc_u64 s[2:3], s[2:3], -4
	s_wait_kmcnt 0x0
	s_cvt_f32_u32 s7, s5
	s_sub_co_i32 s10, 0, s5
	s_delay_alu instid0(SALU_CYCLE_2) | instskip(SKIP_1) | instid1(TRANS32_DEP_1)
	v_rcp_iflag_f32_e32 v1, s7
	v_nop
	v_readfirstlane_b32 s7, v1
	s_mul_f32 s7, s7, 0x4f7ffffe
	s_delay_alu instid0(SALU_CYCLE_3) | instskip(NEXT) | instid1(SALU_CYCLE_3)
	s_cvt_u32_f32 s7, s7
	s_mul_i32 s10, s10, s7
	s_delay_alu instid0(SALU_CYCLE_1) | instskip(NEXT) | instid1(SALU_CYCLE_1)
	s_mul_hi_u32 s10, s7, s10
	s_add_co_i32 s7, s7, s10
	s_delay_alu instid0(SALU_CYCLE_1) | instskip(NEXT) | instid1(SALU_CYCLE_1)
	s_mul_hi_u32 s7, s16, s7
	s_mul_i32 s10, s7, s5
	s_add_co_i32 s15, s7, 1
	s_sub_co_i32 s10, s16, s10
	s_delay_alu instid0(SALU_CYCLE_1)
	s_sub_co_i32 s16, s10, s5
	s_cmp_ge_u32 s10, s5
	s_cselect_b32 s7, s15, s7
	s_cselect_b32 s10, s16, s10
	s_add_co_i32 s15, s7, 1
	s_cmp_ge_u32 s10, s5
	s_cselect_b32 s16, s15, s7
	s_add_co_i32 s4, s4, -1
	s_mul_i32 s5, s16, s5
	s_delay_alu instid0(SALU_CYCLE_1) | instskip(NEXT) | instid1(SALU_CYCLE_1)
	s_sub_co_i32 s5, s11, s5
	s_mul_i32 s5, s6, s5
	s_delay_alu instid0(SALU_CYCLE_1)
	s_add_co_i32 s17, s5, s17
	s_cmp_gt_u32 s4, 2
	s_cbranch_scc1 .LBB38_3
.LBB38_4:
	s_load_b32 s4, s[0:1], 0x1c0
	s_add_nc_u64 s[2:3], s[0:1], 0xf0
	s_mov_b32 s19, 0
	s_mov_b32 s18, s9
	s_wait_kmcnt 0x0
	s_cmp_lt_i32 s4, 2
	s_cbranch_scc1 .LBB38_7
; %bb.5:
	s_add_co_i32 s18, s4, -1
	s_delay_alu instid0(SALU_CYCLE_1)
	s_lshl_b64 s[6:7], s[18:19], 2
	s_mov_b32 s18, s9
	s_add_nc_u64 s[10:11], s[2:3], s[6:7]
	s_add_co_i32 s6, s4, 1
	s_add_nc_u64 s[4:5], s[10:11], 8
.LBB38_6:                               ; =>This Inner Loop Header: Depth=1
	s_clause 0x1
	s_load_b32 s7, s[4:5], 0x0
	s_load_b32 s10, s[4:5], 0x64
	s_mov_b32 s20, s18
	s_wait_xcnt 0x0
	s_add_nc_u64 s[4:5], s[4:5], -4
	s_wait_kmcnt 0x0
	s_cvt_f32_u32 s11, s7
	s_sub_co_i32 s15, 0, s7
	s_delay_alu instid0(SALU_CYCLE_2) | instskip(SKIP_1) | instid1(TRANS32_DEP_1)
	v_rcp_iflag_f32_e32 v1, s11
	v_nop
	v_readfirstlane_b32 s11, v1
	s_mul_f32 s11, s11, 0x4f7ffffe
	s_delay_alu instid0(SALU_CYCLE_3) | instskip(NEXT) | instid1(SALU_CYCLE_3)
	s_cvt_u32_f32 s11, s11
	s_mul_i32 s15, s15, s11
	s_delay_alu instid0(SALU_CYCLE_1) | instskip(NEXT) | instid1(SALU_CYCLE_1)
	s_mul_hi_u32 s15, s11, s15
	s_add_co_i32 s11, s11, s15
	s_delay_alu instid0(SALU_CYCLE_1) | instskip(NEXT) | instid1(SALU_CYCLE_1)
	s_mul_hi_u32 s11, s18, s11
	s_mul_i32 s15, s11, s7
	s_delay_alu instid0(SALU_CYCLE_1)
	s_sub_co_i32 s15, s18, s15
	s_add_co_i32 s18, s11, 1
	s_sub_co_i32 s21, s15, s7
	s_cmp_ge_u32 s15, s7
	s_cselect_b32 s11, s18, s11
	s_cselect_b32 s15, s21, s15
	s_add_co_i32 s18, s11, 1
	s_cmp_ge_u32 s15, s7
	s_cselect_b32 s18, s18, s11
	s_add_co_i32 s6, s6, -1
	s_mul_i32 s7, s18, s7
	s_delay_alu instid0(SALU_CYCLE_1) | instskip(NEXT) | instid1(SALU_CYCLE_1)
	s_sub_co_i32 s7, s20, s7
	s_mul_i32 s7, s10, s7
	s_delay_alu instid0(SALU_CYCLE_1)
	s_add_co_i32 s19, s7, s19
	s_cmp_gt_u32 s6, 2
	s_cbranch_scc1 .LBB38_6
.LBB38_7:
	s_clause 0x1
	s_load_b32 s30, s[0:1], 0x6c
	s_load_b32 s4, s[0:1], 0x2a0
	s_mov_b32 s21, 0
	s_mov_b32 s20, s9
	s_wait_kmcnt 0x0
	s_cmp_lt_i32 s4, 2
	s_cbranch_scc1 .LBB38_10
; %bb.8:
	s_add_co_i32 s20, s4, -1
	s_add_nc_u64 s[6:7], s[0:1], 0x1d0
	s_lshl_b64 s[10:11], s[20:21], 2
	s_mov_b32 s20, s9
	s_add_nc_u64 s[10:11], s[6:7], s[10:11]
	s_add_co_i32 s6, s4, 1
	s_add_nc_u64 s[4:5], s[10:11], 8
.LBB38_9:                               ; =>This Inner Loop Header: Depth=1
	s_clause 0x1
	s_load_b32 s7, s[4:5], 0x0
	s_load_b32 s10, s[4:5], 0x64
	s_mov_b32 s22, s20
	s_wait_xcnt 0x0
	s_add_nc_u64 s[4:5], s[4:5], -4
	s_wait_kmcnt 0x0
	s_cvt_f32_u32 s11, s7
	s_sub_co_i32 s15, 0, s7
	s_delay_alu instid0(SALU_CYCLE_2) | instskip(SKIP_1) | instid1(TRANS32_DEP_1)
	v_rcp_iflag_f32_e32 v1, s11
	v_nop
	v_readfirstlane_b32 s11, v1
	s_mul_f32 s11, s11, 0x4f7ffffe
	s_delay_alu instid0(SALU_CYCLE_3) | instskip(NEXT) | instid1(SALU_CYCLE_3)
	s_cvt_u32_f32 s11, s11
	s_mul_i32 s15, s15, s11
	s_delay_alu instid0(SALU_CYCLE_1) | instskip(NEXT) | instid1(SALU_CYCLE_1)
	s_mul_hi_u32 s15, s11, s15
	s_add_co_i32 s11, s11, s15
	s_delay_alu instid0(SALU_CYCLE_1) | instskip(NEXT) | instid1(SALU_CYCLE_1)
	s_mul_hi_u32 s11, s20, s11
	s_mul_i32 s15, s11, s7
	s_delay_alu instid0(SALU_CYCLE_1)
	s_sub_co_i32 s15, s20, s15
	s_add_co_i32 s20, s11, 1
	s_sub_co_i32 s23, s15, s7
	s_cmp_ge_u32 s15, s7
	s_cselect_b32 s11, s20, s11
	s_cselect_b32 s15, s23, s15
	s_add_co_i32 s20, s11, 1
	s_cmp_ge_u32 s15, s7
	s_cselect_b32 s20, s20, s11
	s_add_co_i32 s6, s6, -1
	s_mul_i32 s7, s20, s7
	s_delay_alu instid0(SALU_CYCLE_1) | instskip(NEXT) | instid1(SALU_CYCLE_1)
	s_sub_co_i32 s7, s22, s7
	s_mul_i32 s7, s10, s7
	s_delay_alu instid0(SALU_CYCLE_1)
	s_add_co_i32 s21, s7, s21
	s_cmp_gt_u32 s6, 2
	s_cbranch_scc1 .LBB38_9
.LBB38_10:
	s_clause 0x1
	s_load_b32 s31, s[2:3], 0x6c
	s_load_b128 s[4:7], s[0:1], 0x2b8
	s_wait_xcnt 0x0
	v_cmp_ne_u32_e64 s2, 0, v0
	v_cmp_eq_u32_e64 s3, 0, v0
	s_wait_kmcnt 0x0
	s_load_b32 s15, s[4:5], s9 offset:0x0 scale_offset
	s_wait_xcnt 0x0
	s_mul_i32 s4, s9, s14
	s_mov_b32 s5, 0
	s_sub_co_i32 s33, s8, s4
	s_and_saveexec_b32 s34, s3
	s_cbranch_execz .LBB38_26
; %bb.11:
	s_load_b64 s[24:25], s[0:1], 0x2c8
	s_lshl_b64 s[26:27], s[4:5], 2
	s_cmp_lt_u32 s14, 4
	s_cbranch_scc1 .LBB38_23
; %bb.12:
	s_mov_b64 s[22:23], 0
	s_mov_b32 s4, 0
.LBB38_13:                              ; =>This Inner Loop Header: Depth=1
	s_add_nc_u64 s[28:29], s[6:7], s[26:27]
	s_cmp_ge_u32 s4, s33
	s_load_b128 s[8:11], s[28:29], 0x0
	s_wait_kmcnt 0x0
	s_add_nc_u64 s[28:29], s[24:25], s[26:27]
	s_cbranch_scc0 .LBB38_20
; %bb.14:                               ;   in Loop: Header=BB38_13 Depth=1
	s_add_co_i32 s35, s4, 1
	s_delay_alu instid0(SALU_CYCLE_1)
	s_cmp_ge_u32 s35, s33
	s_cbranch_scc0 .LBB38_21
.LBB38_15:                              ;   in Loop: Header=BB38_13 Depth=1
	s_add_co_i32 s35, s35, 1
	s_delay_alu instid0(SALU_CYCLE_1)
	s_cmp_ge_u32 s35, s33
	s_cbranch_scc0 .LBB38_22
.LBB38_16:                              ;   in Loop: Header=BB38_13 Depth=1
	s_add_co_i32 s35, s35, 1
	s_delay_alu instid0(SALU_CYCLE_1)
	s_cmp_ge_u32 s35, s33
	s_cbranch_scc1 .LBB38_18
.LBB38_17:                              ;   in Loop: Header=BB38_13 Depth=1
	s_load_b32 s28, s[28:29], 0xc
	s_add_co_i32 s23, s11, s23
	s_wait_kmcnt 0x0
	s_add_co_i32 s22, s28, s22
.LBB38_18:                              ;   in Loop: Header=BB38_13 Depth=1
	s_add_co_i32 s5, s8, s5
	s_add_co_i32 s8, s35, 1
	;; [unrolled: 1-line block ×5, first 2 shown]
	s_add_nc_u64 s[6:7], s[6:7], 16
	s_add_co_i32 s5, s5, s11
	s_cmp_ge_u32 s9, s14
	s_add_nc_u64 s[24:25], s[24:25], 16
	s_cbranch_scc1 .LBB38_24
; %bb.19:                               ;   in Loop: Header=BB38_13 Depth=1
	s_mov_b32 s4, s8
	s_branch .LBB38_13
.LBB38_20:                              ;   in Loop: Header=BB38_13 Depth=1
	s_load_b32 s35, s[28:29], 0x0
	s_add_co_i32 s23, s8, s23
	s_wait_kmcnt 0x0
	s_add_co_i32 s22, s35, s22
	s_add_co_i32 s35, s4, 1
	s_delay_alu instid0(SALU_CYCLE_1)
	s_cmp_ge_u32 s35, s33
	s_cbranch_scc1 .LBB38_15
.LBB38_21:                              ;   in Loop: Header=BB38_13 Depth=1
	s_load_b32 s36, s[28:29], 0x4
	s_add_co_i32 s23, s9, s23
	s_wait_kmcnt 0x0
	s_add_co_i32 s22, s36, s22
	s_add_co_i32 s35, s35, 1
	s_delay_alu instid0(SALU_CYCLE_1)
	s_cmp_ge_u32 s35, s33
	s_cbranch_scc1 .LBB38_16
.LBB38_22:                              ;   in Loop: Header=BB38_13 Depth=1
	s_load_b32 s36, s[28:29], 0x8
	s_add_co_i32 s23, s10, s23
	s_wait_kmcnt 0x0
	s_add_co_i32 s22, s36, s22
	s_add_co_i32 s35, s35, 1
	s_delay_alu instid0(SALU_CYCLE_1)
	s_cmp_ge_u32 s35, s33
	s_cbranch_scc0 .LBB38_17
	s_branch .LBB38_18
.LBB38_23:
	s_mov_b64 s[22:23], 0
	s_add_nc_u64 s[6:7], s[6:7], s[26:27]
	s_wait_kmcnt 0x0
	s_add_nc_u64 s[8:9], s[24:25], s[26:27]
	s_mov_b32 s4, 0
	s_delay_alu instid0(SALU_CYCLE_1)
	s_cmp_ge_u32 s4, s14
	s_cbranch_scc0 .LBB38_47
	s_branch .LBB38_25
.LBB38_24:
	s_add_co_i32 s4, s4, 4
	s_add_nc_u64 s[8:9], s[24:25], s[26:27]
	s_add_nc_u64 s[6:7], s[6:7], s[26:27]
	s_cmp_ge_u32 s4, s14
	s_cbranch_scc0 .LBB38_47
.LBB38_25:
	v_dual_mov_b32 v2, s22 :: v_dual_mov_b32 v3, s5
	v_dual_mov_b32 v4, s23 :: v_dual_mov_b32 v1, 0
	ds_store_b96 v1, v[2:4] offset:1056
.LBB38_26:
	s_or_b32 exec_lo, exec_lo, s34
	s_clause 0x4
	s_load_b32 s26, s[0:1], 0x23c
	s_load_b64 s[8:9], s[0:1], 0x0
	s_load_b64 s[22:23], s[0:1], 0xf0
	;; [unrolled: 1-line block ×3, first 2 shown]
	s_load_b96 s[4:6], s[0:1], 0xd8
	s_mul_i32 s7, s13, s33
	s_mov_b32 s25, 0
	s_lshl_b32 s7, s7, 8
	s_add_co_i32 s33, s33, 1
	s_wait_dscnt 0x0
	s_barrier_signal -1
	s_barrier_wait -1
	s_wait_kmcnt 0x0
	s_sub_co_i32 s24, s4, s7
	s_delay_alu instid0(SALU_CYCLE_1) | instskip(NEXT) | instid1(SALU_CYCLE_1)
	s_add_nc_u64 s[28:29], s[24:25], 0xff
	s_lshr_b64 s[28:29], s[28:29], 8
	s_cmp_lt_u32 s33, s14
	s_cselect_b32 s13, s13, s28
	s_delay_alu instid0(SALU_CYCLE_1)
	s_cmp_eq_u32 s13, 0
	s_cbranch_scc1 .LBB38_49
; %bb.27:
	v_dual_mov_b32 v7, 0 :: v_dual_lshrrev_b32 v1, 3, v0
	s_mul_i32 s24, s30, s16
	v_dual_add_nc_u32 v8, -1, v0 :: v_dual_add_nc_u32 v6, s7, v0
	ds_load_b96 v[2:4], v7 offset:1056
	s_clause 0x1
	s_load_b32 s30, s[0:1], 0xe8
	s_load_b32 s16, s[0:1], 0x1c8
	v_dual_lshrrev_b32 v5, 3, v8 :: v_dual_bitop2_b32 v1, 28, v1 bitop3:0x40
	s_mul_i32 s18, s31, s18
	s_mul_i32 s20, s26, s20
	v_and_b32_e32 v9, 0xfc, v0
	s_add_co_i32 s24, s24, s17
	v_and_b32_e32 v10, 0x1ffffffc, v5
	s_mov_b32 s27, s25
	s_mov_b32 s29, s25
	s_add_co_i32 s26, s18, s19
	s_add_co_i32 s28, s20, s21
	s_wait_xcnt 0x0
	s_lshl_b64 s[0:1], s[24:25], 2
	s_xor_b32 s14, s15, 0x80000000
	s_lshl_b64 s[18:19], s[26:27], 2
	s_lshl_b64 s[20:21], s[28:29], 3
	s_bitcmp1_b32 s6, 0
	s_add_nc_u64 s[6:7], s[8:9], s[0:1]
	v_lshl_add_u32 v1, v0, 2, v1
	s_wait_kmcnt 0x0
	v_mul_lo_u32 v5, s30, v6
	s_wait_dscnt 0x0
	v_dual_add_nc_u32 v2, v2, v3 :: v_dual_lshlrev_b32 v11, 5, v0
	v_mbcnt_lo_u32_b32 v3, -1, 0
	v_cmp_gt_u32_e64 s0, 32, v0
	v_lshl_add_u32 v0, v8, 2, v10
	s_add_nc_u64 s[8:9], s[22:23], s[18:19]
	v_add_nc_u32_e32 v8, v9, v11
	v_dual_add_nc_u32 v11, -1, v3 :: v_dual_bitop2_b32 v9, 15, v3 bitop3:0x40
	v_bfe_i32 v10, v3, 4, 1
	s_add_nc_u64 s[10:11], s[10:11], s[20:21]
	s_cselect_b32 s1, -1, 0
	s_lshl_b32 s17, s30, 8
                                        ; implicit-def: $vgpr12
	s_branch .LBB38_30
.LBB38_28:                              ;   in Loop: Header=BB38_30 Depth=1
	s_wait_xcnt 0x0
	s_or_b32 exec_lo, exec_lo, s18
	v_add_nc_u32_e32 v2, v15, v2
.LBB38_29:                              ;   in Loop: Header=BB38_30 Depth=1
	v_dual_add_nc_u32 v4, v14, v4 :: v_dual_add_nc_u32 v5, s17, v5
	v_add_nc_u32_e32 v6, 0x100, v6
	s_add_co_i32 s13, s13, -1
	s_delay_alu instid0(SALU_CYCLE_1)
	s_cmp_lg_u32 s13, 0
	s_cbranch_scc0 .LBB38_49
.LBB38_30:                              ; =>This Inner Loop Header: Depth=1
	v_dual_mov_b32 v15, 0 :: v_dual_mov_b32 v13, 0
	s_mov_b32 s18, exec_lo
	v_cmpx_gt_u32_e64 s4, v6
	s_cbranch_execz .LBB38_32
; %bb.31:                               ;   in Loop: Header=BB38_30 Depth=1
	global_load_b32 v12, v5, s[6:7] scale_offset
	s_wait_loadcnt 0x0
	v_xor_b32_e32 v13, 0x80000000, v12
	s_delay_alu instid0(VALU_DEP_1) | instskip(SKIP_4) | instid1(VALU_DEP_2)
	v_cmp_lt_u32_e32 vcc_lo, s14, v13
	v_cndmask_b32_e64 v14, 0, 1, vcc_lo
	v_cmp_gt_u32_e32 vcc_lo, s14, v13
	v_cndmask_b32_e64 v13, 0, 1, vcc_lo
	v_cmp_eq_u32_e32 vcc_lo, s15, v12
	v_cndmask_b32_e64 v13, v13, v14, s1
	s_delay_alu instid0(VALU_DEP_1)
	v_and_b32_e32 v15, 1, v13
	v_cndmask_b32_e64 v13, 0, 1, vcc_lo
.LBB38_32:                              ;   in Loop: Header=BB38_30 Depth=1
	s_wait_xcnt 0x0
	s_or_b32 exec_lo, exec_lo, s18
	ds_store_b32 v1, v15
	s_wait_dscnt 0x0
	s_barrier_signal -1
	s_barrier_wait -1
	s_and_saveexec_b32 s18, s0
	s_cbranch_execz .LBB38_34
; %bb.33:                               ;   in Loop: Header=BB38_30 Depth=1
	ds_load_2addr_b32 v[16:17], v8 offset1:1
	ds_load_2addr_b32 v[18:19], v8 offset0:2 offset1:3
	ds_load_2addr_b32 v[20:21], v8 offset0:4 offset1:5
	;; [unrolled: 1-line block ×3, first 2 shown]
	v_cmp_ne_u32_e32 vcc_lo, 0, v9
	; wave barrier
	s_wait_dscnt 0x3
	v_add_nc_u32_e32 v14, v17, v16
	s_wait_dscnt 0x2
	s_delay_alu instid0(VALU_DEP_1) | instskip(SKIP_1) | instid1(VALU_DEP_1)
	v_add3_u32 v14, v14, v18, v19
	s_wait_dscnt 0x1
	v_add3_u32 v14, v14, v20, v21
	s_wait_dscnt 0x0
	s_delay_alu instid0(VALU_DEP_1) | instskip(NEXT) | instid1(VALU_DEP_1)
	v_add3_u32 v14, v14, v22, v23
	v_mov_b32_dpp v17, v14 row_shr:1 row_mask:0xf bank_mask:0xf
	s_delay_alu instid0(VALU_DEP_1) | instskip(SKIP_1) | instid1(VALU_DEP_2)
	v_cndmask_b32_e32 v17, 0, v17, vcc_lo
	v_cmp_lt_u32_e32 vcc_lo, 1, v9
	v_add_nc_u32_e32 v14, v17, v14
	s_delay_alu instid0(VALU_DEP_1) | instskip(NEXT) | instid1(VALU_DEP_1)
	v_mov_b32_dpp v17, v14 row_shr:2 row_mask:0xf bank_mask:0xf
	v_cndmask_b32_e32 v17, 0, v17, vcc_lo
	v_cmp_lt_u32_e32 vcc_lo, 3, v9
	s_delay_alu instid0(VALU_DEP_2) | instskip(NEXT) | instid1(VALU_DEP_1)
	v_add_nc_u32_e32 v14, v14, v17
	v_mov_b32_dpp v17, v14 row_shr:4 row_mask:0xf bank_mask:0xf
	s_delay_alu instid0(VALU_DEP_1) | instskip(SKIP_1) | instid1(VALU_DEP_2)
	v_cndmask_b32_e32 v17, 0, v17, vcc_lo
	v_cmp_lt_u32_e32 vcc_lo, 7, v9
	v_add_nc_u32_e32 v14, v14, v17
	s_delay_alu instid0(VALU_DEP_1) | instskip(NEXT) | instid1(VALU_DEP_1)
	v_mov_b32_dpp v17, v14 row_shr:8 row_mask:0xf bank_mask:0xf
	v_cndmask_b32_e32 v17, 0, v17, vcc_lo
	v_cmp_gt_i32_e32 vcc_lo, 0, v11
	s_delay_alu instid0(VALU_DEP_2) | instskip(SKIP_3) | instid1(VALU_DEP_1)
	v_dual_add_nc_u32 v14, v14, v17 :: v_dual_cndmask_b32 v18, v11, v3, vcc_lo
	ds_swizzle_b32 v17, v14 offset:swizzle(BROADCAST,32,15)
	s_wait_dscnt 0x0
	v_dual_lshlrev_b32 v18, 2, v18 :: v_dual_bitop2_b32 v17, v10, v17 bitop3:0x40
	v_add_nc_u32_e32 v14, v14, v17
	ds_bpermute_b32 v14, v18, v14
	s_wait_dscnt 0x0
	v_add_nc_u32_e32 v14, v14, v16
	s_delay_alu instid0(VALU_DEP_1)
	v_cndmask_b32_e64 v14, v14, v15, s3
	ds_store_b32 v8, v14
	; wave barrier
	ds_load_2addr_b32 v[16:17], v8 offset0:1 offset1:2
	ds_load_2addr_b32 v[18:19], v8 offset0:3 offset1:4
	;; [unrolled: 1-line block ×3, first 2 shown]
	ds_load_b32 v22, v8 offset:28
	s_wait_dscnt 0x3
	v_add_nc_u32_e32 v14, v16, v14
	s_delay_alu instid0(VALU_DEP_1) | instskip(SKIP_1) | instid1(VALU_DEP_1)
	v_add_nc_u32_e32 v16, v17, v14
	s_wait_dscnt 0x2
	v_add_nc_u32_e32 v17, v18, v16
	s_delay_alu instid0(VALU_DEP_1) | instskip(SKIP_1) | instid1(VALU_DEP_1)
	v_add_nc_u32_e32 v18, v19, v17
	s_wait_dscnt 0x1
	v_add_nc_u32_e32 v19, v20, v18
	s_delay_alu instid0(VALU_DEP_1) | instskip(SKIP_1) | instid1(VALU_DEP_1)
	v_add_nc_u32_e32 v20, v21, v19
	s_wait_dscnt 0x0
	v_add_nc_u32_e32 v21, v22, v20
	ds_store_2addr_b32 v8, v14, v16 offset0:1 offset1:2
	ds_store_2addr_b32 v8, v17, v18 offset0:3 offset1:4
	;; [unrolled: 1-line block ×3, first 2 shown]
	ds_store_b32 v8, v21 offset:28
.LBB38_34:                              ;   in Loop: Header=BB38_30 Depth=1
	s_or_b32 exec_lo, exec_lo, s18
	v_mov_b32_e32 v16, 0
	s_wait_dscnt 0x0
	s_barrier_signal -1
	s_barrier_wait -1
	s_and_saveexec_b32 s18, s2
; %bb.35:                               ;   in Loop: Header=BB38_30 Depth=1
	ds_load_b32 v16, v0
; %bb.36:                               ;   in Loop: Header=BB38_30 Depth=1
	s_or_b32 exec_lo, exec_lo, s18
	ds_load_b32 v14, v7 offset:1048
	s_mov_b32 s18, exec_lo
	s_wait_dscnt 0x0
	s_barrier_signal -1
	s_barrier_wait -1
	v_cmpx_ne_u32_e32 0, v15
	s_cbranch_execz .LBB38_38
; %bb.37:                               ;   in Loop: Header=BB38_30 Depth=1
	v_add_nc_u32_e32 v15, v16, v4
	s_delay_alu instid0(VALU_DEP_1)
	v_mul_lo_u32 v16, v15, s16
	v_mul_lo_u32 v15, v15, s12
	global_store_b32 v16, v12, s[8:9] scale_offset
	global_store_b64 v15, v[6:7], s[10:11] scale_offset
.LBB38_38:                              ;   in Loop: Header=BB38_30 Depth=1
	s_wait_xcnt 0x0
	s_or_b32 exec_lo, exec_lo, s18
	v_cmp_le_u32_e32 vcc_lo, s5, v2
	s_cbranch_vccnz .LBB38_29
; %bb.39:                               ;   in Loop: Header=BB38_30 Depth=1
	ds_store_b32 v1, v13
	s_wait_storecnt_dscnt 0x0
	s_barrier_signal -1
	s_barrier_wait -1
	s_and_saveexec_b32 s18, s0
	s_cbranch_execz .LBB38_41
; %bb.40:                               ;   in Loop: Header=BB38_30 Depth=1
	ds_load_2addr_b32 v[16:17], v8 offset1:1
	ds_load_2addr_b32 v[18:19], v8 offset0:2 offset1:3
	ds_load_2addr_b32 v[20:21], v8 offset0:4 offset1:5
	;; [unrolled: 1-line block ×3, first 2 shown]
	v_cmp_ne_u32_e32 vcc_lo, 0, v9
	; wave barrier
	s_wait_dscnt 0x3
	v_add_nc_u32_e32 v15, v17, v16
	s_wait_dscnt 0x2
	s_delay_alu instid0(VALU_DEP_1) | instskip(SKIP_1) | instid1(VALU_DEP_1)
	v_add3_u32 v15, v15, v18, v19
	s_wait_dscnt 0x1
	v_add3_u32 v15, v15, v20, v21
	s_wait_dscnt 0x0
	s_delay_alu instid0(VALU_DEP_1) | instskip(NEXT) | instid1(VALU_DEP_1)
	v_add3_u32 v15, v15, v22, v23
	v_mov_b32_dpp v17, v15 row_shr:1 row_mask:0xf bank_mask:0xf
	s_delay_alu instid0(VALU_DEP_1) | instskip(SKIP_1) | instid1(VALU_DEP_2)
	v_cndmask_b32_e32 v17, 0, v17, vcc_lo
	v_cmp_lt_u32_e32 vcc_lo, 1, v9
	v_add_nc_u32_e32 v15, v17, v15
	s_delay_alu instid0(VALU_DEP_1) | instskip(NEXT) | instid1(VALU_DEP_1)
	v_mov_b32_dpp v17, v15 row_shr:2 row_mask:0xf bank_mask:0xf
	v_cndmask_b32_e32 v17, 0, v17, vcc_lo
	v_cmp_lt_u32_e32 vcc_lo, 3, v9
	s_delay_alu instid0(VALU_DEP_2) | instskip(NEXT) | instid1(VALU_DEP_1)
	v_add_nc_u32_e32 v15, v15, v17
	v_mov_b32_dpp v17, v15 row_shr:4 row_mask:0xf bank_mask:0xf
	s_delay_alu instid0(VALU_DEP_1) | instskip(SKIP_1) | instid1(VALU_DEP_2)
	v_cndmask_b32_e32 v17, 0, v17, vcc_lo
	v_cmp_lt_u32_e32 vcc_lo, 7, v9
	v_add_nc_u32_e32 v15, v15, v17
	s_delay_alu instid0(VALU_DEP_1) | instskip(NEXT) | instid1(VALU_DEP_1)
	v_mov_b32_dpp v17, v15 row_shr:8 row_mask:0xf bank_mask:0xf
	v_cndmask_b32_e32 v17, 0, v17, vcc_lo
	v_cmp_gt_i32_e32 vcc_lo, 0, v11
	s_delay_alu instid0(VALU_DEP_2) | instskip(SKIP_4) | instid1(VALU_DEP_1)
	v_add_nc_u32_e32 v15, v15, v17
	v_cndmask_b32_e32 v18, v11, v3, vcc_lo
	ds_swizzle_b32 v17, v15 offset:swizzle(BROADCAST,32,15)
	s_wait_dscnt 0x0
	v_dual_lshlrev_b32 v18, 2, v18 :: v_dual_bitop2_b32 v17, v10, v17 bitop3:0x40
	v_add_nc_u32_e32 v15, v15, v17
	ds_bpermute_b32 v15, v18, v15
	s_wait_dscnt 0x0
	v_add_nc_u32_e32 v15, v15, v16
	s_delay_alu instid0(VALU_DEP_1)
	v_cndmask_b32_e64 v15, v15, v13, s3
	ds_store_b32 v8, v15
	; wave barrier
	ds_load_2addr_b32 v[16:17], v8 offset0:1 offset1:2
	ds_load_2addr_b32 v[18:19], v8 offset0:3 offset1:4
	ds_load_2addr_b32 v[20:21], v8 offset0:5 offset1:6
	ds_load_b32 v22, v8 offset:28
	s_wait_dscnt 0x3
	v_add_nc_u32_e32 v15, v16, v15
	s_delay_alu instid0(VALU_DEP_1) | instskip(SKIP_1) | instid1(VALU_DEP_1)
	v_add_nc_u32_e32 v16, v17, v15
	s_wait_dscnt 0x2
	v_add_nc_u32_e32 v17, v18, v16
	s_delay_alu instid0(VALU_DEP_1) | instskip(SKIP_1) | instid1(VALU_DEP_1)
	v_add_nc_u32_e32 v18, v19, v17
	;; [unrolled: 4-line block ×3, first 2 shown]
	s_wait_dscnt 0x0
	v_add_nc_u32_e32 v21, v22, v20
	ds_store_2addr_b32 v8, v15, v16 offset0:1 offset1:2
	ds_store_2addr_b32 v8, v17, v18 offset0:3 offset1:4
	;; [unrolled: 1-line block ×3, first 2 shown]
	ds_store_b32 v8, v21 offset:28
.LBB38_41:                              ;   in Loop: Header=BB38_30 Depth=1
	s_or_b32 exec_lo, exec_lo, s18
	v_mov_b32_e32 v16, 0
	s_wait_dscnt 0x0
	s_barrier_signal -1
	s_barrier_wait -1
	s_and_saveexec_b32 s18, s2
; %bb.42:                               ;   in Loop: Header=BB38_30 Depth=1
	ds_load_b32 v16, v0
; %bb.43:                               ;   in Loop: Header=BB38_30 Depth=1
	s_or_b32 exec_lo, exec_lo, s18
	ds_load_b32 v15, v7 offset:1048
	s_mov_b32 s18, exec_lo
	s_wait_dscnt 0x0
	s_barrier_signal -1
	s_barrier_wait -1
	v_cmpx_ne_u32_e32 0, v13
	s_cbranch_execz .LBB38_28
; %bb.44:                               ;   in Loop: Header=BB38_30 Depth=1
	v_add_nc_u32_e32 v13, v16, v2
	s_delay_alu instid0(VALU_DEP_1)
	v_cmp_gt_u32_e32 vcc_lo, s5, v13
	s_and_b32 exec_lo, exec_lo, vcc_lo
	s_cbranch_execz .LBB38_28
; %bb.45:                               ;   in Loop: Header=BB38_30 Depth=1
	v_mul_lo_u32 v16, v13, s16
	v_mul_lo_u32 v13, v13, s12
	global_store_b32 v16, v12, s[8:9] scale_offset
	global_store_b64 v13, v[6:7], s[10:11] scale_offset
	s_branch .LBB38_28
.LBB38_46:                              ;   in Loop: Header=BB38_47 Depth=1
	s_add_co_i32 s4, s4, 1
	s_wait_kmcnt 0x0
	s_add_co_i32 s5, s10, s5
	s_add_nc_u64 s[6:7], s[6:7], 4
	s_cmp_lt_u32 s4, s14
	s_add_nc_u64 s[8:9], s[8:9], 4
	s_cbranch_scc0 .LBB38_25
.LBB38_47:                              ; =>This Inner Loop Header: Depth=1
	s_load_b32 s10, s[6:7], 0x0
	s_cmp_ge_u32 s4, s33
	s_cbranch_scc1 .LBB38_46
; %bb.48:                               ;   in Loop: Header=BB38_47 Depth=1
	s_load_b32 s11, s[8:9], 0x0
	s_wait_kmcnt 0x0
	s_add_co_i32 s23, s10, s23
	s_add_co_i32 s22, s11, s22
	s_branch .LBB38_46
.LBB38_49:
	s_endpgm
	.section	.rodata,"a",@progbits
	.p2align	6, 0x0
	.amdhsa_kernel _ZN2at6native6mbtopk10gatherTopKIijLin1EEEvNS_4cuda6detail10TensorInfoIKT_T0_EES8_S8_bjS8_NS5_IS6_S8_EES8_NS5_IlS8_EES8_jjPS6_PjSD_j
		.amdhsa_group_segment_fixed_size 1068
		.amdhsa_private_segment_fixed_size 0
		.amdhsa_kernarg_size 984
		.amdhsa_user_sgpr_count 2
		.amdhsa_user_sgpr_dispatch_ptr 0
		.amdhsa_user_sgpr_queue_ptr 0
		.amdhsa_user_sgpr_kernarg_segment_ptr 1
		.amdhsa_user_sgpr_dispatch_id 0
		.amdhsa_user_sgpr_kernarg_preload_length 0
		.amdhsa_user_sgpr_kernarg_preload_offset 0
		.amdhsa_user_sgpr_private_segment_size 0
		.amdhsa_wavefront_size32 1
		.amdhsa_uses_dynamic_stack 0
		.amdhsa_enable_private_segment 0
		.amdhsa_system_sgpr_workgroup_id_x 1
		.amdhsa_system_sgpr_workgroup_id_y 1
		.amdhsa_system_sgpr_workgroup_id_z 1
		.amdhsa_system_sgpr_workgroup_info 0
		.amdhsa_system_vgpr_workitem_id 0
		.amdhsa_next_free_vgpr 24
		.amdhsa_next_free_sgpr 37
		.amdhsa_named_barrier_count 0
		.amdhsa_reserve_vcc 1
		.amdhsa_float_round_mode_32 0
		.amdhsa_float_round_mode_16_64 0
		.amdhsa_float_denorm_mode_32 3
		.amdhsa_float_denorm_mode_16_64 3
		.amdhsa_fp16_overflow 0
		.amdhsa_memory_ordered 1
		.amdhsa_forward_progress 1
		.amdhsa_inst_pref_size 25
		.amdhsa_round_robin_scheduling 0
		.amdhsa_exception_fp_ieee_invalid_op 0
		.amdhsa_exception_fp_denorm_src 0
		.amdhsa_exception_fp_ieee_div_zero 0
		.amdhsa_exception_fp_ieee_overflow 0
		.amdhsa_exception_fp_ieee_underflow 0
		.amdhsa_exception_fp_ieee_inexact 0
		.amdhsa_exception_int_div_zero 0
	.end_amdhsa_kernel
	.section	.text._ZN2at6native6mbtopk10gatherTopKIijLin1EEEvNS_4cuda6detail10TensorInfoIKT_T0_EES8_S8_bjS8_NS5_IS6_S8_EES8_NS5_IlS8_EES8_jjPS6_PjSD_j,"axG",@progbits,_ZN2at6native6mbtopk10gatherTopKIijLin1EEEvNS_4cuda6detail10TensorInfoIKT_T0_EES8_S8_bjS8_NS5_IS6_S8_EES8_NS5_IlS8_EES8_jjPS6_PjSD_j,comdat
.Lfunc_end38:
	.size	_ZN2at6native6mbtopk10gatherTopKIijLin1EEEvNS_4cuda6detail10TensorInfoIKT_T0_EES8_S8_bjS8_NS5_IS6_S8_EES8_NS5_IlS8_EES8_jjPS6_PjSD_j, .Lfunc_end38-_ZN2at6native6mbtopk10gatherTopKIijLin1EEEvNS_4cuda6detail10TensorInfoIKT_T0_EES8_S8_bjS8_NS5_IS6_S8_EES8_NS5_IlS8_EES8_jjPS6_PjSD_j
                                        ; -- End function
	.set _ZN2at6native6mbtopk10gatherTopKIijLin1EEEvNS_4cuda6detail10TensorInfoIKT_T0_EES8_S8_bjS8_NS5_IS6_S8_EES8_NS5_IlS8_EES8_jjPS6_PjSD_j.num_vgpr, 24
	.set _ZN2at6native6mbtopk10gatherTopKIijLin1EEEvNS_4cuda6detail10TensorInfoIKT_T0_EES8_S8_bjS8_NS5_IS6_S8_EES8_NS5_IlS8_EES8_jjPS6_PjSD_j.num_agpr, 0
	.set _ZN2at6native6mbtopk10gatherTopKIijLin1EEEvNS_4cuda6detail10TensorInfoIKT_T0_EES8_S8_bjS8_NS5_IS6_S8_EES8_NS5_IlS8_EES8_jjPS6_PjSD_j.numbered_sgpr, 37
	.set _ZN2at6native6mbtopk10gatherTopKIijLin1EEEvNS_4cuda6detail10TensorInfoIKT_T0_EES8_S8_bjS8_NS5_IS6_S8_EES8_NS5_IlS8_EES8_jjPS6_PjSD_j.num_named_barrier, 0
	.set _ZN2at6native6mbtopk10gatherTopKIijLin1EEEvNS_4cuda6detail10TensorInfoIKT_T0_EES8_S8_bjS8_NS5_IS6_S8_EES8_NS5_IlS8_EES8_jjPS6_PjSD_j.private_seg_size, 0
	.set _ZN2at6native6mbtopk10gatherTopKIijLin1EEEvNS_4cuda6detail10TensorInfoIKT_T0_EES8_S8_bjS8_NS5_IS6_S8_EES8_NS5_IlS8_EES8_jjPS6_PjSD_j.uses_vcc, 1
	.set _ZN2at6native6mbtopk10gatherTopKIijLin1EEEvNS_4cuda6detail10TensorInfoIKT_T0_EES8_S8_bjS8_NS5_IS6_S8_EES8_NS5_IlS8_EES8_jjPS6_PjSD_j.uses_flat_scratch, 0
	.set _ZN2at6native6mbtopk10gatherTopKIijLin1EEEvNS_4cuda6detail10TensorInfoIKT_T0_EES8_S8_bjS8_NS5_IS6_S8_EES8_NS5_IlS8_EES8_jjPS6_PjSD_j.has_dyn_sized_stack, 0
	.set _ZN2at6native6mbtopk10gatherTopKIijLin1EEEvNS_4cuda6detail10TensorInfoIKT_T0_EES8_S8_bjS8_NS5_IS6_S8_EES8_NS5_IlS8_EES8_jjPS6_PjSD_j.has_recursion, 0
	.set _ZN2at6native6mbtopk10gatherTopKIijLin1EEEvNS_4cuda6detail10TensorInfoIKT_T0_EES8_S8_bjS8_NS5_IS6_S8_EES8_NS5_IlS8_EES8_jjPS6_PjSD_j.has_indirect_call, 0
	.section	.AMDGPU.csdata,"",@progbits
; Kernel info:
; codeLenInByte = 3148
; TotalNumSgprs: 39
; NumVgprs: 24
; ScratchSize: 0
; MemoryBound: 0
; FloatMode: 240
; IeeeMode: 1
; LDSByteSize: 1068 bytes/workgroup (compile time only)
; SGPRBlocks: 0
; VGPRBlocks: 1
; NumSGPRsForWavesPerEU: 39
; NumVGPRsForWavesPerEU: 24
; NamedBarCnt: 0
; Occupancy: 16
; WaveLimiterHint : 1
; COMPUTE_PGM_RSRC2:SCRATCH_EN: 0
; COMPUTE_PGM_RSRC2:USER_SGPR: 2
; COMPUTE_PGM_RSRC2:TRAP_HANDLER: 0
; COMPUTE_PGM_RSRC2:TGID_X_EN: 1
; COMPUTE_PGM_RSRC2:TGID_Y_EN: 1
; COMPUTE_PGM_RSRC2:TGID_Z_EN: 1
; COMPUTE_PGM_RSRC2:TIDIG_COMP_CNT: 0
	.section	.text._ZN2at6native6sbtopk10gatherTopKIijLin1ELb0EEEvNS_4cuda6detail10TensorInfoIKT_T0_EES8_S8_bS8_S8_NS5_IS6_S8_EES8_NS5_IlS8_EES8_PS6_,"axG",@progbits,_ZN2at6native6sbtopk10gatherTopKIijLin1ELb0EEEvNS_4cuda6detail10TensorInfoIKT_T0_EES8_S8_bS8_S8_NS5_IS6_S8_EES8_NS5_IlS8_EES8_PS6_,comdat
	.protected	_ZN2at6native6sbtopk10gatherTopKIijLin1ELb0EEEvNS_4cuda6detail10TensorInfoIKT_T0_EES8_S8_bS8_S8_NS5_IS6_S8_EES8_NS5_IlS8_EES8_PS6_ ; -- Begin function _ZN2at6native6sbtopk10gatherTopKIijLin1ELb0EEEvNS_4cuda6detail10TensorInfoIKT_T0_EES8_S8_bS8_S8_NS5_IS6_S8_EES8_NS5_IlS8_EES8_PS6_
	.globl	_ZN2at6native6sbtopk10gatherTopKIijLin1ELb0EEEvNS_4cuda6detail10TensorInfoIKT_T0_EES8_S8_bS8_S8_NS5_IS6_S8_EES8_NS5_IlS8_EES8_PS6_
	.p2align	8
	.type	_ZN2at6native6sbtopk10gatherTopKIijLin1ELb0EEEvNS_4cuda6detail10TensorInfoIKT_T0_EES8_S8_bS8_S8_NS5_IS6_S8_EES8_NS5_IlS8_EES8_PS6_,@function
_ZN2at6native6sbtopk10gatherTopKIijLin1ELb0EEEvNS_4cuda6detail10TensorInfoIKT_T0_EES8_S8_bS8_S8_NS5_IS6_S8_EES8_NS5_IlS8_EES8_PS6_: ; @_ZN2at6native6sbtopk10gatherTopKIijLin1ELb0EEEvNS_4cuda6detail10TensorInfoIKT_T0_EES8_S8_bS8_S8_NS5_IS6_S8_EES8_NS5_IlS8_EES8_PS6_
; %bb.0:
	s_clause 0x1
	s_load_b128 s[36:39], s[0:1], 0xd8
	s_load_b64 s[8:9], s[0:1], 0x2b8
	s_bfe_u32 s2, ttmp6, 0x40010
	s_and_b32 s3, ttmp7, 0xffff
	s_add_co_i32 s2, s2, 1
	s_bfe_u32 s5, ttmp6, 0x4000c
	s_mul_i32 s2, s3, s2
	s_bfe_u32 s4, ttmp6, 0x40004
	s_add_co_i32 s5, s5, 1
	s_bfe_u32 s6, ttmp6, 0x40014
	s_add_co_i32 s4, s4, s2
	s_and_b32 s2, ttmp6, 15
	s_mul_i32 s5, ttmp9, s5
	s_lshr_b32 s7, ttmp7, 16
	s_add_co_i32 s6, s6, 1
	s_add_co_i32 s2, s2, s5
	s_mul_i32 s5, s7, s6
	s_bfe_u32 s6, ttmp6, 0x40008
	s_getreg_b32 s10, hwreg(HW_REG_IB_STS2, 6, 4)
	s_add_co_i32 s6, s6, s5
	s_cmp_eq_u32 s10, 0
	s_cselect_b32 s5, s7, s6
	s_cselect_b32 s3, s3, s4
	s_wait_kmcnt 0x0
	s_mul_i32 s5, s9, s5
	s_cselect_b32 s9, ttmp9, s2
	s_add_co_i32 s2, s5, s3
	s_mov_b32 s3, 0
	s_mul_i32 s2, s2, s8
	s_delay_alu instid0(SALU_CYCLE_1) | instskip(NEXT) | instid1(SALU_CYCLE_1)
	s_add_co_i32 s55, s2, s9
	s_cmp_ge_u32 s55, s39
	s_cbranch_scc1 .LBB39_424
; %bb.1:
	s_clause 0x1
	s_load_b32 s4, s[0:1], 0xd0
	s_load_b32 s54, s[0:1], 0xe8
	s_mov_b32 s2, s55
	s_wait_kmcnt 0x0
	s_cmp_lt_i32 s4, 2
	s_cbranch_scc1 .LBB39_4
; %bb.2:
	s_add_co_i32 s2, s4, -1
	s_delay_alu instid0(SALU_CYCLE_1)
	s_lshl_b64 s[6:7], s[2:3], 2
	s_mov_b32 s2, s55
	s_add_nc_u64 s[10:11], s[0:1], s[6:7]
	s_add_co_i32 s6, s4, 1
	s_add_nc_u64 s[4:5], s[10:11], 8
.LBB39_3:                               ; =>This Inner Loop Header: Depth=1
	s_clause 0x1
	s_load_b32 s7, s[4:5], 0x0
	s_load_b32 s10, s[4:5], 0x64
	s_mov_b32 s13, s2
	s_wait_xcnt 0x0
	s_add_nc_u64 s[4:5], s[4:5], -4
	s_wait_kmcnt 0x0
	s_cvt_f32_u32 s11, s7
	s_sub_co_i32 s12, 0, s7
	s_delay_alu instid0(SALU_CYCLE_2) | instskip(SKIP_1) | instid1(TRANS32_DEP_1)
	v_rcp_iflag_f32_e32 v1, s11
	v_nop
	v_readfirstlane_b32 s11, v1
	s_mul_f32 s11, s11, 0x4f7ffffe
	s_delay_alu instid0(SALU_CYCLE_3) | instskip(NEXT) | instid1(SALU_CYCLE_3)
	s_cvt_u32_f32 s11, s11
	s_mul_i32 s12, s12, s11
	s_delay_alu instid0(SALU_CYCLE_1) | instskip(NEXT) | instid1(SALU_CYCLE_1)
	s_mul_hi_u32 s12, s11, s12
	s_add_co_i32 s11, s11, s12
	s_delay_alu instid0(SALU_CYCLE_1) | instskip(NEXT) | instid1(SALU_CYCLE_1)
	s_mul_hi_u32 s2, s2, s11
	s_mul_i32 s11, s2, s7
	s_add_co_i32 s12, s2, 1
	s_sub_co_i32 s11, s13, s11
	s_delay_alu instid0(SALU_CYCLE_1)
	s_sub_co_i32 s14, s11, s7
	s_cmp_ge_u32 s11, s7
	s_cselect_b32 s2, s12, s2
	s_cselect_b32 s11, s14, s11
	s_add_co_i32 s12, s2, 1
	s_cmp_ge_u32 s11, s7
	s_cselect_b32 s2, s12, s2
	s_add_co_i32 s6, s6, -1
	s_mul_i32 s7, s2, s7
	s_delay_alu instid0(SALU_CYCLE_1) | instskip(NEXT) | instid1(SALU_CYCLE_1)
	s_sub_co_i32 s7, s13, s7
	s_mul_i32 s7, s10, s7
	s_delay_alu instid0(SALU_CYCLE_1)
	s_add_co_i32 s3, s7, s3
	s_cmp_gt_u32 s6, 2
	s_cbranch_scc1 .LBB39_3
.LBB39_4:
	s_load_b32 s6, s[0:1], 0x1c0
	s_add_nc_u64 s[14:15], s[0:1], 0x2b8
	s_add_nc_u64 s[4:5], s[0:1], 0xf0
	s_mov_b32 s35, 0
	s_mov_b32 s57, s55
	s_wait_kmcnt 0x0
	s_cmp_lt_i32 s6, 2
	s_cbranch_scc1 .LBB39_7
; %bb.5:
	s_add_co_i32 s34, s6, -1
	s_mov_b32 s57, s55
	s_lshl_b64 s[10:11], s[34:35], 2
	s_delay_alu instid0(SALU_CYCLE_1)
	s_add_nc_u64 s[12:13], s[4:5], s[10:11]
	s_add_co_i32 s10, s6, 1
	s_add_nc_u64 s[6:7], s[12:13], 8
.LBB39_6:                               ; =>This Inner Loop Header: Depth=1
	s_clause 0x1
	s_load_b32 s11, s[6:7], 0x0
	s_load_b32 s12, s[6:7], 0x64
	s_mov_b32 s17, s57
	s_wait_xcnt 0x0
	s_add_nc_u64 s[6:7], s[6:7], -4
	s_wait_kmcnt 0x0
	s_cvt_f32_u32 s13, s11
	s_sub_co_i32 s16, 0, s11
	s_delay_alu instid0(SALU_CYCLE_2) | instskip(SKIP_1) | instid1(TRANS32_DEP_1)
	v_rcp_iflag_f32_e32 v1, s13
	v_nop
	v_readfirstlane_b32 s13, v1
	s_mul_f32 s13, s13, 0x4f7ffffe
	s_delay_alu instid0(SALU_CYCLE_3) | instskip(NEXT) | instid1(SALU_CYCLE_3)
	s_cvt_u32_f32 s13, s13
	s_mul_i32 s16, s16, s13
	s_delay_alu instid0(SALU_CYCLE_1) | instskip(NEXT) | instid1(SALU_CYCLE_1)
	s_mul_hi_u32 s16, s13, s16
	s_add_co_i32 s13, s13, s16
	s_delay_alu instid0(SALU_CYCLE_1) | instskip(NEXT) | instid1(SALU_CYCLE_1)
	s_mul_hi_u32 s13, s57, s13
	s_mul_i32 s16, s13, s11
	s_add_co_i32 s18, s13, 1
	s_sub_co_i32 s16, s57, s16
	s_delay_alu instid0(SALU_CYCLE_1)
	s_sub_co_i32 s19, s16, s11
	s_cmp_ge_u32 s16, s11
	s_cselect_b32 s13, s18, s13
	s_cselect_b32 s16, s19, s16
	s_add_co_i32 s18, s13, 1
	s_cmp_ge_u32 s16, s11
	s_cselect_b32 s57, s18, s13
	s_add_co_i32 s10, s10, -1
	s_mul_i32 s11, s57, s11
	s_delay_alu instid0(SALU_CYCLE_1) | instskip(NEXT) | instid1(SALU_CYCLE_1)
	s_sub_co_i32 s11, s17, s11
	s_mul_i32 s11, s12, s11
	s_delay_alu instid0(SALU_CYCLE_1)
	s_add_co_i32 s35, s11, s35
	s_cmp_gt_u32 s10, 2
	s_cbranch_scc1 .LBB39_6
.LBB39_7:
	s_clause 0x1
	s_load_b32 s10, s[0:1], 0x6c
	s_load_b32 s6, s[0:1], 0x2a0
	s_mov_b32 s41, 0
	s_wait_kmcnt 0x0
	s_cmp_lt_i32 s6, 2
	s_cbranch_scc1 .LBB39_10
; %bb.8:
	s_add_co_i32 s40, s6, -1
	s_add_nc_u64 s[12:13], s[0:1], 0x1d0
	s_lshl_b64 s[16:17], s[40:41], 2
	s_add_co_i32 s11, s6, 1
	s_add_nc_u64 s[12:13], s[12:13], s[16:17]
	s_delay_alu instid0(SALU_CYCLE_1)
	s_add_nc_u64 s[6:7], s[12:13], 8
.LBB39_9:                               ; =>This Inner Loop Header: Depth=1
	s_clause 0x1
	s_load_b32 s12, s[6:7], 0x0
	s_load_b32 s13, s[6:7], 0x64
	s_mov_b32 s18, s55
	s_wait_xcnt 0x0
	s_add_nc_u64 s[6:7], s[6:7], -4
	s_wait_kmcnt 0x0
	s_cvt_f32_u32 s16, s12
	s_sub_co_i32 s17, 0, s12
	s_delay_alu instid0(SALU_CYCLE_2) | instskip(SKIP_1) | instid1(TRANS32_DEP_1)
	v_rcp_iflag_f32_e32 v1, s16
	v_nop
	v_readfirstlane_b32 s16, v1
	s_mul_f32 s16, s16, 0x4f7ffffe
	s_delay_alu instid0(SALU_CYCLE_3) | instskip(NEXT) | instid1(SALU_CYCLE_3)
	s_cvt_u32_f32 s16, s16
	s_mul_i32 s17, s17, s16
	s_delay_alu instid0(SALU_CYCLE_1) | instskip(NEXT) | instid1(SALU_CYCLE_1)
	s_mul_hi_u32 s17, s16, s17
	s_add_co_i32 s16, s16, s17
	s_delay_alu instid0(SALU_CYCLE_1) | instskip(NEXT) | instid1(SALU_CYCLE_1)
	s_mul_hi_u32 s16, s55, s16
	s_mul_i32 s17, s16, s12
	s_add_co_i32 s19, s16, 1
	s_sub_co_i32 s17, s55, s17
	s_delay_alu instid0(SALU_CYCLE_1)
	s_sub_co_i32 s20, s17, s12
	s_cmp_ge_u32 s17, s12
	s_cselect_b32 s16, s19, s16
	s_cselect_b32 s17, s20, s17
	s_add_co_i32 s19, s16, 1
	s_cmp_ge_u32 s17, s12
	s_cselect_b32 s55, s19, s16
	s_add_co_i32 s11, s11, -1
	s_mul_i32 s12, s55, s12
	s_delay_alu instid0(SALU_CYCLE_1) | instskip(NEXT) | instid1(SALU_CYCLE_1)
	s_sub_co_i32 s12, s18, s12
	s_mul_i32 s12, s13, s12
	s_delay_alu instid0(SALU_CYCLE_1)
	s_add_co_i32 s41, s12, s41
	s_cmp_gt_u32 s11, 2
	s_cbranch_scc1 .LBB39_9
.LBB39_10:
	s_clause 0x1
	s_load_b32 s58, s[4:5], 0x6c
	s_load_b64 s[6:7], s[0:1], 0x0
	s_wait_xcnt 0x0
	v_cmp_eq_u32_e64 s5, 0, v0
	s_mov_b32 s47, 0
	s_and_saveexec_b32 s4, s5
; %bb.11:
	v_dual_mov_b32 v2, 0 :: v_dual_mov_b32 v3, s36
	s_delay_alu instid0(VALU_DEP_1)
	v_mov_b32_e32 v4, v2
	ds_store_b96 v2, v[2:4] offset:4096
; %bb.12:
	s_or_b32 exec_lo, exec_lo, s4
	s_wait_dscnt 0x0
	s_barrier_signal -1
	s_barrier_wait -1
	s_load_b32 s12, s[14:15], 0xc
	s_clause 0x2
	s_load_b32 s59, s[0:1], 0x23c
	s_load_b64 s[44:45], s[0:1], 0xf0
	s_load_b64 s[42:43], s[0:1], 0x1d0
	v_mbcnt_lo_u32_b32 v7, -1, 0
	s_mul_i32 s2, s10, s2
	v_cmp_gt_u32_e32 vcc_lo, 32, v0
	s_add_co_i32 s46, s2, s3
	v_dual_lshlrev_b32 v1, 2, v0 :: v_dual_mov_b32 v13, 0
	s_lshl_b64 s[10:11], s[46:47], 2
	v_cmp_gt_i32_e64 s3, 4, v7
	s_bitcmp1_b32 s38, 0
	s_wait_kmcnt 0x0
	s_add_nc_u64 s[38:39], s[6:7], s[10:11]
	s_cselect_b32 s4, -1, 0
	v_lshlrev_b64_e64 v[2:3], v7, -1
	s_xor_b32 s60, s4, -1
	s_and_b32 s62, vcc_lo, s3
	v_add_max_u32_e64 v4, v0, 2, s36
	v_mov_b32_e32 v11, v13
	s_and_b32 s40, s12, 0xffff
	s_movk_i32 s10, 0x1f0
	s_lshl_b32 s61, s40, 2
	s_cmp_gt_u32 s36, 0x300
	v_not_b32_e32 v6, v2
	s_cselect_b32 s63, -1, 0
	s_cmp_gt_u32 s40, 31
	v_lshrrev_b32_e32 v2, 1, v0
	s_cselect_b32 s64, -1, 0
	s_add_co_i32 s65, s40, -1
	v_mul_lo_u32 v10, s54, v0
	s_add_co_i32 s13, s65, s36
	s_cmp_lt_u32 s9, s8
	s_cvt_f32_u32 s8, s61
	s_cselect_b32 s46, 12, 18
	s_bfe_u32 s66, s12, 0xb0005
	v_and_or_b32 v20, v2, s10, 0xc00
	s_add_co_i32 s7, s66, -2
	v_rcp_iflag_f32_e32 v3, s8
	s_lshr_b32 s9, s7, 1
	v_mad_u32 v26, s54, v1, s54
	s_add_co_i32 s9, s9, 1
	s_cmp_gt_u32 s40, 63
	v_cmp_eq_u32_e64 s2, 0, v7
	s_cselect_b32 s67, -1, 0
	s_and_b32 s68, s66, 0x7fe
	s_and_b32 s69, s9, 7
	s_cmp_gt_u32 s7, 13
	v_readfirstlane_b32 s7, v3
	s_cselect_b32 s70, -1, 0
	s_and_b32 s71, s9, -8
	s_cmp_lg_u32 s69, 0
	s_cvt_f32_u32 s9, s40
	s_mul_f32 s7, s7, 0x4f7ffffe
	s_cselect_b32 s72, -1, 0
	s_cmp_lg_u32 s68, s66
	v_rcp_iflag_f32_e32 v5, s9
	s_cvt_u32_f32 s7, s7
	s_cselect_b32 s73, -1, 0
	s_sub_co_i32 s8, 0, s61
	v_xad_u32 v3, v0, -1, v4
	s_mul_i32 s8, s8, s7
	v_cmp_gt_u32_e64 s3, s36, v0
	s_mul_hi_u32 s8, s7, s8
	v_readfirstlane_b32 s9, v5
	s_add_co_i32 s48, s7, s8
	v_dual_add_nc_u32 v4, -2, v3 :: v_dual_bitop2_b32 v21, -2, v3 bitop3:0x40
	s_mul_hi_u32 s7, s36, s48
	s_mul_f32 s9, s9, 0x4f7ffffe
	s_mul_i32 s8, s7, s61
	s_delay_alu instid0(VALU_DEP_1)
	v_lshrrev_b32_e32 v2, 1, v4
	s_sub_co_i32 s8, s36, s8
	s_cvt_u32_f32 s9, s9
	s_sub_co_i32 s10, s8, s61
	s_cmp_ge_u32 s8, s61
	v_cmp_lt_u32_e64 s7, 31, v3
	s_cselect_b32 s8, s10, s8
	v_mov_b32_e32 v17, 0
	s_sub_co_i32 s10, s8, s61
	s_cmp_ge_u32 s8, s61
	v_lshl_add_u64 v[8:9], v[10:11], 2, s[38:39]
	s_cselect_b32 s16, s10, s8
	s_sub_co_i32 s10, 0, s40
	s_sub_co_i32 s75, s36, s16
	s_mul_i32 s10, s10, s9
	v_dual_add_nc_u32 v2, 1, v2 :: v_dual_add_nc_u32 v22, s75, v0
	s_mul_hi_u32 s10, s9, s10
	v_cmp_lt_u32_e64 s8, 13, v4
	s_add_co_i32 s50, s9, s10
	v_dual_lshlrev_b32 v31, 4, v0 :: v_dual_bitop2_b32 v5, 7, v2 bitop3:0x40
	s_mul_hi_u32 s10, s13, s50
	v_dual_mov_b32 v18, 1 :: v_dual_bitop2_b32 v23, -8, v2 bitop3:0x40
	s_mul_i32 s10, s10, s40
	v_add3_u32 v2, s40, s36, v0
	s_sub_co_i32 s11, s13, s10
	v_mul_lo_u32 v12, v22, s54
	s_sub_co_i32 s12, s11, s40
	v_cmp_ne_u32_e64 s10, v3, v21
	s_cmp_ge_u32 s11, s40
	v_dual_lshlrev_b32 v29, 2, v10 :: v_dual_bitop2_b32 v3, 2, v1 bitop3:0x54
	v_or_b32_e32 v4, 3, v1
	v_subrev_nc_u32_e32 v2, s16, v2
	s_cselect_b32 s17, s12, s11
	s_delay_alu instid0(VALU_DEP_3)
	v_mul_lo_u32 v27, s54, v3
	s_sub_co_i32 s18, s17, s40
	s_cmp_ge_u32 s17, s40
	v_mul_lo_u32 v28, s54, v4
	v_mul_lo_u32 v30, s54, v2
	s_cselect_b32 s17, s18, s17
	v_cmp_gt_u32_e64 s6, 2, v0
	s_sub_co_i32 s76, s13, s17
	v_dual_mov_b32 v34, s37 :: v_dual_add_nc_u32 v11, 0xc00, v1
	v_cmp_ne_u32_e64 s9, 0, v5
	v_cmp_gt_u32_e64 s11, s75, v1
	v_cmp_gt_u32_e64 s12, s36, v22
	v_lshl_add_u64 v[14:15], v[12:13], 2, s[38:39]
	v_cmp_gt_u32_e64 s13, s76, v0
	v_lshlrev_b32_e32 v24, 3, v5
	v_lshl_or_b32 v32, v7, 2, 0xc00
	v_dual_mov_b32 v25, 0 :: v_dual_mov_b32 v33, 0
	s_mul_i32 s56, s54, s40
	s_mov_b32 s74, s54
	s_mov_b32 s49, s47
	;; [unrolled: 1-line block ×3, first 2 shown]
	s_lshl_b32 s77, s56, 2
	s_lshl_b32 s78, s40, 4
	s_mov_b32 s79, 30
	s_add_nc_u64 s[52:53], s[14:15], s[46:47]
	s_mov_b32 s80, 0
	s_mov_b32 s82, 0
                                        ; implicit-def: $sgpr81
                                        ; implicit-def: $sgpr85
                                        ; implicit-def: $sgpr84
                                        ; implicit-def: $sgpr86
                                        ; implicit-def: $sgpr83
                                        ; implicit-def: $sgpr90
                                        ; implicit-def: $sgpr91
                                        ; implicit-def: $sgpr87
                                        ; implicit-def: $sgpr89
                                        ; implicit-def: $sgpr88
	s_branch .LBB39_15
.LBB39_13:                              ;   in Loop: Header=BB39_15 Depth=1
	s_or_b32 exec_lo, exec_lo, s17
	v_mov_b32_e32 v34, v35
	s_and_not1_b32 s17, s88, exec_lo
	s_and_b32 s16, s16, exec_lo
	s_and_not1_b32 s89, s89, exec_lo
	s_or_b32 s88, s17, s16
	s_and_not1_b32 s87, s87, exec_lo
	s_and_not1_b32 s91, s91, exec_lo
	;; [unrolled: 1-line block ×3, first 2 shown]
	s_or_not1_b32 s17, s15, exec_lo
.LBB39_14:                              ;   in Loop: Header=BB39_15 Depth=1
	s_or_b32 exec_lo, exec_lo, s14
	s_delay_alu instid0(SALU_CYCLE_1) | instskip(NEXT) | instid1(SALU_CYCLE_1)
	s_and_b32 s14, exec_lo, s17
	s_or_b32 s80, s14, s80
	s_and_not1_b32 s14, s83, exec_lo
	s_and_b32 s15, s88, exec_lo
	s_and_not1_b32 s16, s86, exec_lo
	s_or_b32 s83, s14, s15
	s_and_b32 s14, s89, exec_lo
	s_and_not1_b32 s15, s84, exec_lo
	s_and_b32 s17, s87, exec_lo
	s_or_b32 s86, s16, s14
	s_or_b32 s84, s15, s17
	s_and_not1_b32 s14, s85, exec_lo
	s_and_b32 s15, s91, exec_lo
	s_and_not1_b32 s16, s81, exec_lo
	s_and_b32 s17, s90, exec_lo
	s_or_b32 s85, s14, s15
	s_or_b32 s81, s16, s17
	s_and_not1_b32 exec_lo, exec_lo, s80
	s_cbranch_execz .LBB39_420
.LBB39_15:                              ; =>This Loop Header: Depth=1
                                        ;     Child Loop BB39_21 Depth 2
                                        ;     Child Loop BB39_42 Depth 2
	;; [unrolled: 1-line block ×27, first 2 shown]
	ds_load_b64 v[2:3], v13 offset:4096
	s_wait_dscnt 0x0
	v_readfirstlane_b32 s46, v2
	s_cmp_lg_u32 s46, 0
	s_cbranch_scc1 .LBB39_61
; %bb.16:                               ;   in Loop: Header=BB39_15 Depth=1
	s_and_b32 vcc_lo, exec_lo, s63
	s_cbranch_vccz .LBB39_29
; %bb.17:                               ;   in Loop: Header=BB39_15 Depth=1
	v_cmp_gt_u32_e32 vcc_lo, 0x301, v3
	s_mov_b32 s16, 0
	s_mov_b32 s14, 0
	s_cbranch_vccz .LBB39_30
; %bb.18:                               ;   in Loop: Header=BB39_15 Depth=1
	s_and_saveexec_b32 s17, s3
	s_cbranch_execz .LBB39_36
; %bb.19:                               ;   in Loop: Header=BB39_15 Depth=1
	global_load_b32 v3, v[8:9], off
	s_load_u16 s18, s[52:53], 0x0
	s_mov_b32 s20, 0
	s_wait_kmcnt 0x0
	v_dual_mov_b32 v4, v0 :: v_dual_add_nc_u32 v2, s18, v0
	s_mul_i32 s19, s54, s18
	s_delay_alu instid0(VALU_DEP_1)
	v_mul_lo_u32 v2, s54, v2
	s_branch .LBB39_21
.LBB39_20:                              ;   in Loop: Header=BB39_21 Depth=2
	s_or_b32 exec_lo, exec_lo, s15
	v_dual_mov_b32 v3, v5 :: v_dual_add_nc_u32 v2, s19, v2
	s_and_not1_b32 exec_lo, exec_lo, s20
	s_cbranch_execz .LBB39_36
.LBB39_21:                              ;   Parent Loop BB39_15 Depth=1
                                        ; =>  This Inner Loop Header: Depth=2
	s_wait_dscnt 0x0
	v_dual_add_nc_u32 v4, s18, v4 :: v_dual_mov_b32 v12, 0
	v_mov_b32_e32 v5, 0
	s_mov_b32 s15, exec_lo
	s_delay_alu instid0(VALU_DEP_2)
	v_cmp_le_u32_e32 vcc_lo, s36, v4
	v_cmpx_gt_u32_e64 s36, v4
	s_cbranch_execz .LBB39_23
; %bb.22:                               ;   in Loop: Header=BB39_21 Depth=2
	global_load_b32 v5, v2, s[38:39] scale_offset
.LBB39_23:                              ;   in Loop: Header=BB39_21 Depth=2
	s_wait_xcnt 0x0
	s_or_b32 exec_lo, exec_lo, s15
	s_wait_loadcnt 0x0
	v_bitop3_b32 v16, v3, v33, 0x80000000 bitop3:0x48
	s_delay_alu instid0(VALU_DEP_1) | instskip(SKIP_2) | instid1(SALU_CYCLE_1)
	v_cmp_eq_u32_e64 s14, v16, v25
	s_cmp_lg_u32 s14, 0
	s_cselect_b32 s15, -1, 0
	s_and_b32 s15, s2, s15
	s_delay_alu instid0(SALU_CYCLE_1)
	s_and_saveexec_b32 s21, s15
	s_cbranch_execz .LBB39_27
; %bb.24:                               ;   in Loop: Header=BB39_21 Depth=2
	s_mov_b32 s24, exec_lo
	s_bcnt1_i32_b32 s22, s14
	v_mbcnt_lo_u32_b32 v12, s24, 0
	s_mov_b32 s23, exec_lo
                                        ; implicit-def: $vgpr16
	s_delay_alu instid0(VALU_DEP_1)
	v_cmpx_eq_u32_e32 0, v12
; %bb.25:                               ;   in Loop: Header=BB39_21 Depth=2
	s_bcnt1_i32_b32 s15, s24
	s_delay_alu instid0(SALU_CYCLE_1) | instskip(NEXT) | instid1(SALU_CYCLE_1)
	s_mul_i32 s15, s22, s15
	v_mov_b32_e32 v16, s15
	ds_add_rtn_u32 v16, v13, v16 offset:4104
; %bb.26:                               ;   in Loop: Header=BB39_21 Depth=2
	s_or_b32 exec_lo, exec_lo, s23
	s_wait_dscnt 0x0
	v_readfirstlane_b32 s15, v16
	s_delay_alu instid0(VALU_DEP_1)
	v_mad_u32_u24 v12, s22, v12, s15
.LBB39_27:                              ;   in Loop: Header=BB39_21 Depth=2
	s_or_b32 exec_lo, exec_lo, s21
	ds_bpermute_b32 v12, v13, v12
	s_and_b32 s15, exec_lo, vcc_lo
	s_delay_alu instid0(SALU_CYCLE_1)
	s_or_b32 s20, s15, s20
	s_and_saveexec_b32 s15, s14
	s_cbranch_execz .LBB39_20
; %bb.28:                               ;   in Loop: Header=BB39_21 Depth=2
	v_and_b32_e32 v16, s14, v6
	s_delay_alu instid0(VALU_DEP_1) | instskip(NEXT) | instid1(VALU_DEP_1)
	v_bcnt_u32_b32 v16, v16, 0
	v_lshlrev_b32_e32 v16, 2, v16
	s_wait_dscnt 0x0
	s_delay_alu instid0(VALU_DEP_1)
	v_lshl_add_u32 v12, v12, 2, v16
	ds_store_b32 v12, v3
	s_branch .LBB39_20
.LBB39_29:                              ;   in Loop: Header=BB39_15 Depth=1
	s_mov_b32 s16, -1
	s_mov_b32 s14, 0
.LBB39_30:                              ;   in Loop: Header=BB39_15 Depth=1
	s_and_b32 vcc_lo, exec_lo, s16
	s_cbranch_vccz .LBB39_59
.LBB39_31:                              ;   in Loop: Header=BB39_15 Depth=1
	s_and_saveexec_b32 s15, s3
	s_cbranch_execz .LBB39_56
; %bb.32:                               ;   in Loop: Header=BB39_15 Depth=1
	global_load_b32 v16, v[8:9], off
	s_load_u16 s17, s[52:53], 0x0
	s_mov_b32 s16, exec_lo
	s_wait_kmcnt 0x0
	v_dual_mov_b32 v3, v0 :: v_dual_add_nc_u32 v2, s17, v0
	s_delay_alu instid0(VALU_DEP_1)
	v_cmpx_gt_u32_e64 s36, v2
	s_cbranch_execz .LBB39_55
; %bb.33:                               ;   in Loop: Header=BB39_15 Depth=1
	s_mov_b32 s14, 0
	s_mul_i32 s18, s54, s17
                                        ; implicit-def: $vgpr3
                                        ; implicit-def: $vgpr12
                                        ; implicit-def: $vgpr4
                                        ; implicit-def: $vgpr5
	s_and_saveexec_b32 s19, s7
	s_delay_alu instid0(SALU_CYCLE_1)
	s_xor_b32 s19, exec_lo, s19
	s_cbranch_execnz .LBB39_39
; %bb.34:                               ;   in Loop: Header=BB39_15 Depth=1
	s_and_not1_saveexec_b32 s19, s19
	s_cbranch_execnz .LBB39_50
.LBB39_35:                              ;   in Loop: Header=BB39_15 Depth=1
	s_or_b32 exec_lo, exec_lo, s19
	s_and_saveexec_b32 s18, s14
	s_cbranch_execnz .LBB39_51
	s_branch .LBB39_54
.LBB39_36:                              ;   in Loop: Header=BB39_15 Depth=1
	s_or_b32 exec_lo, exec_lo, s17
	s_wait_dscnt 0x0
	s_barrier_signal -1
	s_barrier_wait -1
	s_and_saveexec_b32 s14, s5
	s_cbranch_execz .LBB39_38
; %bb.37:                               ;   in Loop: Header=BB39_15 Depth=1
	ds_load_b32 v2, v13 offset:4104
	s_wait_dscnt 0x0
	ds_store_b32 v13, v2 offset:4096
.LBB39_38:                              ;   in Loop: Header=BB39_15 Depth=1
	s_or_b32 exec_lo, exec_lo, s14
	s_wait_dscnt 0x0
	s_barrier_signal -1
	s_mov_b32 s14, -1
	s_barrier_wait -1
	s_and_b32 vcc_lo, exec_lo, s16
	s_cbranch_vccnz .LBB39_31
	s_branch .LBB39_59
.LBB39_39:                              ;   in Loop: Header=BB39_15 Depth=1
	s_cvt_f32_u32 s14, s17
	v_add_max_u32_e64 v3, v2, s17, s36
	s_delay_alu instid0(SALU_CYCLE_2) | instskip(SKIP_1) | instid1(VALU_DEP_1)
	v_rcp_iflag_f32_e32 v4, s14
	s_lshl_b32 s14, s17, 1
	v_sub_nc_u32_e32 v3, v3, v0
	s_delay_alu instid0(VALU_DEP_1) | instskip(NEXT) | instid1(TRANS32_DEP_1)
	v_cmp_ne_u32_e32 vcc_lo, s14, v3
	v_readfirstlane_b32 s20, v4
	v_cndmask_b32_e64 v4, 0, 1, vcc_lo
	s_mul_f32 s20, s20, 0x4f7ffffe
	s_delay_alu instid0(VALU_DEP_1) | instskip(NEXT) | instid1(SALU_CYCLE_2)
	v_or_b32_e32 v4, s14, v4
	s_cvt_u32_f32 s14, s20
	s_sub_co_i32 s20, 0, s17
	s_delay_alu instid0(SALU_CYCLE_2) | instskip(NEXT) | instid1(VALU_DEP_1)
	s_mul_i32 s20, s20, s14
	v_sub_nc_u32_e32 v3, v3, v4
	s_mul_hi_u32 s20, s14, s20
	s_delay_alu instid0(SALU_CYCLE_1)
	s_add_co_i32 s14, s14, s20
	s_delay_alu instid0(VALU_DEP_1) | instid1(SALU_CYCLE_1)
	v_mul_hi_u32 v4, v3, s14
	s_delay_alu instid0(VALU_DEP_1) | instskip(NEXT) | instid1(VALU_DEP_1)
	v_mul_lo_u32 v5, v4, s17
	v_dual_sub_nc_u32 v3, v3, v5 :: v_dual_add_nc_u32 v5, 1, v4
	s_delay_alu instid0(VALU_DEP_1) | instskip(SKIP_1) | instid1(VALU_DEP_1)
	v_subrev_nc_u32_e32 v12, s17, v3
	v_cmp_le_u32_e64 s14, s17, v3
	v_dual_cndmask_b32 v4, v4, v5, s14 :: v_dual_cndmask_b32 v3, v3, v12, s14
	s_delay_alu instid0(VALU_DEP_1) | instskip(NEXT) | instid1(VALU_DEP_2)
	v_add_nc_u32_e32 v5, 1, v4
	v_cmp_le_u32_e64 s14, s17, v3
	s_delay_alu instid0(VALU_DEP_1) | instskip(SKIP_2) | instid1(VALU_DEP_2)
	v_cndmask_b32_e64 v3, v4, v5, s14
	v_mul_lo_u32 v4, s54, v2
	s_abs_i32 s14, s18
	v_add_co_ci_u32_e64 v3, null, 0, v3, vcc_lo
	s_delay_alu instid0(VALU_DEP_1) | instskip(SKIP_2) | instid1(SALU_CYCLE_1)
	v_mul_hi_u32 v5, s14, v3
	v_mul_lo_u32 v3, s14, v3
	s_not_b32 s14, s18
	s_ashr_i32 s14, s14, 31
	s_cmp_eq_u32 s17, 1
	s_delay_alu instid0(VALU_DEP_4) | instskip(SKIP_1) | instid1(VALU_DEP_3)
	v_xor_b32_e32 v4, s14, v4
	s_cselect_b32 s20, -1, 0
	v_cmp_eq_u32_e32 vcc_lo, 0, v5
	s_delay_alu instid0(VALU_DEP_2) | instskip(SKIP_2) | instid1(SALU_CYCLE_1)
	v_cmp_le_u32_e64 s14, v3, v4
	v_mov_b32_e32 v4, v0
                                        ; implicit-def: $vgpr3
	s_and_b32 s20, vcc_lo, s20
	s_and_b32 s21, s20, s14
	s_mov_b32 s20, -1
	s_and_saveexec_b32 s14, s21
	s_cbranch_execz .LBB39_49
; %bb.40:                               ;   in Loop: Header=BB39_15 Depth=1
	v_dual_mov_b32 v12, 0 :: v_dual_add_nc_u32 v3, 1, v2
	s_delay_alu instid0(VALU_DEP_1)
	v_mov_b64_e32 v[4:5], v[2:3]
	s_and_saveexec_b32 s20, s8
	s_cbranch_execz .LBB39_44
; %bb.41:                               ;   in Loop: Header=BB39_15 Depth=1
	v_mov_b64_e32 v[4:5], v[2:3]
	v_dual_mov_b32 v19, v23 :: v_dual_mov_b32 v35, v1
	s_mov_b32 s21, 0
	s_mov_b32 s22, 0
.LBB39_42:                              ;   Parent Loop BB39_15 Depth=1
                                        ; =>  This Inner Loop Header: Depth=2
	s_delay_alu instid0(VALU_DEP_2) | instskip(NEXT) | instid1(VALU_DEP_3)
	v_mul_lo_u32 v12, v4, s54
	v_dual_add_nc_u32 v40, 4, v4 :: v_dual_add_nc_u32 v44, 4, v5
	v_dual_mov_b32 v41, v13 :: v_dual_add_nc_u32 v48, 6, v4
	v_dual_mov_b32 v49, v13 :: v_dual_add_nc_u32 v38, 2, v5
	;; [unrolled: 1-line block ×4, first 2 shown]
	v_mov_b32_e32 v51, v13
	v_lshl_add_u64 v[36:37], v[12:13], 2, s[38:39]
	v_dual_add_nc_u32 v12, 2, v4 :: v_dual_add_nc_u32 v62, 12, v4
	v_dual_add_nc_u32 v60, 12, v5 :: v_dual_add_nc_u32 v61, 14, v5
	v_mov_b32_e32 v57, v13
	global_load_b32 v3, v[36:37], off
	s_wait_xcnt 0x0
	v_mov_b32_e32 v37, v13
	v_mul_lo_u32 v12, v12, s54
	v_mul_lo_u32 v36, v5, s74
	;; [unrolled: 1-line block ×3, first 2 shown]
	v_dual_mov_b32 v55, v13 :: v_dual_add_nc_u32 v63, 14, v4
	v_add_nc_u32_e32 v19, -8, v19
	s_add_co_i32 s22, s22, 16
	v_dual_add_nc_u32 v54, 8, v5 :: v_dual_add_nc_u32 v5, 16, v5
	s_delay_alu instid0(VALU_DEP_2)
	v_cmp_eq_u32_e32 vcc_lo, 0, v19
	v_lshl_add_u64 v[42:43], v[12:13], 2, s[38:39]
	v_mul_lo_u32 v12, v40, s54
	v_add_nc_u32_e32 v40, 8, v4
	v_lshl_add_u64 v[36:37], v[36:37], 2, s[38:39]
	s_or_b32 s21, vcc_lo, s21
	s_delay_alu instid0(VALU_DEP_3) | instskip(SKIP_2) | instid1(VALU_DEP_2)
	v_lshl_add_u64 v[46:47], v[12:13], 2, s[38:39]
	v_mul_lo_u32 v12, v48, s54
	v_dual_add_nc_u32 v48, 10, v4 :: v_dual_add_nc_u32 v4, 16, v4
	v_lshl_add_u64 v[52:53], v[12:13], 2, s[38:39]
	v_mul_lo_u32 v12, v40, s54
	v_mul_lo_u32 v40, v44, s74
	;; [unrolled: 1-line block ×5, first 2 shown]
	v_lshl_add_u64 v[58:59], v[12:13], 2, s[38:39]
	v_mul_lo_u32 v12, v48, s54
	v_mul_lo_u32 v48, v54, s74
	;; [unrolled: 1-line block ×3, first 2 shown]
	s_delay_alu instid0(VALU_DEP_3)
	v_lshl_add_u64 v[60:61], v[12:13], 2, s[38:39]
	v_mul_lo_u32 v12, v62, s54
	global_load_b32 v62, v[36:37], off
	s_wait_xcnt 0x0
	v_lshl_add_u64 v[36:37], v[38:39], 2, s[38:39]
	v_lshl_add_u64 v[38:39], v[40:41], 2, s[38:39]
	;; [unrolled: 1-line block ×7, first 2 shown]
	s_clause 0x8
	global_load_b32 v42, v[42:43], off
	global_load_b32 v43, v[36:37], off
	global_load_b32 v46, v[46:47], off
	global_load_b32 v38, v[38:39], off
	global_load_b32 v39, v[52:53], off
	global_load_b32 v40, v[40:41], off
	global_load_b32 v41, v[58:59], off
	global_load_b32 v44, v[44:45], off
	global_load_b32 v45, v[60:61], off
	v_lshl_add_u64 v[56:57], v[12:13], 2, s[38:39]
	v_mul_lo_u32 v12, v63, s54
	s_delay_alu instid0(VALU_DEP_1)
	v_lshl_add_u64 v[36:37], v[12:13], 2, s[38:39]
	s_clause 0x3
	global_load_b32 v47, v[48:49], off
	global_load_b32 v48, v[56:57], off
	global_load_b32 v49, v[50:51], off
	global_load_b32 v36, v[36:37], off
	v_mov_b32_e32 v12, s22
	s_wait_loadcnt 0xe
	ds_store_2addr_b32 v35, v16, v3 offset1:1
	global_load_b32 v16, v[54:55], off
	s_wait_loadcnt 0xd
	ds_store_2addr_b32 v35, v62, v42 offset0:2 offset1:3
	s_wait_loadcnt 0xb
	ds_store_2addr_b32 v35, v43, v46 offset0:4 offset1:5
	;; [unrolled: 2-line block ×7, first 2 shown]
	v_add_nc_u32_e32 v35, 64, v35
	s_wait_xcnt 0x0
	s_and_not1_b32 exec_lo, exec_lo, s21
	s_cbranch_execnz .LBB39_42
; %bb.43:                               ;   in Loop: Header=BB39_15 Depth=1
	s_or_b32 exec_lo, exec_lo, s21
.LBB39_44:                              ;   in Loop: Header=BB39_15 Depth=1
	s_delay_alu instid0(SALU_CYCLE_1)
	s_or_b32 exec_lo, exec_lo, s20
	s_and_saveexec_b32 s20, s9
	s_cbranch_execz .LBB39_48
; %bb.45:                               ;   in Loop: Header=BB39_15 Depth=1
	v_lshl_add_u32 v3, v12, 2, v1
	v_mov_b32_e32 v19, v24
	s_mov_b32 s21, 0
.LBB39_46:                              ;   Parent Loop BB39_15 Depth=1
                                        ; =>  This Inner Loop Header: Depth=2
	v_mul_lo_u32 v12, v4, s54
	v_mul_lo_u32 v36, v5, s74
	s_delay_alu instid0(VALU_DEP_3) | instskip(SKIP_1) | instid1(VALU_DEP_2)
	v_dual_mov_b32 v37, v13 :: v_dual_add_nc_u32 v19, -8, v19
	v_dual_add_nc_u32 v5, 2, v5 :: v_dual_add_nc_u32 v4, 2, v4
	v_cmp_eq_u32_e32 vcc_lo, 0, v19
	v_lshl_add_u64 v[38:39], v[12:13], 2, s[38:39]
	s_delay_alu instid0(VALU_DEP_4)
	v_lshl_add_u64 v[36:37], v[36:37], 2, s[38:39]
	s_or_b32 s21, vcc_lo, s21
	s_clause 0x1
	global_load_b32 v35, v[38:39], off
	global_load_b32 v12, v[36:37], off
	s_wait_loadcnt 0x1
	ds_store_2addr_b32 v3, v16, v35 offset1:1
	s_wait_loadcnt 0x0
	v_dual_mov_b32 v16, v12 :: v_dual_add_nc_u32 v3, 8, v3
	s_and_not1_b32 exec_lo, exec_lo, s21
	s_cbranch_execnz .LBB39_46
; %bb.47:                               ;   in Loop: Header=BB39_15 Depth=1
	s_or_b32 exec_lo, exec_lo, s21
	v_mov_b32_e32 v16, v12
.LBB39_48:                              ;   in Loop: Header=BB39_15 Depth=1
	s_or_b32 exec_lo, exec_lo, s20
	v_dual_add_nc_u32 v2, v2, v21 :: v_dual_add_nc_u32 v4, v0, v21
	s_or_not1_b32 s20, s10, exec_lo
	s_delay_alu instid0(VALU_DEP_1)
	v_add_nc_u32_e32 v3, -1, v2
.LBB39_49:                              ;   in Loop: Header=BB39_15 Depth=1
	s_or_b32 exec_lo, exec_lo, s14
	s_wait_loadcnt 0x0
	v_dual_mov_b32 v5, s18 :: v_dual_mov_b32 v12, v16
	s_and_b32 s14, s20, exec_lo
	s_and_not1_saveexec_b32 s19, s19
	s_cbranch_execz .LBB39_35
.LBB39_50:                              ;   in Loop: Header=BB39_15 Depth=1
	s_wait_loadcnt 0x0
	v_dual_mov_b32 v5, s18 :: v_dual_mov_b32 v12, v16
	v_mov_b32_e32 v4, v0
	s_or_b32 s14, s14, exec_lo
	s_or_b32 exec_lo, exec_lo, s19
	s_and_saveexec_b32 s18, s14
	s_cbranch_execz .LBB39_54
.LBB39_51:                              ;   in Loop: Header=BB39_15 Depth=1
	v_mul_lo_u32 v3, s54, v2
	s_mov_b32 s19, 0
	s_sub_co_i32 s14, 0, s17
.LBB39_52:                              ;   Parent Loop BB39_15 Depth=1
                                        ; =>  This Inner Loop Header: Depth=2
	s_wait_loadcnt 0x0
	global_load_b32 v16, v3, s[38:39] scale_offset
	v_dual_mov_b32 v19, v2 :: v_dual_lshlrev_b32 v4, 2, v4
	s_wait_xcnt 0x0
	s_delay_alu instid0(VALU_DEP_1)
	v_dual_add_nc_u32 v3, v3, v5 :: v_dual_add_nc_u32 v2, s17, v19
	ds_store_b32 v4, v12
	v_mov_b32_e32 v4, v19
	v_cmp_le_u32_e32 vcc_lo, s36, v2
	s_or_b32 s19, vcc_lo, s19
	s_wait_loadcnt 0x0
	v_mov_b32_e32 v12, v16
	s_and_not1_b32 exec_lo, exec_lo, s19
	s_cbranch_execnz .LBB39_52
; %bb.53:                               ;   in Loop: Header=BB39_15 Depth=1
	s_or_b32 exec_lo, exec_lo, s19
	v_add_nc_u32_e32 v3, s14, v2
.LBB39_54:                              ;   in Loop: Header=BB39_15 Depth=1
	s_or_b32 exec_lo, exec_lo, s18
.LBB39_55:                              ;   in Loop: Header=BB39_15 Depth=1
	s_delay_alu instid0(SALU_CYCLE_1) | instskip(NEXT) | instid1(VALU_DEP_1)
	s_or_b32 exec_lo, exec_lo, s16
	v_lshlrev_b32_e32 v2, 2, v3
	s_wait_loadcnt 0x0
	ds_store_b32 v2, v16
.LBB39_56:                              ;   in Loop: Header=BB39_15 Depth=1
	s_or_b32 exec_lo, exec_lo, s15
	s_wait_dscnt 0x0
	s_barrier_signal -1
	s_barrier_wait -1
	s_and_saveexec_b32 s14, s5
; %bb.57:                               ;   in Loop: Header=BB39_15 Depth=1
	v_mov_b32_e32 v2, s36
	ds_store_b32 v13, v2 offset:4096
; %bb.58:                               ;   in Loop: Header=BB39_15 Depth=1
	s_or_b32 exec_lo, exec_lo, s14
	s_mov_b32 s14, -1
	s_wait_dscnt 0x0
	s_barrier_signal -1
	s_barrier_wait -1
.LBB39_59:                              ;   in Loop: Header=BB39_15 Depth=1
	s_and_b32 vcc_lo, exec_lo, s14
	s_mov_b32 s46, 0
	s_cbranch_vccz .LBB39_61
; %bb.60:                               ;   in Loop: Header=BB39_15 Depth=1
	ds_load_b32 v2, v13 offset:4096
	s_wait_dscnt 0x0
	v_readfirstlane_b32 s46, v2
.LBB39_61:                              ;   in Loop: Header=BB39_15 Depth=1
	s_delay_alu instid0(VALU_DEP_1)
	s_cmp_lt_i32 s46, 1
	s_mov_b32 s14, -1
                                        ; implicit-def: $vgpr5
	s_cbranch_scc1 .LBB39_74
; %bb.62:                               ;   in Loop: Header=BB39_15 Depth=1
	s_and_b32 vcc_lo, exec_lo, s14
	s_cbranch_vccnz .LBB39_85
.LBB39_63:                              ;   in Loop: Header=BB39_15 Depth=1
	s_lshl_b32 s16, s82, 7
	s_and_saveexec_b32 s14, s2
.LBB39_64:                              ;   in Loop: Header=BB39_15 Depth=1
	v_lshl_add_u32 v12, s16, 2, v20
	ds_store_b128 v12, v[2:5]
.LBB39_65:                              ;   in Loop: Header=BB39_15 Depth=1
	s_or_b32 exec_lo, exec_lo, s14
	s_wait_dscnt 0x0
	s_barrier_signal -1
	s_barrier_wait -1
	s_and_saveexec_b32 s17, s62
	s_cbranch_execz .LBB39_98
; %bb.66:                               ;   in Loop: Header=BB39_15 Depth=1
	v_dual_add_nc_u32 v4, s16, v7 :: v_dual_mov_b32 v2, 0
	s_and_not1_b32 vcc_lo, exec_lo, s64
	s_cbranch_vccnz .LBB39_97
; %bb.67:                               ;   in Loop: Header=BB39_15 Depth=1
	s_and_not1_b32 vcc_lo, exec_lo, s67
	s_cbranch_vccnz .LBB39_94
; %bb.68:                               ;   in Loop: Header=BB39_15 Depth=1
	v_lshl_add_u32 v5, v4, 2, 0xc00
	s_and_not1_b32 vcc_lo, exec_lo, s70
	s_cbranch_vccnz .LBB39_122
; %bb.69:                               ;   in Loop: Header=BB39_15 Depth=1
	v_dual_mov_b32 v2, 0 :: v_dual_mov_b32 v3, 0
	s_mov_b32 s15, 1
	s_mov_b32 s14, 0
	;; [unrolled: 1-line block ×3, first 2 shown]
.LBB39_70:                              ;   Parent Loop BB39_15 Depth=1
                                        ; =>  This Inner Loop Header: Depth=2
	v_lshl_add_u32 v12, s15, 4, v5
	v_lshl_add_u32 v16, s14, 4, v5
	s_add_co_i32 s18, s18, -8
	s_add_co_i32 s15, s15, 16
	s_add_co_i32 s14, s14, 16
	ds_load_2addr_b32 v[36:37], v12 offset1:8
	ds_load_2addr_b32 v[38:39], v16 offset1:8
	ds_load_2addr_b32 v[40:41], v12 offset0:16 offset1:24
	ds_load_2addr_b32 v[42:43], v16 offset0:16 offset1:24
	;; [unrolled: 1-line block ×6, first 2 shown]
	s_cmp_lg_u32 s18, 0
	s_wait_dscnt 0x7
	v_add3_u32 v3, v36, v3, v37
	s_wait_dscnt 0x6
	v_add3_u32 v2, v38, v2, v39
	s_wait_dscnt 0x5
	s_delay_alu instid0(VALU_DEP_2) | instskip(SKIP_1) | instid1(VALU_DEP_2)
	v_add3_u32 v3, v40, v3, v41
	s_wait_dscnt 0x4
	v_add3_u32 v2, v42, v2, v43
	s_wait_dscnt 0x3
	s_delay_alu instid0(VALU_DEP_2) | instskip(SKIP_1) | instid1(VALU_DEP_2)
	;; [unrolled: 5-line block ×3, first 2 shown]
	v_add3_u32 v3, v48, v3, v49
	s_wait_dscnt 0x0
	v_add3_u32 v2, v50, v2, v51
	s_cbranch_scc1 .LBB39_70
; %bb.71:                               ;   in Loop: Header=BB39_15 Depth=1
	s_and_not1_b32 vcc_lo, exec_lo, s72
	s_mov_b32 s18, s69
	s_cbranch_vccnz .LBB39_73
.LBB39_72:                              ;   Parent Loop BB39_15 Depth=1
                                        ; =>  This Inner Loop Header: Depth=2
	v_lshl_add_u32 v12, s15, 4, v5
	v_lshl_add_u32 v16, s14, 4, v5
	s_add_co_i32 s18, s18, -1
	s_add_co_i32 s15, s15, 2
	s_add_co_i32 s14, s14, 2
	ds_load_b32 v12, v12
	ds_load_b32 v16, v16
	s_cmp_lg_u32 s18, 0
	s_wait_dscnt 0x1
	v_add_nc_u32_e32 v3, v12, v3
	s_wait_dscnt 0x0
	v_add_nc_u32_e32 v2, v16, v2
	s_cbranch_scc1 .LBB39_72
.LBB39_73:                              ;   in Loop: Header=BB39_15 Depth=1
	s_delay_alu instid0(VALU_DEP_1) | instskip(SKIP_2) | instid1(SALU_CYCLE_1)
	v_add_nc_u32_e32 v2, v2, v3
	s_mov_b32 s14, s68
	s_mov_b32 s15, s73
	s_and_b32 vcc_lo, exec_lo, s15
	s_cbranch_vccnz .LBB39_95
	s_branch .LBB39_97
.LBB39_74:                              ;   in Loop: Header=BB39_15 Depth=1
	v_dual_mov_b32 v2, 0 :: v_dual_mov_b32 v3, 0
	v_dual_mov_b32 v4, 0 :: v_dual_mov_b32 v5, 0
	s_and_saveexec_b32 s92, s11
	s_cbranch_execz .LBB39_78
; %bb.75:                               ;   in Loop: Header=BB39_15 Depth=1
	v_mov_b32_e32 v12, v1
	s_mov_b32 s93, 0
	s_mov_b32 s94, 0
	;; [unrolled: 1-line block ×6, first 2 shown]
.LBB39_76:                              ;   Parent Loop BB39_15 Depth=1
                                        ; =>  This Inner Loop Header: Depth=2
	v_dual_add_nc_u32 v2, s94, v29 :: v_dual_add_nc_u32 v3, s94, v26
	v_dual_add_nc_u32 v4, s94, v27 :: v_dual_add_nc_u32 v5, s94, v28
	s_add_co_i32 s94, s94, s77
	s_clause 0x3
	global_load_b32 v2, v2, s[38:39] scale_offset
	global_load_b32 v3, v3, s[38:39] scale_offset
	;; [unrolled: 1-line block ×4, first 2 shown]
	s_wait_loadcnt 0x3
	v_xor_b32_e32 v16, 0x80000000, v2
	v_bitop3_b32 v2, v2, v33, 0x80000000 bitop3:0x48
	s_wait_loadcnt 0x2
	v_xor_b32_e32 v19, 0x80000000, v3
	v_bitop3_b32 v3, v3, v33, 0x80000000 bitop3:0x48
	;; [unrolled: 3-line block ×3, first 2 shown]
	v_cmp_eq_u32_e64 s14, v2, v25
	v_bfe_u32 v2, v16, s79, 2
	s_wait_loadcnt 0x0
	v_xor_b32_e32 v36, 0x80000000, v5
	v_cmp_eq_u32_e64 s15, v3, v25
	v_bfe_u32 v3, v19, s79, 2
	v_cmp_eq_u32_e64 s16, v4, v25
	v_bfe_u32 v4, v35, s79, 2
	v_cmp_eq_u32_e64 s18, 0, v2
	v_bitop3_b32 v5, v5, v33, 0x80000000 bitop3:0x48
	v_bfe_u32 v16, v36, s79, 2
	v_cmp_eq_u32_e64 s19, 0, v3
	v_cmp_eq_u32_e64 s20, 0, v4
	s_and_b32 s18, s14, s18
	v_cmp_eq_u32_e64 s17, v5, v25
	v_cmp_eq_u32_e64 s21, 0, v16
	;; [unrolled: 1-line block ×5, first 2 shown]
	v_cndmask_b32_e64 v2, 0, 1, s18
	s_and_b32 s18, s15, s19
	v_cmp_eq_u32_e64 s23, 1, v3
	v_cmp_eq_u32_e64 s27, 2, v3
	;; [unrolled: 1-line block ×3, first 2 shown]
	v_cndmask_b32_e64 v3, 0, 1, s18
	s_and_b32 s18, s16, s20
	v_cmp_eq_u32_e64 s24, 1, v4
	v_cmp_eq_u32_e64 s28, 2, v4
	;; [unrolled: 1-line block ×3, first 2 shown]
	v_cndmask_b32_e64 v4, 0, 1, s18
	s_and_b32 s18, s17, s21
	v_cmp_eq_u32_e64 s25, 1, v16
	v_cndmask_b32_e64 v5, 0, 1, s18
	s_and_b32 s18, s14, s22
	v_cmp_eq_u32_e64 s29, 2, v16
	v_cmp_eq_u32_e64 s34, 3, v16
	v_cndmask_b32_e64 v16, 0, 1, s18
	s_and_b32 s18, s15, s23
	s_delay_alu instid0(SALU_CYCLE_1) | instskip(SKIP_1) | instid1(SALU_CYCLE_1)
	v_cndmask_b32_e64 v19, 0, 1, s18
	s_and_b32 s18, s16, s24
	v_cndmask_b32_e64 v35, 0, 1, s18
	s_and_b32 s18, s17, s25
	s_delay_alu instid0(VALU_DEP_2)
	v_cmp_ne_u32_e64 s19, 0, v19
	v_cndmask_b32_e64 v36, 0, 1, s18
	s_and_b32 s18, s14, s26
	s_and_b32 s14, s14, s30
	v_cndmask_b32_e64 v37, 0, 1, s18
	v_cndmask_b32_e64 v41, 0, 1, s14
	s_and_b32 s14, s15, s31
	s_and_b32 s18, s15, s27
	v_cndmask_b32_e64 v42, 0, 1, s14
	s_and_b32 s14, s16, s33
	v_cndmask_b32_e64 v38, 0, 1, s18
	v_cndmask_b32_e64 v43, 0, 1, s14
	s_and_b32 s14, s17, s34
	s_and_b32 s18, s16, s28
	v_cndmask_b32_e64 v44, 0, 1, s14
	v_cmp_ne_u32_e64 s14, 0, v2
	v_cmp_ne_u32_e64 s15, 0, v3
	v_cndmask_b32_e64 v39, 0, 1, s18
	s_and_b32 s18, s17, s29
	v_cmp_ne_u32_e64 s16, 0, v4
	v_cndmask_b32_e64 v40, 0, 1, s18
	v_cmp_ne_u32_e64 s18, 0, v16
	v_cmp_ne_u32_e64 s22, 0, v37
	;; [unrolled: 1-line block ×3, first 2 shown]
	s_bcnt1_i32_b32 s14, s14
	v_cmp_ne_u32_e64 s17, 0, v5
	v_cmp_ne_u32_e64 s23, 0, v38
	v_cmp_ne_u32_e64 s27, 0, v42
	s_bcnt1_i32_b32 s15, s15
	s_add_co_i32 s14, s14, s98
	v_cmp_ne_u32_e64 s20, 0, v35
	v_cmp_ne_u32_e64 s24, 0, v39
	;; [unrolled: 1-line block ×3, first 2 shown]
	s_bcnt1_i32_b32 s16, s16
	s_add_co_i32 s14, s14, s15
	s_bcnt1_i32_b32 s18, s18
	s_bcnt1_i32_b32 s22, s22
	;; [unrolled: 1-line block ×3, first 2 shown]
	v_cmp_ne_u32_e64 s21, 0, v36
	v_cmp_ne_u32_e64 s25, 0, v40
	;; [unrolled: 1-line block ×3, first 2 shown]
	s_bcnt1_i32_b32 s17, s17
	s_add_co_i32 s14, s14, s16
	s_bcnt1_i32_b32 s19, s19
	s_bcnt1_i32_b32 s23, s23
	;; [unrolled: 1-line block ×3, first 2 shown]
	s_add_co_i32 s18, s18, s97
	s_add_co_i32 s22, s22, s96
	;; [unrolled: 1-line block ×4, first 2 shown]
	s_delay_alu instid0(SALU_CYCLE_1)
	v_dual_add_nc_u32 v12, s61, v12 :: v_dual_mov_b32 v2, s98
	s_bcnt1_i32_b32 s20, s20
	s_bcnt1_i32_b32 s24, s24
	;; [unrolled: 1-line block ×3, first 2 shown]
	s_add_co_i32 s15, s18, s19
	s_add_co_i32 s18, s22, s23
	;; [unrolled: 1-line block ×3, first 2 shown]
	s_bcnt1_i32_b32 s21, s21
	s_bcnt1_i32_b32 s25, s25
	;; [unrolled: 1-line block ×3, first 2 shown]
	s_add_co_i32 s15, s15, s20
	s_add_co_i32 s16, s18, s24
	;; [unrolled: 1-line block ×3, first 2 shown]
	v_cmp_le_u32_e32 vcc_lo, s75, v12
	s_add_co_i32 s97, s15, s21
	s_add_co_i32 s96, s16, s25
	;; [unrolled: 1-line block ×3, first 2 shown]
	v_dual_mov_b32 v3, s97 :: v_dual_mov_b32 v4, s96
	v_mov_b32_e32 v5, s95
	s_or_b32 s93, vcc_lo, s93
	s_delay_alu instid0(SALU_CYCLE_1)
	s_and_not1_b32 exec_lo, exec_lo, s93
	s_cbranch_execnz .LBB39_76
; %bb.77:                               ;   in Loop: Header=BB39_15 Depth=1
	s_or_b32 exec_lo, exec_lo, s93
.LBB39_78:                              ;   in Loop: Header=BB39_15 Depth=1
	s_delay_alu instid0(SALU_CYCLE_1)
	s_or_b32 exec_lo, exec_lo, s92
	s_and_saveexec_b32 s18, s12
	s_cbranch_execz .LBB39_84
; %bb.79:                               ;   in Loop: Header=BB39_15 Depth=1
	global_load_b32 v35, v[14:15], off
	v_dual_mov_b32 v12, v30 :: v_dual_mov_b32 v16, v22
	s_mov_b32 s19, 0
	s_branch .LBB39_81
.LBB39_80:                              ;   in Loop: Header=BB39_81 Depth=2
	s_wait_xcnt 0x0
	s_or_b32 exec_lo, exec_lo, s15
	s_wait_loadcnt 0x0
	v_xor_b32_e32 v36, 0x80000000, v35
	v_bitop3_b32 v35, v35, v33, 0x80000000 bitop3:0x48
	s_and_b32 s15, exec_lo, vcc_lo
	v_add_nc_u32_e32 v12, s56, v12
	s_or_b32 s19, s15, s19
	v_bfe_u32 v36, v36, s79, 2
	v_cmp_eq_u32_e32 vcc_lo, v35, v25
	s_delay_alu instid0(VALU_DEP_2) | instskip(SKIP_4) | instid1(SALU_CYCLE_1)
	v_cmp_eq_u32_e64 s14, 0, v36
	v_cmp_eq_u32_e64 s15, 1, v36
	;; [unrolled: 1-line block ×4, first 2 shown]
	s_and_b32 s14, vcc_lo, s14
	v_cndmask_b32_e64 v35, 0, 1, s14
	s_and_b32 s14, vcc_lo, s15
	s_delay_alu instid0(SALU_CYCLE_1) | instskip(SKIP_1) | instid1(SALU_CYCLE_1)
	v_cndmask_b32_e64 v36, 0, 1, s14
	s_and_b32 s14, vcc_lo, s16
	v_cndmask_b32_e64 v37, 0, 1, s14
	s_and_b32 s14, vcc_lo, s17
	v_cmp_ne_u32_e32 vcc_lo, 0, v35
	v_cndmask_b32_e64 v38, 0, 1, s14
	v_cmp_ne_u32_e64 s14, 0, v36
	v_cmp_ne_u32_e64 s15, 0, v37
	v_mov_b32_e32 v35, v19
	s_bcnt1_i32_b32 s17, vcc_lo
	v_cmp_ne_u32_e64 s16, 0, v38
	s_bcnt1_i32_b32 s14, s14
	s_bcnt1_i32_b32 s15, s15
	v_dual_add_nc_u32 v2, s17, v2 :: v_dual_add_nc_u32 v3, s14, v3
	s_bcnt1_i32_b32 s16, s16
	s_delay_alu instid0(SALU_CYCLE_1)
	v_dual_add_nc_u32 v4, s15, v4 :: v_dual_add_nc_u32 v5, s16, v5
	s_and_not1_b32 exec_lo, exec_lo, s19
	s_cbranch_execz .LBB39_83
.LBB39_81:                              ;   Parent Loop BB39_15 Depth=1
                                        ; =>  This Inner Loop Header: Depth=2
	s_delay_alu instid0(VALU_DEP_1) | instskip(SKIP_1) | instid1(VALU_DEP_1)
	v_dual_mov_b32 v19, 0 :: v_dual_add_nc_u32 v16, s40, v16
	s_mov_b32 s15, exec_lo
	v_cmp_le_u32_e32 vcc_lo, s36, v16
	s_wait_xcnt 0x0
	v_cmpx_gt_u32_e64 s36, v16
	s_cbranch_execz .LBB39_80
; %bb.82:                               ;   in Loop: Header=BB39_81 Depth=2
	global_load_b32 v19, v12, s[38:39] scale_offset
	s_branch .LBB39_80
.LBB39_83:                              ;   in Loop: Header=BB39_15 Depth=1
	s_or_b32 exec_lo, exec_lo, s19
.LBB39_84:                              ;   in Loop: Header=BB39_15 Depth=1
	s_delay_alu instid0(SALU_CYCLE_1)
	s_or_b32 exec_lo, exec_lo, s18
	s_branch .LBB39_63
.LBB39_85:                              ;   in Loop: Header=BB39_15 Depth=1
	s_mul_u64 s[14:15], s[46:47], s[48:49]
	v_dual_mov_b32 v2, 0 :: v_dual_mov_b32 v3, 0
	s_mul_i32 s14, s15, s61
	v_dual_mov_b32 v4, 0 :: v_dual_mov_b32 v5, 0
	s_sub_co_i32 s14, s46, s14
	s_mov_b32 s93, exec_lo
	s_sub_co_i32 s15, s14, s61
	s_cmp_ge_u32 s14, s61
	s_cselect_b32 s14, s15, s14
	s_delay_alu instid0(SALU_CYCLE_1) | instskip(SKIP_2) | instid1(SALU_CYCLE_1)
	s_sub_co_i32 s15, s14, s61
	s_cmp_ge_u32 s14, s61
	s_cselect_b32 s14, s15, s14
	s_sub_co_i32 s92, s46, s14
	s_delay_alu instid0(SALU_CYCLE_1)
	v_cmpx_gt_u32_e64 s92, v1
	s_cbranch_execz .LBB39_89
; %bb.86:                               ;   in Loop: Header=BB39_15 Depth=1
	v_dual_mov_b32 v12, v31 :: v_dual_mov_b32 v16, v1
	s_mov_b32 s94, 0
	s_mov_b32 s95, 0
	s_mov_b32 s96, 0
	s_mov_b32 s97, 0
	s_mov_b32 s98, 0
.LBB39_87:                              ;   Parent Loop BB39_15 Depth=1
                                        ; =>  This Inner Loop Header: Depth=2
	ds_load_b128 v[2:5], v12
	s_wait_dscnt 0x0
	v_xor_b32_e32 v19, 0x80000000, v2
	v_bitop3_b32 v2, v2, v33, 0x80000000 bitop3:0x48
	v_xor_b32_e32 v35, 0x80000000, v3
	v_bitop3_b32 v3, v3, v33, 0x80000000 bitop3:0x48
	;; [unrolled: 2-line block ×3, first 2 shown]
	v_cmp_eq_u32_e64 s14, v2, v25
	v_bfe_u32 v2, v19, s79, 2
	v_xor_b32_e32 v37, 0x80000000, v5
	v_cmp_eq_u32_e64 s15, v3, v25
	v_bfe_u32 v3, v35, s79, 2
	v_cmp_eq_u32_e64 s16, v4, v25
	v_bfe_u32 v4, v36, s79, 2
	v_cmp_eq_u32_e64 s18, 0, v2
	v_bitop3_b32 v5, v5, v33, 0x80000000 bitop3:0x48
	v_bfe_u32 v19, v37, s79, 2
	v_cmp_eq_u32_e64 s19, 0, v3
	v_cmp_eq_u32_e64 s20, 0, v4
	s_and_b32 s18, s14, s18
	v_cmp_eq_u32_e64 s17, v5, v25
	v_cmp_eq_u32_e64 s21, 0, v19
	;; [unrolled: 1-line block ×5, first 2 shown]
	v_cndmask_b32_e64 v2, 0, 1, s18
	s_and_b32 s18, s15, s19
	v_cmp_eq_u32_e64 s23, 1, v3
	v_cmp_eq_u32_e64 s27, 2, v3
	v_cmp_eq_u32_e64 s31, 3, v3
	v_cndmask_b32_e64 v3, 0, 1, s18
	s_and_b32 s18, s16, s20
	v_cmp_eq_u32_e64 s24, 1, v4
	v_cmp_eq_u32_e64 s28, 2, v4
	v_cmp_eq_u32_e64 s33, 3, v4
	v_cndmask_b32_e64 v4, 0, 1, s18
	s_and_b32 s18, s17, s21
	v_cmp_eq_u32_e64 s25, 1, v19
	v_cndmask_b32_e64 v5, 0, 1, s18
	s_and_b32 s18, s14, s22
	v_cmp_eq_u32_e64 s29, 2, v19
	v_cmp_eq_u32_e64 s34, 3, v19
	v_cndmask_b32_e64 v19, 0, 1, s18
	s_and_b32 s18, s15, s23
	s_delay_alu instid0(SALU_CYCLE_1) | instskip(SKIP_1) | instid1(SALU_CYCLE_1)
	v_cndmask_b32_e64 v35, 0, 1, s18
	s_and_b32 s18, s16, s24
	v_cndmask_b32_e64 v36, 0, 1, s18
	s_and_b32 s18, s17, s25
	s_delay_alu instid0(VALU_DEP_2)
	v_cmp_ne_u32_e64 s19, 0, v35
	v_cndmask_b32_e64 v37, 0, 1, s18
	s_and_b32 s18, s14, s26
	s_and_b32 s14, s14, s30
	v_cndmask_b32_e64 v38, 0, 1, s18
	v_cndmask_b32_e64 v42, 0, 1, s14
	s_and_b32 s14, s15, s31
	s_and_b32 s18, s15, s27
	v_cndmask_b32_e64 v43, 0, 1, s14
	s_and_b32 s14, s16, s33
	v_cndmask_b32_e64 v39, 0, 1, s18
	v_cndmask_b32_e64 v44, 0, 1, s14
	s_and_b32 s14, s17, s34
	s_and_b32 s18, s16, s28
	v_cndmask_b32_e64 v45, 0, 1, s14
	v_cmp_ne_u32_e64 s14, 0, v2
	v_cmp_ne_u32_e64 s15, 0, v3
	v_cndmask_b32_e64 v40, 0, 1, s18
	s_and_b32 s18, s17, s29
	v_cmp_ne_u32_e64 s16, 0, v4
	v_cndmask_b32_e64 v41, 0, 1, s18
	v_cmp_ne_u32_e64 s18, 0, v19
	v_cmp_ne_u32_e64 s22, 0, v38
	v_cmp_ne_u32_e64 s26, 0, v42
	s_bcnt1_i32_b32 s14, s14
	v_cmp_ne_u32_e64 s17, 0, v5
	v_cmp_ne_u32_e64 s23, 0, v39
	;; [unrolled: 1-line block ×3, first 2 shown]
	s_bcnt1_i32_b32 s15, s15
	s_add_co_i32 s14, s14, s98
	v_cmp_ne_u32_e64 s20, 0, v36
	v_cmp_ne_u32_e64 s24, 0, v40
	;; [unrolled: 1-line block ×3, first 2 shown]
	s_bcnt1_i32_b32 s16, s16
	s_add_co_i32 s14, s14, s15
	s_bcnt1_i32_b32 s18, s18
	s_bcnt1_i32_b32 s22, s22
	;; [unrolled: 1-line block ×3, first 2 shown]
	v_cmp_ne_u32_e64 s21, 0, v37
	v_cmp_ne_u32_e64 s25, 0, v41
	;; [unrolled: 1-line block ×3, first 2 shown]
	s_bcnt1_i32_b32 s17, s17
	s_add_co_i32 s14, s14, s16
	s_bcnt1_i32_b32 s19, s19
	s_bcnt1_i32_b32 s23, s23
	;; [unrolled: 1-line block ×3, first 2 shown]
	s_add_co_i32 s18, s18, s97
	s_add_co_i32 s22, s22, s96
	;; [unrolled: 1-line block ×4, first 2 shown]
	s_delay_alu instid0(SALU_CYCLE_1)
	v_dual_add_nc_u32 v16, s61, v16 :: v_dual_mov_b32 v2, s98
	s_bcnt1_i32_b32 s20, s20
	s_bcnt1_i32_b32 s24, s24
	;; [unrolled: 1-line block ×3, first 2 shown]
	s_add_co_i32 s15, s18, s19
	s_add_co_i32 s18, s22, s23
	s_add_co_i32 s19, s26, s27
	s_bcnt1_i32_b32 s21, s21
	s_bcnt1_i32_b32 s25, s25
	;; [unrolled: 1-line block ×3, first 2 shown]
	s_add_co_i32 s15, s15, s20
	s_add_co_i32 s16, s18, s24
	;; [unrolled: 1-line block ×3, first 2 shown]
	v_cmp_le_u32_e32 vcc_lo, s92, v16
	s_add_co_i32 s97, s15, s21
	s_add_co_i32 s96, s16, s25
	;; [unrolled: 1-line block ×3, first 2 shown]
	v_dual_mov_b32 v3, s97 :: v_dual_add_nc_u32 v12, s78, v12
	v_dual_mov_b32 v4, s96 :: v_dual_mov_b32 v5, s95
	s_or_b32 s94, vcc_lo, s94
	s_delay_alu instid0(SALU_CYCLE_1)
	s_and_not1_b32 exec_lo, exec_lo, s94
	s_cbranch_execnz .LBB39_87
; %bb.88:                               ;   in Loop: Header=BB39_15 Depth=1
	s_or_b32 exec_lo, exec_lo, s94
.LBB39_89:                              ;   in Loop: Header=BB39_15 Depth=1
	s_delay_alu instid0(SALU_CYCLE_1) | instskip(SKIP_2) | instid1(VALU_DEP_1)
	s_or_b32 exec_lo, exec_lo, s93
	v_add_nc_u32_e32 v12, s92, v0
	s_mov_b32 s19, exec_lo
	v_cmpx_gt_u32_e64 s46, v12
	s_cbranch_execz .LBB39_93
; %bb.90:                               ;   in Loop: Header=BB39_15 Depth=1
	v_lshlrev_b32_e32 v16, 2, v12
	s_mov_b32 s20, 0
.LBB39_91:                              ;   Parent Loop BB39_15 Depth=1
                                        ; =>  This Inner Loop Header: Depth=2
	ds_load_b32 v19, v16
	s_wait_dscnt 0x0
	v_xor_b32_e32 v35, 0x80000000, v19
	v_bitop3_b32 v19, v19, v33, 0x80000000 bitop3:0x48
	s_delay_alu instid0(VALU_DEP_2) | instskip(NEXT) | instid1(VALU_DEP_2)
	v_bfe_u32 v35, v35, s79, 2
	v_cmp_eq_u32_e64 s14, v19, v25
	s_delay_alu instid0(VALU_DEP_2) | instskip(SKIP_4) | instid1(SALU_CYCLE_1)
	v_cmp_eq_u32_e64 s15, 0, v35
	v_cmp_eq_u32_e64 s16, 1, v35
	;; [unrolled: 1-line block ×4, first 2 shown]
	s_and_b32 s15, s14, s15
	v_cndmask_b32_e64 v19, 0, 1, s15
	s_and_b32 s15, s14, s16
	s_delay_alu instid0(SALU_CYCLE_1)
	v_cndmask_b32_e64 v35, 0, 1, s15
	s_and_b32 s15, s14, s17
	s_and_b32 s14, s14, s18
	v_cndmask_b32_e64 v36, 0, 1, s15
	v_cndmask_b32_e64 v37, 0, 1, s14
	v_cmp_ne_u32_e64 s14, 0, v19
	v_cmp_ne_u32_e64 s15, 0, v35
	s_delay_alu instid0(VALU_DEP_4) | instskip(NEXT) | instid1(VALU_DEP_4)
	v_cmp_ne_u32_e64 s16, 0, v36
	v_cmp_ne_u32_e64 s17, 0, v37
	s_bcnt1_i32_b32 s14, s14
	s_delay_alu instid0(SALU_CYCLE_1) | instskip(SKIP_3) | instid1(VALU_DEP_1)
	v_dual_add_nc_u32 v12, s40, v12 :: v_dual_add_nc_u32 v2, s14, v2
	s_bcnt1_i32_b32 s15, s15
	s_bcnt1_i32_b32 s16, s16
	;; [unrolled: 1-line block ×3, first 2 shown]
	v_cmp_le_u32_e32 vcc_lo, s46, v12
	v_dual_add_nc_u32 v16, s61, v16 :: v_dual_add_nc_u32 v3, s15, v3
	v_dual_add_nc_u32 v4, s16, v4 :: v_dual_add_nc_u32 v5, s17, v5
	s_or_b32 s20, vcc_lo, s20
	s_delay_alu instid0(SALU_CYCLE_1)
	s_and_not1_b32 exec_lo, exec_lo, s20
	s_cbranch_execnz .LBB39_91
; %bb.92:                               ;   in Loop: Header=BB39_15 Depth=1
	s_or_b32 exec_lo, exec_lo, s20
.LBB39_93:                              ;   in Loop: Header=BB39_15 Depth=1
	s_delay_alu instid0(SALU_CYCLE_1)
	s_or_b32 exec_lo, exec_lo, s19
	s_lshl_b32 s16, s82, 7
	s_and_saveexec_b32 s14, s2
	s_cbranch_execnz .LBB39_64
	s_branch .LBB39_65
.LBB39_94:                              ;   in Loop: Header=BB39_15 Depth=1
	v_mov_b32_e32 v2, 0
	s_mov_b32 s14, 0
	s_cbranch_execz .LBB39_97
.LBB39_95:                              ;   in Loop: Header=BB39_15 Depth=1
	s_lshl_b32 s15, s82, 9
	s_lshl_b32 s18, s14, 4
	s_sub_co_i32 s14, s66, s14
	v_add3_u32 v3, s15, s18, v32
.LBB39_96:                              ;   Parent Loop BB39_15 Depth=1
                                        ; =>  This Inner Loop Header: Depth=2
	ds_load_b32 v5, v3
	v_add_nc_u32_e32 v3, 16, v3
	s_add_co_i32 s14, s14, -1
	s_delay_alu instid0(SALU_CYCLE_1)
	s_cmp_eq_u32 s14, 0
	s_wait_dscnt 0x0
	v_add_nc_u32_e32 v2, v5, v2
	s_cbranch_scc0 .LBB39_96
.LBB39_97:                              ;   in Loop: Header=BB39_15 Depth=1
	s_delay_alu instid0(VALU_DEP_1)
	v_lshlrev_b32_e32 v3, 2, v4
	ds_store_b32 v3, v2 offset:3072
.LBB39_98:                              ;   in Loop: Header=BB39_15 Depth=1
	s_or_b32 exec_lo, exec_lo, s17
	s_lshl_b32 s14, s16, 2
	s_wait_dscnt 0x0
	v_mov_b32_e32 v2, s14
	s_barrier_signal -1
	s_barrier_wait -1
	v_cmp_eq_u32_e64 s14, 1, v34
	ds_load_b128 v[2:5], v2 offset:3072
	s_lshl_b32 s18, 3, s79
	s_mov_b32 s26, -1
	s_not_b32 s19, s18
	s_mov_b32 s16, 0
	s_and_not1_b32 vcc_lo, exec_lo, s60
	s_mov_b32 s23, 0
	s_mov_b32 s15, 0
                                        ; implicit-def: $sgpr24
                                        ; implicit-def: $sgpr25
                                        ; implicit-def: $vgpr35
                                        ; implicit-def: $vgpr12
	s_wait_dscnt 0x0
	v_readfirstlane_b32 s17, v2
	v_readfirstlane_b32 s20, v3
	;; [unrolled: 1-line block ×4, first 2 shown]
                                        ; implicit-def: $vgpr4
                                        ; implicit-def: $vgpr5
                                        ; implicit-def: $vgpr3
	s_cbranch_vccnz .LBB39_257
; %bb.99:                               ;   in Loop: Header=BB39_15 Depth=1
	s_cmp_eq_u32 s17, 1
	v_dual_mov_b32 v5, v25 :: v_dual_mov_b32 v12, v33
	v_mov_b32_e32 v3, v17
	s_cselect_b32 s15, -1, 0
	s_mov_b32 s29, -1
	s_and_b32 s28, s15, s14
                                        ; implicit-def: $sgpr25
                                        ; implicit-def: $sgpr24
	s_delay_alu instid0(SALU_CYCLE_1)
	s_and_saveexec_b32 s15, s28
	s_cbranch_execz .LBB39_126
; %bb.100:                              ;   in Loop: Header=BB39_15 Depth=1
	ds_load_b32 v2, v13 offset:4096
	s_wait_dscnt 0x0
	s_barrier_signal -1
	s_barrier_wait -1
	v_readfirstlane_b32 s26, v2
	s_and_saveexec_b32 s23, s6
; %bb.101:                              ;   in Loop: Header=BB39_15 Depth=1
	ds_store_b32 v11, v13
; %bb.102:                              ;   in Loop: Header=BB39_15 Depth=1
	s_or_b32 exec_lo, exec_lo, s23
	v_and_b32_e32 v5, s19, v25
	v_or_b32_e32 v12, s18, v33
	s_mov_b32 s24, -1
	s_mov_b32 s25, 0
	s_cmp_eq_u32 s26, 0
	s_mov_b32 s23, 0
	s_mov_b32 s27, -1
	s_wait_dscnt 0x0
	s_barrier_signal -1
	s_barrier_wait -1
                                        ; implicit-def: $vgpr3
	s_cbranch_scc1 .LBB39_113
; %bb.103:                              ;   in Loop: Header=BB39_15 Depth=1
	s_add_co_i32 s46, s26, s65
	s_mov_b32 s29, exec_lo
	s_mul_u64 s[30:31], s[46:47], s[50:51]
                                        ; implicit-def: $vgpr3
	s_delay_alu instid0(SALU_CYCLE_1) | instskip(NEXT) | instid1(SALU_CYCLE_1)
	s_mul_i32 s23, s31, s40
	s_sub_co_i32 s23, s46, s23
	s_delay_alu instid0(SALU_CYCLE_1) | instskip(SKIP_2) | instid1(SALU_CYCLE_1)
	s_sub_co_i32 s27, s23, s40
	s_cmp_ge_u32 s23, s40
	s_cselect_b32 s23, s27, s23
	s_sub_co_i32 s27, s23, s40
	s_cmp_ge_u32 s23, s40
	s_cselect_b32 s23, s27, s23
	s_mov_b32 s27, 0
	s_sub_co_i32 s30, s46, s23
	s_mov_b32 s23, 0
	v_cmpx_gt_u32_e64 s30, v0
	s_cbranch_execz .LBB39_112
; %bb.104:                              ;   in Loop: Header=BB39_15 Depth=1
	v_dual_mov_b32 v4, v1 :: v_dual_mov_b32 v16, v0
                                        ; implicit-def: $sgpr31
	s_branch .LBB39_107
.LBB39_105:                             ;   in Loop: Header=BB39_107 Depth=2
	s_or_b32 exec_lo, exec_lo, s33
	s_wait_dscnt 0x0
	s_barrier_signal -1
	s_barrier_wait -1
	ds_load_b64 v[2:3], v13 offset:3072
	s_mov_b32 s33, -1
	s_mov_b32 s34, -1
	s_wait_dscnt 0x0
	s_barrier_signal -1
	s_barrier_wait -1
	v_cmp_ne_u32_e32 vcc_lo, 0, v2
	s_cbranch_vccz .LBB39_110
.LBB39_106:                             ;   in Loop: Header=BB39_107 Depth=2
	s_and_b32 s33, exec_lo, s33
	s_delay_alu instid0(SALU_CYCLE_1) | instskip(SKIP_2) | instid1(SALU_CYCLE_1)
	s_or_b32 s23, s33, s23
	s_and_not1_b32 s31, s31, exec_lo
	s_and_b32 s33, s34, exec_lo
	s_or_b32 s31, s31, s33
	s_and_not1_b32 exec_lo, exec_lo, s23
	s_cbranch_execz .LBB39_111
.LBB39_107:                             ;   Parent Loop BB39_15 Depth=1
                                        ; =>  This Inner Loop Header: Depth=2
	s_mov_b32 s33, exec_lo
	s_delay_alu instid0(VALU_DEP_1)
	v_cmpx_gt_u32_e64 s26, v16
	s_cbranch_execz .LBB39_105
; %bb.108:                              ;   in Loop: Header=BB39_107 Depth=2
	ds_load_b32 v19, v4
	s_wait_dscnt 0x0
	v_bitop3_b32 v2, v19, v12, 0x80000000 bitop3:0x48
	s_delay_alu instid0(VALU_DEP_1)
	v_cmp_eq_u32_e32 vcc_lo, v2, v5
	s_and_b32 exec_lo, exec_lo, vcc_lo
	s_cbranch_execz .LBB39_105
; %bb.109:                              ;   in Loop: Header=BB39_107 Depth=2
	ds_store_b64 v13, v[18:19] offset:3072
	s_branch .LBB39_105
.LBB39_110:                             ;   in Loop: Header=BB39_107 Depth=2
	v_add_nc_u32_e32 v16, s40, v16
	v_add_nc_u32_e32 v4, s61, v4
	s_mov_b32 s34, 0
	s_delay_alu instid0(VALU_DEP_2)
	v_cmp_le_u32_e32 vcc_lo, s30, v16
	s_or_not1_b32 s33, vcc_lo, exec_lo
	s_branch .LBB39_106
.LBB39_111:                             ;   in Loop: Header=BB39_15 Depth=1
	s_or_b32 exec_lo, exec_lo, s23
	s_delay_alu instid0(SALU_CYCLE_1)
	s_and_b32 s23, s31, exec_lo
.LBB39_112:                             ;   in Loop: Header=BB39_15 Depth=1
	s_or_b32 exec_lo, exec_lo, s29
.LBB39_113:                             ;   in Loop: Header=BB39_15 Depth=1
	s_delay_alu instid0(SALU_CYCLE_1)
	s_and_b32 vcc_lo, exec_lo, s27
	s_cbranch_vccz .LBB39_125
; %bb.114:                              ;   in Loop: Header=BB39_15 Depth=1
                                        ; implicit-def: $vgpr3
	s_and_saveexec_b32 s24, s13
	s_cbranch_execz .LBB39_124
; %bb.115:                              ;   in Loop: Header=BB39_15 Depth=1
	v_dual_mov_b32 v4, v10 :: v_dual_mov_b32 v16, v0
	s_mov_b32 s25, 0
                                        ; implicit-def: $sgpr26
	s_branch .LBB39_118
.LBB39_116:                             ;   in Loop: Header=BB39_118 Depth=2
	s_or_b32 exec_lo, exec_lo, s27
	s_wait_dscnt 0x0
	s_barrier_signal -1
	s_barrier_wait -1
	ds_load_b64 v[2:3], v13 offset:3072
	s_mov_b32 s27, -1
	s_mov_b32 s29, -1
	s_wait_dscnt 0x0
	s_barrier_signal -1
	s_barrier_wait -1
	v_cmp_ne_u32_e32 vcc_lo, 0, v2
	s_cbranch_vccz .LBB39_121
.LBB39_117:                             ;   in Loop: Header=BB39_118 Depth=2
	s_and_b32 s27, exec_lo, s27
	s_delay_alu instid0(SALU_CYCLE_1) | instskip(SKIP_2) | instid1(SALU_CYCLE_1)
	s_or_b32 s25, s27, s25
	s_and_not1_b32 s26, s26, exec_lo
	s_and_b32 s27, s29, exec_lo
	s_or_b32 s26, s26, s27
	s_and_not1_b32 exec_lo, exec_lo, s25
	s_cbranch_execz .LBB39_123
.LBB39_118:                             ;   Parent Loop BB39_15 Depth=1
                                        ; =>  This Inner Loop Header: Depth=2
	s_mov_b32 s27, exec_lo
	s_delay_alu instid0(VALU_DEP_1)
	v_cmpx_gt_u32_e64 s36, v16
	s_cbranch_execz .LBB39_116
; %bb.119:                              ;   in Loop: Header=BB39_118 Depth=2
	global_load_b32 v19, v4, s[38:39] scale_offset
	s_wait_loadcnt 0x0
	v_bitop3_b32 v2, v19, v12, 0x80000000 bitop3:0x48
	s_delay_alu instid0(VALU_DEP_1)
	v_cmp_eq_u32_e32 vcc_lo, v2, v5
	s_and_b32 exec_lo, exec_lo, vcc_lo
	s_cbranch_execz .LBB39_116
; %bb.120:                              ;   in Loop: Header=BB39_118 Depth=2
	ds_store_b64 v13, v[18:19] offset:3072
	s_branch .LBB39_116
.LBB39_121:                             ;   in Loop: Header=BB39_118 Depth=2
	v_add_nc_u32_e32 v16, s40, v16
	v_add_nc_u32_e32 v4, s56, v4
	s_mov_b32 s29, 0
	s_delay_alu instid0(VALU_DEP_2)
	v_cmp_le_u32_e32 vcc_lo, s76, v16
	s_or_not1_b32 s27, vcc_lo, exec_lo
	s_branch .LBB39_117
.LBB39_122:                             ;   in Loop: Header=BB39_15 Depth=1
	s_mov_b64 s[14:15], 0x100000000
	v_mov_b64_e32 v[2:3], 0
	s_and_not1_b32 vcc_lo, exec_lo, s72
	s_mov_b32 s18, s69
	s_cbranch_vccz .LBB39_72
	s_branch .LBB39_73
.LBB39_123:                             ;   in Loop: Header=BB39_15 Depth=1
	s_or_b32 exec_lo, exec_lo, s25
	s_delay_alu instid0(SALU_CYCLE_1) | instskip(SKIP_1) | instid1(SALU_CYCLE_1)
	s_and_not1_b32 s23, s23, exec_lo
	s_and_b32 s25, s26, exec_lo
	s_or_b32 s23, s23, s25
.LBB39_124:                             ;   in Loop: Header=BB39_15 Depth=1
	s_or_b32 exec_lo, exec_lo, s24
	s_mov_b32 s24, 0
	s_mov_b32 s25, -1
.LBB39_125:                             ;   in Loop: Header=BB39_15 Depth=1
	s_or_not1_b32 s29, s23, exec_lo
.LBB39_126:                             ;   in Loop: Header=BB39_15 Depth=1
	s_or_b32 exec_lo, exec_lo, s15
	s_mov_b32 s26, 0
	s_mov_b32 s23, 0
	;; [unrolled: 1-line block ×3, first 2 shown]
                                        ; implicit-def: $vgpr35
                                        ; implicit-def: $vgpr4
	s_and_saveexec_b32 s27, s29
	s_cbranch_execz .LBB39_256
; %bb.127:                              ;   in Loop: Header=BB39_15 Depth=1
	v_dual_mov_b32 v35, 1 :: v_dual_mov_b32 v4, 1
	s_xor_b32 s23, s28, -1
	s_mov_b32 s30, 0
	s_and_saveexec_b32 s15, s23
	s_cbranch_execz .LBB39_136
; %bb.128:                              ;   in Loop: Header=BB39_15 Depth=1
	s_mov_b32 s23, exec_lo
	v_cmpx_ge_u32_e64 s17, v34
	s_xor_b32 s23, exec_lo, s23
	s_cbranch_execz .LBB39_133
; %bb.129:                              ;   in Loop: Header=BB39_15 Depth=1
	ds_load_b32 v2, v13 offset:4096
	v_and_b32_e32 v5, s19, v5
	v_or_b32_e32 v12, s18, v12
	s_wait_dscnt 0x0
	v_cmp_ne_u32_e32 vcc_lo, 0, v2
	s_cbranch_vccnz .LBB39_133
; %bb.130:                              ;   in Loop: Header=BB39_15 Depth=1
	s_and_saveexec_b32 s28, s5
; %bb.131:                              ;   in Loop: Header=BB39_15 Depth=1
	v_mov_b32_e32 v2, s17
	ds_store_b32 v13, v2 offset:4100
; %bb.132:                              ;   in Loop: Header=BB39_15 Depth=1
	s_or_b32 exec_lo, exec_lo, s28
	s_wait_dscnt 0x0
	s_barrier_signal -1
	s_barrier_wait -1
.LBB39_133:                             ;   in Loop: Header=BB39_15 Depth=1
	s_or_saveexec_b32 s23, s23
	v_dual_mov_b32 v4, 8 :: v_dual_mov_b32 v35, v34
	s_mov_b32 s28, 0
	s_xor_b32 exec_lo, exec_lo, s23
; %bb.134:                              ;   in Loop: Header=BB39_15 Depth=1
	v_subrev_nc_u32_e32 v35, s17, v34
	v_mov_b32_e32 v4, 0
	s_mov_b32 s28, exec_lo
; %bb.135:                              ;   in Loop: Header=BB39_15 Depth=1
	s_or_b32 exec_lo, exec_lo, s23
	s_delay_alu instid0(SALU_CYCLE_1)
	s_and_b32 s30, s28, exec_lo
.LBB39_136:                             ;   in Loop: Header=BB39_15 Depth=1
	s_or_b32 exec_lo, exec_lo, s15
	s_mov_b32 s29, -1
                                        ; implicit-def: $sgpr23
                                        ; implicit-def: $sgpr28
	s_and_saveexec_b32 s15, s30
	s_delay_alu instid0(SALU_CYCLE_1)
	s_xor_b32 s15, exec_lo, s15
	s_cbranch_execz .LBB39_253
; %bb.137:                              ;   in Loop: Header=BB39_15 Depth=1
	v_cmp_eq_u32_e32 vcc_lo, 1, v35
	s_cmp_eq_u32 s20, 1
	s_mov_b32 s31, -1
	s_cselect_b32 s23, -1, 0
                                        ; implicit-def: $sgpr28
	s_delay_alu instid0(SALU_CYCLE_1) | instskip(NEXT) | instid1(SALU_CYCLE_1)
	s_and_b32 s30, s23, vcc_lo
                                        ; implicit-def: $sgpr23
	s_and_saveexec_b32 s29, s30
	s_cbranch_execz .LBB39_163
; %bb.138:                              ;   in Loop: Header=BB39_15 Depth=1
	ds_load_b32 v2, v13 offset:4096
	s_wait_dscnt 0x0
	s_barrier_signal -1
	s_barrier_wait -1
	v_readfirstlane_b32 s33, v2
	s_and_saveexec_b32 s23, s6
; %bb.139:                              ;   in Loop: Header=BB39_15 Depth=1
	ds_store_b32 v11, v13
; %bb.140:                              ;   in Loop: Header=BB39_15 Depth=1
	s_or_b32 exec_lo, exec_lo, s23
	s_lshl_b32 s23, 1, s79
	v_or_b32_e32 v12, s18, v12
	v_and_or_b32 v5, v5, s19, s23
	s_mov_b32 s23, -1
	s_mov_b32 s28, 0
	s_cmp_eq_u32 s33, 0
	s_mov_b32 s31, 0
	s_mov_b32 s34, -1
	s_wait_dscnt 0x0
	s_barrier_signal -1
	s_barrier_wait -1
                                        ; implicit-def: $vgpr3
	s_cbranch_scc1 .LBB39_151
; %bb.141:                              ;   in Loop: Header=BB39_15 Depth=1
	s_add_co_i32 s46, s33, s65
                                        ; implicit-def: $vgpr3
	s_delay_alu instid0(SALU_CYCLE_1) | instskip(NEXT) | instid1(SALU_CYCLE_1)
	s_mul_u64 s[92:93], s[46:47], s[50:51]
	s_mul_i32 s31, s93, s40
	s_delay_alu instid0(SALU_CYCLE_1) | instskip(NEXT) | instid1(SALU_CYCLE_1)
	s_sub_co_i32 s31, s46, s31
	s_sub_co_i32 s34, s31, s40
	s_cmp_ge_u32 s31, s40
	s_cselect_b32 s31, s34, s31
	s_delay_alu instid0(SALU_CYCLE_1)
	s_sub_co_i32 s34, s31, s40
	s_cmp_ge_u32 s31, s40
	s_cselect_b32 s31, s34, s31
	s_mov_b32 s34, 0
	s_sub_co_i32 s92, s46, s31
	s_mov_b32 s31, 0
	s_mov_b32 s46, exec_lo
	v_cmpx_gt_u32_e64 s92, v0
	s_cbranch_execz .LBB39_150
; %bb.142:                              ;   in Loop: Header=BB39_15 Depth=1
	v_dual_mov_b32 v16, v1 :: v_dual_mov_b32 v36, v0
                                        ; implicit-def: $sgpr93
	s_branch .LBB39_145
.LBB39_143:                             ;   in Loop: Header=BB39_145 Depth=2
	s_or_b32 exec_lo, exec_lo, s94
	s_wait_dscnt 0x0
	s_barrier_signal -1
	s_barrier_wait -1
	ds_load_b64 v[2:3], v13 offset:3072
	s_mov_b32 s94, -1
	s_mov_b32 s95, -1
	s_wait_dscnt 0x0
	s_barrier_signal -1
	s_barrier_wait -1
	v_cmp_ne_u32_e32 vcc_lo, 0, v2
	s_cbranch_vccz .LBB39_148
.LBB39_144:                             ;   in Loop: Header=BB39_145 Depth=2
	s_and_b32 s94, exec_lo, s94
	s_delay_alu instid0(SALU_CYCLE_1) | instskip(SKIP_2) | instid1(SALU_CYCLE_1)
	s_or_b32 s31, s94, s31
	s_and_not1_b32 s93, s93, exec_lo
	s_and_b32 s94, s95, exec_lo
	s_or_b32 s93, s93, s94
	s_and_not1_b32 exec_lo, exec_lo, s31
	s_cbranch_execz .LBB39_149
.LBB39_145:                             ;   Parent Loop BB39_15 Depth=1
                                        ; =>  This Inner Loop Header: Depth=2
	s_mov_b32 s94, exec_lo
	s_delay_alu instid0(VALU_DEP_1)
	v_cmpx_gt_u32_e64 s33, v36
	s_cbranch_execz .LBB39_143
; %bb.146:                              ;   in Loop: Header=BB39_145 Depth=2
	ds_load_b32 v19, v16
	s_wait_dscnt 0x0
	v_bitop3_b32 v2, v19, v12, 0x80000000 bitop3:0x48
	s_delay_alu instid0(VALU_DEP_1)
	v_cmp_eq_u32_e32 vcc_lo, v2, v5
	s_and_b32 exec_lo, exec_lo, vcc_lo
	s_cbranch_execz .LBB39_143
; %bb.147:                              ;   in Loop: Header=BB39_145 Depth=2
	ds_store_b64 v13, v[18:19] offset:3072
	s_branch .LBB39_143
.LBB39_148:                             ;   in Loop: Header=BB39_145 Depth=2
	v_add_nc_u32_e32 v36, s40, v36
	v_add_nc_u32_e32 v16, s61, v16
	s_mov_b32 s95, 0
	s_delay_alu instid0(VALU_DEP_2)
	v_cmp_le_u32_e32 vcc_lo, s92, v36
	s_or_not1_b32 s94, vcc_lo, exec_lo
	s_branch .LBB39_144
.LBB39_149:                             ;   in Loop: Header=BB39_15 Depth=1
	s_or_b32 exec_lo, exec_lo, s31
	s_delay_alu instid0(SALU_CYCLE_1)
	s_and_b32 s31, s93, exec_lo
.LBB39_150:                             ;   in Loop: Header=BB39_15 Depth=1
	s_or_b32 exec_lo, exec_lo, s46
.LBB39_151:                             ;   in Loop: Header=BB39_15 Depth=1
	s_delay_alu instid0(SALU_CYCLE_1)
	s_and_b32 vcc_lo, exec_lo, s34
	s_cbranch_vccz .LBB39_162
; %bb.152:                              ;   in Loop: Header=BB39_15 Depth=1
                                        ; implicit-def: $vgpr3
	s_and_saveexec_b32 s23, s13
	s_cbranch_execz .LBB39_161
; %bb.153:                              ;   in Loop: Header=BB39_15 Depth=1
	v_dual_mov_b32 v16, v10 :: v_dual_mov_b32 v36, v0
	s_mov_b32 s28, 0
                                        ; implicit-def: $sgpr33
	s_branch .LBB39_156
.LBB39_154:                             ;   in Loop: Header=BB39_156 Depth=2
	s_or_b32 exec_lo, exec_lo, s34
	s_wait_dscnt 0x0
	s_barrier_signal -1
	s_barrier_wait -1
	ds_load_b64 v[2:3], v13 offset:3072
	s_mov_b32 s34, -1
	s_mov_b32 s46, -1
	s_wait_dscnt 0x0
	s_barrier_signal -1
	s_barrier_wait -1
	v_cmp_eq_u32_e32 vcc_lo, 0, v2
	s_cbranch_vccnz .LBB39_159
.LBB39_155:                             ;   in Loop: Header=BB39_156 Depth=2
	s_and_b32 s34, exec_lo, s34
	s_delay_alu instid0(SALU_CYCLE_1) | instskip(SKIP_2) | instid1(SALU_CYCLE_1)
	s_or_b32 s28, s34, s28
	s_and_not1_b32 s33, s33, exec_lo
	s_and_b32 s34, s46, exec_lo
	s_or_b32 s33, s33, s34
	s_and_not1_b32 exec_lo, exec_lo, s28
	s_cbranch_execz .LBB39_160
.LBB39_156:                             ;   Parent Loop BB39_15 Depth=1
                                        ; =>  This Inner Loop Header: Depth=2
	s_mov_b32 s34, exec_lo
	s_delay_alu instid0(VALU_DEP_1)
	v_cmpx_gt_u32_e64 s36, v36
	s_cbranch_execz .LBB39_154
; %bb.157:                              ;   in Loop: Header=BB39_156 Depth=2
	global_load_b32 v19, v16, s[38:39] scale_offset
	s_wait_loadcnt 0x0
	v_bitop3_b32 v2, v19, v12, 0x80000000 bitop3:0x48
	s_delay_alu instid0(VALU_DEP_1)
	v_cmp_eq_u32_e32 vcc_lo, v2, v5
	s_and_b32 exec_lo, exec_lo, vcc_lo
	s_cbranch_execz .LBB39_154
; %bb.158:                              ;   in Loop: Header=BB39_156 Depth=2
	ds_store_b64 v13, v[18:19] offset:3072
	s_branch .LBB39_154
.LBB39_159:                             ;   in Loop: Header=BB39_156 Depth=2
	v_add_nc_u32_e32 v36, s40, v36
	v_add_nc_u32_e32 v16, s56, v16
	s_mov_b32 s46, 0
	s_delay_alu instid0(VALU_DEP_2)
	v_cmp_le_u32_e32 vcc_lo, s76, v36
	s_or_not1_b32 s34, vcc_lo, exec_lo
	s_branch .LBB39_155
.LBB39_160:                             ;   in Loop: Header=BB39_15 Depth=1
	s_or_b32 exec_lo, exec_lo, s28
	s_delay_alu instid0(SALU_CYCLE_1) | instskip(SKIP_1) | instid1(SALU_CYCLE_1)
	s_and_not1_b32 s28, s31, exec_lo
	s_and_b32 s31, s33, exec_lo
	s_or_b32 s31, s28, s31
.LBB39_161:                             ;   in Loop: Header=BB39_15 Depth=1
	s_or_b32 exec_lo, exec_lo, s23
	s_mov_b32 s23, 0
	s_mov_b32 s28, -1
.LBB39_162:                             ;   in Loop: Header=BB39_15 Depth=1
	s_or_not1_b32 s31, s31, exec_lo
.LBB39_163:                             ;   in Loop: Header=BB39_15 Depth=1
	s_or_b32 exec_lo, exec_lo, s29
	s_mov_b32 s33, 0
	s_and_saveexec_b32 s29, s31
	s_cbranch_execz .LBB39_252
; %bb.164:                              ;   in Loop: Header=BB39_15 Depth=1
	v_dual_mov_b32 v16, 1 :: v_dual_mov_b32 v4, 1
	s_xor_b32 s31, s30, -1
	s_mov_b32 s46, 0
	s_and_saveexec_b32 s30, s31
	s_cbranch_execz .LBB39_173
; %bb.165:                              ;   in Loop: Header=BB39_15 Depth=1
	s_mov_b32 s31, exec_lo
	v_cmpx_ge_u32_e64 s20, v35
	s_xor_b32 s31, exec_lo, s31
	s_cbranch_execz .LBB39_170
; %bb.166:                              ;   in Loop: Header=BB39_15 Depth=1
	ds_load_b32 v2, v13 offset:4096
	s_lshl_b32 s33, 1, s79
	v_or_b32_e32 v12, s18, v12
	v_and_or_b32 v5, v5, s19, s33
	s_wait_dscnt 0x0
	v_cmp_ne_u32_e32 vcc_lo, 0, v2
	s_cbranch_vccnz .LBB39_170
; %bb.167:                              ;   in Loop: Header=BB39_15 Depth=1
	s_and_saveexec_b32 s33, s5
; %bb.168:                              ;   in Loop: Header=BB39_15 Depth=1
	v_mov_b32_e32 v2, s20
	ds_store_b32 v13, v2 offset:4100
; %bb.169:                              ;   in Loop: Header=BB39_15 Depth=1
	s_or_b32 exec_lo, exec_lo, s33
	s_wait_dscnt 0x0
	s_barrier_signal -1
	s_barrier_wait -1
.LBB39_170:                             ;   in Loop: Header=BB39_15 Depth=1
	s_or_saveexec_b32 s31, s31
	v_mov_b32_e32 v4, 8
	s_mov_b32 s33, 0
	s_xor_b32 exec_lo, exec_lo, s31
; %bb.171:                              ;   in Loop: Header=BB39_15 Depth=1
	v_subrev_nc_u32_e32 v35, s20, v35
	v_mov_b32_e32 v4, 0
	s_mov_b32 s33, exec_lo
; %bb.172:                              ;   in Loop: Header=BB39_15 Depth=1
	s_or_b32 exec_lo, exec_lo, s31
	s_delay_alu instid0(VALU_DEP_2)
	v_mov_b32_e32 v16, v35
	s_and_b32 s46, s33, exec_lo
.LBB39_173:                             ;   in Loop: Header=BB39_15 Depth=1
	s_or_b32 exec_lo, exec_lo, s30
	s_mov_b32 s34, -1
                                        ; implicit-def: $sgpr31
                                        ; implicit-def: $sgpr33
	s_and_saveexec_b32 s30, s46
	s_cbranch_execz .LBB39_251
; %bb.174:                              ;   in Loop: Header=BB39_15 Depth=1
	v_cmp_eq_u32_e32 vcc_lo, 1, v16
	s_cmp_eq_u32 s21, 1
	s_mov_b32 s46, -1
	s_cselect_b32 s31, -1, 0
                                        ; implicit-def: $sgpr33
	s_delay_alu instid0(SALU_CYCLE_1) | instskip(NEXT) | instid1(SALU_CYCLE_1)
	s_and_b32 s92, s31, vcc_lo
                                        ; implicit-def: $sgpr31
	s_and_saveexec_b32 s34, s92
	s_cbranch_execz .LBB39_200
; %bb.175:                              ;   in Loop: Header=BB39_15 Depth=1
	ds_load_b32 v2, v13 offset:4096
	s_wait_dscnt 0x0
	s_barrier_signal -1
	s_barrier_wait -1
	v_readfirstlane_b32 s93, v2
	s_and_saveexec_b32 s31, s6
; %bb.176:                              ;   in Loop: Header=BB39_15 Depth=1
	ds_store_b32 v11, v13
; %bb.177:                              ;   in Loop: Header=BB39_15 Depth=1
	s_or_b32 exec_lo, exec_lo, s31
	s_lshl_b32 s31, 2, s79
	v_or_b32_e32 v12, s18, v12
	v_and_or_b32 v5, v5, s19, s31
	s_mov_b32 s31, -1
	s_mov_b32 s33, 0
	s_cmp_eq_u32 s93, 0
	s_mov_b32 s46, 0
	s_mov_b32 s94, -1
	s_wait_dscnt 0x0
	s_barrier_signal -1
	s_barrier_wait -1
                                        ; implicit-def: $vgpr3
	s_cbranch_scc1 .LBB39_188
; %bb.178:                              ;   in Loop: Header=BB39_15 Depth=1
	s_add_co_i32 s46, s93, s65
                                        ; implicit-def: $vgpr3
	s_delay_alu instid0(SALU_CYCLE_1) | instskip(NEXT) | instid1(SALU_CYCLE_1)
	s_mul_u64 s[94:95], s[46:47], s[50:51]
	s_mul_i32 s94, s95, s40
	s_delay_alu instid0(SALU_CYCLE_1) | instskip(NEXT) | instid1(SALU_CYCLE_1)
	s_sub_co_i32 s94, s46, s94
	s_sub_co_i32 s95, s94, s40
	s_cmp_ge_u32 s94, s40
	s_cselect_b32 s94, s95, s94
	s_delay_alu instid0(SALU_CYCLE_1)
	s_sub_co_i32 s95, s94, s40
	s_cmp_ge_u32 s94, s40
	s_cselect_b32 s94, s95, s94
	s_mov_b32 s95, exec_lo
	s_sub_co_i32 s96, s46, s94
	s_mov_b32 s94, 0
	s_mov_b32 s46, 0
	v_cmpx_gt_u32_e64 s96, v0
	s_cbranch_execz .LBB39_187
; %bb.179:                              ;   in Loop: Header=BB39_15 Depth=1
	v_dual_mov_b32 v35, v1 :: v_dual_mov_b32 v36, v0
                                        ; implicit-def: $sgpr97
	s_branch .LBB39_182
.LBB39_180:                             ;   in Loop: Header=BB39_182 Depth=2
	s_or_b32 exec_lo, exec_lo, s98
	s_wait_dscnt 0x0
	s_barrier_signal -1
	s_barrier_wait -1
	ds_load_b64 v[2:3], v13 offset:3072
	s_mov_b32 s98, -1
	s_mov_b32 s99, -1
	s_wait_dscnt 0x0
	s_barrier_signal -1
	s_barrier_wait -1
	v_cmp_ne_u32_e32 vcc_lo, 0, v2
	s_cbranch_vccz .LBB39_185
.LBB39_181:                             ;   in Loop: Header=BB39_182 Depth=2
	s_and_b32 s98, exec_lo, s98
	s_delay_alu instid0(SALU_CYCLE_1) | instskip(SKIP_2) | instid1(SALU_CYCLE_1)
	s_or_b32 s46, s98, s46
	s_and_not1_b32 s97, s97, exec_lo
	s_and_b32 s98, s99, exec_lo
	s_or_b32 s97, s97, s98
	s_and_not1_b32 exec_lo, exec_lo, s46
	s_cbranch_execz .LBB39_186
.LBB39_182:                             ;   Parent Loop BB39_15 Depth=1
                                        ; =>  This Inner Loop Header: Depth=2
	s_mov_b32 s98, exec_lo
	s_delay_alu instid0(VALU_DEP_1)
	v_cmpx_gt_u32_e64 s93, v36
	s_cbranch_execz .LBB39_180
; %bb.183:                              ;   in Loop: Header=BB39_182 Depth=2
	ds_load_b32 v19, v35
	s_wait_dscnt 0x0
	v_bitop3_b32 v2, v19, v12, 0x80000000 bitop3:0x48
	s_delay_alu instid0(VALU_DEP_1)
	v_cmp_eq_u32_e32 vcc_lo, v2, v5
	s_and_b32 exec_lo, exec_lo, vcc_lo
	s_cbranch_execz .LBB39_180
; %bb.184:                              ;   in Loop: Header=BB39_182 Depth=2
	ds_store_b64 v13, v[18:19] offset:3072
	s_branch .LBB39_180
.LBB39_185:                             ;   in Loop: Header=BB39_182 Depth=2
	v_dual_add_nc_u32 v36, s40, v36 :: v_dual_add_nc_u32 v35, s61, v35
	s_mov_b32 s99, 0
	s_delay_alu instid0(VALU_DEP_1)
	v_cmp_le_u32_e32 vcc_lo, s96, v36
	s_or_not1_b32 s98, vcc_lo, exec_lo
	s_branch .LBB39_181
.LBB39_186:                             ;   in Loop: Header=BB39_15 Depth=1
	s_or_b32 exec_lo, exec_lo, s46
	s_delay_alu instid0(SALU_CYCLE_1)
	s_and_b32 s46, s97, exec_lo
.LBB39_187:                             ;   in Loop: Header=BB39_15 Depth=1
	s_or_b32 exec_lo, exec_lo, s95
.LBB39_188:                             ;   in Loop: Header=BB39_15 Depth=1
	s_delay_alu instid0(SALU_CYCLE_1)
	s_and_b32 vcc_lo, exec_lo, s94
	s_cbranch_vccz .LBB39_199
; %bb.189:                              ;   in Loop: Header=BB39_15 Depth=1
                                        ; implicit-def: $vgpr3
	s_and_saveexec_b32 s31, s13
	s_cbranch_execz .LBB39_198
; %bb.190:                              ;   in Loop: Header=BB39_15 Depth=1
	v_dual_mov_b32 v35, v10 :: v_dual_mov_b32 v36, v0
	s_mov_b32 s33, 0
                                        ; implicit-def: $sgpr93
	s_branch .LBB39_193
.LBB39_191:                             ;   in Loop: Header=BB39_193 Depth=2
	s_or_b32 exec_lo, exec_lo, s94
	s_wait_dscnt 0x0
	s_barrier_signal -1
	s_barrier_wait -1
	ds_load_b64 v[2:3], v13 offset:3072
	s_mov_b32 s94, -1
	s_mov_b32 s95, -1
	s_wait_dscnt 0x0
	s_barrier_signal -1
	s_barrier_wait -1
	v_cmp_eq_u32_e32 vcc_lo, 0, v2
	s_cbranch_vccnz .LBB39_196
.LBB39_192:                             ;   in Loop: Header=BB39_193 Depth=2
	s_and_b32 s94, exec_lo, s94
	s_delay_alu instid0(SALU_CYCLE_1) | instskip(SKIP_2) | instid1(SALU_CYCLE_1)
	s_or_b32 s33, s94, s33
	s_and_not1_b32 s93, s93, exec_lo
	s_and_b32 s94, s95, exec_lo
	s_or_b32 s93, s93, s94
	s_and_not1_b32 exec_lo, exec_lo, s33
	s_cbranch_execz .LBB39_197
.LBB39_193:                             ;   Parent Loop BB39_15 Depth=1
                                        ; =>  This Inner Loop Header: Depth=2
	s_mov_b32 s94, exec_lo
	s_delay_alu instid0(VALU_DEP_1)
	v_cmpx_gt_u32_e64 s36, v36
	s_cbranch_execz .LBB39_191
; %bb.194:                              ;   in Loop: Header=BB39_193 Depth=2
	global_load_b32 v19, v35, s[38:39] scale_offset
	s_wait_loadcnt 0x0
	v_bitop3_b32 v2, v19, v12, 0x80000000 bitop3:0x48
	s_delay_alu instid0(VALU_DEP_1)
	v_cmp_eq_u32_e32 vcc_lo, v2, v5
	s_and_b32 exec_lo, exec_lo, vcc_lo
	s_cbranch_execz .LBB39_191
; %bb.195:                              ;   in Loop: Header=BB39_193 Depth=2
	ds_store_b64 v13, v[18:19] offset:3072
	s_branch .LBB39_191
.LBB39_196:                             ;   in Loop: Header=BB39_193 Depth=2
	v_dual_add_nc_u32 v36, s40, v36 :: v_dual_add_nc_u32 v35, s56, v35
	s_mov_b32 s95, 0
	s_delay_alu instid0(VALU_DEP_1)
	v_cmp_le_u32_e32 vcc_lo, s76, v36
	s_or_not1_b32 s94, vcc_lo, exec_lo
	s_branch .LBB39_192
.LBB39_197:                             ;   in Loop: Header=BB39_15 Depth=1
	s_or_b32 exec_lo, exec_lo, s33
	s_delay_alu instid0(SALU_CYCLE_1) | instskip(SKIP_1) | instid1(SALU_CYCLE_1)
	s_and_not1_b32 s33, s46, exec_lo
	s_and_b32 s46, s93, exec_lo
	s_or_b32 s46, s33, s46
.LBB39_198:                             ;   in Loop: Header=BB39_15 Depth=1
	s_or_b32 exec_lo, exec_lo, s31
	s_mov_b32 s31, 0
	s_mov_b32 s33, -1
.LBB39_199:                             ;   in Loop: Header=BB39_15 Depth=1
	s_or_not1_b32 s46, s46, exec_lo
.LBB39_200:                             ;   in Loop: Header=BB39_15 Depth=1
	s_or_b32 exec_lo, exec_lo, s34
	s_mov_b32 s93, 0
	s_and_saveexec_b32 s34, s46
	s_cbranch_execz .LBB39_250
; %bb.201:                              ;   in Loop: Header=BB39_15 Depth=1
	v_dual_mov_b32 v35, 1 :: v_dual_mov_b32 v4, 1
	s_xor_b32 s92, s92, -1
	s_mov_b32 s94, 0
	s_and_saveexec_b32 s46, s92
	s_cbranch_execz .LBB39_210
; %bb.202:                              ;   in Loop: Header=BB39_15 Depth=1
	s_mov_b32 s92, exec_lo
	v_cmpx_ge_u32_e64 s21, v16
	s_xor_b32 s92, exec_lo, s92
	s_cbranch_execz .LBB39_207
; %bb.203:                              ;   in Loop: Header=BB39_15 Depth=1
	ds_load_b32 v2, v13 offset:4096
	s_lshl_b32 s93, 2, s79
	v_or_b32_e32 v12, s18, v12
	v_and_or_b32 v5, v5, s19, s93
	s_wait_dscnt 0x0
	v_cmp_ne_u32_e32 vcc_lo, 0, v2
	s_cbranch_vccnz .LBB39_207
; %bb.204:                              ;   in Loop: Header=BB39_15 Depth=1
	s_and_saveexec_b32 s93, s5
; %bb.205:                              ;   in Loop: Header=BB39_15 Depth=1
	v_mov_b32_e32 v2, s21
	ds_store_b32 v13, v2 offset:4100
; %bb.206:                              ;   in Loop: Header=BB39_15 Depth=1
	s_or_b32 exec_lo, exec_lo, s93
	s_wait_dscnt 0x0
	s_barrier_signal -1
	s_barrier_wait -1
.LBB39_207:                             ;   in Loop: Header=BB39_15 Depth=1
	s_or_saveexec_b32 s92, s92
	v_mov_b32_e32 v4, 8
	s_mov_b32 s93, 0
	s_xor_b32 exec_lo, exec_lo, s92
; %bb.208:                              ;   in Loop: Header=BB39_15 Depth=1
	v_subrev_nc_u32_e32 v16, s21, v16
	v_mov_b32_e32 v4, 0
	s_mov_b32 s93, exec_lo
; %bb.209:                              ;   in Loop: Header=BB39_15 Depth=1
	s_or_b32 exec_lo, exec_lo, s92
	s_delay_alu instid0(VALU_DEP_2)
	v_mov_b32_e32 v35, v16
	s_and_b32 s94, s93, exec_lo
.LBB39_210:                             ;   in Loop: Header=BB39_15 Depth=1
	s_or_b32 exec_lo, exec_lo, s46
	s_mov_b32 s46, -1
                                        ; implicit-def: $sgpr95
                                        ; implicit-def: $sgpr93
	s_and_saveexec_b32 s92, s94
	s_cbranch_execz .LBB39_249
; %bb.211:                              ;   in Loop: Header=BB39_15 Depth=1
	v_cmp_eq_u32_e32 vcc_lo, 1, v35
	s_cmp_eq_u32 s22, 1
	s_mov_b32 s97, -1
	s_cselect_b32 s46, -1, 0
                                        ; implicit-def: $sgpr95
                                        ; implicit-def: $sgpr93
	s_delay_alu instid0(SALU_CYCLE_1) | instskip(NEXT) | instid1(SALU_CYCLE_1)
	s_and_b32 s94, s46, vcc_lo
	s_and_saveexec_b32 s96, s94
	s_cbranch_execz .LBB39_237
; %bb.212:                              ;   in Loop: Header=BB39_15 Depth=1
	ds_load_b32 v2, v13 offset:4096
	s_wait_dscnt 0x0
	s_barrier_signal -1
	s_barrier_wait -1
	v_readfirstlane_b32 s97, v2
	s_and_saveexec_b32 s46, s6
; %bb.213:                              ;   in Loop: Header=BB39_15 Depth=1
	ds_store_b32 v11, v13
; %bb.214:                              ;   in Loop: Header=BB39_15 Depth=1
	s_or_b32 exec_lo, exec_lo, s46
	v_or_b32_e32 v5, s18, v5
	v_or_b32_e32 v12, s18, v12
	s_mov_b32 s93, -1
	s_mov_b32 s95, 0
	s_cmp_eq_u32 s97, 0
	s_mov_b32 s46, 0
	s_mov_b32 s98, -1
	s_wait_dscnt 0x0
	s_barrier_signal -1
	s_barrier_wait -1
                                        ; implicit-def: $vgpr3
	s_cbranch_scc1 .LBB39_225
; %bb.215:                              ;   in Loop: Header=BB39_15 Depth=1
	s_add_co_i32 s46, s97, s65
                                        ; implicit-def: $vgpr3
	s_delay_alu instid0(SALU_CYCLE_1) | instskip(NEXT) | instid1(SALU_CYCLE_1)
	s_mul_u64 s[98:99], s[46:47], s[50:51]
	s_mul_i32 s98, s99, s40
	s_delay_alu instid0(SALU_CYCLE_1) | instskip(NEXT) | instid1(SALU_CYCLE_1)
	s_sub_co_i32 s98, s46, s98
	s_sub_co_i32 s99, s98, s40
	s_cmp_ge_u32 s98, s40
	s_cselect_b32 s98, s99, s98
	s_delay_alu instid0(SALU_CYCLE_1)
	s_sub_co_i32 s99, s98, s40
	s_cmp_ge_u32 s98, s40
	s_cselect_b32 s98, s99, s98
	s_mov_b32 s99, exec_lo
	s_sub_co_i32 s100, s46, s98
	s_mov_b32 s98, 0
	s_mov_b32 s46, 0
	v_cmpx_gt_u32_e64 s100, v0
	s_cbranch_execz .LBB39_224
; %bb.216:                              ;   in Loop: Header=BB39_15 Depth=1
	v_dual_mov_b32 v16, v1 :: v_dual_mov_b32 v36, v0
                                        ; implicit-def: $sgpr101
	s_branch .LBB39_219
.LBB39_217:                             ;   in Loop: Header=BB39_219 Depth=2
	s_or_b32 exec_lo, exec_lo, s102
	s_wait_dscnt 0x0
	s_barrier_signal -1
	s_barrier_wait -1
	ds_load_b64 v[2:3], v13 offset:3072
	s_mov_b32 s102, -1
	s_mov_b32 s103, -1
	s_wait_dscnt 0x0
	s_barrier_signal -1
	s_barrier_wait -1
	v_cmp_ne_u32_e32 vcc_lo, 0, v2
	s_cbranch_vccz .LBB39_222
.LBB39_218:                             ;   in Loop: Header=BB39_219 Depth=2
	s_and_b32 s102, exec_lo, s102
	s_delay_alu instid0(SALU_CYCLE_1) | instskip(SKIP_2) | instid1(SALU_CYCLE_1)
	s_or_b32 s46, s102, s46
	s_and_not1_b32 s101, s101, exec_lo
	s_and_b32 s102, s103, exec_lo
	s_or_b32 s101, s101, s102
	s_and_not1_b32 exec_lo, exec_lo, s46
	s_cbranch_execz .LBB39_223
.LBB39_219:                             ;   Parent Loop BB39_15 Depth=1
                                        ; =>  This Inner Loop Header: Depth=2
	s_mov_b32 s102, exec_lo
	s_delay_alu instid0(VALU_DEP_1)
	v_cmpx_gt_u32_e64 s97, v36
	s_cbranch_execz .LBB39_217
; %bb.220:                              ;   in Loop: Header=BB39_219 Depth=2
	ds_load_b32 v19, v16
	s_wait_dscnt 0x0
	v_bitop3_b32 v2, v19, v12, 0x80000000 bitop3:0x48
	s_delay_alu instid0(VALU_DEP_1)
	v_cmp_eq_u32_e32 vcc_lo, v2, v5
	s_and_b32 exec_lo, exec_lo, vcc_lo
	s_cbranch_execz .LBB39_217
; %bb.221:                              ;   in Loop: Header=BB39_219 Depth=2
	ds_store_b64 v13, v[18:19] offset:3072
	s_branch .LBB39_217
.LBB39_222:                             ;   in Loop: Header=BB39_219 Depth=2
	v_add_nc_u32_e32 v36, s40, v36
	v_add_nc_u32_e32 v16, s61, v16
	s_mov_b32 s103, 0
	s_delay_alu instid0(VALU_DEP_2)
	v_cmp_le_u32_e32 vcc_lo, s100, v36
	s_or_not1_b32 s102, vcc_lo, exec_lo
	s_branch .LBB39_218
.LBB39_223:                             ;   in Loop: Header=BB39_15 Depth=1
	s_or_b32 exec_lo, exec_lo, s46
	s_delay_alu instid0(SALU_CYCLE_1)
	s_and_b32 s46, s101, exec_lo
.LBB39_224:                             ;   in Loop: Header=BB39_15 Depth=1
	s_or_b32 exec_lo, exec_lo, s99
.LBB39_225:                             ;   in Loop: Header=BB39_15 Depth=1
	s_delay_alu instid0(SALU_CYCLE_1)
	s_and_b32 vcc_lo, exec_lo, s98
	s_cbranch_vccz .LBB39_236
; %bb.226:                              ;   in Loop: Header=BB39_15 Depth=1
                                        ; implicit-def: $vgpr3
	s_and_saveexec_b32 s93, s13
	s_cbranch_execz .LBB39_235
; %bb.227:                              ;   in Loop: Header=BB39_15 Depth=1
	v_dual_mov_b32 v16, v10 :: v_dual_mov_b32 v36, v0
	s_mov_b32 s95, 0
                                        ; implicit-def: $sgpr97
	s_branch .LBB39_230
.LBB39_228:                             ;   in Loop: Header=BB39_230 Depth=2
	s_or_b32 exec_lo, exec_lo, s98
	s_wait_dscnt 0x0
	s_barrier_signal -1
	s_barrier_wait -1
	ds_load_b64 v[2:3], v13 offset:3072
	s_mov_b32 s98, -1
	s_mov_b32 s99, -1
	s_wait_dscnt 0x0
	s_barrier_signal -1
	s_barrier_wait -1
	v_cmp_eq_u32_e32 vcc_lo, 0, v2
	s_cbranch_vccnz .LBB39_233
.LBB39_229:                             ;   in Loop: Header=BB39_230 Depth=2
	s_and_b32 s98, exec_lo, s98
	s_delay_alu instid0(SALU_CYCLE_1) | instskip(SKIP_2) | instid1(SALU_CYCLE_1)
	s_or_b32 s95, s98, s95
	s_and_not1_b32 s97, s97, exec_lo
	s_and_b32 s98, s99, exec_lo
	s_or_b32 s97, s97, s98
	s_and_not1_b32 exec_lo, exec_lo, s95
	s_cbranch_execz .LBB39_234
.LBB39_230:                             ;   Parent Loop BB39_15 Depth=1
                                        ; =>  This Inner Loop Header: Depth=2
	s_mov_b32 s98, exec_lo
	s_delay_alu instid0(VALU_DEP_1)
	v_cmpx_gt_u32_e64 s36, v36
	s_cbranch_execz .LBB39_228
; %bb.231:                              ;   in Loop: Header=BB39_230 Depth=2
	global_load_b32 v19, v16, s[38:39] scale_offset
	s_wait_loadcnt 0x0
	v_bitop3_b32 v2, v19, v12, 0x80000000 bitop3:0x48
	s_delay_alu instid0(VALU_DEP_1)
	v_cmp_eq_u32_e32 vcc_lo, v2, v5
	s_and_b32 exec_lo, exec_lo, vcc_lo
	s_cbranch_execz .LBB39_228
; %bb.232:                              ;   in Loop: Header=BB39_230 Depth=2
	ds_store_b64 v13, v[18:19] offset:3072
	s_branch .LBB39_228
.LBB39_233:                             ;   in Loop: Header=BB39_230 Depth=2
	v_add_nc_u32_e32 v36, s40, v36
	v_add_nc_u32_e32 v16, s56, v16
	s_mov_b32 s99, 0
	s_delay_alu instid0(VALU_DEP_2)
	v_cmp_le_u32_e32 vcc_lo, s76, v36
	s_or_not1_b32 s98, vcc_lo, exec_lo
	s_branch .LBB39_229
.LBB39_234:                             ;   in Loop: Header=BB39_15 Depth=1
	s_or_b32 exec_lo, exec_lo, s95
	s_delay_alu instid0(SALU_CYCLE_1) | instskip(SKIP_1) | instid1(SALU_CYCLE_1)
	s_and_not1_b32 s46, s46, exec_lo
	s_and_b32 s95, s97, exec_lo
	s_or_b32 s46, s46, s95
.LBB39_235:                             ;   in Loop: Header=BB39_15 Depth=1
	s_or_b32 exec_lo, exec_lo, s93
	s_mov_b32 s93, 0
	s_mov_b32 s95, -1
.LBB39_236:                             ;   in Loop: Header=BB39_15 Depth=1
	s_or_not1_b32 s97, s46, exec_lo
.LBB39_237:                             ;   in Loop: Header=BB39_15 Depth=1
	s_or_b32 exec_lo, exec_lo, s96
	s_mov_b32 s96, 0
	s_and_saveexec_b32 s46, s97
	s_cbranch_execz .LBB39_248
; %bb.238:                              ;   in Loop: Header=BB39_15 Depth=1
	v_dual_mov_b32 v4, 1 :: v_dual_mov_b32 v2, 1
	s_xor_b32 s96, s94, -1
	s_delay_alu instid0(SALU_CYCLE_1)
	s_and_saveexec_b32 s94, s96
	s_cbranch_execz .LBB39_247
; %bb.239:                              ;   in Loop: Header=BB39_15 Depth=1
	s_mov_b32 s96, exec_lo
	v_cmpx_ge_u32_e64 s22, v35
	s_xor_b32 s96, exec_lo, s96
	s_cbranch_execz .LBB39_244
; %bb.240:                              ;   in Loop: Header=BB39_15 Depth=1
	ds_load_b32 v2, v13 offset:4096
	v_or_b32_e32 v5, s18, v5
	v_or_b32_e32 v12, s18, v12
	s_wait_dscnt 0x0
	v_cmp_ne_u32_e32 vcc_lo, 0, v2
	s_cbranch_vccnz .LBB39_244
; %bb.241:                              ;   in Loop: Header=BB39_15 Depth=1
	s_and_saveexec_b32 s97, s5
; %bb.242:                              ;   in Loop: Header=BB39_15 Depth=1
	v_mov_b32_e32 v2, s22
	ds_store_b32 v13, v2 offset:4100
; %bb.243:                              ;   in Loop: Header=BB39_15 Depth=1
	s_or_b32 exec_lo, exec_lo, s97
	s_wait_dscnt 0x0
	s_barrier_signal -1
	s_barrier_wait -1
.LBB39_244:                             ;   in Loop: Header=BB39_15 Depth=1
	s_and_not1_saveexec_b32 s96, s96
; %bb.245:                              ;   in Loop: Header=BB39_15 Depth=1
	v_subrev_nc_u32_e32 v35, s22, v35
; %bb.246:                              ;   in Loop: Header=BB39_15 Depth=1
	s_or_b32 exec_lo, exec_lo, s96
	s_delay_alu instid0(VALU_DEP_1)
	v_dual_mov_b32 v4, 8 :: v_dual_mov_b32 v2, v35
.LBB39_247:                             ;   in Loop: Header=BB39_15 Depth=1
	s_or_b32 exec_lo, exec_lo, s94
	s_delay_alu instid0(VALU_DEP_1)
	v_mov_b32_e32 v35, v2
	s_mov_b32 s96, exec_lo
.LBB39_248:                             ;   in Loop: Header=BB39_15 Depth=1
	s_or_b32 exec_lo, exec_lo, s46
	s_delay_alu instid0(SALU_CYCLE_1)
	s_or_not1_b32 s46, s96, exec_lo
.LBB39_249:                             ;   in Loop: Header=BB39_15 Depth=1
	s_or_b32 exec_lo, exec_lo, s92
	v_mov_b32_e32 v16, v35
	s_and_not1_b32 s33, s33, exec_lo
	s_and_b32 s92, s95, exec_lo
	s_and_not1_b32 s31, s31, exec_lo
	s_and_b32 s93, s93, exec_lo
	s_or_b32 s33, s33, s92
	s_or_b32 s31, s31, s93
	s_and_b32 s93, s46, exec_lo
.LBB39_250:                             ;   in Loop: Header=BB39_15 Depth=1
	s_or_b32 exec_lo, exec_lo, s34
	s_delay_alu instid0(SALU_CYCLE_1)
	s_or_not1_b32 s34, s93, exec_lo
.LBB39_251:                             ;   in Loop: Header=BB39_15 Depth=1
	s_or_b32 exec_lo, exec_lo, s30
	v_mov_b32_e32 v35, v16
	s_and_not1_b32 s28, s28, exec_lo
	s_and_b32 s30, s33, exec_lo
	s_and_not1_b32 s23, s23, exec_lo
	s_and_b32 s31, s31, exec_lo
	s_or_b32 s28, s28, s30
	s_or_b32 s23, s23, s31
	s_and_b32 s33, s34, exec_lo
.LBB39_252:                             ;   in Loop: Header=BB39_15 Depth=1
	s_or_b32 exec_lo, exec_lo, s29
	s_delay_alu instid0(SALU_CYCLE_1)
	s_or_not1_b32 s29, s33, exec_lo
.LBB39_253:                             ;   in Loop: Header=BB39_15 Depth=1
	s_or_b32 exec_lo, exec_lo, s15
	s_mov_b32 s30, 0
	s_mov_b32 s31, 0
	s_and_saveexec_b32 s15, s29
	s_delay_alu instid0(SALU_CYCLE_1)
	s_xor_b32 s29, exec_lo, s15
; %bb.254:                              ;   in Loop: Header=BB39_15 Depth=1
	v_cmp_ne_u32_e32 vcc_lo, 8, v4
	v_cmp_eq_u32_e64 s15, 8, v4
	s_and_b32 s31, vcc_lo, exec_lo
	s_and_b32 s30, s15, exec_lo
; %bb.255:                              ;   in Loop: Header=BB39_15 Depth=1
	s_or_b32 exec_lo, exec_lo, s29
	s_delay_alu instid0(SALU_CYCLE_1)
	s_and_not1_b32 s15, s25, exec_lo
	s_and_b32 s25, s28, exec_lo
	s_and_not1_b32 s24, s24, exec_lo
	s_and_b32 s23, s23, exec_lo
	s_or_b32 s25, s15, s25
	s_or_b32 s24, s24, s23
	s_and_b32 s15, s31, exec_lo
	s_and_b32 s23, s30, exec_lo
.LBB39_256:                             ;   in Loop: Header=BB39_15 Depth=1
	s_or_b32 exec_lo, exec_lo, s27
.LBB39_257:                             ;   in Loop: Header=BB39_15 Depth=1
	s_delay_alu instid0(SALU_CYCLE_1)
	s_and_b32 vcc_lo, exec_lo, s26
	s_cbranch_vccz .LBB39_270
; %bb.258:                              ;   in Loop: Header=BB39_15 Depth=1
	s_cmp_eq_u32 s22, 1
	s_mov_b32 s25, -1
	s_cselect_b32 s16, -1, 0
                                        ; implicit-def: $sgpr26
	s_delay_alu instid0(SALU_CYCLE_1) | instskip(NEXT) | instid1(SALU_CYCLE_1)
	s_and_b32 s14, s16, s14
                                        ; implicit-def: $sgpr16
	s_and_saveexec_b32 s24, s14
	s_cbranch_execz .LBB39_285
; %bb.259:                              ;   in Loop: Header=BB39_15 Depth=1
	ds_load_b32 v2, v13 offset:4096
	s_wait_dscnt 0x0
	s_barrier_signal -1
	s_barrier_wait -1
	v_readfirstlane_b32 s27, v2
	s_and_saveexec_b32 s16, s6
; %bb.260:                              ;   in Loop: Header=BB39_15 Depth=1
	ds_store_b32 v11, v13
; %bb.261:                              ;   in Loop: Header=BB39_15 Depth=1
	s_or_b32 exec_lo, exec_lo, s16
	v_or_b32_e32 v25, s18, v25
	v_or_b32_e32 v33, s18, v33
	s_mov_b32 s16, -1
	s_mov_b32 s26, 0
	s_cmp_eq_u32 s27, 0
	s_mov_b32 s25, 0
	s_mov_b32 s28, -1
	s_wait_dscnt 0x0
	s_barrier_signal -1
	s_barrier_wait -1
                                        ; implicit-def: $vgpr17
	s_cbranch_scc1 .LBB39_273
; %bb.262:                              ;   in Loop: Header=BB39_15 Depth=1
	s_add_co_i32 s46, s27, s65
                                        ; implicit-def: $vgpr17
	s_delay_alu instid0(SALU_CYCLE_1) | instskip(NEXT) | instid1(SALU_CYCLE_1)
	s_mul_u64 s[28:29], s[46:47], s[50:51]
	s_mul_i32 s25, s29, s40
	s_mov_b32 s29, exec_lo
	s_sub_co_i32 s25, s46, s25
	s_delay_alu instid0(SALU_CYCLE_1) | instskip(SKIP_2) | instid1(SALU_CYCLE_1)
	s_sub_co_i32 s28, s25, s40
	s_cmp_ge_u32 s25, s40
	s_cselect_b32 s25, s28, s25
	s_sub_co_i32 s28, s25, s40
	s_cmp_ge_u32 s25, s40
	s_cselect_b32 s25, s28, s25
	s_mov_b32 s28, 0
	s_sub_co_i32 s30, s46, s25
	s_mov_b32 s25, 0
	v_cmpx_gt_u32_e64 s30, v0
	s_cbranch_execz .LBB39_272
; %bb.263:                              ;   in Loop: Header=BB39_15 Depth=1
	v_dual_mov_b32 v2, v1 :: v_dual_mov_b32 v3, v0
                                        ; implicit-def: $sgpr31
	s_branch .LBB39_266
.LBB39_264:                             ;   in Loop: Header=BB39_266 Depth=2
	s_or_b32 exec_lo, exec_lo, s33
	s_wait_dscnt 0x0
	s_barrier_signal -1
	s_barrier_wait -1
	ds_load_b64 v[16:17], v13 offset:3072
	s_mov_b32 s33, -1
	s_mov_b32 s34, -1
	s_wait_dscnt 0x0
	s_barrier_signal -1
	s_barrier_wait -1
	v_cmp_ne_u32_e32 vcc_lo, 0, v16
	s_cbranch_vccz .LBB39_269
.LBB39_265:                             ;   in Loop: Header=BB39_266 Depth=2
	s_and_b32 s33, exec_lo, s33
	s_delay_alu instid0(SALU_CYCLE_1) | instskip(SKIP_2) | instid1(SALU_CYCLE_1)
	s_or_b32 s25, s33, s25
	s_and_not1_b32 s31, s31, exec_lo
	s_and_b32 s33, s34, exec_lo
	s_or_b32 s31, s31, s33
	s_and_not1_b32 exec_lo, exec_lo, s25
	s_cbranch_execz .LBB39_271
.LBB39_266:                             ;   Parent Loop BB39_15 Depth=1
                                        ; =>  This Inner Loop Header: Depth=2
	s_mov_b32 s33, exec_lo
	s_delay_alu instid0(VALU_DEP_1)
	v_cmpx_gt_u32_e64 s27, v3
	s_cbranch_execz .LBB39_264
; %bb.267:                              ;   in Loop: Header=BB39_266 Depth=2
	ds_load_b32 v19, v2
	s_wait_dscnt 0x0
	v_bitop3_b32 v4, v19, v33, 0x80000000 bitop3:0x48
	s_delay_alu instid0(VALU_DEP_1)
	v_cmp_eq_u32_e32 vcc_lo, v4, v25
	s_and_b32 exec_lo, exec_lo, vcc_lo
	s_cbranch_execz .LBB39_264
; %bb.268:                              ;   in Loop: Header=BB39_266 Depth=2
	ds_store_b64 v13, v[18:19] offset:3072
	s_branch .LBB39_264
.LBB39_269:                             ;   in Loop: Header=BB39_266 Depth=2
	v_dual_add_nc_u32 v3, s40, v3 :: v_dual_add_nc_u32 v2, s61, v2
	s_mov_b32 s34, 0
	s_delay_alu instid0(VALU_DEP_1)
	v_cmp_le_u32_e32 vcc_lo, s30, v3
	s_or_not1_b32 s33, vcc_lo, exec_lo
	s_branch .LBB39_265
.LBB39_270:                             ;   in Loop: Header=BB39_15 Depth=1
	v_dual_mov_b32 v25, v5 :: v_dual_mov_b32 v33, v12
	v_mov_b32_e32 v17, v3
	s_mov_b32 s26, 0
	s_and_saveexec_b32 s14, s23
	s_cbranch_execnz .LBB39_416
	s_branch .LBB39_417
.LBB39_271:                             ;   in Loop: Header=BB39_15 Depth=1
	s_or_b32 exec_lo, exec_lo, s25
	s_delay_alu instid0(SALU_CYCLE_1)
	s_and_b32 s25, s31, exec_lo
.LBB39_272:                             ;   in Loop: Header=BB39_15 Depth=1
	s_or_b32 exec_lo, exec_lo, s29
.LBB39_273:                             ;   in Loop: Header=BB39_15 Depth=1
	s_delay_alu instid0(SALU_CYCLE_1)
	s_and_b32 vcc_lo, exec_lo, s28
	s_cbranch_vccz .LBB39_284
; %bb.274:                              ;   in Loop: Header=BB39_15 Depth=1
                                        ; implicit-def: $vgpr17
	s_and_saveexec_b32 s16, s13
	s_cbranch_execz .LBB39_283
; %bb.275:                              ;   in Loop: Header=BB39_15 Depth=1
	v_dual_mov_b32 v2, v10 :: v_dual_mov_b32 v3, v0
	s_mov_b32 s26, 0
                                        ; implicit-def: $sgpr27
	s_branch .LBB39_278
.LBB39_276:                             ;   in Loop: Header=BB39_278 Depth=2
	s_or_b32 exec_lo, exec_lo, s28
	s_wait_dscnt 0x0
	s_barrier_signal -1
	s_barrier_wait -1
	ds_load_b64 v[16:17], v13 offset:3072
	s_mov_b32 s28, -1
	s_mov_b32 s29, -1
	s_wait_dscnt 0x0
	s_barrier_signal -1
	s_barrier_wait -1
	v_cmp_ne_u32_e32 vcc_lo, 0, v16
	s_cbranch_vccz .LBB39_281
.LBB39_277:                             ;   in Loop: Header=BB39_278 Depth=2
	s_and_b32 s28, exec_lo, s28
	s_delay_alu instid0(SALU_CYCLE_1) | instskip(SKIP_2) | instid1(SALU_CYCLE_1)
	s_or_b32 s26, s28, s26
	s_and_not1_b32 s27, s27, exec_lo
	s_and_b32 s28, s29, exec_lo
	s_or_b32 s27, s27, s28
	s_and_not1_b32 exec_lo, exec_lo, s26
	s_cbranch_execz .LBB39_282
.LBB39_278:                             ;   Parent Loop BB39_15 Depth=1
                                        ; =>  This Inner Loop Header: Depth=2
	s_mov_b32 s28, exec_lo
	s_delay_alu instid0(VALU_DEP_1)
	v_cmpx_gt_u32_e64 s36, v3
	s_cbranch_execz .LBB39_276
; %bb.279:                              ;   in Loop: Header=BB39_278 Depth=2
	global_load_b32 v19, v2, s[38:39] scale_offset
	s_wait_loadcnt 0x0
	v_bitop3_b32 v4, v19, v33, 0x80000000 bitop3:0x48
	s_delay_alu instid0(VALU_DEP_1)
	v_cmp_eq_u32_e32 vcc_lo, v4, v25
	s_and_b32 exec_lo, exec_lo, vcc_lo
	s_cbranch_execz .LBB39_276
; %bb.280:                              ;   in Loop: Header=BB39_278 Depth=2
	ds_store_b64 v13, v[18:19] offset:3072
	s_branch .LBB39_276
.LBB39_281:                             ;   in Loop: Header=BB39_278 Depth=2
	v_dual_add_nc_u32 v3, s40, v3 :: v_dual_add_nc_u32 v2, s56, v2
	s_mov_b32 s29, 0
	s_delay_alu instid0(VALU_DEP_1)
	v_cmp_le_u32_e32 vcc_lo, s76, v3
	s_or_not1_b32 s28, vcc_lo, exec_lo
	s_branch .LBB39_277
.LBB39_282:                             ;   in Loop: Header=BB39_15 Depth=1
	s_or_b32 exec_lo, exec_lo, s26
	s_delay_alu instid0(SALU_CYCLE_1) | instskip(SKIP_1) | instid1(SALU_CYCLE_1)
	s_and_not1_b32 s25, s25, exec_lo
	s_and_b32 s26, s27, exec_lo
	s_or_b32 s25, s25, s26
.LBB39_283:                             ;   in Loop: Header=BB39_15 Depth=1
	s_or_b32 exec_lo, exec_lo, s16
	s_mov_b32 s16, 0
	s_mov_b32 s26, -1
.LBB39_284:                             ;   in Loop: Header=BB39_15 Depth=1
	s_or_not1_b32 s25, s25, exec_lo
.LBB39_285:                             ;   in Loop: Header=BB39_15 Depth=1
	s_or_b32 exec_lo, exec_lo, s24
                                        ; implicit-def: $vgpr35
                                        ; implicit-def: $vgpr4
	s_and_saveexec_b32 s24, s25
	s_cbranch_execz .LBB39_415
; %bb.286:                              ;   in Loop: Header=BB39_15 Depth=1
	v_dual_mov_b32 v35, 1 :: v_dual_mov_b32 v4, 1
	s_xor_b32 s25, s14, -1
	s_mov_b32 s28, 0
	s_and_saveexec_b32 s14, s25
	s_cbranch_execz .LBB39_295
; %bb.287:                              ;   in Loop: Header=BB39_15 Depth=1
	s_mov_b32 s25, exec_lo
	v_cmpx_ge_u32_e64 s22, v34
	s_xor_b32 s25, exec_lo, s25
	s_cbranch_execz .LBB39_292
; %bb.288:                              ;   in Loop: Header=BB39_15 Depth=1
	ds_load_b32 v2, v13 offset:4096
	v_or_b32_e32 v25, s18, v25
	v_or_b32_e32 v33, s18, v33
	s_wait_dscnt 0x0
	v_cmp_ne_u32_e32 vcc_lo, 0, v2
	s_cbranch_vccnz .LBB39_292
; %bb.289:                              ;   in Loop: Header=BB39_15 Depth=1
	s_and_saveexec_b32 s27, s5
; %bb.290:                              ;   in Loop: Header=BB39_15 Depth=1
	v_mov_b32_e32 v2, s22
	ds_store_b32 v13, v2 offset:4100
; %bb.291:                              ;   in Loop: Header=BB39_15 Depth=1
	s_or_b32 exec_lo, exec_lo, s27
	s_wait_dscnt 0x0
	s_barrier_signal -1
	s_barrier_wait -1
.LBB39_292:                             ;   in Loop: Header=BB39_15 Depth=1
	s_or_saveexec_b32 s25, s25
	v_mov_b32_e32 v4, 5
	s_mov_b32 s27, 0
	s_xor_b32 exec_lo, exec_lo, s25
; %bb.293:                              ;   in Loop: Header=BB39_15 Depth=1
	v_subrev_nc_u32_e32 v34, s22, v34
	v_mov_b32_e32 v4, 0
	s_mov_b32 s27, exec_lo
; %bb.294:                              ;   in Loop: Header=BB39_15 Depth=1
	s_or_b32 exec_lo, exec_lo, s25
	s_delay_alu instid0(VALU_DEP_2)
	v_mov_b32_e32 v35, v34
	s_and_b32 s28, s27, exec_lo
.LBB39_295:                             ;   in Loop: Header=BB39_15 Depth=1
	s_or_b32 exec_lo, exec_lo, s14
	s_mov_b32 s27, -1
                                        ; implicit-def: $sgpr22
                                        ; implicit-def: $sgpr25
	s_and_saveexec_b32 s14, s28
	s_delay_alu instid0(SALU_CYCLE_1)
	s_xor_b32 s14, exec_lo, s14
	s_cbranch_execz .LBB39_412
; %bb.296:                              ;   in Loop: Header=BB39_15 Depth=1
	v_cmp_eq_u32_e32 vcc_lo, 1, v35
	s_cmp_eq_u32 s21, 1
	s_mov_b32 s29, -1
	s_cselect_b32 s22, -1, 0
                                        ; implicit-def: $sgpr25
	s_delay_alu instid0(SALU_CYCLE_1) | instskip(NEXT) | instid1(SALU_CYCLE_1)
	s_and_b32 s28, s22, vcc_lo
                                        ; implicit-def: $sgpr22
	s_and_saveexec_b32 s27, s28
	s_cbranch_execz .LBB39_322
; %bb.297:                              ;   in Loop: Header=BB39_15 Depth=1
	ds_load_b32 v2, v13 offset:4096
	s_wait_dscnt 0x0
	s_barrier_signal -1
	s_barrier_wait -1
	v_readfirstlane_b32 s30, v2
	s_and_saveexec_b32 s22, s6
; %bb.298:                              ;   in Loop: Header=BB39_15 Depth=1
	ds_store_b32 v11, v13
; %bb.299:                              ;   in Loop: Header=BB39_15 Depth=1
	s_or_b32 exec_lo, exec_lo, s22
	s_lshl_b32 s22, 2, s79
	v_or_b32_e32 v33, s18, v33
	v_and_or_b32 v25, v25, s19, s22
	s_mov_b32 s22, -1
	s_mov_b32 s25, 0
	s_cmp_eq_u32 s30, 0
	s_mov_b32 s29, 0
	s_mov_b32 s31, -1
	s_wait_dscnt 0x0
	s_barrier_signal -1
	s_barrier_wait -1
                                        ; implicit-def: $vgpr17
	s_cbranch_scc1 .LBB39_310
; %bb.300:                              ;   in Loop: Header=BB39_15 Depth=1
	s_add_co_i32 s46, s30, s65
	s_mov_b32 s33, exec_lo
	s_mul_u64 s[92:93], s[46:47], s[50:51]
                                        ; implicit-def: $vgpr17
	s_delay_alu instid0(SALU_CYCLE_1) | instskip(NEXT) | instid1(SALU_CYCLE_1)
	s_mul_i32 s29, s93, s40
	s_sub_co_i32 s29, s46, s29
	s_delay_alu instid0(SALU_CYCLE_1) | instskip(SKIP_2) | instid1(SALU_CYCLE_1)
	s_sub_co_i32 s31, s29, s40
	s_cmp_ge_u32 s29, s40
	s_cselect_b32 s29, s31, s29
	s_sub_co_i32 s31, s29, s40
	s_cmp_ge_u32 s29, s40
	s_cselect_b32 s29, s31, s29
	s_mov_b32 s31, 0
	s_sub_co_i32 s34, s46, s29
	s_mov_b32 s29, 0
	v_cmpx_gt_u32_e64 s34, v0
	s_cbranch_execz .LBB39_309
; %bb.301:                              ;   in Loop: Header=BB39_15 Depth=1
	v_dual_mov_b32 v2, v1 :: v_dual_mov_b32 v3, v0
                                        ; implicit-def: $sgpr46
	s_branch .LBB39_304
.LBB39_302:                             ;   in Loop: Header=BB39_304 Depth=2
	s_or_b32 exec_lo, exec_lo, s92
	s_wait_dscnt 0x0
	s_barrier_signal -1
	s_barrier_wait -1
	ds_load_b64 v[16:17], v13 offset:3072
	s_mov_b32 s92, -1
	s_mov_b32 s93, -1
	s_wait_dscnt 0x0
	s_barrier_signal -1
	s_barrier_wait -1
	v_cmp_ne_u32_e32 vcc_lo, 0, v16
	s_cbranch_vccz .LBB39_307
.LBB39_303:                             ;   in Loop: Header=BB39_304 Depth=2
	s_and_b32 s92, exec_lo, s92
	s_delay_alu instid0(SALU_CYCLE_1) | instskip(SKIP_2) | instid1(SALU_CYCLE_1)
	s_or_b32 s29, s92, s29
	s_and_not1_b32 s46, s46, exec_lo
	s_and_b32 s92, s93, exec_lo
	s_or_b32 s46, s46, s92
	s_and_not1_b32 exec_lo, exec_lo, s29
	s_cbranch_execz .LBB39_308
.LBB39_304:                             ;   Parent Loop BB39_15 Depth=1
                                        ; =>  This Inner Loop Header: Depth=2
	s_mov_b32 s92, exec_lo
	s_delay_alu instid0(VALU_DEP_1)
	v_cmpx_gt_u32_e64 s30, v3
	s_cbranch_execz .LBB39_302
; %bb.305:                              ;   in Loop: Header=BB39_304 Depth=2
	ds_load_b32 v19, v2
	s_wait_dscnt 0x0
	v_bitop3_b32 v5, v19, v33, 0x80000000 bitop3:0x48
	s_delay_alu instid0(VALU_DEP_1)
	v_cmp_eq_u32_e32 vcc_lo, v5, v25
	s_and_b32 exec_lo, exec_lo, vcc_lo
	s_cbranch_execz .LBB39_302
; %bb.306:                              ;   in Loop: Header=BB39_304 Depth=2
	ds_store_b64 v13, v[18:19] offset:3072
	s_branch .LBB39_302
.LBB39_307:                             ;   in Loop: Header=BB39_304 Depth=2
	v_dual_add_nc_u32 v3, s40, v3 :: v_dual_add_nc_u32 v2, s61, v2
	s_mov_b32 s93, 0
	s_delay_alu instid0(VALU_DEP_1)
	v_cmp_le_u32_e32 vcc_lo, s34, v3
	s_or_not1_b32 s92, vcc_lo, exec_lo
	s_branch .LBB39_303
.LBB39_308:                             ;   in Loop: Header=BB39_15 Depth=1
	s_or_b32 exec_lo, exec_lo, s29
	s_delay_alu instid0(SALU_CYCLE_1)
	s_and_b32 s29, s46, exec_lo
.LBB39_309:                             ;   in Loop: Header=BB39_15 Depth=1
	s_or_b32 exec_lo, exec_lo, s33
.LBB39_310:                             ;   in Loop: Header=BB39_15 Depth=1
	s_delay_alu instid0(SALU_CYCLE_1)
	s_and_b32 vcc_lo, exec_lo, s31
	s_cbranch_vccz .LBB39_321
; %bb.311:                              ;   in Loop: Header=BB39_15 Depth=1
                                        ; implicit-def: $vgpr17
	s_and_saveexec_b32 s22, s13
	s_cbranch_execz .LBB39_320
; %bb.312:                              ;   in Loop: Header=BB39_15 Depth=1
	v_dual_mov_b32 v2, v10 :: v_dual_mov_b32 v3, v0
	s_mov_b32 s25, 0
                                        ; implicit-def: $sgpr30
	s_branch .LBB39_315
.LBB39_313:                             ;   in Loop: Header=BB39_315 Depth=2
	s_or_b32 exec_lo, exec_lo, s31
	s_wait_dscnt 0x0
	s_barrier_signal -1
	s_barrier_wait -1
	ds_load_b64 v[16:17], v13 offset:3072
	s_mov_b32 s31, -1
	s_mov_b32 s33, -1
	s_wait_dscnt 0x0
	s_barrier_signal -1
	s_barrier_wait -1
	v_cmp_eq_u32_e32 vcc_lo, 0, v16
	s_cbranch_vccnz .LBB39_318
.LBB39_314:                             ;   in Loop: Header=BB39_315 Depth=2
	s_and_b32 s31, exec_lo, s31
	s_delay_alu instid0(SALU_CYCLE_1) | instskip(SKIP_2) | instid1(SALU_CYCLE_1)
	s_or_b32 s25, s31, s25
	s_and_not1_b32 s30, s30, exec_lo
	s_and_b32 s31, s33, exec_lo
	s_or_b32 s30, s30, s31
	s_and_not1_b32 exec_lo, exec_lo, s25
	s_cbranch_execz .LBB39_319
.LBB39_315:                             ;   Parent Loop BB39_15 Depth=1
                                        ; =>  This Inner Loop Header: Depth=2
	s_mov_b32 s31, exec_lo
	s_delay_alu instid0(VALU_DEP_1)
	v_cmpx_gt_u32_e64 s36, v3
	s_cbranch_execz .LBB39_313
; %bb.316:                              ;   in Loop: Header=BB39_315 Depth=2
	global_load_b32 v19, v2, s[38:39] scale_offset
	s_wait_loadcnt 0x0
	v_bitop3_b32 v5, v19, v33, 0x80000000 bitop3:0x48
	s_delay_alu instid0(VALU_DEP_1)
	v_cmp_eq_u32_e32 vcc_lo, v5, v25
	s_and_b32 exec_lo, exec_lo, vcc_lo
	s_cbranch_execz .LBB39_313
; %bb.317:                              ;   in Loop: Header=BB39_315 Depth=2
	ds_store_b64 v13, v[18:19] offset:3072
	s_branch .LBB39_313
.LBB39_318:                             ;   in Loop: Header=BB39_315 Depth=2
	v_dual_add_nc_u32 v3, s40, v3 :: v_dual_add_nc_u32 v2, s56, v2
	s_mov_b32 s33, 0
	s_delay_alu instid0(VALU_DEP_1)
	v_cmp_le_u32_e32 vcc_lo, s76, v3
	s_or_not1_b32 s31, vcc_lo, exec_lo
	s_branch .LBB39_314
.LBB39_319:                             ;   in Loop: Header=BB39_15 Depth=1
	s_or_b32 exec_lo, exec_lo, s25
	s_delay_alu instid0(SALU_CYCLE_1) | instskip(SKIP_1) | instid1(SALU_CYCLE_1)
	s_and_not1_b32 s25, s29, exec_lo
	s_and_b32 s29, s30, exec_lo
	s_or_b32 s29, s25, s29
.LBB39_320:                             ;   in Loop: Header=BB39_15 Depth=1
	s_or_b32 exec_lo, exec_lo, s22
	s_mov_b32 s22, 0
	s_mov_b32 s25, -1
.LBB39_321:                             ;   in Loop: Header=BB39_15 Depth=1
	s_or_not1_b32 s29, s29, exec_lo
.LBB39_322:                             ;   in Loop: Header=BB39_15 Depth=1
	s_or_b32 exec_lo, exec_lo, s27
	s_mov_b32 s30, 0
	s_and_saveexec_b32 s27, s29
	s_cbranch_execz .LBB39_411
; %bb.323:                              ;   in Loop: Header=BB39_15 Depth=1
	v_dual_mov_b32 v2, 1 :: v_dual_mov_b32 v4, 1
	s_xor_b32 s29, s28, -1
	s_mov_b32 s31, 0
	s_and_saveexec_b32 s28, s29
	s_cbranch_execz .LBB39_332
; %bb.324:                              ;   in Loop: Header=BB39_15 Depth=1
	s_mov_b32 s29, exec_lo
	v_cmpx_ge_u32_e64 s21, v35
	s_xor_b32 s29, exec_lo, s29
	s_cbranch_execz .LBB39_329
; %bb.325:                              ;   in Loop: Header=BB39_15 Depth=1
	ds_load_b32 v2, v13 offset:4096
	s_lshl_b32 s30, 2, s79
	v_or_b32_e32 v33, s18, v33
	v_and_or_b32 v25, v25, s19, s30
	s_wait_dscnt 0x0
	v_cmp_ne_u32_e32 vcc_lo, 0, v2
	s_cbranch_vccnz .LBB39_329
; %bb.326:                              ;   in Loop: Header=BB39_15 Depth=1
	s_and_saveexec_b32 s30, s5
; %bb.327:                              ;   in Loop: Header=BB39_15 Depth=1
	v_mov_b32_e32 v2, s21
	ds_store_b32 v13, v2 offset:4100
; %bb.328:                              ;   in Loop: Header=BB39_15 Depth=1
	s_or_b32 exec_lo, exec_lo, s30
	s_wait_dscnt 0x0
	s_barrier_signal -1
	s_barrier_wait -1
.LBB39_329:                             ;   in Loop: Header=BB39_15 Depth=1
	s_or_saveexec_b32 s29, s29
	v_mov_b32_e32 v4, 5
	s_mov_b32 s30, 0
	s_xor_b32 exec_lo, exec_lo, s29
; %bb.330:                              ;   in Loop: Header=BB39_15 Depth=1
	v_subrev_nc_u32_e32 v35, s21, v35
	v_mov_b32_e32 v4, 0
	s_mov_b32 s30, exec_lo
; %bb.331:                              ;   in Loop: Header=BB39_15 Depth=1
	s_or_b32 exec_lo, exec_lo, s29
	s_delay_alu instid0(VALU_DEP_2)
	v_mov_b32_e32 v2, v35
	s_and_b32 s31, s30, exec_lo
.LBB39_332:                             ;   in Loop: Header=BB39_15 Depth=1
	s_or_b32 exec_lo, exec_lo, s28
	s_mov_b32 s30, -1
                                        ; implicit-def: $sgpr28
                                        ; implicit-def: $sgpr29
	s_and_saveexec_b32 s21, s31
	s_cbranch_execz .LBB39_410
; %bb.333:                              ;   in Loop: Header=BB39_15 Depth=1
	v_cmp_eq_u32_e32 vcc_lo, 1, v2
	s_cmp_eq_u32 s20, 1
	s_mov_b32 s33, -1
	s_cselect_b32 s28, -1, 0
                                        ; implicit-def: $sgpr29
	s_delay_alu instid0(SALU_CYCLE_1) | instskip(NEXT) | instid1(SALU_CYCLE_1)
	s_and_b32 s31, s28, vcc_lo
                                        ; implicit-def: $sgpr28
	s_and_saveexec_b32 s30, s31
	s_cbranch_execz .LBB39_359
; %bb.334:                              ;   in Loop: Header=BB39_15 Depth=1
	ds_load_b32 v3, v13 offset:4096
	s_wait_dscnt 0x0
	s_barrier_signal -1
	s_barrier_wait -1
	v_readfirstlane_b32 s34, v3
	s_and_saveexec_b32 s28, s6
; %bb.335:                              ;   in Loop: Header=BB39_15 Depth=1
	ds_store_b32 v11, v13
; %bb.336:                              ;   in Loop: Header=BB39_15 Depth=1
	s_or_b32 exec_lo, exec_lo, s28
	s_lshl_b32 s28, 1, s79
	v_or_b32_e32 v33, s18, v33
	v_and_or_b32 v25, v25, s19, s28
	s_mov_b32 s28, -1
	s_mov_b32 s29, 0
	s_cmp_eq_u32 s34, 0
	s_mov_b32 s33, 0
	s_mov_b32 s46, -1
	s_wait_dscnt 0x0
	s_barrier_signal -1
	s_barrier_wait -1
                                        ; implicit-def: $vgpr17
	s_cbranch_scc1 .LBB39_347
; %bb.337:                              ;   in Loop: Header=BB39_15 Depth=1
	s_add_co_i32 s46, s34, s65
                                        ; implicit-def: $vgpr17
	s_delay_alu instid0(SALU_CYCLE_1) | instskip(NEXT) | instid1(SALU_CYCLE_1)
	s_mul_u64 s[92:93], s[46:47], s[50:51]
	s_mul_i32 s33, s93, s40
	s_delay_alu instid0(SALU_CYCLE_1) | instskip(NEXT) | instid1(SALU_CYCLE_1)
	s_sub_co_i32 s33, s46, s33
	s_sub_co_i32 s92, s33, s40
	s_cmp_ge_u32 s33, s40
	s_cselect_b32 s33, s92, s33
	s_delay_alu instid0(SALU_CYCLE_1)
	s_sub_co_i32 s92, s33, s40
	s_cmp_ge_u32 s33, s40
	s_cselect_b32 s33, s92, s33
	s_mov_b32 s92, exec_lo
	s_sub_co_i32 s93, s46, s33
	s_mov_b32 s46, 0
	s_mov_b32 s33, 0
	v_cmpx_gt_u32_e64 s93, v0
	s_cbranch_execz .LBB39_346
; %bb.338:                              ;   in Loop: Header=BB39_15 Depth=1
	v_dual_mov_b32 v3, v1 :: v_dual_mov_b32 v5, v0
                                        ; implicit-def: $sgpr94
	s_branch .LBB39_341
.LBB39_339:                             ;   in Loop: Header=BB39_341 Depth=2
	s_or_b32 exec_lo, exec_lo, s95
	s_wait_dscnt 0x0
	s_barrier_signal -1
	s_barrier_wait -1
	ds_load_b64 v[16:17], v13 offset:3072
	s_mov_b32 s95, -1
	s_mov_b32 s96, -1
	s_wait_dscnt 0x0
	s_barrier_signal -1
	s_barrier_wait -1
	v_cmp_ne_u32_e32 vcc_lo, 0, v16
	s_cbranch_vccz .LBB39_344
.LBB39_340:                             ;   in Loop: Header=BB39_341 Depth=2
	s_and_b32 s95, exec_lo, s95
	s_delay_alu instid0(SALU_CYCLE_1) | instskip(SKIP_2) | instid1(SALU_CYCLE_1)
	s_or_b32 s33, s95, s33
	s_and_not1_b32 s94, s94, exec_lo
	s_and_b32 s95, s96, exec_lo
	s_or_b32 s94, s94, s95
	s_and_not1_b32 exec_lo, exec_lo, s33
	s_cbranch_execz .LBB39_345
.LBB39_341:                             ;   Parent Loop BB39_15 Depth=1
                                        ; =>  This Inner Loop Header: Depth=2
	s_mov_b32 s95, exec_lo
	s_delay_alu instid0(VALU_DEP_1)
	v_cmpx_gt_u32_e64 s34, v5
	s_cbranch_execz .LBB39_339
; %bb.342:                              ;   in Loop: Header=BB39_341 Depth=2
	ds_load_b32 v19, v3
	s_wait_dscnt 0x0
	v_bitop3_b32 v12, v19, v33, 0x80000000 bitop3:0x48
	s_delay_alu instid0(VALU_DEP_1)
	v_cmp_eq_u32_e32 vcc_lo, v12, v25
	s_and_b32 exec_lo, exec_lo, vcc_lo
	s_cbranch_execz .LBB39_339
; %bb.343:                              ;   in Loop: Header=BB39_341 Depth=2
	ds_store_b64 v13, v[18:19] offset:3072
	s_branch .LBB39_339
.LBB39_344:                             ;   in Loop: Header=BB39_341 Depth=2
	v_dual_add_nc_u32 v5, s40, v5 :: v_dual_add_nc_u32 v3, s61, v3
	s_mov_b32 s96, 0
	s_delay_alu instid0(VALU_DEP_1)
	v_cmp_le_u32_e32 vcc_lo, s93, v5
	s_or_not1_b32 s95, vcc_lo, exec_lo
	s_branch .LBB39_340
.LBB39_345:                             ;   in Loop: Header=BB39_15 Depth=1
	s_or_b32 exec_lo, exec_lo, s33
	s_delay_alu instid0(SALU_CYCLE_1)
	s_and_b32 s33, s94, exec_lo
.LBB39_346:                             ;   in Loop: Header=BB39_15 Depth=1
	s_or_b32 exec_lo, exec_lo, s92
.LBB39_347:                             ;   in Loop: Header=BB39_15 Depth=1
	s_delay_alu instid0(SALU_CYCLE_1)
	s_and_b32 vcc_lo, exec_lo, s46
	s_cbranch_vccz .LBB39_358
; %bb.348:                              ;   in Loop: Header=BB39_15 Depth=1
                                        ; implicit-def: $vgpr17
	s_and_saveexec_b32 s28, s13
	s_cbranch_execz .LBB39_357
; %bb.349:                              ;   in Loop: Header=BB39_15 Depth=1
	v_dual_mov_b32 v3, v10 :: v_dual_mov_b32 v5, v0
	s_mov_b32 s29, 0
                                        ; implicit-def: $sgpr34
	s_branch .LBB39_352
.LBB39_350:                             ;   in Loop: Header=BB39_352 Depth=2
	s_or_b32 exec_lo, exec_lo, s46
	s_wait_dscnt 0x0
	s_barrier_signal -1
	s_barrier_wait -1
	ds_load_b64 v[16:17], v13 offset:3072
	s_mov_b32 s46, -1
	s_mov_b32 s92, -1
	s_wait_dscnt 0x0
	s_barrier_signal -1
	s_barrier_wait -1
	v_cmp_eq_u32_e32 vcc_lo, 0, v16
	s_cbranch_vccnz .LBB39_355
.LBB39_351:                             ;   in Loop: Header=BB39_352 Depth=2
	s_and_b32 s46, exec_lo, s46
	s_delay_alu instid0(SALU_CYCLE_1) | instskip(SKIP_2) | instid1(SALU_CYCLE_1)
	s_or_b32 s29, s46, s29
	s_and_not1_b32 s34, s34, exec_lo
	s_and_b32 s46, s92, exec_lo
	s_or_b32 s34, s34, s46
	s_and_not1_b32 exec_lo, exec_lo, s29
	s_cbranch_execz .LBB39_356
.LBB39_352:                             ;   Parent Loop BB39_15 Depth=1
                                        ; =>  This Inner Loop Header: Depth=2
	s_mov_b32 s46, exec_lo
	s_delay_alu instid0(VALU_DEP_1)
	v_cmpx_gt_u32_e64 s36, v5
	s_cbranch_execz .LBB39_350
; %bb.353:                              ;   in Loop: Header=BB39_352 Depth=2
	global_load_b32 v19, v3, s[38:39] scale_offset
	s_wait_loadcnt 0x0
	v_bitop3_b32 v12, v19, v33, 0x80000000 bitop3:0x48
	s_delay_alu instid0(VALU_DEP_1)
	v_cmp_eq_u32_e32 vcc_lo, v12, v25
	s_and_b32 exec_lo, exec_lo, vcc_lo
	s_cbranch_execz .LBB39_350
; %bb.354:                              ;   in Loop: Header=BB39_352 Depth=2
	ds_store_b64 v13, v[18:19] offset:3072
	s_branch .LBB39_350
.LBB39_355:                             ;   in Loop: Header=BB39_352 Depth=2
	v_dual_add_nc_u32 v5, s40, v5 :: v_dual_add_nc_u32 v3, s56, v3
	s_mov_b32 s92, 0
	s_delay_alu instid0(VALU_DEP_1)
	v_cmp_le_u32_e32 vcc_lo, s76, v5
	s_or_not1_b32 s46, vcc_lo, exec_lo
	s_branch .LBB39_351
.LBB39_356:                             ;   in Loop: Header=BB39_15 Depth=1
	s_or_b32 exec_lo, exec_lo, s29
	s_delay_alu instid0(SALU_CYCLE_1) | instskip(SKIP_1) | instid1(SALU_CYCLE_1)
	s_and_not1_b32 s29, s33, exec_lo
	s_and_b32 s33, s34, exec_lo
	s_or_b32 s33, s29, s33
.LBB39_357:                             ;   in Loop: Header=BB39_15 Depth=1
	s_or_b32 exec_lo, exec_lo, s28
	s_mov_b32 s28, 0
	s_mov_b32 s29, -1
.LBB39_358:                             ;   in Loop: Header=BB39_15 Depth=1
	s_or_not1_b32 s33, s33, exec_lo
.LBB39_359:                             ;   in Loop: Header=BB39_15 Depth=1
	s_or_b32 exec_lo, exec_lo, s30
	s_mov_b32 s34, 0
	s_and_saveexec_b32 s30, s33
	s_cbranch_execz .LBB39_409
; %bb.360:                              ;   in Loop: Header=BB39_15 Depth=1
	v_dual_mov_b32 v3, 1 :: v_dual_mov_b32 v4, 1
	s_xor_b32 s33, s31, -1
	s_mov_b32 s46, 0
	s_and_saveexec_b32 s31, s33
	s_cbranch_execz .LBB39_369
; %bb.361:                              ;   in Loop: Header=BB39_15 Depth=1
	s_mov_b32 s33, exec_lo
	v_cmpx_ge_u32_e64 s20, v2
	s_xor_b32 s33, exec_lo, s33
	s_cbranch_execz .LBB39_366
; %bb.362:                              ;   in Loop: Header=BB39_15 Depth=1
	ds_load_b32 v3, v13 offset:4096
	s_lshl_b32 s34, 1, s79
	v_or_b32_e32 v33, s18, v33
	v_and_or_b32 v25, v25, s19, s34
	s_wait_dscnt 0x0
	v_cmp_ne_u32_e32 vcc_lo, 0, v3
	s_cbranch_vccnz .LBB39_366
; %bb.363:                              ;   in Loop: Header=BB39_15 Depth=1
	s_and_saveexec_b32 s34, s5
; %bb.364:                              ;   in Loop: Header=BB39_15 Depth=1
	v_mov_b32_e32 v3, s20
	ds_store_b32 v13, v3 offset:4100
; %bb.365:                              ;   in Loop: Header=BB39_15 Depth=1
	s_or_b32 exec_lo, exec_lo, s34
	s_wait_dscnt 0x0
	s_barrier_signal -1
	s_barrier_wait -1
.LBB39_366:                             ;   in Loop: Header=BB39_15 Depth=1
	s_or_saveexec_b32 s33, s33
	v_mov_b32_e32 v4, 5
	s_mov_b32 s34, 0
	s_xor_b32 exec_lo, exec_lo, s33
; %bb.367:                              ;   in Loop: Header=BB39_15 Depth=1
	v_subrev_nc_u32_e32 v2, s20, v2
	v_mov_b32_e32 v4, 0
	s_mov_b32 s34, exec_lo
; %bb.368:                              ;   in Loop: Header=BB39_15 Depth=1
	s_or_b32 exec_lo, exec_lo, s33
	s_delay_alu instid0(VALU_DEP_2)
	v_mov_b32_e32 v3, v2
	s_and_b32 s46, s34, exec_lo
.LBB39_369:                             ;   in Loop: Header=BB39_15 Depth=1
	s_or_b32 exec_lo, exec_lo, s31
	s_mov_b32 s33, -1
                                        ; implicit-def: $sgpr34
                                        ; implicit-def: $sgpr31
	s_and_saveexec_b32 s20, s46
	s_cbranch_execz .LBB39_408
; %bb.370:                              ;   in Loop: Header=BB39_15 Depth=1
	v_cmp_eq_u32_e32 vcc_lo, 1, v3
	s_cmp_eq_u32 s17, 1
	s_mov_b32 s93, -1
	s_cselect_b32 s31, -1, 0
                                        ; implicit-def: $sgpr34
	s_delay_alu instid0(SALU_CYCLE_1) | instskip(NEXT) | instid1(SALU_CYCLE_1)
	s_and_b32 s33, s31, vcc_lo
                                        ; implicit-def: $sgpr31
	s_and_saveexec_b32 s92, s33
	s_cbranch_execz .LBB39_396
; %bb.371:                              ;   in Loop: Header=BB39_15 Depth=1
	ds_load_b32 v2, v13 offset:4096
	s_wait_dscnt 0x0
	s_barrier_signal -1
	s_barrier_wait -1
	v_readfirstlane_b32 s93, v2
	s_and_saveexec_b32 s31, s6
; %bb.372:                              ;   in Loop: Header=BB39_15 Depth=1
	ds_store_b32 v11, v13
; %bb.373:                              ;   in Loop: Header=BB39_15 Depth=1
	s_or_b32 exec_lo, exec_lo, s31
	v_and_b32_e32 v25, s19, v25
	v_or_b32_e32 v33, s18, v33
	s_mov_b32 s31, -1
	s_mov_b32 s34, 0
	s_cmp_eq_u32 s93, 0
	s_mov_b32 s46, 0
	s_mov_b32 s94, -1
	s_wait_dscnt 0x0
	s_barrier_signal -1
	s_barrier_wait -1
                                        ; implicit-def: $vgpr17
	s_cbranch_scc1 .LBB39_384
; %bb.374:                              ;   in Loop: Header=BB39_15 Depth=1
	s_add_co_i32 s46, s93, s65
                                        ; implicit-def: $vgpr17
	s_delay_alu instid0(SALU_CYCLE_1) | instskip(NEXT) | instid1(SALU_CYCLE_1)
	s_mul_u64 s[94:95], s[46:47], s[50:51]
	s_mul_i32 s94, s95, s40
	s_delay_alu instid0(SALU_CYCLE_1) | instskip(NEXT) | instid1(SALU_CYCLE_1)
	s_sub_co_i32 s94, s46, s94
	s_sub_co_i32 s95, s94, s40
	s_cmp_ge_u32 s94, s40
	s_cselect_b32 s94, s95, s94
	s_delay_alu instid0(SALU_CYCLE_1)
	s_sub_co_i32 s95, s94, s40
	s_cmp_ge_u32 s94, s40
	s_cselect_b32 s94, s95, s94
	s_mov_b32 s95, exec_lo
	s_sub_co_i32 s96, s46, s94
	s_mov_b32 s94, 0
	s_mov_b32 s46, 0
	v_cmpx_gt_u32_e64 s96, v0
	s_cbranch_execz .LBB39_383
; %bb.375:                              ;   in Loop: Header=BB39_15 Depth=1
	v_dual_mov_b32 v2, v1 :: v_dual_mov_b32 v5, v0
                                        ; implicit-def: $sgpr97
	s_branch .LBB39_378
.LBB39_376:                             ;   in Loop: Header=BB39_378 Depth=2
	s_or_b32 exec_lo, exec_lo, s98
	s_wait_dscnt 0x0
	s_barrier_signal -1
	s_barrier_wait -1
	ds_load_b64 v[16:17], v13 offset:3072
	s_mov_b32 s98, -1
	s_mov_b32 s99, -1
	s_wait_dscnt 0x0
	s_barrier_signal -1
	s_barrier_wait -1
	v_cmp_ne_u32_e32 vcc_lo, 0, v16
	s_cbranch_vccz .LBB39_381
.LBB39_377:                             ;   in Loop: Header=BB39_378 Depth=2
	s_and_b32 s98, exec_lo, s98
	s_delay_alu instid0(SALU_CYCLE_1) | instskip(SKIP_2) | instid1(SALU_CYCLE_1)
	s_or_b32 s46, s98, s46
	s_and_not1_b32 s97, s97, exec_lo
	s_and_b32 s98, s99, exec_lo
	s_or_b32 s97, s97, s98
	s_and_not1_b32 exec_lo, exec_lo, s46
	s_cbranch_execz .LBB39_382
.LBB39_378:                             ;   Parent Loop BB39_15 Depth=1
                                        ; =>  This Inner Loop Header: Depth=2
	s_mov_b32 s98, exec_lo
	s_delay_alu instid0(VALU_DEP_1)
	v_cmpx_gt_u32_e64 s93, v5
	s_cbranch_execz .LBB39_376
; %bb.379:                              ;   in Loop: Header=BB39_378 Depth=2
	ds_load_b32 v19, v2
	s_wait_dscnt 0x0
	v_bitop3_b32 v12, v19, v33, 0x80000000 bitop3:0x48
	s_delay_alu instid0(VALU_DEP_1)
	v_cmp_eq_u32_e32 vcc_lo, v12, v25
	s_and_b32 exec_lo, exec_lo, vcc_lo
	s_cbranch_execz .LBB39_376
; %bb.380:                              ;   in Loop: Header=BB39_378 Depth=2
	ds_store_b64 v13, v[18:19] offset:3072
	s_branch .LBB39_376
.LBB39_381:                             ;   in Loop: Header=BB39_378 Depth=2
	v_dual_add_nc_u32 v5, s40, v5 :: v_dual_add_nc_u32 v2, s61, v2
	s_mov_b32 s99, 0
	s_delay_alu instid0(VALU_DEP_1)
	v_cmp_le_u32_e32 vcc_lo, s96, v5
	s_or_not1_b32 s98, vcc_lo, exec_lo
	s_branch .LBB39_377
.LBB39_382:                             ;   in Loop: Header=BB39_15 Depth=1
	s_or_b32 exec_lo, exec_lo, s46
	s_delay_alu instid0(SALU_CYCLE_1)
	s_and_b32 s46, s97, exec_lo
.LBB39_383:                             ;   in Loop: Header=BB39_15 Depth=1
	s_or_b32 exec_lo, exec_lo, s95
.LBB39_384:                             ;   in Loop: Header=BB39_15 Depth=1
	s_delay_alu instid0(SALU_CYCLE_1)
	s_and_b32 vcc_lo, exec_lo, s94
	s_cbranch_vccz .LBB39_395
; %bb.385:                              ;   in Loop: Header=BB39_15 Depth=1
                                        ; implicit-def: $vgpr17
	s_and_saveexec_b32 s31, s13
	s_cbranch_execz .LBB39_394
; %bb.386:                              ;   in Loop: Header=BB39_15 Depth=1
	v_dual_mov_b32 v2, v10 :: v_dual_mov_b32 v5, v0
	s_mov_b32 s34, 0
                                        ; implicit-def: $sgpr93
	s_branch .LBB39_389
.LBB39_387:                             ;   in Loop: Header=BB39_389 Depth=2
	s_or_b32 exec_lo, exec_lo, s94
	s_wait_dscnt 0x0
	s_barrier_signal -1
	s_barrier_wait -1
	ds_load_b64 v[16:17], v13 offset:3072
	s_mov_b32 s94, -1
	s_mov_b32 s95, -1
	s_wait_dscnt 0x0
	s_barrier_signal -1
	s_barrier_wait -1
	v_cmp_eq_u32_e32 vcc_lo, 0, v16
	s_cbranch_vccnz .LBB39_392
.LBB39_388:                             ;   in Loop: Header=BB39_389 Depth=2
	s_and_b32 s94, exec_lo, s94
	s_delay_alu instid0(SALU_CYCLE_1) | instskip(SKIP_2) | instid1(SALU_CYCLE_1)
	s_or_b32 s34, s94, s34
	s_and_not1_b32 s93, s93, exec_lo
	s_and_b32 s94, s95, exec_lo
	s_or_b32 s93, s93, s94
	s_and_not1_b32 exec_lo, exec_lo, s34
	s_cbranch_execz .LBB39_393
.LBB39_389:                             ;   Parent Loop BB39_15 Depth=1
                                        ; =>  This Inner Loop Header: Depth=2
	s_mov_b32 s94, exec_lo
	s_delay_alu instid0(VALU_DEP_1)
	v_cmpx_gt_u32_e64 s36, v5
	s_cbranch_execz .LBB39_387
; %bb.390:                              ;   in Loop: Header=BB39_389 Depth=2
	global_load_b32 v19, v2, s[38:39] scale_offset
	s_wait_loadcnt 0x0
	v_bitop3_b32 v12, v19, v33, 0x80000000 bitop3:0x48
	s_delay_alu instid0(VALU_DEP_1)
	v_cmp_eq_u32_e32 vcc_lo, v12, v25
	s_and_b32 exec_lo, exec_lo, vcc_lo
	s_cbranch_execz .LBB39_387
; %bb.391:                              ;   in Loop: Header=BB39_389 Depth=2
	ds_store_b64 v13, v[18:19] offset:3072
	s_branch .LBB39_387
.LBB39_392:                             ;   in Loop: Header=BB39_389 Depth=2
	v_dual_add_nc_u32 v5, s40, v5 :: v_dual_add_nc_u32 v2, s56, v2
	s_mov_b32 s95, 0
	s_delay_alu instid0(VALU_DEP_1)
	v_cmp_le_u32_e32 vcc_lo, s76, v5
	s_or_not1_b32 s94, vcc_lo, exec_lo
	s_branch .LBB39_388
.LBB39_393:                             ;   in Loop: Header=BB39_15 Depth=1
	s_or_b32 exec_lo, exec_lo, s34
	s_delay_alu instid0(SALU_CYCLE_1) | instskip(SKIP_1) | instid1(SALU_CYCLE_1)
	s_and_not1_b32 s34, s46, exec_lo
	s_and_b32 s46, s93, exec_lo
	s_or_b32 s46, s34, s46
.LBB39_394:                             ;   in Loop: Header=BB39_15 Depth=1
	s_or_b32 exec_lo, exec_lo, s31
	s_mov_b32 s31, 0
	s_mov_b32 s34, -1
.LBB39_395:                             ;   in Loop: Header=BB39_15 Depth=1
	s_or_not1_b32 s93, s46, exec_lo
.LBB39_396:                             ;   in Loop: Header=BB39_15 Depth=1
	s_or_b32 exec_lo, exec_lo, s92
	s_mov_b32 s92, 0
	s_and_saveexec_b32 s46, s93
	s_cbranch_execz .LBB39_407
; %bb.397:                              ;   in Loop: Header=BB39_15 Depth=1
	v_dual_mov_b32 v4, 1 :: v_dual_mov_b32 v2, 1
	s_xor_b32 s92, s33, -1
	s_delay_alu instid0(SALU_CYCLE_1)
	s_and_saveexec_b32 s33, s92
	s_cbranch_execz .LBB39_406
; %bb.398:                              ;   in Loop: Header=BB39_15 Depth=1
	s_mov_b32 s92, exec_lo
	v_cmpx_ge_u32_e64 s17, v3
	s_xor_b32 s92, exec_lo, s92
	s_cbranch_execz .LBB39_403
; %bb.399:                              ;   in Loop: Header=BB39_15 Depth=1
	ds_load_b32 v2, v13 offset:4096
	v_and_b32_e32 v25, s19, v25
	v_or_b32_e32 v33, s18, v33
	s_wait_dscnt 0x0
	v_cmp_ne_u32_e32 vcc_lo, 0, v2
	s_cbranch_vccnz .LBB39_403
; %bb.400:                              ;   in Loop: Header=BB39_15 Depth=1
	s_and_saveexec_b32 s18, s5
; %bb.401:                              ;   in Loop: Header=BB39_15 Depth=1
	v_mov_b32_e32 v2, s17
	ds_store_b32 v13, v2 offset:4100
; %bb.402:                              ;   in Loop: Header=BB39_15 Depth=1
	s_or_b32 exec_lo, exec_lo, s18
	s_wait_dscnt 0x0
	s_barrier_signal -1
	s_barrier_wait -1
.LBB39_403:                             ;   in Loop: Header=BB39_15 Depth=1
	s_and_not1_saveexec_b32 s18, s92
; %bb.404:                              ;   in Loop: Header=BB39_15 Depth=1
	v_subrev_nc_u32_e32 v3, s17, v3
; %bb.405:                              ;   in Loop: Header=BB39_15 Depth=1
	s_or_b32 exec_lo, exec_lo, s18
	s_delay_alu instid0(VALU_DEP_1)
	v_dual_mov_b32 v4, 5 :: v_dual_mov_b32 v2, v3
.LBB39_406:                             ;   in Loop: Header=BB39_15 Depth=1
	s_or_b32 exec_lo, exec_lo, s33
	s_delay_alu instid0(VALU_DEP_1)
	v_mov_b32_e32 v3, v2
	s_mov_b32 s92, exec_lo
.LBB39_407:                             ;   in Loop: Header=BB39_15 Depth=1
	s_or_b32 exec_lo, exec_lo, s46
	s_delay_alu instid0(SALU_CYCLE_1)
	s_or_not1_b32 s33, s92, exec_lo
.LBB39_408:                             ;   in Loop: Header=BB39_15 Depth=1
	s_or_b32 exec_lo, exec_lo, s20
	v_mov_b32_e32 v2, v3
	s_and_not1_b32 s17, s29, exec_lo
	s_and_b32 s18, s34, exec_lo
	s_and_not1_b32 s19, s28, exec_lo
	s_and_b32 s20, s31, exec_lo
	s_or_b32 s29, s17, s18
	s_or_b32 s28, s19, s20
	s_and_b32 s34, s33, exec_lo
.LBB39_409:                             ;   in Loop: Header=BB39_15 Depth=1
	s_or_b32 exec_lo, exec_lo, s30
	s_delay_alu instid0(SALU_CYCLE_1)
	s_or_not1_b32 s30, s34, exec_lo
.LBB39_410:                             ;   in Loop: Header=BB39_15 Depth=1
	s_or_b32 exec_lo, exec_lo, s21
	v_mov_b32_e32 v35, v2
	s_and_not1_b32 s17, s25, exec_lo
	s_and_b32 s18, s29, exec_lo
	s_and_not1_b32 s19, s22, exec_lo
	s_and_b32 s20, s28, exec_lo
	s_or_b32 s25, s17, s18
	s_or_b32 s22, s19, s20
	s_and_b32 s30, s30, exec_lo
.LBB39_411:                             ;   in Loop: Header=BB39_15 Depth=1
	s_or_b32 exec_lo, exec_lo, s27
	s_delay_alu instid0(SALU_CYCLE_1)
	s_or_not1_b32 s27, s30, exec_lo
.LBB39_412:                             ;   in Loop: Header=BB39_15 Depth=1
	s_or_b32 exec_lo, exec_lo, s14
	s_mov_b32 s14, s23
	s_mov_b32 s17, s15
	s_and_saveexec_b32 s18, s27
; %bb.413:                              ;   in Loop: Header=BB39_15 Depth=1
	v_cmp_ne_u32_e32 vcc_lo, 5, v4
	v_cmp_eq_u32_e64 s14, 5, v4
	s_and_not1_b32 s17, s15, exec_lo
	s_and_not1_b32 s19, s23, exec_lo
	s_and_b32 s20, vcc_lo, exec_lo
	s_and_b32 s14, s14, exec_lo
	s_or_b32 s17, s17, s20
	s_or_b32 s14, s19, s14
; %bb.414:                              ;   in Loop: Header=BB39_15 Depth=1
	s_or_b32 exec_lo, exec_lo, s18
	s_delay_alu instid0(SALU_CYCLE_1)
	s_and_not1_b32 s18, s26, exec_lo
	s_and_b32 s19, s25, exec_lo
	s_and_not1_b32 s16, s16, exec_lo
	s_and_b32 s20, s22, exec_lo
	s_or_b32 s26, s18, s19
	s_and_not1_b32 s15, s15, exec_lo
	s_and_b32 s17, s17, exec_lo
	s_and_not1_b32 s18, s23, exec_lo
	s_and_b32 s14, s14, exec_lo
	s_or_b32 s16, s16, s20
	s_or_b32 s15, s15, s17
	;; [unrolled: 1-line block ×3, first 2 shown]
.LBB39_415:                             ;   in Loop: Header=BB39_15 Depth=1
	s_or_b32 exec_lo, exec_lo, s24
	s_mov_b32 s24, 0
	s_mov_b32 s25, 0
	s_and_saveexec_b32 s14, s23
.LBB39_416:                             ;   in Loop: Header=BB39_15 Depth=1
	v_mov_b32_e32 v4, 0
	s_or_b32 s15, s15, exec_lo
.LBB39_417:                             ;   in Loop: Header=BB39_15 Depth=1
	s_or_b32 exec_lo, exec_lo, s14
	s_delay_alu instid0(SALU_CYCLE_1)
	s_and_not1_b32 s14, s89, exec_lo
	s_and_b32 s18, s26, exec_lo
	s_and_not1_b32 s19, s87, exec_lo
	s_and_b32 s16, s16, exec_lo
	v_mov_b32_e32 v34, v35
	s_or_b32 s89, s14, s18
	s_or_b32 s87, s19, s16
	s_and_not1_b32 s14, s91, exec_lo
	s_and_b32 s16, s25, exec_lo
	s_and_not1_b32 s18, s90, exec_lo
	s_and_b32 s19, s24, exec_lo
	s_mov_b32 s17, -1
	s_and_not1_b32 s88, s88, exec_lo
	s_or_b32 s91, s14, s16
	s_or_b32 s90, s18, s19
	s_and_saveexec_b32 s14, s15
	s_delay_alu instid0(SALU_CYCLE_1)
	s_xor_b32 s14, exec_lo, s14
	s_cbranch_execz .LBB39_14
; %bb.418:                              ;   in Loop: Header=BB39_15 Depth=1
	s_mov_b32 s15, -1
	s_mov_b32 s16, -1
	s_mov_b32 s17, exec_lo
	v_cmpx_eq_u32_e32 0, v4
	s_cbranch_execz .LBB39_13
; %bb.419:                              ;   in Loop: Header=BB39_15 Depth=1
	s_xor_b32 s82, s82, 1
	s_add_co_i32 s18, s79, -2
	s_cmp_eq_u32 s79, 0
	s_mov_b32 s79, s18
	s_cselect_b32 s15, -1, 0
	s_xor_b32 s16, exec_lo, -1
	s_or_not1_b32 s15, s15, exec_lo
	s_branch .LBB39_13
.LBB39_420:
	s_or_b32 exec_lo, exec_lo, s80
	s_xor_b32 s7, s86, -1
	s_xor_b32 s9, s84, -1
	;; [unrolled: 1-line block ×5, first 2 shown]
	s_mov_b32 s8, 0
	s_and_saveexec_b32 s12, s11
	s_delay_alu instid0(SALU_CYCLE_1)
	s_xor_b32 s12, exec_lo, s12
	s_cbranch_execnz .LBB39_425
; %bb.421:
	s_and_not1_saveexec_b32 s0, s12
	s_cbranch_execnz .LBB39_444
.LBB39_422:
	s_or_b32 exec_lo, exec_lo, s0
	s_and_saveexec_b32 s0, s8
.LBB39_423:
	; divergent unreachable
.LBB39_424:
	s_endpgm
.LBB39_425:
	s_and_saveexec_b32 s11, s10
	s_delay_alu instid0(SALU_CYCLE_1)
	s_xor_b32 s13, exec_lo, s11
	s_cbranch_execz .LBB39_442
; %bb.426:
	s_and_saveexec_b32 s10, s9
	s_delay_alu instid0(SALU_CYCLE_1)
	s_xor_b32 s14, exec_lo, s10
	s_cbranch_execz .LBB39_440
; %bb.427:
	;; [unrolled: 5-line block ×3, first 2 shown]
	s_and_saveexec_b32 s7, s6
	s_delay_alu instid0(SALU_CYCLE_1)
	s_xor_b32 s6, exec_lo, s7
; %bb.429:
	v_xor_b32_e32 v17, 0x80000000, v25
; %bb.430:
	s_or_b32 exec_lo, exec_lo, s6
	s_and_saveexec_b32 s6, s5
; %bb.431:
	v_mov_b32_e32 v1, 0
	ds_store_b32 v1, v1 offset:4108
; %bb.432:
	s_or_b32 exec_lo, exec_lo, s6
	v_mov_b32_e32 v1, 0
	s_wait_dscnt 0x0
	s_barrier_signal -1
	s_barrier_wait -1
	s_and_saveexec_b32 s5, s3
	s_cbranch_execz .LBB39_434
; %bb.433:
	global_load_b32 v1, v[8:9], off
.LBB39_434:
	s_wait_xcnt 0x0
	s_or_b32 exec_lo, exec_lo, s5
	s_clause 0x1
	s_load_b32 s5, s[0:1], 0x1c8
	s_load_b32 s16, s[0:1], 0x2a8
	s_wait_xcnt 0x0
	s_mul_i32 s0, s58, s57
	s_add_co_i32 s17, s36, 31
	s_add_co_i32 s10, s0, s35
	s_mul_i32 s0, s59, s55
	s_mov_b32 s11, 0
	s_and_not1_b32 s17, s17, 31
	s_add_co_i32 s0, s0, s41
	s_mov_b32 s1, s11
	v_cmp_gt_u32_e32 vcc_lo, s17, v0
	s_lshl_b64 s[6:7], s[10:11], 2
	s_lshl_b64 s[0:1], s[0:1], 3
	s_add_nc_u64 s[6:7], s[44:45], s[6:7]
	s_add_nc_u64 s[8:9], s[42:43], s[0:1]
	s_mov_b32 s0, -1
	s_mov_b32 s1, 0
	s_and_saveexec_b32 s10, vcc_lo
	s_cbranch_execnz .LBB39_445
; %bb.435:
	s_or_b32 exec_lo, exec_lo, s10
	s_and_saveexec_b32 s4, s0
	s_cbranch_execnz .LBB39_460
.LBB39_436:
	s_or_b32 exec_lo, exec_lo, s4
	s_and_saveexec_b32 s0, s1
	s_delay_alu instid0(SALU_CYCLE_1)
	s_xor_b32 s0, exec_lo, s0
	s_cbranch_execnz .LBB39_483
.LBB39_437:
	s_or_b32 exec_lo, exec_lo, s0
	s_delay_alu instid0(SALU_CYCLE_1)
	s_and_b32 s8, s11, exec_lo
.LBB39_438:
	s_and_not1_saveexec_b32 s0, s15
	s_cbranch_execnz .LBB39_485
.LBB39_439:
	s_or_b32 exec_lo, exec_lo, s0
	s_delay_alu instid0(SALU_CYCLE_1)
	s_and_b32 s8, s8, exec_lo
.LBB39_440:
	s_and_not1_saveexec_b32 s0, s14
	s_cbranch_execnz .LBB39_484
.LBB39_441:
	s_or_b32 exec_lo, exec_lo, s0
	s_delay_alu instid0(SALU_CYCLE_1)
	s_and_b32 s8, s8, exec_lo
.LBB39_442:
	s_and_not1_saveexec_b32 s0, s13
	s_cbranch_execnz .LBB39_479
.LBB39_443:
	s_or_b32 exec_lo, exec_lo, s0
	s_delay_alu instid0(SALU_CYCLE_1)
	s_and_b32 s8, s8, exec_lo
	s_and_not1_saveexec_b32 s0, s12
	s_cbranch_execz .LBB39_422
.LBB39_444:
	s_or_b32 s8, s8, exec_lo
	s_trap 2
	s_or_b32 exec_lo, exec_lo, s0
	s_and_saveexec_b32 s0, s8
	s_cbranch_execnz .LBB39_423
	s_branch .LBB39_424
.LBB39_445:
	v_dual_mov_b32 v3, 0 :: v_dual_add_nc_u32 v2, s40, v0
	v_xor_b32_e32 v5, 0x80000000, v17
	s_mov_b32 s18, 0
                                        ; implicit-def: $sgpr19
                                        ; implicit-def: $vgpr11
	s_delay_alu instid0(VALU_DEP_2)
	v_mul_lo_u32 v4, s54, v2
	v_mov_b32_e32 v2, v0
	s_branch .LBB39_447
.LBB39_446:                             ;   in Loop: Header=BB39_447 Depth=1
	s_or_b32 exec_lo, exec_lo, s21
	s_xor_b32 s0, s20, -1
	s_and_b32 s1, exec_lo, s1
	v_dual_mov_b32 v1, v10 :: v_dual_mov_b32 v2, v7
	s_or_b32 s18, s1, s18
	s_and_not1_b32 s1, s19, exec_lo
	s_and_b32 s0, s0, exec_lo
	s_delay_alu instid0(SALU_CYCLE_1)
	s_or_b32 s19, s1, s0
	s_and_not1_b32 exec_lo, exec_lo, s18
	s_cbranch_execz .LBB39_459
.LBB39_447:                             ; =>This Inner Loop Header: Depth=1
	s_delay_alu instid0(VALU_DEP_1) | instskip(SKIP_1) | instid1(VALU_DEP_1)
	v_dual_mov_b32 v10, 0 :: v_dual_add_nc_u32 v7, s40, v2
	s_mov_b32 s1, exec_lo
	v_cmpx_gt_u32_e64 s36, v7
	s_cbranch_execz .LBB39_449
; %bb.448:                              ;   in Loop: Header=BB39_447 Depth=1
	global_load_b32 v10, v4, s[38:39] scale_offset
.LBB39_449:                             ;   in Loop: Header=BB39_447 Depth=1
	s_wait_xcnt 0x0
	s_or_b32 exec_lo, exec_lo, s1
	s_wait_loadcnt 0x0
	v_xor_b32_e32 v12, 0x80000000, v1
	s_delay_alu instid0(VALU_DEP_1) | instskip(NEXT) | instid1(VALU_DEP_1)
	v_cmp_gt_u32_e64 s0, v12, v5
	v_cndmask_b32_e64 v13, 0, 1, s0
	v_cmp_lt_u32_e64 s0, v12, v5
	s_delay_alu instid0(VALU_DEP_1) | instskip(SKIP_1) | instid1(VALU_DEP_2)
	v_cndmask_b32_e64 v12, 0, 1, s0
	v_cmp_gt_u32_e64 s0, s36, v2
	v_cndmask_b32_e64 v12, v12, v13, s4
	s_delay_alu instid0(VALU_DEP_1) | instskip(NEXT) | instid1(VALU_DEP_1)
	v_and_b32_e32 v12, 1, v12
	v_cmp_eq_u32_e64 s1, 1, v12
	s_and_b32 s20, s0, s1
	s_delay_alu instid0(SALU_CYCLE_1) | instskip(NEXT) | instid1(VALU_DEP_1)
	v_cndmask_b32_e64 v12, 0, 1, s20
	v_cmp_ne_u32_e64 s0, 0, v12
	s_cmp_lg_u32 s0, 0
	s_cselect_b32 s1, -1, 0
	s_delay_alu instid0(SALU_CYCLE_1) | instskip(NEXT) | instid1(SALU_CYCLE_1)
	s_and_b32 s1, s2, s1
	s_and_saveexec_b32 s21, s1
	s_cbranch_execz .LBB39_453
; %bb.450:                              ;   in Loop: Header=BB39_447 Depth=1
	s_mov_b32 s24, exec_lo
	s_bcnt1_i32_b32 s22, s0
	s_wait_dscnt 0x0
	v_mbcnt_lo_u32_b32 v11, s24, 0
	s_mov_b32 s23, exec_lo
                                        ; implicit-def: $vgpr12
	s_delay_alu instid0(VALU_DEP_1)
	v_cmpx_eq_u32_e32 0, v11
; %bb.451:                              ;   in Loop: Header=BB39_447 Depth=1
	s_bcnt1_i32_b32 s1, s24
	s_delay_alu instid0(SALU_CYCLE_1) | instskip(NEXT) | instid1(SALU_CYCLE_1)
	s_mul_i32 s1, s22, s1
	v_mov_b32_e32 v12, s1
	ds_add_rtn_u32 v12, v3, v12 offset:4108
; %bb.452:                              ;   in Loop: Header=BB39_447 Depth=1
	s_or_b32 exec_lo, exec_lo, s23
	s_wait_dscnt 0x0
	v_readfirstlane_b32 s1, v12
	s_delay_alu instid0(VALU_DEP_1)
	v_mad_u32_u24 v11, s22, v11, s1
.LBB39_453:                             ;   in Loop: Header=BB39_447 Depth=1
	s_or_b32 exec_lo, exec_lo, s21
	s_wait_dscnt 0x0
	ds_bpermute_b32 v11, v3, v11
	s_mov_b32 s1, -1
	s_mov_b32 s22, -1
	s_and_saveexec_b32 s21, s20
	s_cbranch_execz .LBB39_457
; %bb.454:                              ;   in Loop: Header=BB39_447 Depth=1
	v_and_b32_e32 v12, s0, v6
	s_mov_b32 s20, 0
	s_mov_b32 s22, exec_lo
	s_wait_dscnt 0x0
	s_delay_alu instid0(VALU_DEP_1) | instskip(NEXT) | instid1(VALU_DEP_1)
	v_bcnt_u32_b32 v12, v12, v11
	v_cmpx_gt_u32_e64 s37, v12
	s_cbranch_execz .LBB39_456
; %bb.455:                              ;   in Loop: Header=BB39_447 Depth=1
	s_wait_kmcnt 0x0
	v_mul_lo_u32 v13, v12, s5
	v_mul_lo_u32 v12, v12, s16
	s_mov_b32 s20, exec_lo
	global_store_b32 v13, v1, s[6:7] scale_offset
	global_store_b64 v12, v[2:3], s[8:9] scale_offset
.LBB39_456:                             ;   in Loop: Header=BB39_447 Depth=1
	s_wait_xcnt 0x0
	s_or_b32 exec_lo, exec_lo, s22
	s_delay_alu instid0(SALU_CYCLE_1)
	s_or_not1_b32 s22, s20, exec_lo
.LBB39_457:                             ;   in Loop: Header=BB39_447 Depth=1
	s_or_b32 exec_lo, exec_lo, s21
	s_mov_b32 s20, -1
	s_and_saveexec_b32 s21, s22
	s_cbranch_execz .LBB39_446
; %bb.458:                              ;   in Loop: Header=BB39_447 Depth=1
	v_cmp_le_u32_e64 s0, s17, v7
	v_add_nc_u32_e32 v4, s56, v4
	s_xor_b32 s20, exec_lo, -1
	s_or_not1_b32 s1, s0, exec_lo
	s_branch .LBB39_446
.LBB39_459:
	s_or_b32 exec_lo, exec_lo, s18
	s_delay_alu instid0(SALU_CYCLE_1)
	s_mov_b32 s1, exec_lo
	s_or_not1_b32 s0, s19, exec_lo
	s_or_b32 exec_lo, exec_lo, s10
	s_and_saveexec_b32 s4, s0
	s_cbranch_execz .LBB39_436
.LBB39_460:
	v_mov_b32_e32 v7, 0
	s_wait_storecnt 0x0
	s_wait_loadcnt_dscnt 0x0
	s_barrier_signal -1
	s_barrier_wait -1
	s_and_saveexec_b32 s0, s3
	s_cbranch_execz .LBB39_462
; %bb.461:
	global_load_b32 v7, v[8:9], off
.LBB39_462:
	s_wait_xcnt 0x0
	s_or_b32 exec_lo, exec_lo, s0
	s_mov_b32 s0, 0
	s_and_saveexec_b32 s3, vcc_lo
	s_cbranch_execz .LBB39_482
; %bb.463:
	v_add_nc_u32_e32 v1, s40, v0
	s_mov_b32 s10, 0
                                        ; implicit-def: $sgpr11
                                        ; implicit-def: $vgpr5
	s_delay_alu instid0(VALU_DEP_1)
	v_mul_lo_u32 v2, s54, v1
	v_mov_b32_e32 v1, 0
	s_branch .LBB39_466
.LBB39_464:                             ;   in Loop: Header=BB39_466 Depth=1
	s_or_b32 exec_lo, exec_lo, s20
	s_delay_alu instid0(SALU_CYCLE_1)
	s_or_not1_b32 s20, s18, exec_lo
	s_or_not1_b32 s19, s19, exec_lo
.LBB39_465:                             ;   in Loop: Header=BB39_466 Depth=1
	s_or_b32 exec_lo, exec_lo, s0
	s_xor_b32 s0, s20, -1
	s_and_b32 s18, exec_lo, s19
	v_dual_mov_b32 v0, v3 :: v_dual_mov_b32 v7, v4
	s_or_b32 s10, s18, s10
	s_and_not1_b32 s11, s11, exec_lo
	s_and_b32 s0, s0, exec_lo
	s_delay_alu instid0(SALU_CYCLE_1)
	s_or_b32 s11, s11, s0
	s_and_not1_b32 exec_lo, exec_lo, s10
	s_cbranch_execz .LBB39_480
.LBB39_466:                             ; =>This Inner Loop Header: Depth=1
	v_dual_mov_b32 v4, 0 :: v_dual_add_nc_u32 v3, s40, v0
	s_mov_b32 s0, exec_lo
	s_delay_alu instid0(VALU_DEP_1)
	v_cmpx_gt_u32_e64 s36, v3
	s_cbranch_execz .LBB39_468
; %bb.467:                              ;   in Loop: Header=BB39_466 Depth=1
	global_load_b32 v4, v2, s[38:39] scale_offset
.LBB39_468:                             ;   in Loop: Header=BB39_466 Depth=1
	s_wait_xcnt 0x0
	s_or_b32 exec_lo, exec_lo, s0
	v_cmp_gt_u32_e32 vcc_lo, s36, v0
	s_wait_loadcnt 0x0
	v_cmp_eq_u32_e64 s0, v7, v17
	s_and_b32 s18, vcc_lo, s0
	s_delay_alu instid0(SALU_CYCLE_1) | instskip(NEXT) | instid1(VALU_DEP_1)
	v_cndmask_b32_e64 v7, 0, 1, s18
	v_cmp_ne_u32_e32 vcc_lo, 0, v7
	s_cmp_lg_u32 vcc_lo, 0
	s_cselect_b32 s0, -1, 0
	s_delay_alu instid0(SALU_CYCLE_1) | instskip(NEXT) | instid1(SALU_CYCLE_1)
	s_and_b32 s0, s2, s0
	s_and_saveexec_b32 s19, s0
	s_cbranch_execz .LBB39_472
; %bb.469:                              ;   in Loop: Header=BB39_466 Depth=1
	s_mov_b32 s22, exec_lo
	s_bcnt1_i32_b32 s20, vcc_lo
	v_mbcnt_lo_u32_b32 v5, s22, 0
	s_mov_b32 s21, exec_lo
                                        ; implicit-def: $vgpr7
	s_delay_alu instid0(VALU_DEP_1)
	v_cmpx_eq_u32_e32 0, v5
; %bb.470:                              ;   in Loop: Header=BB39_466 Depth=1
	s_bcnt1_i32_b32 s0, s22
	s_delay_alu instid0(SALU_CYCLE_1) | instskip(NEXT) | instid1(SALU_CYCLE_1)
	s_mul_i32 s0, s20, s0
	v_mov_b32_e32 v7, s0
	ds_add_rtn_u32 v7, v1, v7 offset:4108
; %bb.471:                              ;   in Loop: Header=BB39_466 Depth=1
	s_or_b32 exec_lo, exec_lo, s21
	s_wait_dscnt 0x0
	v_readfirstlane_b32 s0, v7
	s_delay_alu instid0(VALU_DEP_1)
	v_mad_u32_u24 v5, s20, v5, s0
.LBB39_472:                             ;   in Loop: Header=BB39_466 Depth=1
	s_or_b32 exec_lo, exec_lo, s19
	ds_bpermute_b32 v5, v1, v5
	s_cmp_eq_u32 vcc_lo, 0
	s_mov_b32 s19, -1
	s_cselect_b32 s20, -1, 0
	s_wait_dscnt 0x0
	v_cmp_gt_u32_e64 s0, s37, v5
	s_or_b32 s21, s20, s0
	s_mov_b32 s20, -1
	s_and_saveexec_b32 s0, s21
	s_cbranch_execz .LBB39_465
; %bb.473:                              ;   in Loop: Header=BB39_466 Depth=1
	v_dual_sub_nc_u32 v8, s37, v5 :: v_dual_bitop2_b32 v7, vcc_lo, v6 bitop3:0x40
	s_mov_b32 s21, -1
	s_delay_alu instid0(VALU_DEP_1) | instskip(NEXT) | instid1(VALU_DEP_1)
	v_bcnt_u32_b32 v7, v7, 0
	v_bcnt_u32_b32 v7, 0, v7
	s_delay_alu instid0(VALU_DEP_1)
	v_cmp_gt_u32_e32 vcc_lo, v8, v7
	s_and_b32 s22, s18, vcc_lo
	s_mov_b32 s18, -1
	s_and_saveexec_b32 s20, s22
	s_cbranch_execz .LBB39_477
; %bb.474:                              ;   in Loop: Header=BB39_466 Depth=1
	v_add_nc_u32_e32 v7, v5, v7
	s_mov_b32 s21, 0
	s_mov_b32 s18, exec_lo
	s_delay_alu instid0(VALU_DEP_1)
	v_cmpx_gt_u32_e64 s37, v7
	s_cbranch_execz .LBB39_476
; %bb.475:                              ;   in Loop: Header=BB39_466 Depth=1
	s_wait_kmcnt 0x0
	v_mul_lo_u32 v8, v7, s5
	v_mul_lo_u32 v7, v7, s16
	s_mov_b32 s21, exec_lo
	global_store_b32 v8, v17, s[6:7] scale_offset
	global_store_b64 v7, v[0:1], s[8:9] scale_offset
.LBB39_476:                             ;   in Loop: Header=BB39_466 Depth=1
	s_wait_xcnt 0x0
	s_or_b32 exec_lo, exec_lo, s18
	s_delay_alu instid0(SALU_CYCLE_1)
	s_xor_b32 s18, exec_lo, -1
	s_or_not1_b32 s21, s21, exec_lo
.LBB39_477:                             ;   in Loop: Header=BB39_466 Depth=1
	s_or_b32 exec_lo, exec_lo, s20
	s_and_saveexec_b32 s20, s21
	s_cbranch_execz .LBB39_464
; %bb.478:                              ;   in Loop: Header=BB39_466 Depth=1
	v_cmp_le_u32_e32 vcc_lo, s17, v3
	v_add_nc_u32_e32 v2, s56, v2
	s_or_b32 s18, s18, exec_lo
	s_or_not1_b32 s19, vcc_lo, exec_lo
	s_branch .LBB39_464
.LBB39_479:
	s_or_b32 s8, s8, exec_lo
	s_trap 2
	s_branch .LBB39_443
.LBB39_480:
	s_or_b32 exec_lo, exec_lo, s10
	s_mov_b32 s0, 0
	s_and_saveexec_b32 s2, s11
	s_delay_alu instid0(SALU_CYCLE_1)
	s_xor_b32 s2, exec_lo, s2
	s_cbranch_execnz .LBB39_486
.LBB39_481:
	s_or_b32 exec_lo, exec_lo, s2
	s_delay_alu instid0(SALU_CYCLE_1)
	s_and_b32 s0, s0, exec_lo
.LBB39_482:
	s_or_b32 exec_lo, exec_lo, s3
	s_delay_alu instid0(SALU_CYCLE_1) | instskip(SKIP_3) | instid1(SALU_CYCLE_1)
	s_and_b32 s11, s0, exec_lo
	s_and_not1_b32 s1, s1, exec_lo
	s_or_b32 exec_lo, exec_lo, s4
	s_and_saveexec_b32 s0, s1
	s_xor_b32 s0, exec_lo, s0
	s_cbranch_execz .LBB39_437
.LBB39_483:
	s_or_b32 s11, s11, exec_lo
	s_trap 2
	s_branch .LBB39_437
.LBB39_484:
	s_or_b32 s8, s8, exec_lo
	s_trap 2
	s_branch .LBB39_441
.LBB39_485:
	s_or_b32 s8, s8, exec_lo
	s_trap 2
	s_branch .LBB39_439
.LBB39_486:
	s_mov_b32 s0, exec_lo
	s_trap 2
	s_branch .LBB39_481
	.section	.rodata,"a",@progbits
	.p2align	6, 0x0
	.amdhsa_kernel _ZN2at6native6sbtopk10gatherTopKIijLin1ELb0EEEvNS_4cuda6detail10TensorInfoIKT_T0_EES8_S8_bS8_S8_NS5_IS6_S8_EES8_NS5_IlS8_EES8_PS6_
		.amdhsa_group_segment_fixed_size 4112
		.amdhsa_private_segment_fixed_size 0
		.amdhsa_kernarg_size 952
		.amdhsa_user_sgpr_count 2
		.amdhsa_user_sgpr_dispatch_ptr 0
		.amdhsa_user_sgpr_queue_ptr 0
		.amdhsa_user_sgpr_kernarg_segment_ptr 1
		.amdhsa_user_sgpr_dispatch_id 0
		.amdhsa_user_sgpr_kernarg_preload_length 0
		.amdhsa_user_sgpr_kernarg_preload_offset 0
		.amdhsa_user_sgpr_private_segment_size 0
		.amdhsa_wavefront_size32 1
		.amdhsa_uses_dynamic_stack 0
		.amdhsa_enable_private_segment 0
		.amdhsa_system_sgpr_workgroup_id_x 1
		.amdhsa_system_sgpr_workgroup_id_y 1
		.amdhsa_system_sgpr_workgroup_id_z 1
		.amdhsa_system_sgpr_workgroup_info 0
		.amdhsa_system_vgpr_workitem_id 0
		.amdhsa_next_free_vgpr 64
		.amdhsa_next_free_sgpr 104
		.amdhsa_named_barrier_count 0
		.amdhsa_reserve_vcc 1
		.amdhsa_float_round_mode_32 0
		.amdhsa_float_round_mode_16_64 0
		.amdhsa_float_denorm_mode_32 3
		.amdhsa_float_denorm_mode_16_64 3
		.amdhsa_fp16_overflow 0
		.amdhsa_memory_ordered 1
		.amdhsa_forward_progress 1
		.amdhsa_inst_pref_size 129
		.amdhsa_round_robin_scheduling 0
		.amdhsa_exception_fp_ieee_invalid_op 0
		.amdhsa_exception_fp_denorm_src 0
		.amdhsa_exception_fp_ieee_div_zero 0
		.amdhsa_exception_fp_ieee_overflow 0
		.amdhsa_exception_fp_ieee_underflow 0
		.amdhsa_exception_fp_ieee_inexact 0
		.amdhsa_exception_int_div_zero 0
	.end_amdhsa_kernel
	.section	.text._ZN2at6native6sbtopk10gatherTopKIijLin1ELb0EEEvNS_4cuda6detail10TensorInfoIKT_T0_EES8_S8_bS8_S8_NS5_IS6_S8_EES8_NS5_IlS8_EES8_PS6_,"axG",@progbits,_ZN2at6native6sbtopk10gatherTopKIijLin1ELb0EEEvNS_4cuda6detail10TensorInfoIKT_T0_EES8_S8_bS8_S8_NS5_IS6_S8_EES8_NS5_IlS8_EES8_PS6_,comdat
.Lfunc_end39:
	.size	_ZN2at6native6sbtopk10gatherTopKIijLin1ELb0EEEvNS_4cuda6detail10TensorInfoIKT_T0_EES8_S8_bS8_S8_NS5_IS6_S8_EES8_NS5_IlS8_EES8_PS6_, .Lfunc_end39-_ZN2at6native6sbtopk10gatherTopKIijLin1ELb0EEEvNS_4cuda6detail10TensorInfoIKT_T0_EES8_S8_bS8_S8_NS5_IS6_S8_EES8_NS5_IlS8_EES8_PS6_
                                        ; -- End function
	.set _ZN2at6native6sbtopk10gatherTopKIijLin1ELb0EEEvNS_4cuda6detail10TensorInfoIKT_T0_EES8_S8_bS8_S8_NS5_IS6_S8_EES8_NS5_IlS8_EES8_PS6_.num_vgpr, 64
	.set _ZN2at6native6sbtopk10gatherTopKIijLin1ELb0EEEvNS_4cuda6detail10TensorInfoIKT_T0_EES8_S8_bS8_S8_NS5_IS6_S8_EES8_NS5_IlS8_EES8_PS6_.num_agpr, 0
	.set _ZN2at6native6sbtopk10gatherTopKIijLin1ELb0EEEvNS_4cuda6detail10TensorInfoIKT_T0_EES8_S8_bS8_S8_NS5_IS6_S8_EES8_NS5_IlS8_EES8_PS6_.numbered_sgpr, 104
	.set _ZN2at6native6sbtopk10gatherTopKIijLin1ELb0EEEvNS_4cuda6detail10TensorInfoIKT_T0_EES8_S8_bS8_S8_NS5_IS6_S8_EES8_NS5_IlS8_EES8_PS6_.num_named_barrier, 0
	.set _ZN2at6native6sbtopk10gatherTopKIijLin1ELb0EEEvNS_4cuda6detail10TensorInfoIKT_T0_EES8_S8_bS8_S8_NS5_IS6_S8_EES8_NS5_IlS8_EES8_PS6_.private_seg_size, 0
	.set _ZN2at6native6sbtopk10gatherTopKIijLin1ELb0EEEvNS_4cuda6detail10TensorInfoIKT_T0_EES8_S8_bS8_S8_NS5_IS6_S8_EES8_NS5_IlS8_EES8_PS6_.uses_vcc, 1
	.set _ZN2at6native6sbtopk10gatherTopKIijLin1ELb0EEEvNS_4cuda6detail10TensorInfoIKT_T0_EES8_S8_bS8_S8_NS5_IS6_S8_EES8_NS5_IlS8_EES8_PS6_.uses_flat_scratch, 0
	.set _ZN2at6native6sbtopk10gatherTopKIijLin1ELb0EEEvNS_4cuda6detail10TensorInfoIKT_T0_EES8_S8_bS8_S8_NS5_IS6_S8_EES8_NS5_IlS8_EES8_PS6_.has_dyn_sized_stack, 0
	.set _ZN2at6native6sbtopk10gatherTopKIijLin1ELb0EEEvNS_4cuda6detail10TensorInfoIKT_T0_EES8_S8_bS8_S8_NS5_IS6_S8_EES8_NS5_IlS8_EES8_PS6_.has_recursion, 0
	.set _ZN2at6native6sbtopk10gatherTopKIijLin1ELb0EEEvNS_4cuda6detail10TensorInfoIKT_T0_EES8_S8_bS8_S8_NS5_IS6_S8_EES8_NS5_IlS8_EES8_PS6_.has_indirect_call, 0
	.section	.AMDGPU.csdata,"",@progbits
; Kernel info:
; codeLenInByte = 16408
; TotalNumSgprs: 106
; NumVgprs: 64
; ScratchSize: 0
; MemoryBound: 0
; FloatMode: 240
; IeeeMode: 1
; LDSByteSize: 4112 bytes/workgroup (compile time only)
; SGPRBlocks: 0
; VGPRBlocks: 3
; NumSGPRsForWavesPerEU: 106
; NumVGPRsForWavesPerEU: 64
; NamedBarCnt: 0
; Occupancy: 16
; WaveLimiterHint : 1
; COMPUTE_PGM_RSRC2:SCRATCH_EN: 0
; COMPUTE_PGM_RSRC2:USER_SGPR: 2
; COMPUTE_PGM_RSRC2:TRAP_HANDLER: 0
; COMPUTE_PGM_RSRC2:TGID_X_EN: 1
; COMPUTE_PGM_RSRC2:TGID_Y_EN: 1
; COMPUTE_PGM_RSRC2:TGID_Z_EN: 1
; COMPUTE_PGM_RSRC2:TIDIG_COMP_CNT: 0
	.section	.text._ZN2at6native6mbtopk23computeBlockDigitCountsIljmLi1EEEvNS_4cuda6detail10TensorInfoIKT_T0_EEjPjjS8_iijT1_PSB_Ps,"axG",@progbits,_ZN2at6native6mbtopk23computeBlockDigitCountsIljmLi1EEEvNS_4cuda6detail10TensorInfoIKT_T0_EEjPjjS8_iijT1_PSB_Ps,comdat
	.protected	_ZN2at6native6mbtopk23computeBlockDigitCountsIljmLi1EEEvNS_4cuda6detail10TensorInfoIKT_T0_EEjPjjS8_iijT1_PSB_Ps ; -- Begin function _ZN2at6native6mbtopk23computeBlockDigitCountsIljmLi1EEEvNS_4cuda6detail10TensorInfoIKT_T0_EEjPjjS8_iijT1_PSB_Ps
	.globl	_ZN2at6native6mbtopk23computeBlockDigitCountsIljmLi1EEEvNS_4cuda6detail10TensorInfoIKT_T0_EEjPjjS8_iijT1_PSB_Ps
	.p2align	8
	.type	_ZN2at6native6mbtopk23computeBlockDigitCountsIljmLi1EEEvNS_4cuda6detail10TensorInfoIKT_T0_EEjPjjS8_iijT1_PSB_Ps,@function
_ZN2at6native6mbtopk23computeBlockDigitCountsIljmLi1EEEvNS_4cuda6detail10TensorInfoIKT_T0_EEjPjjS8_iijT1_PSB_Ps: ; @_ZN2at6native6mbtopk23computeBlockDigitCountsIljmLi1EEEvNS_4cuda6detail10TensorInfoIKT_T0_EEjPjjS8_iijT1_PSB_Ps
; %bb.0:
	s_load_b32 s12, s[0:1], 0xf8
	s_bfe_u32 s2, ttmp6, 0x40010
	s_and_b32 s4, ttmp7, 0xffff
	s_add_co_i32 s5, s2, 1
	s_bfe_u32 s6, ttmp6, 0x40004
	s_mul_i32 s5, s4, s5
	s_load_b64 s[2:3], s[0:1], 0x118
	s_add_co_i32 s6, s6, s5
	s_bfe_u32 s7, ttmp6, 0x4000c
	s_bfe_u32 s9, ttmp6, 0x40014
	s_add_co_i32 s7, s7, 1
	s_and_b32 s8, ttmp6, 15
	s_mul_i32 s7, ttmp9, s7
	s_add_co_i32 s9, s9, 1
	s_add_co_i32 s7, s8, s7
	s_getreg_b32 s10, hwreg(HW_REG_IB_STS2, 6, 4)
	s_wait_kmcnt 0x0
	s_cvt_f32_u32 s5, s12
	s_delay_alu instid0(SALU_CYCLE_3) | instskip(SKIP_1) | instid1(SALU_CYCLE_1)
	v_rcp_iflag_f32_e32 v1, s5
	s_lshr_b32 s5, ttmp7, 16
	s_mul_i32 s8, s5, s9
	s_bfe_u32 s9, ttmp6, 0x40008
	s_delay_alu instid0(SALU_CYCLE_1) | instskip(SKIP_1) | instid1(TRANS32_DEP_1)
	s_add_co_i32 s9, s9, s8
	v_nop
	v_readfirstlane_b32 s11, v1
	s_cmp_eq_u32 s10, 0
	s_cselect_b32 s5, s5, s9
	s_cselect_b32 s4, s4, s6
	s_mul_f32 s13, s11, 0x4f7ffffe
	s_load_b128 s[8:11], s[0:1], 0xe8
	s_mul_i32 s3, s3, s5
	s_cselect_b32 s5, ttmp9, s7
	s_cvt_u32_f32 s7, s13
	s_sub_co_i32 s6, 0, s12
	s_add_co_i32 s3, s3, s4
	s_delay_alu instid0(SALU_CYCLE_1) | instskip(SKIP_3) | instid1(SALU_CYCLE_1)
	s_mul_i32 s16, s3, s2
	s_mul_i32 s6, s6, s7
	s_add_co_i32 s16, s16, s5
	s_mul_hi_u32 s2, s7, s6
	s_add_co_i32 s7, s7, s2
	s_delay_alu instid0(SALU_CYCLE_1) | instskip(NEXT) | instid1(SALU_CYCLE_1)
	s_mul_hi_u32 s2, s16, s7
	s_mul_i32 s3, s2, s12
	s_add_co_i32 s4, s2, 1
	s_sub_co_i32 s3, s16, s3
	s_delay_alu instid0(SALU_CYCLE_1)
	s_sub_co_i32 s5, s3, s12
	s_cmp_ge_u32 s3, s12
	s_cselect_b32 s2, s4, s2
	s_cselect_b32 s3, s5, s3
	s_add_co_i32 s4, s2, 1
	s_cmp_ge_u32 s3, s12
	s_cselect_b32 s18, s4, s2
	s_wait_kmcnt 0x0
	s_cmp_ge_u32 s18, s8
	s_cbranch_scc1 .LBB40_27
; %bb.1:
	s_clause 0x1
	s_load_b64 s[2:3], s[0:1], 0x110
	s_load_b128 s[4:7], s[0:1], 0x100
	v_cmp_gt_u32_e32 vcc_lo, 0x100, v0
	v_lshlrev_b32_e32 v1, 2, v0
	s_and_saveexec_b32 s8, vcc_lo
; %bb.2:
	v_mov_b32_e32 v2, 0
	ds_store_b32 v1, v2
; %bb.3:
	s_or_b32 exec_lo, exec_lo, s8
	s_load_b32 s8, s[0:1], 0xd8
	s_mul_i32 s13, s18, s12
	s_mov_b32 s15, 0
	s_sub_co_i32 s13, s16, s13
	s_wait_dscnt 0x0
	s_mul_i32 s14, s11, s13
	s_add_co_i32 s13, s13, 1
	s_lshl_b32 s17, s14, 8
	s_barrier_signal -1
	s_barrier_wait -1
	s_wait_kmcnt 0x0
	s_sub_co_i32 s14, s8, s17
	s_delay_alu instid0(SALU_CYCLE_1) | instskip(NEXT) | instid1(SALU_CYCLE_1)
	s_add_nc_u64 s[20:21], s[14:15], 0xff
	s_lshr_b64 s[20:21], s[20:21], 8
	s_cmp_lt_u32 s13, s12
	s_cselect_b32 s11, s11, s20
	s_delay_alu instid0(SALU_CYCLE_1)
	s_cmp_lt_i32 s11, 1
	s_cbranch_scc1 .LBB40_25
; %bb.4:
	s_clause 0x1
	s_load_b32 s14, s[0:1], 0x6c
	s_load_b64 s[20:21], s[0:1], 0x0
	s_load_b64 s[12:13], s[6:7], s18 offset:0x0 scale_offset
	s_wait_xcnt 0x0
	s_and_b32 s1, s10, 0xff
	s_wait_kmcnt 0x0
	s_mul_i32 s14, s14, s18
	s_delay_alu instid0(SALU_CYCLE_1)
	s_lshl_b64 s[6:7], s[14:15], 3
	s_cmp_lt_u32 s11, 4
	s_add_nc_u64 s[6:7], s[20:21], s[6:7]
	s_cbranch_scc1 .LBB40_19
; %bb.5:
	v_dual_mov_b32 v9, 1 :: v_dual_add_nc_u32 v2, s17, v0
	s_and_b32 s15, s11, 0x7ffffffc
	s_lshl_b32 s10, s9, 10
	s_mov_b32 s14, 0
	s_delay_alu instid0(VALU_DEP_1)
	v_add_nc_u32_e32 v4, 0x300, v2
	v_add_nc_u32_e32 v3, 0x200, v2
	;; [unrolled: 1-line block ×3, first 2 shown]
	v_mul_lo_u32 v8, s9, v2
	s_mov_b32 s18, 0
	v_mul_lo_u32 v5, s9, v4
	v_mul_lo_u32 v6, s9, v3
	;; [unrolled: 1-line block ×3, first 2 shown]
	s_branch .LBB40_7
.LBB40_6:                               ;   in Loop: Header=BB40_7 Depth=1
	s_or_b32 exec_lo, exec_lo, s19
	v_add_nc_u32_e32 v4, 0x400, v4
	s_add_co_i32 s18, s18, 4
	s_add_co_i32 s14, s14, s10
	s_cmp_eq_u32 s15, s18
	s_cbranch_scc1 .LBB40_19
.LBB40_7:                               ; =>This Inner Loop Header: Depth=1
	v_add_nc_u32_e32 v2, 0xfffffd00, v4
	s_mov_b32 s19, exec_lo
	s_delay_alu instid0(VALU_DEP_1)
	v_cmpx_gt_u32_e64 s8, v2
	s_cbranch_execz .LBB40_10
; %bb.8:                                ;   in Loop: Header=BB40_7 Depth=1
	v_add_nc_u32_e32 v2, s14, v8
	global_load_b64 v[2:3], v2, s[6:7] scale_offset
	s_wait_loadcnt 0x0
	v_xor_b32_e32 v3, 0x80000000, v3
	v_xor_b32_e32 v12, s12, v2
	s_delay_alu instid0(VALU_DEP_2) | instskip(NEXT) | instid1(VALU_DEP_1)
	v_xor_b32_e32 v10, s13, v3
	v_and_b32_e32 v11, s5, v10
	s_delay_alu instid0(VALU_DEP_3) | instskip(NEXT) | instid1(VALU_DEP_1)
	v_and_b32_e32 v10, s4, v12
	v_cmp_eq_u64_e64 s0, 0, v[10:11]
	s_wait_xcnt 0x0
	s_and_b32 exec_lo, exec_lo, s0
	s_cbranch_execz .LBB40_10
; %bb.9:                                ;   in Loop: Header=BB40_7 Depth=1
	v_lshrrev_b64 v[2:3], s1, v[2:3]
	s_delay_alu instid0(VALU_DEP_1) | instskip(NEXT) | instid1(VALU_DEP_1)
	v_and_b32_e32 v2, 0xff, v2
	v_lshlrev_b32_e32 v2, 2, v2
	ds_add_u32 v2, v9
.LBB40_10:                              ;   in Loop: Header=BB40_7 Depth=1
	s_or_b32 exec_lo, exec_lo, s19
	v_add_nc_u32_e32 v2, 0xfffffe00, v4
	s_mov_b32 s19, exec_lo
	s_delay_alu instid0(VALU_DEP_1)
	v_cmpx_gt_u32_e64 s8, v2
	s_cbranch_execz .LBB40_13
; %bb.11:                               ;   in Loop: Header=BB40_7 Depth=1
	v_add_nc_u32_e32 v2, s14, v7
	global_load_b64 v[2:3], v2, s[6:7] scale_offset
	s_wait_loadcnt 0x0
	v_xor_b32_e32 v3, 0x80000000, v3
	v_xor_b32_e32 v12, s12, v2
	s_delay_alu instid0(VALU_DEP_2) | instskip(NEXT) | instid1(VALU_DEP_1)
	v_xor_b32_e32 v10, s13, v3
	v_and_b32_e32 v11, s5, v10
	s_delay_alu instid0(VALU_DEP_3) | instskip(NEXT) | instid1(VALU_DEP_1)
	v_and_b32_e32 v10, s4, v12
	v_cmp_eq_u64_e64 s0, 0, v[10:11]
	s_and_b32 exec_lo, exec_lo, s0
	s_cbranch_execz .LBB40_13
; %bb.12:                               ;   in Loop: Header=BB40_7 Depth=1
	v_lshrrev_b64 v[2:3], s1, v[2:3]
	s_delay_alu instid0(VALU_DEP_1) | instskip(NEXT) | instid1(VALU_DEP_1)
	v_and_b32_e32 v2, 0xff, v2
	v_lshlrev_b32_e32 v2, 2, v2
	ds_add_u32 v2, v9
.LBB40_13:                              ;   in Loop: Header=BB40_7 Depth=1
	s_or_b32 exec_lo, exec_lo, s19
	v_add_nc_u32_e32 v2, 0xffffff00, v4
	s_mov_b32 s19, exec_lo
	s_delay_alu instid0(VALU_DEP_1)
	v_cmpx_gt_u32_e64 s8, v2
	s_cbranch_execz .LBB40_16
; %bb.14:                               ;   in Loop: Header=BB40_7 Depth=1
	v_add_nc_u32_e32 v2, s14, v6
	global_load_b64 v[2:3], v2, s[6:7] scale_offset
	s_wait_loadcnt 0x0
	v_xor_b32_e32 v3, 0x80000000, v3
	v_xor_b32_e32 v12, s12, v2
	s_delay_alu instid0(VALU_DEP_2) | instskip(NEXT) | instid1(VALU_DEP_1)
	v_xor_b32_e32 v10, s13, v3
	v_and_b32_e32 v11, s5, v10
	s_delay_alu instid0(VALU_DEP_3) | instskip(NEXT) | instid1(VALU_DEP_1)
	v_and_b32_e32 v10, s4, v12
	v_cmp_eq_u64_e64 s0, 0, v[10:11]
	s_and_b32 exec_lo, exec_lo, s0
	s_cbranch_execz .LBB40_16
; %bb.15:                               ;   in Loop: Header=BB40_7 Depth=1
	v_lshrrev_b64 v[2:3], s1, v[2:3]
	s_delay_alu instid0(VALU_DEP_1) | instskip(NEXT) | instid1(VALU_DEP_1)
	v_and_b32_e32 v2, 0xff, v2
	v_lshlrev_b32_e32 v2, 2, v2
	ds_add_u32 v2, v9
.LBB40_16:                              ;   in Loop: Header=BB40_7 Depth=1
	s_or_b32 exec_lo, exec_lo, s19
	s_delay_alu instid0(SALU_CYCLE_1)
	s_mov_b32 s19, exec_lo
	v_cmpx_gt_u32_e64 s8, v4
	s_cbranch_execz .LBB40_6
; %bb.17:                               ;   in Loop: Header=BB40_7 Depth=1
	v_add_nc_u32_e32 v2, s14, v5
	global_load_b64 v[2:3], v2, s[6:7] scale_offset
	s_wait_loadcnt 0x0
	v_xor_b32_e32 v3, 0x80000000, v3
	v_xor_b32_e32 v12, s12, v2
	s_delay_alu instid0(VALU_DEP_2) | instskip(NEXT) | instid1(VALU_DEP_1)
	v_xor_b32_e32 v10, s13, v3
	v_and_b32_e32 v11, s5, v10
	s_delay_alu instid0(VALU_DEP_3) | instskip(NEXT) | instid1(VALU_DEP_1)
	v_and_b32_e32 v10, s4, v12
	v_cmp_eq_u64_e64 s0, 0, v[10:11]
	s_and_b32 exec_lo, exec_lo, s0
	s_cbranch_execz .LBB40_6
; %bb.18:                               ;   in Loop: Header=BB40_7 Depth=1
	v_lshrrev_b64 v[2:3], s1, v[2:3]
	s_delay_alu instid0(VALU_DEP_1) | instskip(NEXT) | instid1(VALU_DEP_1)
	v_and_b32_e32 v2, 0xff, v2
	v_lshlrev_b32_e32 v2, 2, v2
	ds_add_u32 v2, v9
	s_branch .LBB40_6
.LBB40_19:
	s_and_b32 s10, s11, 3
	s_delay_alu instid0(SALU_CYCLE_1)
	s_cmp_eq_u32 s10, 0
	s_cbranch_scc1 .LBB40_25
; %bb.20:
	s_lshl_b32 s0, s15, 8
	v_mov_b32_e32 v6, 1
	v_add3_u32 v4, s0, s17, v0
	s_delay_alu instid0(VALU_DEP_1)
	v_mul_lo_u32 v5, s9, v4
	s_lshl_b32 s9, s9, 8
	s_branch .LBB40_22
.LBB40_21:                              ;   in Loop: Header=BB40_22 Depth=1
	s_or_b32 exec_lo, exec_lo, s11
	s_delay_alu instid0(VALU_DEP_2) | instskip(SKIP_2) | instid1(SALU_CYCLE_1)
	v_add_nc_u32_e32 v5, s9, v5
	v_add_nc_u32_e32 v4, 0x100, v4
	s_add_co_i32 s10, s10, -1
	s_cmp_lg_u32 s10, 0
	s_cbranch_scc0 .LBB40_25
.LBB40_22:                              ; =>This Inner Loop Header: Depth=1
	s_mov_b32 s11, exec_lo
	v_cmpx_gt_u32_e64 s8, v4
	s_cbranch_execz .LBB40_21
; %bb.23:                               ;   in Loop: Header=BB40_22 Depth=1
	global_load_b64 v[2:3], v5, s[6:7] scale_offset
	s_wait_loadcnt 0x0
	v_xor_b32_e32 v3, 0x80000000, v3
	v_xor_b32_e32 v8, s12, v2
	s_delay_alu instid0(VALU_DEP_2) | instskip(NEXT) | instid1(VALU_DEP_2)
	v_xor_b32_e32 v7, s13, v3
	v_and_b32_e32 v8, s4, v8
	s_delay_alu instid0(VALU_DEP_2) | instskip(NEXT) | instid1(VALU_DEP_1)
	v_and_b32_e32 v9, s5, v7
	v_cmp_eq_u64_e64 s0, 0, v[8:9]
	s_and_b32 exec_lo, exec_lo, s0
	s_cbranch_execz .LBB40_21
; %bb.24:                               ;   in Loop: Header=BB40_22 Depth=1
	v_lshrrev_b64 v[2:3], s1, v[2:3]
	s_delay_alu instid0(VALU_DEP_1) | instskip(NEXT) | instid1(VALU_DEP_1)
	v_and_b32_e32 v2, 0xff, v2
	v_lshlrev_b32_e32 v2, 2, v2
	ds_add_u32 v2, v6
	s_branch .LBB40_21
.LBB40_25:
	s_wait_dscnt 0x0
	s_barrier_signal -1
	s_barrier_wait -1
	s_and_saveexec_b32 s0, vcc_lo
	s_cbranch_execz .LBB40_27
; %bb.26:
	ds_load_b32 v1, v1
	v_lshl_or_b32 v0, s16, 8, v0
	s_wait_dscnt 0x0
	global_store_b16 v0, v1, s[2:3] scale_offset
.LBB40_27:
	s_endpgm
	.section	.rodata,"a",@progbits
	.p2align	6, 0x0
	.amdhsa_kernel _ZN2at6native6mbtopk23computeBlockDigitCountsIljmLi1EEEvNS_4cuda6detail10TensorInfoIKT_T0_EEjPjjS8_iijT1_PSB_Ps
		.amdhsa_group_segment_fixed_size 1024
		.amdhsa_private_segment_fixed_size 0
		.amdhsa_kernarg_size 536
		.amdhsa_user_sgpr_count 2
		.amdhsa_user_sgpr_dispatch_ptr 0
		.amdhsa_user_sgpr_queue_ptr 0
		.amdhsa_user_sgpr_kernarg_segment_ptr 1
		.amdhsa_user_sgpr_dispatch_id 0
		.amdhsa_user_sgpr_kernarg_preload_length 0
		.amdhsa_user_sgpr_kernarg_preload_offset 0
		.amdhsa_user_sgpr_private_segment_size 0
		.amdhsa_wavefront_size32 1
		.amdhsa_uses_dynamic_stack 0
		.amdhsa_enable_private_segment 0
		.amdhsa_system_sgpr_workgroup_id_x 1
		.amdhsa_system_sgpr_workgroup_id_y 1
		.amdhsa_system_sgpr_workgroup_id_z 1
		.amdhsa_system_sgpr_workgroup_info 0
		.amdhsa_system_vgpr_workitem_id 0
		.amdhsa_next_free_vgpr 13
		.amdhsa_next_free_sgpr 22
		.amdhsa_named_barrier_count 0
		.amdhsa_reserve_vcc 1
		.amdhsa_float_round_mode_32 0
		.amdhsa_float_round_mode_16_64 0
		.amdhsa_float_denorm_mode_32 3
		.amdhsa_float_denorm_mode_16_64 3
		.amdhsa_fp16_overflow 0
		.amdhsa_memory_ordered 1
		.amdhsa_forward_progress 1
		.amdhsa_inst_pref_size 11
		.amdhsa_round_robin_scheduling 0
		.amdhsa_exception_fp_ieee_invalid_op 0
		.amdhsa_exception_fp_denorm_src 0
		.amdhsa_exception_fp_ieee_div_zero 0
		.amdhsa_exception_fp_ieee_overflow 0
		.amdhsa_exception_fp_ieee_underflow 0
		.amdhsa_exception_fp_ieee_inexact 0
		.amdhsa_exception_int_div_zero 0
	.end_amdhsa_kernel
	.section	.text._ZN2at6native6mbtopk23computeBlockDigitCountsIljmLi1EEEvNS_4cuda6detail10TensorInfoIKT_T0_EEjPjjS8_iijT1_PSB_Ps,"axG",@progbits,_ZN2at6native6mbtopk23computeBlockDigitCountsIljmLi1EEEvNS_4cuda6detail10TensorInfoIKT_T0_EEjPjjS8_iijT1_PSB_Ps,comdat
.Lfunc_end40:
	.size	_ZN2at6native6mbtopk23computeBlockDigitCountsIljmLi1EEEvNS_4cuda6detail10TensorInfoIKT_T0_EEjPjjS8_iijT1_PSB_Ps, .Lfunc_end40-_ZN2at6native6mbtopk23computeBlockDigitCountsIljmLi1EEEvNS_4cuda6detail10TensorInfoIKT_T0_EEjPjjS8_iijT1_PSB_Ps
                                        ; -- End function
	.set _ZN2at6native6mbtopk23computeBlockDigitCountsIljmLi1EEEvNS_4cuda6detail10TensorInfoIKT_T0_EEjPjjS8_iijT1_PSB_Ps.num_vgpr, 13
	.set _ZN2at6native6mbtopk23computeBlockDigitCountsIljmLi1EEEvNS_4cuda6detail10TensorInfoIKT_T0_EEjPjjS8_iijT1_PSB_Ps.num_agpr, 0
	.set _ZN2at6native6mbtopk23computeBlockDigitCountsIljmLi1EEEvNS_4cuda6detail10TensorInfoIKT_T0_EEjPjjS8_iijT1_PSB_Ps.numbered_sgpr, 22
	.set _ZN2at6native6mbtopk23computeBlockDigitCountsIljmLi1EEEvNS_4cuda6detail10TensorInfoIKT_T0_EEjPjjS8_iijT1_PSB_Ps.num_named_barrier, 0
	.set _ZN2at6native6mbtopk23computeBlockDigitCountsIljmLi1EEEvNS_4cuda6detail10TensorInfoIKT_T0_EEjPjjS8_iijT1_PSB_Ps.private_seg_size, 0
	.set _ZN2at6native6mbtopk23computeBlockDigitCountsIljmLi1EEEvNS_4cuda6detail10TensorInfoIKT_T0_EEjPjjS8_iijT1_PSB_Ps.uses_vcc, 1
	.set _ZN2at6native6mbtopk23computeBlockDigitCountsIljmLi1EEEvNS_4cuda6detail10TensorInfoIKT_T0_EEjPjjS8_iijT1_PSB_Ps.uses_flat_scratch, 0
	.set _ZN2at6native6mbtopk23computeBlockDigitCountsIljmLi1EEEvNS_4cuda6detail10TensorInfoIKT_T0_EEjPjjS8_iijT1_PSB_Ps.has_dyn_sized_stack, 0
	.set _ZN2at6native6mbtopk23computeBlockDigitCountsIljmLi1EEEvNS_4cuda6detail10TensorInfoIKT_T0_EEjPjjS8_iijT1_PSB_Ps.has_recursion, 0
	.set _ZN2at6native6mbtopk23computeBlockDigitCountsIljmLi1EEEvNS_4cuda6detail10TensorInfoIKT_T0_EEjPjjS8_iijT1_PSB_Ps.has_indirect_call, 0
	.section	.AMDGPU.csdata,"",@progbits
; Kernel info:
; codeLenInByte = 1384
; TotalNumSgprs: 24
; NumVgprs: 13
; ScratchSize: 0
; MemoryBound: 0
; FloatMode: 240
; IeeeMode: 1
; LDSByteSize: 1024 bytes/workgroup (compile time only)
; SGPRBlocks: 0
; VGPRBlocks: 0
; NumSGPRsForWavesPerEU: 24
; NumVGPRsForWavesPerEU: 13
; NamedBarCnt: 0
; Occupancy: 16
; WaveLimiterHint : 1
; COMPUTE_PGM_RSRC2:SCRATCH_EN: 0
; COMPUTE_PGM_RSRC2:USER_SGPR: 2
; COMPUTE_PGM_RSRC2:TRAP_HANDLER: 0
; COMPUTE_PGM_RSRC2:TGID_X_EN: 1
; COMPUTE_PGM_RSRC2:TGID_Y_EN: 1
; COMPUTE_PGM_RSRC2:TGID_Z_EN: 1
; COMPUTE_PGM_RSRC2:TIDIG_COMP_CNT: 0
	.section	.text._ZN2at6native6mbtopk29computeBlockwiseWithinKCountsImlEEvPT_PsPjjibS6_PT0_S6_S4_S6_j,"axG",@progbits,_ZN2at6native6mbtopk29computeBlockwiseWithinKCountsImlEEvPT_PsPjjibS6_PT0_S6_S4_S6_j,comdat
	.protected	_ZN2at6native6mbtopk29computeBlockwiseWithinKCountsImlEEvPT_PsPjjibS6_PT0_S6_S4_S6_j ; -- Begin function _ZN2at6native6mbtopk29computeBlockwiseWithinKCountsImlEEvPT_PsPjjibS6_PT0_S6_S4_S6_j
	.globl	_ZN2at6native6mbtopk29computeBlockwiseWithinKCountsImlEEvPT_PsPjjibS6_PT0_S6_S4_S6_j
	.p2align	8
	.type	_ZN2at6native6mbtopk29computeBlockwiseWithinKCountsImlEEvPT_PsPjjibS6_PT0_S6_S4_S6_j,@function
_ZN2at6native6mbtopk29computeBlockwiseWithinKCountsImlEEvPT_PsPjjibS6_PT0_S6_S4_S6_j: ; @_ZN2at6native6mbtopk29computeBlockwiseWithinKCountsImlEEvPT_PsPjjibS6_PT0_S6_S4_S6_j
; %bb.0:
	s_bfe_u32 s2, ttmp6, 0x40010
	s_and_b32 s4, ttmp7, 0xffff
	s_add_co_i32 s5, s2, 1
	s_clause 0x2
	s_load_b96 s[16:18], s[0:1], 0x18
	s_load_b32 s6, s[0:1], 0x50
	s_load_b64 s[2:3], s[0:1], 0x58
	s_bfe_u32 s8, ttmp6, 0x4000c
	s_mul_i32 s5, s4, s5
	s_bfe_u32 s7, ttmp6, 0x40004
	s_add_co_i32 s8, s8, 1
	s_bfe_u32 s9, ttmp6, 0x40014
	s_add_co_i32 s7, s7, s5
	s_and_b32 s5, ttmp6, 15
	s_mul_i32 s8, ttmp9, s8
	s_lshr_b32 s10, ttmp7, 16
	s_add_co_i32 s9, s9, 1
	s_add_co_i32 s5, s5, s8
	s_mul_i32 s8, s10, s9
	s_bfe_u32 s9, ttmp6, 0x40008
	s_getreg_b32 s11, hwreg(HW_REG_IB_STS2, 6, 4)
	s_add_co_i32 s9, s9, s8
	s_cmp_eq_u32 s11, 0
	s_mov_b32 s21, 0
	s_cselect_b32 s8, s10, s9
	s_wait_kmcnt 0x0
	s_cvt_f32_u32 s9, s16
	s_mul_i32 s3, s3, s8
	s_cselect_b32 s4, s4, s7
	s_cselect_b32 s5, ttmp9, s5
	v_rcp_iflag_f32_e32 v1, s9
	s_add_co_i32 s3, s3, s4
	s_delay_alu instid0(SALU_CYCLE_1) | instskip(NEXT) | instid1(SALU_CYCLE_1)
	s_mul_i32 s2, s3, s2
	s_add_co_i32 s20, s2, s5
	v_nop
	s_delay_alu instid0(TRANS32_DEP_1)
	v_readfirstlane_b32 s2, v1
	s_cmp_ge_u32 s20, s6
	s_cbranch_scc1 .LBB41_49
; %bb.1:
	s_mul_f32 s2, s2, 0x4f7ffffe
	s_delay_alu instid0(SALU_CYCLE_3) | instskip(SKIP_1) | instid1(SALU_CYCLE_2)
	s_cvt_u32_f32 s4, s2
	s_sub_co_i32 s2, 0, s16
	s_mul_i32 s2, s2, s4
	s_delay_alu instid0(SALU_CYCLE_1) | instskip(SKIP_3) | instid1(SALU_CYCLE_1)
	s_mul_hi_u32 s5, s4, s2
	s_load_b64 s[2:3], s[0:1], 0x10
	s_add_co_i32 s4, s4, s5
	s_mov_b32 s5, s21
	s_mul_u64 s[4:5], s[20:21], s[4:5]
	s_delay_alu instid0(SALU_CYCLE_1) | instskip(SKIP_2) | instid1(SALU_CYCLE_1)
	s_mul_i32 s4, s5, s16
	s_add_co_i32 s6, s5, 1
	s_sub_co_i32 s4, s20, s4
	s_sub_co_i32 s7, s4, s16
	s_cmp_ge_u32 s4, s16
	s_cselect_b32 s5, s6, s5
	s_cselect_b32 s4, s7, s4
	s_add_co_i32 s6, s5, 1
	s_cmp_ge_u32 s4, s16
	s_cselect_b32 s22, s6, s5
	s_load_b128 s[12:15], s[0:1], 0x0
	s_wait_kmcnt 0x0
	s_load_b32 s19, s[2:3], s22 offset:0x0 scale_offset
	s_wait_xcnt 0x0
	v_cmp_gt_u32_e64 s2, 0x100, v0
	s_and_saveexec_b32 s3, s2
	s_cbranch_execz .LBB41_17
; %bb.2:
	s_mul_i32 s4, s22, s16
	s_mov_b32 s5, 0
	s_lshl_b32 s4, s4, 8
	v_dual_mov_b32 v3, 0 :: v_dual_lshlrev_b32 v2, 1, v0
	s_lshl_b64 s[6:7], s[4:5], 1
	s_cmp_lt_u32 s16, 4
	s_add_nc_u64 s[6:7], s[14:15], s[6:7]
	s_delay_alu instid0(VALU_DEP_1) | instid1(SALU_CYCLE_1)
	v_add_nc_u64_e32 v[4:5], s[6:7], v[2:3]
	s_cbranch_scc1 .LBB41_10
; %bb.3:
	v_readfirstlane_b32 s5, v0
	v_mov_b32_e32 v3, 0
	s_add_co_i32 s4, s16, -4
	s_delay_alu instid0(SALU_CYCLE_1)
	s_cmp_lt_u32 s4, 4
	s_cbranch_scc1 .LBB41_7
; %bb.4:
	s_delay_alu instid0(VALU_DEP_1)
	v_add_nc_u64_e32 v[6:7], s[6:7], v[2:3]
	s_lshr_b32 s4, s4, 2
	s_mov_b32 s7, 0
	s_add_co_i32 s6, s4, 1
	v_mov_b32_e32 v1, v3
	s_and_b64 s[8:9], s[6:7], 0x7ffffffe
	s_delay_alu instid0(SALU_CYCLE_1)
	s_mov_b64 s[4:5], s[8:9]
	v_add_nc_u64_e32 v[6:7], 0x800, v[6:7]
.LBB41_5:                               ; =>This Inner Loop Header: Depth=1
	s_clause 0x7
	global_load_i16 v2, v[6:7], off offset:-2048
	global_load_i16 v8, v[6:7], off
	global_load_i16 v9, v[6:7], off offset:512
	global_load_i16 v10, v[6:7], off offset:-1536
	global_load_i16 v11, v[6:7], off offset:-1024
	global_load_i16 v12, v[6:7], off offset:1024
	global_load_i16 v13, v[6:7], off offset:1536
	global_load_i16 v14, v[6:7], off offset:-512
	s_wait_xcnt 0x0
	v_add_nc_u64_e32 v[6:7], 0x1000, v[6:7]
	s_add_nc_u64 s[4:5], s[4:5], -2
	s_delay_alu instid0(SALU_CYCLE_1)
	s_cmp_lg_u64 s[4:5], 0
	s_wait_loadcnt 0x5
	v_add3_u32 v1, v1, v8, v9
	s_wait_loadcnt 0x4
	v_add3_u32 v2, v3, v2, v10
	s_wait_loadcnt 0x1
	s_delay_alu instid0(VALU_DEP_2) | instskip(SKIP_1) | instid1(VALU_DEP_2)
	v_add3_u32 v1, v1, v12, v13
	s_wait_loadcnt 0x0
	v_add3_u32 v3, v2, v11, v14
	s_cbranch_scc1 .LBB41_5
; %bb.6:
	s_lshl_b64 s[4:5], s[8:9], 11
	s_delay_alu instid0(VALU_DEP_1)
	v_add_nc_u32_e32 v3, v3, v1
	v_add_nc_u64_e32 v[4:5], s[4:5], v[4:5]
	s_lshl_b32 s5, s8, 2
	s_cmp_lg_u64 s[8:9], s[6:7]
	s_mov_b32 s4, s5
	s_cselect_b32 s6, -1, 0
	s_delay_alu instid0(SALU_CYCLE_1)
	s_and_b32 vcc_lo, exec_lo, s6
	s_cbranch_vccnz .LBB41_8
	s_branch .LBB41_10
.LBB41_7:
	s_mov_b32 s4, 0
	s_cbranch_execz .LBB41_10
.LBB41_8:                               ; =>This Inner Loop Header: Depth=1
	s_clause 0x3
	global_load_i16 v1, v[4:5], off
	global_load_i16 v2, v[4:5], off offset:512
	global_load_i16 v6, v[4:5], off offset:1024
	;; [unrolled: 1-line block ×3, first 2 shown]
	s_wait_xcnt 0x0
	v_add_nc_u64_e32 v[4:5], 0x800, v[4:5]
	s_add_co_i32 s5, s4, 7
	s_add_co_i32 s4, s4, 4
	s_cmp_ge_u32 s5, s16
	s_wait_loadcnt 0x2
	v_add3_u32 v1, v3, v1, v2
	s_wait_loadcnt 0x0
	s_delay_alu instid0(VALU_DEP_1)
	v_add3_u32 v3, v1, v6, v7
	s_cbranch_scc0 .LBB41_8
; %bb.9:
	s_mov_b32 s5, s4
.LBB41_10:
	s_delay_alu instid0(SALU_CYCLE_1)
	s_cmp_ge_u32 s5, s16
	s_cbranch_scc1 .LBB41_16
; %bb.11:
	s_not_b32 s4, s5
	s_mov_b32 s7, 0
	s_add_co_i32 s6, s16, s4
	s_delay_alu instid0(SALU_CYCLE_1)
	s_cmp_eq_u32 s6, 0
	s_cbranch_scc1 .LBB41_50
; %bb.12:
	v_add_nc_u64_e32 v[6:7], 0x200, v[4:5]
	s_add_nc_u64 s[6:7], s[6:7], 1
	v_mov_b32_e32 v1, 0
	s_and_b64 s[8:9], s[6:7], 0x1fffffffe
	s_delay_alu instid0(SALU_CYCLE_1)
	s_mov_b64 s[10:11], s[8:9]
.LBB41_13:                              ; =>This Inner Loop Header: Depth=1
	s_clause 0x1
	global_load_i16 v2, v[6:7], off
	global_load_i16 v8, v[6:7], off offset:-512
	s_wait_xcnt 0x0
	v_add_nc_u64_e32 v[6:7], 0x400, v[6:7]
	s_add_nc_u64 s[10:11], s[10:11], -2
	s_delay_alu instid0(SALU_CYCLE_1)
	s_cmp_lg_u64 s[10:11], 0
	s_wait_loadcnt 0x0
	v_dual_add_nc_u32 v1, v1, v2 :: v_dual_add_nc_u32 v3, v3, v8
	s_cbranch_scc1 .LBB41_13
; %bb.14:
	s_lshl_b64 s[10:11], s[8:9], 9
	s_add_co_i32 s5, s5, s8
	v_add_nc_u64_e32 v[4:5], s[10:11], v[4:5]
	v_add_nc_u32_e32 v3, v3, v1
	s_cmp_lg_u64 s[6:7], s[8:9]
	s_cselect_b32 s4, -1, 0
	s_delay_alu instid0(SALU_CYCLE_1)
	s_and_b32 vcc_lo, exec_lo, s4
	s_cbranch_vccz .LBB41_16
.LBB41_15:                              ; =>This Inner Loop Header: Depth=1
	global_load_i16 v1, v[4:5], off
	s_wait_xcnt 0x0
	v_add_nc_u64_e32 v[4:5], 0x200, v[4:5]
	s_add_co_i32 s5, s5, 1
	s_delay_alu instid0(SALU_CYCLE_1)
	s_cmp_lt_u32 s5, s16
	s_wait_loadcnt 0x0
	v_add_nc_u32_e32 v3, v3, v1
	s_cbranch_scc1 .LBB41_15
.LBB41_16:
	v_lshlrev_b32_e32 v1, 2, v0
	ds_store_b32 v1, v3 offset:1056
.LBB41_17:
	s_or_b32 exec_lo, exec_lo, s3
	v_dual_mov_b32 v2, 0 :: v_dual_lshlrev_b32 v4, 2, v0
	s_mov_b32 s23, s21
	s_wait_dscnt 0x0
	s_barrier_signal -1
	s_barrier_wait -1
	s_and_saveexec_b32 s3, s2
; %bb.18:
	ds_load_b32 v2, v4 offset:1056
; %bb.19:
	s_or_b32 exec_lo, exec_lo, s3
	v_lshrrev_b32_e32 v6, 5, v0
	v_cmp_gt_u32_e64 s3, 32, v0
	v_mbcnt_lo_u32_b32 v5, -1, 0
	s_delay_alu instid0(VALU_DEP_3)
	v_lshl_add_u32 v1, v6, 2, v4
	s_wait_dscnt 0x0
	ds_store_b32 v1, v2
	s_wait_dscnt 0x0
	s_barrier_signal -1
	s_barrier_wait -1
	s_and_saveexec_b32 s4, s3
	s_cbranch_execz .LBB41_21
; %bb.20:
	v_and_b32_e32 v3, 0xfc, v0
	s_delay_alu instid0(VALU_DEP_1)
	v_lshl_add_u32 v7, v0, 5, v3
	ds_load_2addr_b32 v[8:9], v7 offset1:1
	ds_load_2addr_b32 v[10:11], v7 offset0:2 offset1:3
	ds_load_2addr_b32 v[12:13], v7 offset0:4 offset1:5
	;; [unrolled: 1-line block ×3, first 2 shown]
	; wave barrier
	s_wait_dscnt 0x3
	v_dual_add_nc_u32 v3, v9, v8 :: v_dual_bitop2_b32 v9, 15, v5 bitop3:0x40
	s_wait_dscnt 0x2
	s_delay_alu instid0(VALU_DEP_1) | instskip(NEXT) | instid1(VALU_DEP_2)
	v_add3_u32 v3, v3, v10, v11
	v_cmp_ne_u32_e32 vcc_lo, 0, v9
	v_bfe_i32 v11, v5, 4, 1
	s_wait_dscnt 0x1
	s_delay_alu instid0(VALU_DEP_3) | instskip(SKIP_1) | instid1(VALU_DEP_1)
	v_add3_u32 v3, v3, v12, v13
	s_wait_dscnt 0x0
	v_add3_u32 v3, v3, v14, v15
	s_delay_alu instid0(VALU_DEP_1) | instskip(NEXT) | instid1(VALU_DEP_1)
	v_mov_b32_dpp v10, v3 row_shr:1 row_mask:0xf bank_mask:0xf
	v_cndmask_b32_e32 v10, 0, v10, vcc_lo
	v_cmp_lt_u32_e32 vcc_lo, 1, v9
	s_delay_alu instid0(VALU_DEP_2) | instskip(NEXT) | instid1(VALU_DEP_1)
	v_add_nc_u32_e32 v3, v10, v3
	v_mov_b32_dpp v10, v3 row_shr:2 row_mask:0xf bank_mask:0xf
	s_delay_alu instid0(VALU_DEP_1) | instskip(SKIP_1) | instid1(VALU_DEP_2)
	v_cndmask_b32_e32 v10, 0, v10, vcc_lo
	v_cmp_lt_u32_e32 vcc_lo, 3, v9
	v_add_nc_u32_e32 v3, v3, v10
	s_delay_alu instid0(VALU_DEP_1) | instskip(NEXT) | instid1(VALU_DEP_1)
	v_mov_b32_dpp v10, v3 row_shr:4 row_mask:0xf bank_mask:0xf
	v_cndmask_b32_e32 v10, 0, v10, vcc_lo
	v_cmp_lt_u32_e32 vcc_lo, 7, v9
	s_delay_alu instid0(VALU_DEP_2) | instskip(NEXT) | instid1(VALU_DEP_1)
	v_add_nc_u32_e32 v3, v3, v10
	v_mov_b32_dpp v10, v3 row_shr:8 row_mask:0xf bank_mask:0xf
	s_delay_alu instid0(VALU_DEP_1) | instskip(NEXT) | instid1(VALU_DEP_1)
	v_dual_cndmask_b32 v9, 0, v10 :: v_dual_add_nc_u32 v10, -1, v5
	v_add_nc_u32_e32 v3, v3, v9
	s_delay_alu instid0(VALU_DEP_2) | instskip(SKIP_4) | instid1(VALU_DEP_2)
	v_cmp_gt_i32_e32 vcc_lo, 0, v10
	ds_swizzle_b32 v9, v3 offset:swizzle(BROADCAST,32,15)
	v_cndmask_b32_e32 v10, v10, v5, vcc_lo
	v_cmp_eq_u32_e32 vcc_lo, 0, v0
	s_wait_dscnt 0x0
	v_dual_lshlrev_b32 v10, 2, v10 :: v_dual_bitop2_b32 v9, v11, v9 bitop3:0x40
	s_delay_alu instid0(VALU_DEP_1) | instskip(SKIP_3) | instid1(VALU_DEP_1)
	v_add_nc_u32_e32 v3, v3, v9
	ds_bpermute_b32 v3, v10, v3
	s_wait_dscnt 0x0
	v_add_nc_u32_e32 v3, v3, v8
	v_cndmask_b32_e32 v12, v3, v2, vcc_lo
	ds_store_b32 v7, v12
	; wave barrier
	ds_load_2addr_b32 v[2:3], v7 offset0:1 offset1:2
	ds_load_2addr_b32 v[8:9], v7 offset0:3 offset1:4
	;; [unrolled: 1-line block ×3, first 2 shown]
	ds_load_b32 v13, v7 offset:28
	s_wait_dscnt 0x3
	v_add_nc_u32_e32 v2, v2, v12
	s_delay_alu instid0(VALU_DEP_1) | instskip(SKIP_1) | instid1(VALU_DEP_1)
	v_add_nc_u32_e32 v3, v3, v2
	s_wait_dscnt 0x2
	v_add_nc_u32_e32 v8, v8, v3
	s_delay_alu instid0(VALU_DEP_1) | instskip(SKIP_1) | instid1(VALU_DEP_1)
	v_add_nc_u32_e32 v9, v9, v8
	s_wait_dscnt 0x1
	v_add_nc_u32_e32 v10, v10, v9
	s_delay_alu instid0(VALU_DEP_1) | instskip(SKIP_1) | instid1(VALU_DEP_1)
	v_add_nc_u32_e32 v11, v11, v10
	s_wait_dscnt 0x0
	v_add_nc_u32_e32 v12, v13, v11
	ds_store_2addr_b32 v7, v2, v3 offset0:1 offset1:2
	ds_store_2addr_b32 v7, v8, v9 offset0:3 offset1:4
	;; [unrolled: 1-line block ×3, first 2 shown]
	ds_store_b32 v7, v12 offset:28
.LBB41_21:
	s_or_b32 exec_lo, exec_lo, s4
	s_wait_dscnt 0x0
	s_barrier_signal -1
	s_barrier_wait -1
	ds_load_b32 v1, v1
	s_wait_dscnt 0x0
	s_barrier_signal -1
	s_barrier_wait -1
	s_and_saveexec_b32 s4, s2
; %bb.22:
	ds_store_b32 v4, v1 offset:1056
; %bb.23:
	s_or_b32 exec_lo, exec_lo, s4
	s_clause 0x1
	s_load_b256 s[4:11], s[0:1], 0x28
	s_load_b64 s[24:25], s[0:1], 0x48
	s_wait_dscnt 0x0
	s_barrier_signal -1
	s_barrier_wait -1
	s_and_saveexec_b32 s26, s2
	s_cbranch_execz .LBB41_32
; %bb.24:
	v_mov_b32_e32 v7, 0
	s_wait_xcnt 0x0
	s_mov_b32 s0, exec_lo
	v_cmpx_ne_u32_e32 0, v0
; %bb.25:
	ds_load_b32 v7, v4 offset:1052
; %bb.26:
	s_or_b32 exec_lo, exec_lo, s0
	s_wait_dscnt 0x0
	s_wait_kmcnt 0x0
	v_cmp_gt_u32_e32 vcc_lo, s19, v7
	v_cmp_le_u32_e64 s0, s19, v1
	s_and_b32 s0, vcc_lo, s0
	s_delay_alu instid0(SALU_CYCLE_1)
	s_and_b32 exec_lo, exec_lo, s0
	s_cbranch_execz .LBB41_32
; %bb.27:
	v_mov_b32_e32 v1, 0
	s_lshl_b64 s[0:1], s[22:23], 3
	s_mul_i32 s2, s22, s16
	s_add_nc_u64 s[12:13], s[12:13], s[0:1]
	global_load_b64 v[2:3], v1, s[12:13]
	s_wait_xcnt 0x0
	s_lshl_b64 s[12:13], 0xff, s17
	s_cmp_lg_u32 s20, s2
	v_not_b32_e32 v10, s13
	v_not_b32_e32 v11, s12
	s_wait_loadcnt 0x0
	s_delay_alu instid0(VALU_DEP_2) | instskip(SKIP_1) | instid1(VALU_DEP_3)
	v_and_b32_e32 v3, v3, v10
	v_lshlrev_b64_e32 v[8:9], s17, v[0:1]
	v_and_b32_e32 v2, v2, v11
	s_delay_alu instid0(VALU_DEP_2) | instskip(NEXT) | instid1(VALU_DEP_2)
	v_or_b32_e32 v3, v3, v9
	v_or_b32_e32 v2, v2, v8
	ds_store_b64 v1, v[2:3] offset:2112
	s_cbranch_scc1 .LBB41_32
; %bb.28:
	s_add_nc_u64 s[10:11], s[10:11], s[0:1]
	s_cmp_lt_i32 s17, 1
	s_mov_b32 s2, -1
	global_store_b64 v1, v[2:3], s[10:11]
	s_cbranch_scc0 .LBB41_30
; %bb.29:
	s_wait_xcnt 0x0
	v_xor_b32_e32 v3, 0x80000000, v3
	v_mov_b32_e32 v1, 0
	s_add_nc_u64 s[0:1], s[6:7], s[0:1]
	s_mov_b32 s2, 0
	global_store_b64 v1, v[2:3], s[0:1]
.LBB41_30:
	s_and_not1_b32 vcc_lo, exec_lo, s2
	s_cbranch_vccnz .LBB41_32
; %bb.31:
	s_wait_xcnt 0x0
	v_dual_mov_b32 v2, 0 :: v_dual_sub_nc_u32 v1, s19, v7
	s_lshl_b64 s[0:1], s[22:23], 2
	s_delay_alu instid0(SALU_CYCLE_1)
	s_add_nc_u64 s[0:1], s[8:9], s[0:1]
	global_store_b32 v2, v1, s[0:1]
.LBB41_32:
	s_wait_xcnt 0x0
	s_or_b32 exec_lo, exec_lo, s26
	v_mov_b32_e32 v3, 0
	s_wait_storecnt_dscnt 0x0
	s_barrier_signal -1
	s_barrier_wait -1
	ds_load_b64 v[8:9], v3 offset:2112
	v_mov_b32_e32 v1, v3
	s_bitcmp0_b32 s18, 0
	s_mov_b32 s0, 0
	s_wait_dscnt 0x0
	v_lshrrev_b64 v[8:9], s17, v[8:9]
	s_delay_alu instid0(VALU_DEP_1)
	v_and_b32_e32 v2, 0xff, v8
	s_cbranch_scc0 .LBB41_34
; %bb.33:
	v_and_b32_e32 v8, 0xe0, v0
	v_mov_b32_e32 v9, v3
	s_delay_alu instid0(VALU_DEP_3) | instskip(NEXT) | instid1(VALU_DEP_2)
	v_cmp_gt_u64_e64 s1, v[2:3], v[0:1]
	v_cmp_gt_u64_e64 s2, v[2:3], v[8:9]
	s_and_not1_b32 vcc_lo, exec_lo, s0
	s_cbranch_vccz .LBB41_35
	s_branch .LBB41_36
.LBB41_34:
                                        ; implicit-def: $sgpr1
                                        ; implicit-def: $sgpr2
.LBB41_35:
	v_dual_mov_b32 v9, 0 :: v_dual_bitop2_b32 v8, 31, v0 bitop3:0x54
	s_delay_alu instid0(VALU_DEP_2) | instskip(SKIP_2) | instid1(VALU_DEP_2)
	v_cmp_lt_u64_e32 vcc_lo, v[2:3], v[0:1]
	s_and_not1_b32 s1, s1, exec_lo
	s_and_not1_b32 s2, s2, exec_lo
	v_cmp_lt_u64_e64 s0, v[2:3], v[8:9]
	s_wait_kmcnt 0x0
	s_and_b32 s6, vcc_lo, exec_lo
	s_delay_alu instid0(SALU_CYCLE_1) | instskip(SKIP_1) | instid1(SALU_CYCLE_1)
	s_or_b32 s1, s1, s6
	s_and_b32 s0, s0, exec_lo
	s_or_b32 s2, s2, s0
.LBB41_36:
	v_mov_b32_e32 v1, 0
	s_and_saveexec_b32 s0, s2
	s_cbranch_execz .LBB41_40
; %bb.37:
	v_mov_b32_e32 v1, 0
	s_and_saveexec_b32 s2, s1
	s_cbranch_execz .LBB41_39
; %bb.38:
	s_wait_kmcnt 0x0
	s_lshl_b32 s6, s20, 8
	s_mov_b32 s7, 0
	s_delay_alu instid0(SALU_CYCLE_1) | instskip(NEXT) | instid1(SALU_CYCLE_1)
	s_lshl_b64 s[6:7], s[6:7], 1
	s_add_nc_u64 s[6:7], s[14:15], s[6:7]
	global_load_i16 v1, v0, s[6:7] scale_offset
.LBB41_39:
	s_wait_xcnt 0x0
	s_or_b32 exec_lo, exec_lo, s2
	v_lshl_or_b32 v2, v5, 2, 64
	v_cmp_gt_u32_e32 vcc_lo, 24, v5
	s_wait_loadcnt 0x0
	ds_bpermute_b32 v2, v2, v1
	v_cndmask_b32_e64 v3, 0, 8, vcc_lo
	v_cmp_gt_u32_e32 vcc_lo, 28, v5
	s_delay_alu instid0(VALU_DEP_2)
	v_add_lshl_u32 v3, v3, v5, 2
	s_wait_dscnt 0x0
	v_add_nc_u32_e32 v1, v2, v1
	ds_bpermute_b32 v2, v3, v1
	v_cndmask_b32_e64 v3, 0, 4, vcc_lo
	v_cmp_gt_u32_e32 vcc_lo, 30, v5
	s_delay_alu instid0(VALU_DEP_2)
	v_add_lshl_u32 v3, v3, v5, 2
	s_wait_dscnt 0x0
	v_add_nc_u32_e32 v1, v2, v1
	ds_bpermute_b32 v2, v3, v1
	v_cndmask_b32_e64 v3, 0, 2, vcc_lo
	v_cmp_ne_u32_e32 vcc_lo, 31, v5
	s_delay_alu instid0(VALU_DEP_2)
	v_add_lshl_u32 v3, v3, v5, 2
	s_wait_dscnt 0x0
	v_add_nc_u32_e32 v1, v2, v1
	ds_bpermute_b32 v2, v3, v1
	v_add_co_ci_u32_e64 v3, null, 0, v5, vcc_lo
	s_wait_dscnt 0x0
	s_delay_alu instid0(VALU_DEP_1)
	v_dual_add_nc_u32 v1, v2, v1 :: v_dual_lshlrev_b32 v2, 2, v3
	ds_bpermute_b32 v2, v2, v1
	s_wait_dscnt 0x0
	v_add_nc_u32_e32 v1, v2, v1
.LBB41_40:
	s_or_b32 exec_lo, exec_lo, s0
	v_and_b32_e32 v2, 31, v0
	s_mov_b32 s0, exec_lo
	s_delay_alu instid0(VALU_DEP_1)
	v_cmpx_eq_u32_e32 0, v2
; %bb.41:
	v_lshlrev_b32_e32 v2, 2, v6
	ds_store_b32 v2, v1 offset:2080
; %bb.42:
	s_or_b32 exec_lo, exec_lo, s0
	s_wait_dscnt 0x0
	s_barrier_signal -1
	s_barrier_wait -1
	s_and_saveexec_b32 s0, s3
	s_cbranch_execz .LBB41_49
; %bb.43:
	v_mov_b32_e32 v1, 0
	s_mov_b32 s0, exec_lo
	v_cmpx_gt_u32_e32 8, v0
; %bb.44:
	ds_load_b32 v1, v4 offset:2080
; %bb.45:
	s_or_b32 exec_lo, exec_lo, s0
	v_cmp_gt_u32_e32 vcc_lo, 28, v5
	s_mov_b32 s0, exec_lo
	v_cndmask_b32_e64 v2, 0, 4, vcc_lo
	v_cmp_gt_u32_e32 vcc_lo, 30, v5
	s_delay_alu instid0(VALU_DEP_2)
	v_add_lshl_u32 v2, v2, v5, 2
	v_cndmask_b32_e64 v3, 0, 2, vcc_lo
	v_cmp_ne_u32_e32 vcc_lo, 31, v5
	s_wait_dscnt 0x0
	ds_bpermute_b32 v2, v2, v1
	v_add_lshl_u32 v3, v3, v5, 2
	s_wait_dscnt 0x0
	v_add_nc_u32_e32 v1, v2, v1
	ds_bpermute_b32 v2, v3, v1
	v_add_co_ci_u32_e64 v3, null, 0, v5, vcc_lo
	s_wait_dscnt 0x0
	s_delay_alu instid0(VALU_DEP_1)
	v_dual_add_nc_u32 v1, v2, v1 :: v_dual_lshlrev_b32 v2, 2, v3
	ds_bpermute_b32 v2, v2, v1
	v_cmpx_eq_u32_e32 0, v0
	s_cbranch_execz .LBB41_47
; %bb.46:
	v_mov_b32_e32 v3, 0
	s_lshl_b64 s[2:3], s[20:21], 2
	s_wait_kmcnt 0x0
	s_add_nc_u64 s[2:3], s[4:5], s[2:3]
	global_load_b32 v4, v3, s[2:3]
	s_wait_loadcnt_dscnt 0x0
	v_add3_u32 v1, v2, v1, v4
	global_store_b32 v3, v1, s[2:3]
.LBB41_47:
	s_wait_xcnt 0x0
	s_or_b32 exec_lo, exec_lo, s0
	v_or_b32_e32 v0, s17, v0
	s_delay_alu instid0(VALU_DEP_1)
	v_cmp_eq_u32_e32 vcc_lo, 0, v0
	s_and_b32 exec_lo, exec_lo, vcc_lo
	s_cbranch_execz .LBB41_49
; %bb.48:
	v_mov_b32_e32 v0, 0
	s_lshl_b32 s0, s20, 8
	s_mov_b32 s1, 0
	s_delay_alu instid0(SALU_CYCLE_1)
	s_lshl_b64 s[0:1], s[0:1], 1
	ds_load_b32 v1, v0 offset:2112
	s_add_nc_u64 s[0:1], s[14:15], s[0:1]
	s_wait_dscnt 0x0
	v_and_b32_e32 v1, 0xff, v1
	global_load_i16 v1, v1, s[0:1] scale_offset
	s_wait_xcnt 0x0
	s_lshl_b64 s[0:1], s[20:21], 2
	s_wait_kmcnt 0x0
	s_add_nc_u64 s[0:1], s[24:25], s[0:1]
	s_wait_loadcnt 0x0
	global_store_b32 v0, v1, s[0:1]
.LBB41_49:
	s_endpgm
.LBB41_50:
	s_cbranch_execnz .LBB41_15
	s_branch .LBB41_16
	.section	.rodata,"a",@progbits
	.p2align	6, 0x0
	.amdhsa_kernel _ZN2at6native6mbtopk29computeBlockwiseWithinKCountsImlEEvPT_PsPjjibS6_PT0_S6_S4_S6_j
		.amdhsa_group_segment_fixed_size 2120
		.amdhsa_private_segment_fixed_size 0
		.amdhsa_kernarg_size 344
		.amdhsa_user_sgpr_count 2
		.amdhsa_user_sgpr_dispatch_ptr 0
		.amdhsa_user_sgpr_queue_ptr 0
		.amdhsa_user_sgpr_kernarg_segment_ptr 1
		.amdhsa_user_sgpr_dispatch_id 0
		.amdhsa_user_sgpr_kernarg_preload_length 0
		.amdhsa_user_sgpr_kernarg_preload_offset 0
		.amdhsa_user_sgpr_private_segment_size 0
		.amdhsa_wavefront_size32 1
		.amdhsa_uses_dynamic_stack 0
		.amdhsa_enable_private_segment 0
		.amdhsa_system_sgpr_workgroup_id_x 1
		.amdhsa_system_sgpr_workgroup_id_y 1
		.amdhsa_system_sgpr_workgroup_id_z 1
		.amdhsa_system_sgpr_workgroup_info 0
		.amdhsa_system_vgpr_workitem_id 0
		.amdhsa_next_free_vgpr 16
		.amdhsa_next_free_sgpr 27
		.amdhsa_named_barrier_count 0
		.amdhsa_reserve_vcc 1
		.amdhsa_float_round_mode_32 0
		.amdhsa_float_round_mode_16_64 0
		.amdhsa_float_denorm_mode_32 3
		.amdhsa_float_denorm_mode_16_64 3
		.amdhsa_fp16_overflow 0
		.amdhsa_memory_ordered 1
		.amdhsa_forward_progress 1
		.amdhsa_inst_pref_size 22
		.amdhsa_round_robin_scheduling 0
		.amdhsa_exception_fp_ieee_invalid_op 0
		.amdhsa_exception_fp_denorm_src 0
		.amdhsa_exception_fp_ieee_div_zero 0
		.amdhsa_exception_fp_ieee_overflow 0
		.amdhsa_exception_fp_ieee_underflow 0
		.amdhsa_exception_fp_ieee_inexact 0
		.amdhsa_exception_int_div_zero 0
	.end_amdhsa_kernel
	.section	.text._ZN2at6native6mbtopk29computeBlockwiseWithinKCountsImlEEvPT_PsPjjibS6_PT0_S6_S4_S6_j,"axG",@progbits,_ZN2at6native6mbtopk29computeBlockwiseWithinKCountsImlEEvPT_PsPjjibS6_PT0_S6_S4_S6_j,comdat
.Lfunc_end41:
	.size	_ZN2at6native6mbtopk29computeBlockwiseWithinKCountsImlEEvPT_PsPjjibS6_PT0_S6_S4_S6_j, .Lfunc_end41-_ZN2at6native6mbtopk29computeBlockwiseWithinKCountsImlEEvPT_PsPjjibS6_PT0_S6_S4_S6_j
                                        ; -- End function
	.set _ZN2at6native6mbtopk29computeBlockwiseWithinKCountsImlEEvPT_PsPjjibS6_PT0_S6_S4_S6_j.num_vgpr, 16
	.set _ZN2at6native6mbtopk29computeBlockwiseWithinKCountsImlEEvPT_PsPjjibS6_PT0_S6_S4_S6_j.num_agpr, 0
	.set _ZN2at6native6mbtopk29computeBlockwiseWithinKCountsImlEEvPT_PsPjjibS6_PT0_S6_S4_S6_j.numbered_sgpr, 27
	.set _ZN2at6native6mbtopk29computeBlockwiseWithinKCountsImlEEvPT_PsPjjibS6_PT0_S6_S4_S6_j.num_named_barrier, 0
	.set _ZN2at6native6mbtopk29computeBlockwiseWithinKCountsImlEEvPT_PsPjjibS6_PT0_S6_S4_S6_j.private_seg_size, 0
	.set _ZN2at6native6mbtopk29computeBlockwiseWithinKCountsImlEEvPT_PsPjjibS6_PT0_S6_S4_S6_j.uses_vcc, 1
	.set _ZN2at6native6mbtopk29computeBlockwiseWithinKCountsImlEEvPT_PsPjjibS6_PT0_S6_S4_S6_j.uses_flat_scratch, 0
	.set _ZN2at6native6mbtopk29computeBlockwiseWithinKCountsImlEEvPT_PsPjjibS6_PT0_S6_S4_S6_j.has_dyn_sized_stack, 0
	.set _ZN2at6native6mbtopk29computeBlockwiseWithinKCountsImlEEvPT_PsPjjibS6_PT0_S6_S4_S6_j.has_recursion, 0
	.set _ZN2at6native6mbtopk29computeBlockwiseWithinKCountsImlEEvPT_PsPjjibS6_PT0_S6_S4_S6_j.has_indirect_call, 0
	.section	.AMDGPU.csdata,"",@progbits
; Kernel info:
; codeLenInByte = 2752
; TotalNumSgprs: 29
; NumVgprs: 16
; ScratchSize: 0
; MemoryBound: 0
; FloatMode: 240
; IeeeMode: 1
; LDSByteSize: 2120 bytes/workgroup (compile time only)
; SGPRBlocks: 0
; VGPRBlocks: 0
; NumSGPRsForWavesPerEU: 29
; NumVGPRsForWavesPerEU: 16
; NamedBarCnt: 0
; Occupancy: 16
; WaveLimiterHint : 1
; COMPUTE_PGM_RSRC2:SCRATCH_EN: 0
; COMPUTE_PGM_RSRC2:USER_SGPR: 2
; COMPUTE_PGM_RSRC2:TRAP_HANDLER: 0
; COMPUTE_PGM_RSRC2:TGID_X_EN: 1
; COMPUTE_PGM_RSRC2:TGID_Y_EN: 1
; COMPUTE_PGM_RSRC2:TGID_Z_EN: 1
; COMPUTE_PGM_RSRC2:TIDIG_COMP_CNT: 0
	.section	.text._ZN2at6native6mbtopk10gatherTopKIljLi1EEEvNS_4cuda6detail10TensorInfoIKT_T0_EES8_S8_bjS8_NS5_IS6_S8_EES8_NS5_IlS8_EES8_jjPS6_PjSD_j,"axG",@progbits,_ZN2at6native6mbtopk10gatherTopKIljLi1EEEvNS_4cuda6detail10TensorInfoIKT_T0_EES8_S8_bjS8_NS5_IS6_S8_EES8_NS5_IlS8_EES8_jjPS6_PjSD_j,comdat
	.protected	_ZN2at6native6mbtopk10gatherTopKIljLi1EEEvNS_4cuda6detail10TensorInfoIKT_T0_EES8_S8_bjS8_NS5_IS6_S8_EES8_NS5_IlS8_EES8_jjPS6_PjSD_j ; -- Begin function _ZN2at6native6mbtopk10gatherTopKIljLi1EEEvNS_4cuda6detail10TensorInfoIKT_T0_EES8_S8_bjS8_NS5_IS6_S8_EES8_NS5_IlS8_EES8_jjPS6_PjSD_j
	.globl	_ZN2at6native6mbtopk10gatherTopKIljLi1EEEvNS_4cuda6detail10TensorInfoIKT_T0_EES8_S8_bjS8_NS5_IS6_S8_EES8_NS5_IlS8_EES8_jjPS6_PjSD_j
	.p2align	8
	.type	_ZN2at6native6mbtopk10gatherTopKIljLi1EEEvNS_4cuda6detail10TensorInfoIKT_T0_EES8_S8_bjS8_NS5_IS6_S8_EES8_NS5_IlS8_EES8_jjPS6_PjSD_j,@function
_ZN2at6native6mbtopk10gatherTopKIljLi1EEEvNS_4cuda6detail10TensorInfoIKT_T0_EES8_S8_bjS8_NS5_IS6_S8_EES8_NS5_IlS8_EES8_jjPS6_PjSD_j: ; @_ZN2at6native6mbtopk10gatherTopKIljLi1EEEvNS_4cuda6detail10TensorInfoIKT_T0_EES8_S8_bjS8_NS5_IS6_S8_EES8_NS5_IlS8_EES8_jjPS6_PjSD_j
; %bb.0:
	s_bfe_u32 s2, ttmp6, 0x40010
	s_and_b32 s4, ttmp7, 0xffff
	s_add_co_i32 s5, s2, 1
	s_clause 0x1
	s_load_b32 s6, s[0:1], 0x2d0
	s_load_b64 s[2:3], s[0:1], 0x2d8
	s_bfe_u32 s8, ttmp6, 0x4000c
	s_mul_i32 s5, s4, s5
	s_bfe_u32 s7, ttmp6, 0x40004
	s_add_co_i32 s8, s8, 1
	s_bfe_u32 s9, ttmp6, 0x40014
	s_add_co_i32 s7, s7, s5
	s_and_b32 s5, ttmp6, 15
	s_mul_i32 s8, ttmp9, s8
	s_lshr_b32 s10, ttmp7, 16
	s_add_co_i32 s9, s9, 1
	s_add_co_i32 s5, s5, s8
	s_mul_i32 s8, s10, s9
	s_bfe_u32 s9, ttmp6, 0x40008
	s_getreg_b32 s11, hwreg(HW_REG_IB_STS2, 6, 4)
	s_add_co_i32 s9, s9, s8
	s_cmp_eq_u32 s11, 0
	s_cselect_b32 s8, s10, s9
	s_cselect_b32 s4, s4, s7
	s_wait_kmcnt 0x0
	s_mul_i32 s3, s3, s8
	s_cselect_b32 s5, ttmp9, s5
	s_add_co_i32 s3, s3, s4
	s_delay_alu instid0(SALU_CYCLE_1) | instskip(NEXT) | instid1(SALU_CYCLE_1)
	s_mul_i32 s8, s3, s2
	s_add_co_i32 s8, s8, s5
	s_delay_alu instid0(SALU_CYCLE_1)
	s_cmp_ge_u32 s8, s6
	s_cbranch_scc1 .LBB42_40
; %bb.1:
	s_clause 0x1
	s_load_b96 s[12:14], s[0:1], 0x2a8
	s_load_b128 s[4:7], s[0:1], 0x2b8
	s_wait_kmcnt 0x0
	s_cvt_f32_u32 s2, s14
	s_sub_co_i32 s3, 0, s14
	s_delay_alu instid0(SALU_CYCLE_2) | instskip(SKIP_1) | instid1(TRANS32_DEP_1)
	v_rcp_iflag_f32_e32 v1, s2
	v_nop
	v_readfirstlane_b32 s2, v1
	s_mul_f32 s2, s2, 0x4f7ffffe
	s_delay_alu instid0(SALU_CYCLE_3) | instskip(NEXT) | instid1(SALU_CYCLE_3)
	s_cvt_u32_f32 s2, s2
	s_mul_i32 s3, s3, s2
	s_delay_alu instid0(SALU_CYCLE_1) | instskip(NEXT) | instid1(SALU_CYCLE_1)
	s_mul_hi_u32 s3, s2, s3
	s_add_co_i32 s2, s2, s3
	s_delay_alu instid0(SALU_CYCLE_1) | instskip(NEXT) | instid1(SALU_CYCLE_1)
	s_mul_hi_u32 s2, s8, s2
	s_mul_i32 s3, s2, s14
	s_add_co_i32 s9, s2, 1
	s_sub_co_i32 s3, s8, s3
	s_delay_alu instid0(SALU_CYCLE_1)
	s_sub_co_i32 s10, s3, s14
	s_cmp_ge_u32 s3, s14
	s_cselect_b32 s2, s9, s2
	s_cselect_b32 s3, s10, s3
	s_add_co_i32 s9, s2, 1
	s_cmp_ge_u32 s3, s14
	v_cmp_eq_u32_e64 s3, 0, v0
	s_cselect_b32 s15, s9, s2
	v_cmp_ne_u32_e64 s2, 0, v0
	s_load_b64 s[16:17], s[4:5], s15 offset:0x0 scale_offset
	s_wait_xcnt 0x0
	s_mul_i32 s4, s15, s14
	s_delay_alu instid0(SALU_CYCLE_1)
	s_sub_co_i32 s26, s8, s4
	s_and_saveexec_b32 s27, s3
	s_cbranch_execz .LBB42_17
; %bb.2:
	s_load_b64 s[20:21], s[0:1], 0x2c8
	s_mov_b32 s5, 0
	s_delay_alu instid0(SALU_CYCLE_1)
	s_lshl_b64 s[22:23], s[4:5], 2
	s_cmp_lt_u32 s14, 4
	s_cbranch_scc1 .LBB42_14
; %bb.3:
	s_mov_b64 s[18:19], 0
	s_mov_b32 s4, 0
.LBB42_4:                               ; =>This Inner Loop Header: Depth=1
	s_add_nc_u64 s[24:25], s[6:7], s[22:23]
	s_cmp_ge_u32 s4, s26
	s_load_b128 s[8:11], s[24:25], 0x0
	s_wait_kmcnt 0x0
	s_add_nc_u64 s[24:25], s[20:21], s[22:23]
	s_cbranch_scc0 .LBB42_11
; %bb.5:                                ;   in Loop: Header=BB42_4 Depth=1
	s_add_co_i32 s28, s4, 1
	s_delay_alu instid0(SALU_CYCLE_1)
	s_cmp_ge_u32 s28, s26
	s_cbranch_scc0 .LBB42_12
.LBB42_6:                               ;   in Loop: Header=BB42_4 Depth=1
	s_add_co_i32 s28, s28, 1
	s_delay_alu instid0(SALU_CYCLE_1)
	s_cmp_ge_u32 s28, s26
	s_cbranch_scc0 .LBB42_13
.LBB42_7:                               ;   in Loop: Header=BB42_4 Depth=1
	s_add_co_i32 s28, s28, 1
	s_delay_alu instid0(SALU_CYCLE_1)
	s_cmp_ge_u32 s28, s26
	s_cbranch_scc1 .LBB42_9
.LBB42_8:                               ;   in Loop: Header=BB42_4 Depth=1
	s_load_b32 s24, s[24:25], 0xc
	s_add_co_i32 s19, s11, s19
	s_wait_kmcnt 0x0
	s_add_co_i32 s18, s24, s18
.LBB42_9:                               ;   in Loop: Header=BB42_4 Depth=1
	s_add_co_i32 s5, s8, s5
	s_add_co_i32 s8, s28, 1
	;; [unrolled: 1-line block ×5, first 2 shown]
	s_add_nc_u64 s[6:7], s[6:7], 16
	s_add_co_i32 s5, s5, s11
	s_cmp_ge_u32 s9, s14
	s_add_nc_u64 s[20:21], s[20:21], 16
	s_cbranch_scc1 .LBB42_15
; %bb.10:                               ;   in Loop: Header=BB42_4 Depth=1
	s_mov_b32 s4, s8
	s_branch .LBB42_4
.LBB42_11:                              ;   in Loop: Header=BB42_4 Depth=1
	s_load_b32 s28, s[24:25], 0x0
	s_add_co_i32 s19, s8, s19
	s_wait_kmcnt 0x0
	s_add_co_i32 s18, s28, s18
	s_add_co_i32 s28, s4, 1
	s_delay_alu instid0(SALU_CYCLE_1)
	s_cmp_ge_u32 s28, s26
	s_cbranch_scc1 .LBB42_6
.LBB42_12:                              ;   in Loop: Header=BB42_4 Depth=1
	s_load_b32 s29, s[24:25], 0x4
	s_add_co_i32 s19, s9, s19
	s_wait_kmcnt 0x0
	s_add_co_i32 s18, s29, s18
	s_add_co_i32 s28, s28, 1
	s_delay_alu instid0(SALU_CYCLE_1)
	s_cmp_ge_u32 s28, s26
	s_cbranch_scc1 .LBB42_7
.LBB42_13:                              ;   in Loop: Header=BB42_4 Depth=1
	s_load_b32 s29, s[24:25], 0x8
	s_add_co_i32 s19, s10, s19
	s_wait_kmcnt 0x0
	s_add_co_i32 s18, s29, s18
	s_add_co_i32 s28, s28, 1
	s_delay_alu instid0(SALU_CYCLE_1)
	s_cmp_ge_u32 s28, s26
	s_cbranch_scc0 .LBB42_8
	s_branch .LBB42_9
.LBB42_14:
	s_mov_b64 s[18:19], 0
	s_add_nc_u64 s[6:7], s[6:7], s[22:23]
	s_wait_kmcnt 0x0
	s_add_nc_u64 s[8:9], s[20:21], s[22:23]
	s_mov_b32 s4, 0
	s_delay_alu instid0(SALU_CYCLE_1)
	s_cmp_ge_u32 s4, s14
	s_cbranch_scc0 .LBB42_38
	s_branch .LBB42_16
.LBB42_15:
	s_add_co_i32 s4, s4, 4
	s_add_nc_u64 s[8:9], s[20:21], s[22:23]
	s_add_nc_u64 s[6:7], s[6:7], s[22:23]
	s_cmp_ge_u32 s4, s14
	s_cbranch_scc0 .LBB42_38
.LBB42_16:
	v_dual_mov_b32 v2, s18 :: v_dual_mov_b32 v3, s5
	v_dual_mov_b32 v4, s19 :: v_dual_mov_b32 v1, 0
	ds_store_b96 v1, v[2:4] offset:1056
.LBB42_17:
	s_or_b32 exec_lo, exec_lo, s27
	s_clause 0x6
	s_load_b32 s8, s[0:1], 0x23c
	s_load_b64 s[18:19], s[0:1], 0x1d0
	s_load_b32 s9, s[0:1], 0x15c
	s_load_b64 s[10:11], s[0:1], 0xf0
	s_load_b32 s24, s[0:1], 0x6c
	s_load_b64 s[20:21], s[0:1], 0x0
	s_load_b96 s[4:6], s[0:1], 0xd8
	s_mul_i32 s7, s13, s26
	s_mov_b32 s23, 0
	s_lshl_b32 s7, s7, 8
	s_wait_dscnt 0x0
	s_barrier_signal -1
	s_barrier_wait -1
	s_wait_kmcnt 0x0
	s_sub_co_i32 s22, s4, s7
	s_delay_alu instid0(SALU_CYCLE_1) | instskip(SKIP_4) | instid1(SALU_CYCLE_1)
	s_add_nc_u64 s[28:29], s[22:23], 0xff
	s_add_co_i32 s22, s26, 1
	s_lshr_b64 s[26:27], s[28:29], 8
	s_cmp_lt_u32 s22, s14
	s_cselect_b32 s13, s13, s26
	s_cmp_eq_u32 s13, 0
	s_cbranch_scc1 .LBB42_40
; %bb.18:
	v_dual_mov_b32 v7, 0 :: v_dual_lshrrev_b32 v1, 3, v0
	s_load_b32 s25, s[0:1], 0xe8
	v_dual_lshlrev_b32 v11, 5, v0 :: v_dual_add_nc_u32 v9, -1, v0
	ds_load_b96 v[2:4], v7 offset:1056
	s_mul_i32 s22, s15, s24
	s_load_b32 s24, s[0:1], 0x1c8
	v_dual_add_nc_u32 v6, s7, v0 :: v_dual_bitop2_b32 v1, 28, v1 bitop3:0x40
	v_lshrrev_b32_e32 v8, 3, v9
	v_and_b32_e32 v10, 0xfc, v0
	s_mul_i32 s14, s15, s9
	s_mul_i32 s26, s15, s8
	v_lshl_add_u32 v5, v0, 2, v1
	s_mov_b32 s15, s23
	s_mov_b32 s27, s23
	s_wait_xcnt 0x0
	s_lshl_b64 s[0:1], s[22:23], 3
	s_xor_b64 s[8:9], s[16:17], 0x8000000000000000
	s_lshl_b64 s[14:15], s[14:15], 3
	s_lshl_b64 s[22:23], s[26:27], 3
	s_bitcmp1_b32 s6, 0
	s_add_nc_u64 s[6:7], s[20:21], s[0:1]
	v_cmp_gt_u32_e64 s0, 32, v0
	v_add_nc_u32_e32 v10, v10, v11
	s_wait_dscnt 0x0
	v_add_nc_u32_e32 v2, v2, v3
	v_and_b32_e32 v1, 0x1ffffffc, v8
	s_wait_kmcnt 0x0
	v_mul_lo_u32 v8, s25, v6
	v_mbcnt_lo_u32_b32 v3, -1, 0
	s_add_nc_u64 s[10:11], s[10:11], s[14:15]
	s_add_nc_u64 s[14:15], s[18:19], s[22:23]
	v_lshl_add_u32 v9, v9, 2, v1
	s_cselect_b32 s1, -1, 0
	v_dual_add_nc_u32 v13, -1, v3 :: v_dual_bitop2_b32 v11, 15, v3 bitop3:0x40
	v_bfe_i32 v12, v3, 4, 1
	s_lshl_b32 s18, s25, 8
                                        ; implicit-def: $vgpr0_vgpr1
	s_branch .LBB42_21
.LBB42_19:                              ;   in Loop: Header=BB42_21 Depth=1
	s_wait_xcnt 0x0
	s_or_b32 exec_lo, exec_lo, s19
	v_add_nc_u32_e32 v2, v16, v2
.LBB42_20:                              ;   in Loop: Header=BB42_21 Depth=1
	v_add_nc_u32_e32 v4, v15, v4
	v_add_nc_u32_e32 v8, s18, v8
	;; [unrolled: 1-line block ×3, first 2 shown]
	s_add_co_i32 s13, s13, -1
	s_delay_alu instid0(SALU_CYCLE_1)
	s_cmp_lg_u32 s13, 0
	s_cbranch_scc0 .LBB42_40
.LBB42_21:                              ; =>This Inner Loop Header: Depth=1
	v_dual_mov_b32 v16, 0 :: v_dual_mov_b32 v14, 0
	s_mov_b32 s19, exec_lo
	v_cmpx_gt_u32_e64 s4, v6
	s_cbranch_execz .LBB42_23
; %bb.22:                               ;   in Loop: Header=BB42_21 Depth=1
	global_load_b64 v[0:1], v8, s[6:7] scale_offset
	s_wait_loadcnt 0x0
	v_xor_b32_e32 v15, 0x80000000, v1
	v_mov_b32_e32 v14, v0
	s_delay_alu instid0(VALU_DEP_1) | instskip(SKIP_4) | instid1(VALU_DEP_2)
	v_cmp_lt_u64_e32 vcc_lo, s[8:9], v[14:15]
	v_cndmask_b32_e64 v16, 0, 1, vcc_lo
	v_cmp_gt_u64_e32 vcc_lo, s[8:9], v[14:15]
	v_cndmask_b32_e64 v14, 0, 1, vcc_lo
	v_cmp_eq_u64_e32 vcc_lo, s[16:17], v[0:1]
	v_cndmask_b32_e64 v14, v14, v16, s1
	s_delay_alu instid0(VALU_DEP_1)
	v_and_b32_e32 v16, 1, v14
	v_cndmask_b32_e64 v14, 0, 1, vcc_lo
.LBB42_23:                              ;   in Loop: Header=BB42_21 Depth=1
	s_wait_xcnt 0x0
	s_or_b32 exec_lo, exec_lo, s19
	ds_store_b32 v5, v16
	s_wait_dscnt 0x0
	s_barrier_signal -1
	s_barrier_wait -1
	s_and_saveexec_b32 s19, s0
	s_cbranch_execz .LBB42_25
; %bb.24:                               ;   in Loop: Header=BB42_21 Depth=1
	ds_load_2addr_b32 v[18:19], v10 offset1:1
	ds_load_2addr_b32 v[20:21], v10 offset0:2 offset1:3
	ds_load_2addr_b32 v[22:23], v10 offset0:4 offset1:5
	;; [unrolled: 1-line block ×3, first 2 shown]
	v_cmp_ne_u32_e32 vcc_lo, 0, v11
	; wave barrier
	s_wait_dscnt 0x3
	v_add_nc_u32_e32 v15, v19, v18
	s_wait_dscnt 0x2
	s_delay_alu instid0(VALU_DEP_1) | instskip(SKIP_1) | instid1(VALU_DEP_1)
	v_add3_u32 v15, v15, v20, v21
	s_wait_dscnt 0x1
	v_add3_u32 v15, v15, v22, v23
	s_wait_dscnt 0x0
	s_delay_alu instid0(VALU_DEP_1) | instskip(NEXT) | instid1(VALU_DEP_1)
	v_add3_u32 v15, v15, v24, v25
	v_mov_b32_dpp v17, v15 row_shr:1 row_mask:0xf bank_mask:0xf
	s_delay_alu instid0(VALU_DEP_1) | instskip(SKIP_1) | instid1(VALU_DEP_2)
	v_cndmask_b32_e32 v17, 0, v17, vcc_lo
	v_cmp_lt_u32_e32 vcc_lo, 1, v11
	v_add_nc_u32_e32 v15, v17, v15
	s_delay_alu instid0(VALU_DEP_1) | instskip(NEXT) | instid1(VALU_DEP_1)
	v_mov_b32_dpp v17, v15 row_shr:2 row_mask:0xf bank_mask:0xf
	v_cndmask_b32_e32 v17, 0, v17, vcc_lo
	v_cmp_lt_u32_e32 vcc_lo, 3, v11
	s_delay_alu instid0(VALU_DEP_2) | instskip(NEXT) | instid1(VALU_DEP_1)
	v_add_nc_u32_e32 v15, v15, v17
	v_mov_b32_dpp v17, v15 row_shr:4 row_mask:0xf bank_mask:0xf
	s_delay_alu instid0(VALU_DEP_1) | instskip(SKIP_1) | instid1(VALU_DEP_2)
	v_cndmask_b32_e32 v17, 0, v17, vcc_lo
	v_cmp_lt_u32_e32 vcc_lo, 7, v11
	v_add_nc_u32_e32 v15, v15, v17
	s_delay_alu instid0(VALU_DEP_1) | instskip(NEXT) | instid1(VALU_DEP_1)
	v_mov_b32_dpp v17, v15 row_shr:8 row_mask:0xf bank_mask:0xf
	v_cndmask_b32_e32 v17, 0, v17, vcc_lo
	v_cmp_gt_i32_e32 vcc_lo, 0, v13
	s_delay_alu instid0(VALU_DEP_2) | instskip(SKIP_3) | instid1(VALU_DEP_1)
	v_dual_add_nc_u32 v15, v15, v17 :: v_dual_cndmask_b32 v19, v13, v3, vcc_lo
	ds_swizzle_b32 v17, v15 offset:swizzle(BROADCAST,32,15)
	s_wait_dscnt 0x0
	v_dual_lshlrev_b32 v19, 2, v19 :: v_dual_bitop2_b32 v17, v12, v17 bitop3:0x40
	v_add_nc_u32_e32 v15, v15, v17
	ds_bpermute_b32 v15, v19, v15
	s_wait_dscnt 0x0
	v_add_nc_u32_e32 v15, v15, v18
	s_delay_alu instid0(VALU_DEP_1)
	v_cndmask_b32_e64 v15, v15, v16, s3
	ds_store_b32 v10, v15
	; wave barrier
	ds_load_2addr_b32 v[18:19], v10 offset0:1 offset1:2
	ds_load_2addr_b32 v[20:21], v10 offset0:3 offset1:4
	;; [unrolled: 1-line block ×3, first 2 shown]
	ds_load_b32 v17, v10 offset:28
	s_wait_dscnt 0x3
	v_add_nc_u32_e32 v15, v18, v15
	s_delay_alu instid0(VALU_DEP_1) | instskip(SKIP_1) | instid1(VALU_DEP_1)
	v_add_nc_u32_e32 v18, v19, v15
	s_wait_dscnt 0x2
	v_add_nc_u32_e32 v19, v20, v18
	s_delay_alu instid0(VALU_DEP_1) | instskip(SKIP_1) | instid1(VALU_DEP_1)
	v_add_nc_u32_e32 v20, v21, v19
	s_wait_dscnt 0x1
	v_add_nc_u32_e32 v21, v22, v20
	s_delay_alu instid0(VALU_DEP_1) | instskip(SKIP_1) | instid1(VALU_DEP_1)
	v_add_nc_u32_e32 v22, v23, v21
	s_wait_dscnt 0x0
	v_add_nc_u32_e32 v17, v17, v22
	ds_store_2addr_b32 v10, v15, v18 offset0:1 offset1:2
	ds_store_2addr_b32 v10, v19, v20 offset0:3 offset1:4
	;; [unrolled: 1-line block ×3, first 2 shown]
	ds_store_b32 v10, v17 offset:28
.LBB42_25:                              ;   in Loop: Header=BB42_21 Depth=1
	s_or_b32 exec_lo, exec_lo, s19
	v_mov_b32_e32 v17, 0
	s_wait_dscnt 0x0
	s_barrier_signal -1
	s_barrier_wait -1
	s_and_saveexec_b32 s19, s2
; %bb.26:                               ;   in Loop: Header=BB42_21 Depth=1
	ds_load_b32 v17, v9
; %bb.27:                               ;   in Loop: Header=BB42_21 Depth=1
	s_or_b32 exec_lo, exec_lo, s19
	ds_load_b32 v15, v7 offset:1048
	s_mov_b32 s19, exec_lo
	s_wait_dscnt 0x0
	s_barrier_signal -1
	s_barrier_wait -1
	v_cmpx_ne_u32_e32 0, v16
	s_cbranch_execz .LBB42_29
; %bb.28:                               ;   in Loop: Header=BB42_21 Depth=1
	v_add_nc_u32_e32 v16, v17, v4
	s_delay_alu instid0(VALU_DEP_1)
	v_mul_lo_u32 v17, v16, s24
	v_mul_lo_u32 v16, v16, s12
	global_store_b64 v17, v[0:1], s[10:11] scale_offset
	global_store_b64 v16, v[6:7], s[14:15] scale_offset
.LBB42_29:                              ;   in Loop: Header=BB42_21 Depth=1
	s_wait_xcnt 0x0
	s_or_b32 exec_lo, exec_lo, s19
	v_cmp_le_u32_e32 vcc_lo, s5, v2
	s_cbranch_vccnz .LBB42_20
; %bb.30:                               ;   in Loop: Header=BB42_21 Depth=1
	ds_store_b32 v5, v14
	s_wait_storecnt_dscnt 0x0
	s_barrier_signal -1
	s_barrier_wait -1
	s_and_saveexec_b32 s19, s0
	s_cbranch_execz .LBB42_32
; %bb.31:                               ;   in Loop: Header=BB42_21 Depth=1
	ds_load_2addr_b32 v[16:17], v10 offset1:1
	ds_load_2addr_b32 v[18:19], v10 offset0:2 offset1:3
	ds_load_2addr_b32 v[20:21], v10 offset0:4 offset1:5
	;; [unrolled: 1-line block ×3, first 2 shown]
	v_cmp_ne_u32_e32 vcc_lo, 0, v11
	; wave barrier
	s_wait_dscnt 0x3
	v_add_nc_u32_e32 v17, v17, v16
	s_wait_dscnt 0x2
	s_delay_alu instid0(VALU_DEP_1) | instskip(SKIP_1) | instid1(VALU_DEP_1)
	v_add3_u32 v17, v17, v18, v19
	s_wait_dscnt 0x1
	v_add3_u32 v17, v17, v20, v21
	s_wait_dscnt 0x0
	s_delay_alu instid0(VALU_DEP_1) | instskip(NEXT) | instid1(VALU_DEP_1)
	v_add3_u32 v17, v17, v22, v23
	v_mov_b32_dpp v18, v17 row_shr:1 row_mask:0xf bank_mask:0xf
	s_delay_alu instid0(VALU_DEP_1) | instskip(SKIP_1) | instid1(VALU_DEP_2)
	v_cndmask_b32_e32 v18, 0, v18, vcc_lo
	v_cmp_lt_u32_e32 vcc_lo, 1, v11
	v_add_nc_u32_e32 v17, v18, v17
	s_delay_alu instid0(VALU_DEP_1) | instskip(NEXT) | instid1(VALU_DEP_1)
	v_mov_b32_dpp v18, v17 row_shr:2 row_mask:0xf bank_mask:0xf
	v_cndmask_b32_e32 v18, 0, v18, vcc_lo
	v_cmp_lt_u32_e32 vcc_lo, 3, v11
	s_delay_alu instid0(VALU_DEP_2) | instskip(NEXT) | instid1(VALU_DEP_1)
	v_add_nc_u32_e32 v17, v17, v18
	v_mov_b32_dpp v18, v17 row_shr:4 row_mask:0xf bank_mask:0xf
	s_delay_alu instid0(VALU_DEP_1) | instskip(SKIP_1) | instid1(VALU_DEP_2)
	v_cndmask_b32_e32 v18, 0, v18, vcc_lo
	v_cmp_lt_u32_e32 vcc_lo, 7, v11
	v_add_nc_u32_e32 v17, v17, v18
	s_delay_alu instid0(VALU_DEP_1) | instskip(NEXT) | instid1(VALU_DEP_1)
	v_mov_b32_dpp v18, v17 row_shr:8 row_mask:0xf bank_mask:0xf
	v_cndmask_b32_e32 v18, 0, v18, vcc_lo
	v_cmp_gt_i32_e32 vcc_lo, 0, v13
	s_delay_alu instid0(VALU_DEP_2) | instskip(SKIP_4) | instid1(VALU_DEP_1)
	v_add_nc_u32_e32 v17, v17, v18
	v_cndmask_b32_e32 v19, v13, v3, vcc_lo
	ds_swizzle_b32 v18, v17 offset:swizzle(BROADCAST,32,15)
	s_wait_dscnt 0x0
	v_dual_lshlrev_b32 v19, 2, v19 :: v_dual_bitop2_b32 v18, v12, v18 bitop3:0x40
	v_add_nc_u32_e32 v17, v17, v18
	ds_bpermute_b32 v17, v19, v17
	s_wait_dscnt 0x0
	v_add_nc_u32_e32 v16, v17, v16
	s_delay_alu instid0(VALU_DEP_1)
	v_cndmask_b32_e64 v22, v16, v14, s3
	ds_store_b32 v10, v22
	; wave barrier
	ds_load_2addr_b32 v[16:17], v10 offset0:1 offset1:2
	ds_load_2addr_b32 v[18:19], v10 offset0:3 offset1:4
	ds_load_2addr_b32 v[20:21], v10 offset0:5 offset1:6
	ds_load_b32 v23, v10 offset:28
	s_wait_dscnt 0x3
	v_add_nc_u32_e32 v16, v16, v22
	s_delay_alu instid0(VALU_DEP_1) | instskip(SKIP_1) | instid1(VALU_DEP_1)
	v_add_nc_u32_e32 v17, v17, v16
	s_wait_dscnt 0x2
	v_add_nc_u32_e32 v18, v18, v17
	s_delay_alu instid0(VALU_DEP_1) | instskip(SKIP_1) | instid1(VALU_DEP_1)
	v_add_nc_u32_e32 v19, v19, v18
	;; [unrolled: 4-line block ×3, first 2 shown]
	s_wait_dscnt 0x0
	v_add_nc_u32_e32 v22, v23, v21
	ds_store_2addr_b32 v10, v16, v17 offset0:1 offset1:2
	ds_store_2addr_b32 v10, v18, v19 offset0:3 offset1:4
	ds_store_2addr_b32 v10, v20, v21 offset0:5 offset1:6
	ds_store_b32 v10, v22 offset:28
.LBB42_32:                              ;   in Loop: Header=BB42_21 Depth=1
	s_or_b32 exec_lo, exec_lo, s19
	v_mov_b32_e32 v17, 0
	s_wait_dscnt 0x0
	s_barrier_signal -1
	s_barrier_wait -1
	s_and_saveexec_b32 s19, s2
; %bb.33:                               ;   in Loop: Header=BB42_21 Depth=1
	ds_load_b32 v17, v9
; %bb.34:                               ;   in Loop: Header=BB42_21 Depth=1
	s_or_b32 exec_lo, exec_lo, s19
	ds_load_b32 v16, v7 offset:1048
	s_mov_b32 s19, exec_lo
	s_wait_dscnt 0x0
	s_barrier_signal -1
	s_barrier_wait -1
	v_cmpx_ne_u32_e32 0, v14
	s_cbranch_execz .LBB42_19
; %bb.35:                               ;   in Loop: Header=BB42_21 Depth=1
	v_add_nc_u32_e32 v14, v17, v2
	s_delay_alu instid0(VALU_DEP_1)
	v_cmp_gt_u32_e32 vcc_lo, s5, v14
	s_and_b32 exec_lo, exec_lo, vcc_lo
	s_cbranch_execz .LBB42_19
; %bb.36:                               ;   in Loop: Header=BB42_21 Depth=1
	v_mul_lo_u32 v17, v14, s24
	v_mul_lo_u32 v14, v14, s12
	global_store_b64 v17, v[0:1], s[10:11] scale_offset
	global_store_b64 v14, v[6:7], s[14:15] scale_offset
	s_branch .LBB42_19
.LBB42_37:                              ;   in Loop: Header=BB42_38 Depth=1
	s_add_co_i32 s4, s4, 1
	s_wait_kmcnt 0x0
	s_add_co_i32 s5, s10, s5
	s_add_nc_u64 s[6:7], s[6:7], 4
	s_cmp_lt_u32 s4, s14
	s_add_nc_u64 s[8:9], s[8:9], 4
	s_cbranch_scc0 .LBB42_16
.LBB42_38:                              ; =>This Inner Loop Header: Depth=1
	s_load_b32 s10, s[6:7], 0x0
	s_cmp_ge_u32 s4, s26
	s_cbranch_scc1 .LBB42_37
; %bb.39:                               ;   in Loop: Header=BB42_38 Depth=1
	s_load_b32 s11, s[8:9], 0x0
	s_wait_kmcnt 0x0
	s_add_co_i32 s19, s10, s19
	s_add_co_i32 s18, s11, s18
	s_branch .LBB42_37
.LBB42_40:
	s_endpgm
	.section	.rodata,"a",@progbits
	.p2align	6, 0x0
	.amdhsa_kernel _ZN2at6native6mbtopk10gatherTopKIljLi1EEEvNS_4cuda6detail10TensorInfoIKT_T0_EES8_S8_bjS8_NS5_IS6_S8_EES8_NS5_IlS8_EES8_jjPS6_PjSD_j
		.amdhsa_group_segment_fixed_size 1068
		.amdhsa_private_segment_fixed_size 0
		.amdhsa_kernarg_size 984
		.amdhsa_user_sgpr_count 2
		.amdhsa_user_sgpr_dispatch_ptr 0
		.amdhsa_user_sgpr_queue_ptr 0
		.amdhsa_user_sgpr_kernarg_segment_ptr 1
		.amdhsa_user_sgpr_dispatch_id 0
		.amdhsa_user_sgpr_kernarg_preload_length 0
		.amdhsa_user_sgpr_kernarg_preload_offset 0
		.amdhsa_user_sgpr_private_segment_size 0
		.amdhsa_wavefront_size32 1
		.amdhsa_uses_dynamic_stack 0
		.amdhsa_enable_private_segment 0
		.amdhsa_system_sgpr_workgroup_id_x 1
		.amdhsa_system_sgpr_workgroup_id_y 1
		.amdhsa_system_sgpr_workgroup_id_z 1
		.amdhsa_system_sgpr_workgroup_info 0
		.amdhsa_system_vgpr_workitem_id 0
		.amdhsa_next_free_vgpr 26
		.amdhsa_next_free_sgpr 30
		.amdhsa_named_barrier_count 0
		.amdhsa_reserve_vcc 1
		.amdhsa_float_round_mode_32 0
		.amdhsa_float_round_mode_16_64 0
		.amdhsa_float_denorm_mode_32 3
		.amdhsa_float_denorm_mode_16_64 3
		.amdhsa_fp16_overflow 0
		.amdhsa_memory_ordered 1
		.amdhsa_forward_progress 1
		.amdhsa_inst_pref_size 19
		.amdhsa_round_robin_scheduling 0
		.amdhsa_exception_fp_ieee_invalid_op 0
		.amdhsa_exception_fp_denorm_src 0
		.amdhsa_exception_fp_ieee_div_zero 0
		.amdhsa_exception_fp_ieee_overflow 0
		.amdhsa_exception_fp_ieee_underflow 0
		.amdhsa_exception_fp_ieee_inexact 0
		.amdhsa_exception_int_div_zero 0
	.end_amdhsa_kernel
	.section	.text._ZN2at6native6mbtopk10gatherTopKIljLi1EEEvNS_4cuda6detail10TensorInfoIKT_T0_EES8_S8_bjS8_NS5_IS6_S8_EES8_NS5_IlS8_EES8_jjPS6_PjSD_j,"axG",@progbits,_ZN2at6native6mbtopk10gatherTopKIljLi1EEEvNS_4cuda6detail10TensorInfoIKT_T0_EES8_S8_bjS8_NS5_IS6_S8_EES8_NS5_IlS8_EES8_jjPS6_PjSD_j,comdat
.Lfunc_end42:
	.size	_ZN2at6native6mbtopk10gatherTopKIljLi1EEEvNS_4cuda6detail10TensorInfoIKT_T0_EES8_S8_bjS8_NS5_IS6_S8_EES8_NS5_IlS8_EES8_jjPS6_PjSD_j, .Lfunc_end42-_ZN2at6native6mbtopk10gatherTopKIljLi1EEEvNS_4cuda6detail10TensorInfoIKT_T0_EES8_S8_bjS8_NS5_IS6_S8_EES8_NS5_IlS8_EES8_jjPS6_PjSD_j
                                        ; -- End function
	.set _ZN2at6native6mbtopk10gatherTopKIljLi1EEEvNS_4cuda6detail10TensorInfoIKT_T0_EES8_S8_bjS8_NS5_IS6_S8_EES8_NS5_IlS8_EES8_jjPS6_PjSD_j.num_vgpr, 26
	.set _ZN2at6native6mbtopk10gatherTopKIljLi1EEEvNS_4cuda6detail10TensorInfoIKT_T0_EES8_S8_bjS8_NS5_IS6_S8_EES8_NS5_IlS8_EES8_jjPS6_PjSD_j.num_agpr, 0
	.set _ZN2at6native6mbtopk10gatherTopKIljLi1EEEvNS_4cuda6detail10TensorInfoIKT_T0_EES8_S8_bjS8_NS5_IS6_S8_EES8_NS5_IlS8_EES8_jjPS6_PjSD_j.numbered_sgpr, 30
	.set _ZN2at6native6mbtopk10gatherTopKIljLi1EEEvNS_4cuda6detail10TensorInfoIKT_T0_EES8_S8_bjS8_NS5_IS6_S8_EES8_NS5_IlS8_EES8_jjPS6_PjSD_j.num_named_barrier, 0
	.set _ZN2at6native6mbtopk10gatherTopKIljLi1EEEvNS_4cuda6detail10TensorInfoIKT_T0_EES8_S8_bjS8_NS5_IS6_S8_EES8_NS5_IlS8_EES8_jjPS6_PjSD_j.private_seg_size, 0
	.set _ZN2at6native6mbtopk10gatherTopKIljLi1EEEvNS_4cuda6detail10TensorInfoIKT_T0_EES8_S8_bjS8_NS5_IS6_S8_EES8_NS5_IlS8_EES8_jjPS6_PjSD_j.uses_vcc, 1
	.set _ZN2at6native6mbtopk10gatherTopKIljLi1EEEvNS_4cuda6detail10TensorInfoIKT_T0_EES8_S8_bjS8_NS5_IS6_S8_EES8_NS5_IlS8_EES8_jjPS6_PjSD_j.uses_flat_scratch, 0
	.set _ZN2at6native6mbtopk10gatherTopKIljLi1EEEvNS_4cuda6detail10TensorInfoIKT_T0_EES8_S8_bjS8_NS5_IS6_S8_EES8_NS5_IlS8_EES8_jjPS6_PjSD_j.has_dyn_sized_stack, 0
	.set _ZN2at6native6mbtopk10gatherTopKIljLi1EEEvNS_4cuda6detail10TensorInfoIKT_T0_EES8_S8_bjS8_NS5_IS6_S8_EES8_NS5_IlS8_EES8_jjPS6_PjSD_j.has_recursion, 0
	.set _ZN2at6native6mbtopk10gatherTopKIljLi1EEEvNS_4cuda6detail10TensorInfoIKT_T0_EES8_S8_bjS8_NS5_IS6_S8_EES8_NS5_IlS8_EES8_jjPS6_PjSD_j.has_indirect_call, 0
	.section	.AMDGPU.csdata,"",@progbits
; Kernel info:
; codeLenInByte = 2404
; TotalNumSgprs: 32
; NumVgprs: 26
; ScratchSize: 0
; MemoryBound: 0
; FloatMode: 240
; IeeeMode: 1
; LDSByteSize: 1068 bytes/workgroup (compile time only)
; SGPRBlocks: 0
; VGPRBlocks: 1
; NumSGPRsForWavesPerEU: 32
; NumVGPRsForWavesPerEU: 26
; NamedBarCnt: 0
; Occupancy: 16
; WaveLimiterHint : 1
; COMPUTE_PGM_RSRC2:SCRATCH_EN: 0
; COMPUTE_PGM_RSRC2:USER_SGPR: 2
; COMPUTE_PGM_RSRC2:TRAP_HANDLER: 0
; COMPUTE_PGM_RSRC2:TGID_X_EN: 1
; COMPUTE_PGM_RSRC2:TGID_Y_EN: 1
; COMPUTE_PGM_RSRC2:TGID_Z_EN: 1
; COMPUTE_PGM_RSRC2:TIDIG_COMP_CNT: 0
	.section	.text._ZN2at6native6sbtopk10gatherTopKIljLi1ELb0EEEvNS_4cuda6detail10TensorInfoIKT_T0_EES8_S8_bS8_S8_NS5_IS6_S8_EES8_NS5_IlS8_EES8_PS6_,"axG",@progbits,_ZN2at6native6sbtopk10gatherTopKIljLi1ELb0EEEvNS_4cuda6detail10TensorInfoIKT_T0_EES8_S8_bS8_S8_NS5_IS6_S8_EES8_NS5_IlS8_EES8_PS6_,comdat
	.protected	_ZN2at6native6sbtopk10gatherTopKIljLi1ELb0EEEvNS_4cuda6detail10TensorInfoIKT_T0_EES8_S8_bS8_S8_NS5_IS6_S8_EES8_NS5_IlS8_EES8_PS6_ ; -- Begin function _ZN2at6native6sbtopk10gatherTopKIljLi1ELb0EEEvNS_4cuda6detail10TensorInfoIKT_T0_EES8_S8_bS8_S8_NS5_IS6_S8_EES8_NS5_IlS8_EES8_PS6_
	.globl	_ZN2at6native6sbtopk10gatherTopKIljLi1ELb0EEEvNS_4cuda6detail10TensorInfoIKT_T0_EES8_S8_bS8_S8_NS5_IS6_S8_EES8_NS5_IlS8_EES8_PS6_
	.p2align	8
	.type	_ZN2at6native6sbtopk10gatherTopKIljLi1ELb0EEEvNS_4cuda6detail10TensorInfoIKT_T0_EES8_S8_bS8_S8_NS5_IS6_S8_EES8_NS5_IlS8_EES8_PS6_,@function
_ZN2at6native6sbtopk10gatherTopKIljLi1ELb0EEEvNS_4cuda6detail10TensorInfoIKT_T0_EES8_S8_bS8_S8_NS5_IS6_S8_EES8_NS5_IlS8_EES8_PS6_: ; @_ZN2at6native6sbtopk10gatherTopKIljLi1ELb0EEEvNS_4cuda6detail10TensorInfoIKT_T0_EES8_S8_bS8_S8_NS5_IS6_S8_EES8_NS5_IlS8_EES8_PS6_
; %bb.0:
	s_clause 0x1
	s_load_b128 s[36:39], s[0:1], 0xd8
	s_load_b64 s[4:5], s[0:1], 0x2b8
	s_bfe_u32 s2, ttmp6, 0x40010
	s_and_b32 s3, ttmp7, 0xffff
	s_add_co_i32 s2, s2, 1
	s_bfe_u32 s7, ttmp6, 0x4000c
	s_mul_i32 s2, s3, s2
	s_bfe_u32 s6, ttmp6, 0x40004
	s_add_co_i32 s7, s7, 1
	s_bfe_u32 s8, ttmp6, 0x40014
	s_add_co_i32 s6, s6, s2
	s_and_b32 s2, ttmp6, 15
	s_mul_i32 s7, ttmp9, s7
	s_lshr_b32 s9, ttmp7, 16
	s_add_co_i32 s8, s8, 1
	s_add_co_i32 s2, s2, s7
	s_mul_i32 s7, s9, s8
	s_bfe_u32 s8, ttmp6, 0x40008
	s_getreg_b32 s10, hwreg(HW_REG_IB_STS2, 6, 4)
	s_add_co_i32 s8, s8, s7
	s_cmp_eq_u32 s10, 0
	s_cselect_b32 s7, s9, s8
	s_cselect_b32 s3, s3, s6
	s_wait_kmcnt 0x0
	s_mul_i32 s5, s5, s7
	s_cselect_b32 s8, ttmp9, s2
	s_add_co_i32 s2, s5, s3
	s_delay_alu instid0(SALU_CYCLE_1) | instskip(NEXT) | instid1(SALU_CYCLE_1)
	s_mul_i32 s54, s2, s4
	s_add_co_i32 s54, s54, s8
	s_delay_alu instid0(SALU_CYCLE_1)
	s_cmp_ge_u32 s54, s39
	s_cbranch_scc1 .LBB43_399
; %bb.1:
	s_clause 0x2
	s_load_b32 s52, s[0:1], 0xe8
	s_load_b32 s2, s[0:1], 0x6c
	s_load_b64 s[6:7], s[0:1], 0x0
	v_cmp_eq_u32_e64 s5, 0, v0
	s_add_nc_u64 s[10:11], s[0:1], 0x2b8
	s_and_saveexec_b32 s3, s5
; %bb.2:
	v_dual_mov_b32 v2, 0 :: v_dual_mov_b32 v3, s36
	s_delay_alu instid0(VALU_DEP_1)
	v_mov_b32_e32 v4, v2
	ds_store_b96 v2, v[2:4] offset:4096
; %bb.3:
	s_or_b32 exec_lo, exec_lo, s3
	s_wait_dscnt 0x0
	s_barrier_signal -1
	s_barrier_wait -1
	s_load_b32 s9, s[10:11], 0xc
	v_mbcnt_lo_u32_b32 v1, -1, 0
	s_wait_kmcnt 0x0
	s_mul_i32 s40, s2, s54
	s_mov_b32 s41, 0
	v_cmp_gt_u32_e32 vcc_lo, 32, v0
	s_lshl_b64 s[12:13], s[40:41], 3
	v_cmp_gt_i32_e64 s2, 4, v1
	s_bitcmp1_b32 s38, 0
	s_add_nc_u64 s[30:31], s[6:7], s[12:13]
	s_cselect_b32 s3, -1, 0
	v_mul_lo_u32 v20, s52, v0
	s_xor_b32 s57, s3, -1
	s_and_b32 s58, vcc_lo, s2
	v_dual_lshlrev_b32 v17, 2, v0 :: v_dual_mov_b32 v23, 0
	s_clause 0x3
	s_load_b32 s55, s[0:1], 0x23c
	s_load_b64 s[34:35], s[0:1], 0x1d0
	s_load_b32 s56, s[0:1], 0x15c
	s_load_b64 s[38:39], s[0:1], 0xf0
	v_lshlrev_b32_e32 v40, 5, v0
	v_mov_b64_e32 v[28:29], 0
	v_or_b32_e32 v4, 3, v17
	v_mad_u32 v35, s52, v17, s52
	s_and_b32 s33, s9, 0xffff
	v_mov_b64_e32 v[6:7], 0
	s_lshl_b32 s59, s33, 2
	s_cmp_gt_u32 s36, 0x180
	s_cvt_f32_u32 s2, s59
	s_cselect_b32 s60, -1, 0
	s_cmp_gt_u32 s33, 31
	s_cvt_f32_u32 s7, s33
	s_cselect_b32 s61, -1, 0
	s_add_co_i32 s62, s33, -1
	v_rcp_iflag_f32_e32 v2, s2
	s_add_co_i32 s14, s62, s36
	s_cmp_lt_u32 s8, s4
	v_mul_lo_u32 v37, s52, v4
	s_cselect_b32 s40, 12, 18
	s_bfe_u32 s63, s9, 0xb0005
	v_mov_b64_e32 v[26:27], 0
	s_add_co_i32 s4, s63, -2
	v_mov_b64_e32 v[30:31], 0
	s_lshr_b32 s6, s4, 1
	v_cmp_eq_u32_e64 s2, 0, v1
	s_add_co_i32 s6, s6, 1
	s_cmp_gt_u32 s33, 63
	v_lshl_or_b32 v41, v1, 2, 0xc00
	s_cselect_b32 s64, -1, 0
	s_and_b32 s65, s63, 0x7fe
	s_and_b32 s66, s6, 7
	s_cmp_gt_u32 s4, 13
	v_readfirstlane_b32 s4, v2
	s_cselect_b32 s67, -1, 0
	s_and_b32 s68, s6, -8
	s_cmp_lg_u32 s66, 0
	v_rcp_iflag_f32_e32 v2, s7
	s_mul_f32 s4, s4, 0x4f7ffffe
	s_cselect_b32 s69, -1, 0
	s_cmp_lg_u32 s65, s63
	v_lshlrev_b32_e32 v38, 2, v20
	s_cvt_u32_f32 s6, s4
	s_cselect_b32 s70, -1, 0
	s_sub_co_i32 s4, 0, s59
	v_mov_b32_e32 v42, s37
	s_mul_i32 s4, s4, s6
	s_mul_i32 s53, s52, s33
	s_mul_hi_u32 s8, s6, s4
	v_cmp_gt_u32_e64 s4, s36, v0
	s_add_co_i32 s42, s6, s8
	v_readfirstlane_b32 s8, v2
	s_mul_hi_u32 s7, s36, s42
	v_lshlrev_b64_e64 v[2:3], v1, -1
	s_mul_i32 s7, s7, s59
	v_or_b32_e32 v3, 2, v17
	s_sub_co_i32 s7, s36, s7
	s_mul_f32 s8, s8, 0x4f7ffffe
	s_sub_co_i32 s9, s7, s59
	s_cmp_ge_u32 s7, s59
	v_not_b32_e32 v16, v2
	s_cselect_b32 s7, s9, s7
	s_cvt_u32_f32 s8, s8
	s_sub_co_i32 s9, s7, s59
	s_cmp_ge_u32 s7, s59
	v_lshrrev_b32_e32 v2, 1, v0
	s_cselect_b32 s12, s9, s7
	s_sub_co_i32 s7, 0, s33
	s_sub_co_i32 s71, s36, s12
	s_delay_alu instid0(SALU_CYCLE_1) | instskip(SKIP_3) | instid1(VALU_DEP_2)
	v_dual_mov_b32 v21, v23 :: v_dual_add_nc_u32 v33, s71, v0
	s_mul_i32 s7, s7, s8
	v_mul_lo_u32 v36, s52, v3
	s_mul_hi_u32 s7, s8, s7
	v_lshl_add_u64 v[18:19], v[20:21], 3, s[30:31]
	v_lshlrev_b32_e32 v21, 3, v0
	s_add_co_i32 s44, s8, s7
	s_movk_i32 s8, 0x1f0
	s_mul_hi_u32 s7, s14, s44
	v_and_or_b32 v34, v2, s8, 0xc00
	s_mul_i32 s7, s7, s33
	v_add3_u32 v2, s33, s36, v0
	s_sub_co_i32 s7, s14, s7
	v_mul_lo_u32 v22, v33, s52
	s_sub_co_i32 s8, s7, s33
	s_cmp_ge_u32 s7, s33
	v_subrev_nc_u32_e32 v2, s12, v2
	s_cselect_b32 s9, s8, s7
	v_cmp_gt_u32_e64 s6, 2, v0
	s_sub_co_i32 s13, s9, s33
	s_cmp_ge_u32 s9, s33
	v_mul_lo_u32 v39, s52, v2
	s_cselect_b32 s9, s13, s9
	v_add_nc_u32_e32 v32, 0xc00, v21
	s_sub_co_i32 s72, s14, s9
	v_cmp_gt_u32_e64 s7, s71, v17
	v_cmp_gt_u32_e64 s8, s36, v33
	v_lshl_add_u64 v[24:25], v[22:23], 3, s[30:31]
	v_cmp_gt_u32_e64 s9, s72, v0
	v_mov_b32_e32 v2, 1
	s_mov_b32 s43, s41
	s_mov_b32 s45, s41
	s_lshl_b32 s73, s53, 2
	s_lshl_b32 s74, s33, 5
	;; [unrolled: 1-line block ×3, first 2 shown]
	s_mov_b32 s76, 62
	s_add_nc_u64 s[46:47], s[10:11], s[40:41]
	s_mov_b32 s77, 0
	s_mov_b32 s79, 0
                                        ; implicit-def: $sgpr78
                                        ; implicit-def: $sgpr82
                                        ; implicit-def: $sgpr81
                                        ; implicit-def: $sgpr83
                                        ; implicit-def: $sgpr80
                                        ; implicit-def: $sgpr87
                                        ; implicit-def: $sgpr88
                                        ; implicit-def: $sgpr84
                                        ; implicit-def: $sgpr86
                                        ; implicit-def: $sgpr85
	s_branch .LBB43_6
.LBB43_4:                               ;   in Loop: Header=BB43_6 Depth=1
	s_or_b32 exec_lo, exec_lo, s13
	v_mov_b32_e32 v42, v43
	s_and_not1_b32 s13, s85, exec_lo
	s_and_b32 s12, s12, exec_lo
	s_and_not1_b32 s86, s86, exec_lo
	s_or_b32 s85, s13, s12
	s_and_not1_b32 s84, s84, exec_lo
	s_and_not1_b32 s88, s88, exec_lo
	;; [unrolled: 1-line block ×3, first 2 shown]
	s_or_not1_b32 s12, s11, exec_lo
.LBB43_5:                               ;   in Loop: Header=BB43_6 Depth=1
	s_or_b32 exec_lo, exec_lo, s10
	s_delay_alu instid0(SALU_CYCLE_1) | instskip(NEXT) | instid1(SALU_CYCLE_1)
	s_and_b32 s10, exec_lo, s12
	s_or_b32 s77, s10, s77
	s_and_not1_b32 s10, s80, exec_lo
	s_and_b32 s11, s85, exec_lo
	s_and_not1_b32 s12, s83, exec_lo
	s_or_b32 s80, s10, s11
	s_and_b32 s10, s86, exec_lo
	s_and_not1_b32 s11, s81, exec_lo
	s_and_b32 s13, s84, exec_lo
	s_or_b32 s83, s12, s10
	s_or_b32 s81, s11, s13
	s_and_not1_b32 s10, s82, exec_lo
	s_and_b32 s11, s88, exec_lo
	s_and_not1_b32 s12, s78, exec_lo
	s_and_b32 s13, s87, exec_lo
	s_or_b32 s82, s10, s11
	s_or_b32 s78, s12, s13
	s_and_not1_b32 exec_lo, exec_lo, s77
	s_cbranch_execz .LBB43_395
.LBB43_6:                               ; =>This Loop Header: Depth=1
                                        ;     Child Loop BB43_12 Depth 2
                                        ;     Child Loop BB43_25 Depth 2
	;; [unrolled: 1-line block ×25, first 2 shown]
	ds_load_b64 v[4:5], v23 offset:4096
	s_wait_dscnt 0x0
	v_readfirstlane_b32 s40, v4
	s_cmp_lg_u32 s40, 0
	s_cbranch_scc1 .LBB43_33
; %bb.7:                                ;   in Loop: Header=BB43_6 Depth=1
	s_and_b32 vcc_lo, exec_lo, s60
	s_cbranch_vccz .LBB43_20
; %bb.8:                                ;   in Loop: Header=BB43_6 Depth=1
	v_cmp_gt_u32_e32 vcc_lo, 0x181, v5
	s_mov_b32 s12, 0
	s_mov_b32 s10, 0
	s_cbranch_vccz .LBB43_21
; %bb.9:                                ;   in Loop: Header=BB43_6 Depth=1
	s_and_saveexec_b32 s13, s4
	s_cbranch_execz .LBB43_83
; %bb.10:                               ;   in Loop: Header=BB43_6 Depth=1
	global_load_b64 v[4:5], v[18:19], off
	s_load_u16 s14, s[46:47], 0x0
	s_mov_b32 s16, 0
	s_wait_kmcnt 0x0
	v_dual_mov_b32 v10, v0 :: v_dual_add_nc_u32 v3, s14, v0
	s_mul_i32 s15, s52, s14
	s_delay_alu instid0(VALU_DEP_1)
	v_mul_lo_u32 v3, s52, v3
	s_branch .LBB43_12
.LBB43_11:                              ;   in Loop: Header=BB43_12 Depth=2
	s_or_b32 exec_lo, exec_lo, s11
	v_mov_b64_e32 v[4:5], v[8:9]
	v_add_nc_u32_e32 v3, s15, v3
	s_and_not1_b32 exec_lo, exec_lo, s16
	s_cbranch_execz .LBB43_83
.LBB43_12:                              ;   Parent Loop BB43_6 Depth=1
                                        ; =>  This Inner Loop Header: Depth=2
	v_mov_b64_e32 v[8:9], 0
	v_add_nc_u32_e32 v10, s14, v10
	s_mov_b32 s11, exec_lo
	s_delay_alu instid0(VALU_DEP_1)
	v_cmp_le_u32_e32 vcc_lo, s36, v10
	v_cmpx_gt_u32_e64 s36, v10
	s_cbranch_execz .LBB43_14
; %bb.13:                               ;   in Loop: Header=BB43_12 Depth=2
	global_load_b64 v[8:9], v3, s[30:31] scale_offset
.LBB43_14:                              ;   in Loop: Header=BB43_12 Depth=2
	s_wait_xcnt 0x0
	s_or_b32 exec_lo, exec_lo, s11
	s_wait_loadcnt_dscnt 0x0
	v_xor_b32_e32 v11, 0x80000000, v5
	v_and_b32_e32 v12, v4, v30
	s_delay_alu instid0(VALU_DEP_2) | instskip(NEXT) | instid1(VALU_DEP_1)
	v_dual_mov_b32 v11, 0 :: v_dual_bitop2_b32 v13, v11, v31 bitop3:0x40
	v_cmp_eq_u64_e64 s10, v[12:13], v[26:27]
	s_cmp_lg_u32 s10, 0
	s_cselect_b32 s11, -1, 0
	s_delay_alu instid0(SALU_CYCLE_1) | instskip(NEXT) | instid1(SALU_CYCLE_1)
	s_and_b32 s11, s2, s11
	s_and_saveexec_b32 s17, s11
	s_cbranch_execz .LBB43_18
; %bb.15:                               ;   in Loop: Header=BB43_12 Depth=2
	s_mov_b32 s20, exec_lo
	s_bcnt1_i32_b32 s18, s10
	v_mbcnt_lo_u32_b32 v11, s20, 0
	s_mov_b32 s19, exec_lo
                                        ; implicit-def: $vgpr12
	s_delay_alu instid0(VALU_DEP_1)
	v_cmpx_eq_u32_e32 0, v11
; %bb.16:                               ;   in Loop: Header=BB43_12 Depth=2
	s_bcnt1_i32_b32 s11, s20
	s_delay_alu instid0(SALU_CYCLE_1) | instskip(NEXT) | instid1(SALU_CYCLE_1)
	s_mul_i32 s11, s18, s11
	v_mov_b32_e32 v12, s11
	ds_add_rtn_u32 v12, v23, v12 offset:4104
; %bb.17:                               ;   in Loop: Header=BB43_12 Depth=2
	s_or_b32 exec_lo, exec_lo, s19
	s_wait_dscnt 0x0
	v_readfirstlane_b32 s11, v12
	s_delay_alu instid0(VALU_DEP_1)
	v_mad_u32_u24 v11, s18, v11, s11
.LBB43_18:                              ;   in Loop: Header=BB43_12 Depth=2
	s_or_b32 exec_lo, exec_lo, s17
	ds_bpermute_b32 v11, v23, v11
	s_and_b32 s11, exec_lo, vcc_lo
	s_delay_alu instid0(SALU_CYCLE_1)
	s_or_b32 s16, s11, s16
	s_and_saveexec_b32 s11, s10
	s_cbranch_execz .LBB43_11
; %bb.19:                               ;   in Loop: Header=BB43_12 Depth=2
	v_and_b32_e32 v12, s10, v16
	s_delay_alu instid0(VALU_DEP_1) | instskip(NEXT) | instid1(VALU_DEP_1)
	v_bcnt_u32_b32 v12, v12, 0
	v_lshlrev_b32_e32 v12, 3, v12
	s_wait_dscnt 0x0
	s_delay_alu instid0(VALU_DEP_1)
	v_lshl_add_u32 v11, v11, 3, v12
	ds_store_b64 v11, v[4:5]
	s_branch .LBB43_11
.LBB43_20:                              ;   in Loop: Header=BB43_6 Depth=1
	s_mov_b32 s12, -1
	s_mov_b32 s10, 0
.LBB43_21:                              ;   in Loop: Header=BB43_6 Depth=1
	s_and_b32 vcc_lo, exec_lo, s12
	s_cbranch_vccz .LBB43_31
.LBB43_22:                              ;   in Loop: Header=BB43_6 Depth=1
	s_and_saveexec_b32 s10, s4
	s_cbranch_execz .LBB43_28
; %bb.23:                               ;   in Loop: Header=BB43_6 Depth=1
	global_load_b64 v[4:5], v[18:19], off
	s_load_u16 s12, s[46:47], 0x0
	s_mov_b32 s11, exec_lo
	s_wait_kmcnt 0x0
	v_dual_mov_b32 v3, v0 :: v_dual_add_nc_u32 v8, s12, v0
	s_delay_alu instid0(VALU_DEP_1)
	v_cmpx_gt_u32_e64 s36, v8
	s_cbranch_execz .LBB43_27
; %bb.24:                               ;   in Loop: Header=BB43_6 Depth=1
	v_mul_lo_u32 v10, s52, v8
	v_dual_mov_b32 v11, v21 :: v_dual_mov_b32 v3, v0
	s_lshl_b32 s13, s12, 3
	s_mul_i32 s15, s52, s12
	s_mov_b32 s14, 0
.LBB43_25:                              ;   Parent Loop BB43_6 Depth=1
                                        ; =>  This Inner Loop Header: Depth=2
	global_load_b64 v[8:9], v10, s[30:31] scale_offset
	s_wait_xcnt 0x0
	v_dual_add_nc_u32 v3, s12, v3 :: v_dual_add_nc_u32 v10, s15, v10
	s_wait_loadcnt 0x1
	ds_store_b64 v11, v[4:5]
	v_add_nc_u32_e32 v11, s13, v11
	v_add_nc_u32_e32 v12, s12, v3
	s_delay_alu instid0(VALU_DEP_1)
	v_cmp_le_u32_e32 vcc_lo, s36, v12
	s_or_b32 s14, vcc_lo, s14
	s_wait_loadcnt 0x0
	v_mov_b64_e32 v[4:5], v[8:9]
	s_and_not1_b32 exec_lo, exec_lo, s14
	s_cbranch_execnz .LBB43_25
; %bb.26:                               ;   in Loop: Header=BB43_6 Depth=1
	s_or_b32 exec_lo, exec_lo, s14
	v_mov_b64_e32 v[4:5], v[8:9]
.LBB43_27:                              ;   in Loop: Header=BB43_6 Depth=1
	s_or_b32 exec_lo, exec_lo, s11
	s_delay_alu instid0(VALU_DEP_2)
	v_lshlrev_b32_e32 v3, 3, v3
	s_wait_loadcnt 0x0
	ds_store_b64 v3, v[4:5]
.LBB43_28:                              ;   in Loop: Header=BB43_6 Depth=1
	s_or_b32 exec_lo, exec_lo, s10
	s_wait_dscnt 0x0
	s_barrier_signal -1
	s_barrier_wait -1
	s_and_saveexec_b32 s10, s5
; %bb.29:                               ;   in Loop: Header=BB43_6 Depth=1
	v_mov_b32_e32 v3, s36
	ds_store_b32 v23, v3 offset:4096
; %bb.30:                               ;   in Loop: Header=BB43_6 Depth=1
	s_or_b32 exec_lo, exec_lo, s10
	s_mov_b32 s10, -1
	s_wait_dscnt 0x0
	s_barrier_signal -1
	s_barrier_wait -1
.LBB43_31:                              ;   in Loop: Header=BB43_6 Depth=1
	s_and_b32 vcc_lo, exec_lo, s10
	s_mov_b32 s40, 0
	s_cbranch_vccz .LBB43_33
; %bb.32:                               ;   in Loop: Header=BB43_6 Depth=1
	ds_load_b32 v3, v23 offset:4096
	s_wait_dscnt 0x0
	v_readfirstlane_b32 s40, v3
.LBB43_33:                              ;   in Loop: Header=BB43_6 Depth=1
	s_delay_alu instid0(VALU_DEP_1)
	s_cmp_lt_i32 s40, 1
	s_mov_b32 s10, -1
                                        ; implicit-def: $vgpr10_vgpr11
	s_cbranch_scc1 .LBB43_46
; %bb.34:                               ;   in Loop: Header=BB43_6 Depth=1
	s_and_b32 vcc_lo, exec_lo, s10
	s_cbranch_vccnz .LBB43_57
.LBB43_35:                              ;   in Loop: Header=BB43_6 Depth=1
	s_lshl_b32 s12, s79, 7
	s_and_saveexec_b32 s10, s2
.LBB43_36:                              ;   in Loop: Header=BB43_6 Depth=1
	v_lshl_add_u32 v3, s12, 2, v34
	ds_store_b128 v3, v[8:11]
.LBB43_37:                              ;   in Loop: Header=BB43_6 Depth=1
	s_or_b32 exec_lo, exec_lo, s10
	s_wait_dscnt 0x0
	s_barrier_signal -1
	s_barrier_wait -1
	s_and_saveexec_b32 s13, s58
	s_cbranch_execz .LBB43_70
; %bb.38:                               ;   in Loop: Header=BB43_6 Depth=1
	v_dual_mov_b32 v4, 0 :: v_dual_add_nc_u32 v3, s12, v1
	s_and_not1_b32 vcc_lo, exec_lo, s61
	s_cbranch_vccnz .LBB43_69
; %bb.39:                               ;   in Loop: Header=BB43_6 Depth=1
	s_and_not1_b32 vcc_lo, exec_lo, s64
	s_cbranch_vccnz .LBB43_66
; %bb.40:                               ;   in Loop: Header=BB43_6 Depth=1
	v_lshl_add_u32 v8, v3, 2, 0xc00
	s_and_not1_b32 vcc_lo, exec_lo, s67
	s_cbranch_vccnz .LBB43_97
; %bb.41:                               ;   in Loop: Header=BB43_6 Depth=1
	v_dual_mov_b32 v4, 0 :: v_dual_mov_b32 v5, 0
	s_mov_b32 s11, 1
	s_mov_b32 s10, 0
	;; [unrolled: 1-line block ×3, first 2 shown]
.LBB43_42:                              ;   Parent Loop BB43_6 Depth=1
                                        ; =>  This Inner Loop Header: Depth=2
	v_lshl_add_u32 v9, s11, 4, v8
	v_lshl_add_u32 v22, s10, 4, v8
	s_add_co_i32 s14, s14, -8
	s_add_co_i32 s11, s11, 16
	s_add_co_i32 s10, s10, 16
	ds_load_2addr_b32 v[10:11], v9 offset1:8
	ds_load_2addr_b32 v[12:13], v22 offset1:8
	ds_load_2addr_b32 v[14:15], v9 offset0:16 offset1:24
	ds_load_2addr_b32 v[44:45], v22 offset0:16 offset1:24
	;; [unrolled: 1-line block ×6, first 2 shown]
	s_cmp_lg_u32 s14, 0
	s_wait_dscnt 0x7
	v_add3_u32 v5, v10, v5, v11
	s_wait_dscnt 0x6
	v_add3_u32 v4, v12, v4, v13
	s_wait_dscnt 0x5
	s_delay_alu instid0(VALU_DEP_2) | instskip(SKIP_1) | instid1(VALU_DEP_2)
	v_add3_u32 v5, v14, v5, v15
	s_wait_dscnt 0x4
	v_add3_u32 v4, v44, v4, v45
	s_wait_dscnt 0x3
	s_delay_alu instid0(VALU_DEP_2) | instskip(SKIP_1) | instid1(VALU_DEP_2)
	;; [unrolled: 5-line block ×3, first 2 shown]
	v_add3_u32 v5, v50, v5, v51
	s_wait_dscnt 0x0
	v_add3_u32 v4, v52, v4, v53
	s_cbranch_scc1 .LBB43_42
; %bb.43:                               ;   in Loop: Header=BB43_6 Depth=1
	s_and_not1_b32 vcc_lo, exec_lo, s69
	s_mov_b32 s14, s66
	s_cbranch_vccnz .LBB43_45
.LBB43_44:                              ;   Parent Loop BB43_6 Depth=1
                                        ; =>  This Inner Loop Header: Depth=2
	v_lshl_add_u32 v9, s11, 4, v8
	v_lshl_add_u32 v10, s10, 4, v8
	s_add_co_i32 s14, s14, -1
	s_add_co_i32 s11, s11, 2
	s_add_co_i32 s10, s10, 2
	ds_load_b32 v9, v9
	ds_load_b32 v10, v10
	s_cmp_lg_u32 s14, 0
	s_wait_dscnt 0x0
	v_dual_add_nc_u32 v5, v9, v5 :: v_dual_add_nc_u32 v4, v10, v4
	s_cbranch_scc1 .LBB43_44
.LBB43_45:                              ;   in Loop: Header=BB43_6 Depth=1
	s_delay_alu instid0(VALU_DEP_1) | instskip(SKIP_2) | instid1(SALU_CYCLE_1)
	v_add_nc_u32_e32 v4, v4, v5
	s_mov_b32 s10, s65
	s_mov_b32 s11, s70
	s_and_b32 vcc_lo, exec_lo, s11
	s_cbranch_vccnz .LBB43_67
	s_branch .LBB43_69
.LBB43_46:                              ;   in Loop: Header=BB43_6 Depth=1
	v_mov_b64_e32 v[10:11], 0
	v_mov_b64_e32 v[8:9], 0
	s_and_saveexec_b32 s89, s7
	s_cbranch_execz .LBB43_50
; %bb.47:                               ;   in Loop: Header=BB43_6 Depth=1
	v_mov_b32_e32 v3, v17
	s_mov_b32 s90, 0
	s_mov_b32 s91, 0
	;; [unrolled: 1-line block ×6, first 2 shown]
.LBB43_48:                              ;   Parent Loop BB43_6 Depth=1
                                        ; =>  This Inner Loop Header: Depth=2
	v_dual_add_nc_u32 v4, s91, v38 :: v_dual_add_nc_u32 v5, s91, v35
	v_dual_add_nc_u32 v8, s91, v36 :: v_dual_add_nc_u32 v14, s91, v37
	v_dual_add_nc_u32 v3, s59, v3 :: v_dual_mov_b32 v15, v23
	s_clause 0x3
	global_load_b64 v[12:13], v4, s[30:31] scale_offset
	global_load_b64 v[10:11], v5, s[30:31] scale_offset
	;; [unrolled: 1-line block ×4, first 2 shown]
	v_dual_mov_b32 v45, v23 :: v_dual_mov_b32 v47, v23
	v_cmp_le_u32_e32 vcc_lo, s71, v3
	s_add_co_i32 s91, s91, s73
	s_wait_loadcnt 0x3
	v_xor_b32_e32 v13, 0x80000000, v13
	s_wait_loadcnt 0x2
	v_xor_b32_e32 v11, 0x80000000, v11
	;; [unrolled: 2-line block ×3, first 2 shown]
	v_and_b32_e32 v48, v12, v30
	s_wait_loadcnt 0x0
	v_xor_b32_e32 v5, 0x80000000, v5
	v_and_b32_e32 v49, v13, v31
	v_lshrrev_b64 v[12:13], s76, v[12:13]
	v_and_b32_e32 v50, v10, v30
	v_and_b32_e32 v51, v11, v31
	v_lshrrev_b64 v[10:11], s76, v[10:11]
	v_and_b32_e32 v52, v8, v30
	;; [unrolled: 3-line block ×4, first 2 shown]
	v_and_b32_e32 v14, 3, v10
	v_cmp_eq_u64_e64 s10, v[48:49], v[26:27]
	v_and_b32_e32 v44, 3, v8
	v_cmp_eq_u64_e64 s11, v[50:51], v[26:27]
	v_cmp_eq_u64_e64 s14, 0, v[22:23]
	v_and_b32_e32 v46, 3, v4
	v_cmp_eq_u64_e64 s15, 0, v[14:15]
	v_cmp_eq_u64_e64 s12, v[52:53], v[26:27]
	;; [unrolled: 1-line block ×5, first 2 shown]
	s_and_b32 s14, s10, s14
	v_cmp_eq_u64_e64 s18, 1, v[22:23]
	v_cndmask_b32_e64 v4, 0, 1, s14
	s_and_b32 s14, s11, s15
	v_cmp_eq_u64_e64 s19, 1, v[14:15]
	v_cndmask_b32_e64 v5, 0, 1, s14
	;; [unrolled: 3-line block ×4, first 2 shown]
	s_and_b32 s14, s10, s18
	v_cmp_eq_u64_e64 s22, 2, v[22:23]
	v_cmp_eq_u64_e64 s26, 3, v[22:23]
	v_cndmask_b32_e64 v10, 0, 1, s14
	s_and_b32 s14, s11, s19
	v_cmp_eq_u64_e64 s23, 2, v[14:15]
	v_cmp_eq_u64_e64 s27, 3, v[14:15]
	v_cndmask_b32_e64 v11, 0, 1, s14
	;; [unrolled: 4-line block ×4, first 2 shown]
	s_and_b32 s14, s10, s22
	s_and_b32 s10, s10, s26
	v_cndmask_b32_e64 v14, 0, 1, s14
	s_and_b32 s14, s11, s23
	v_cndmask_b32_e64 v44, 0, 1, s10
	s_and_b32 s10, s11, s27
	v_cndmask_b32_e64 v15, 0, 1, s14
	s_and_b32 s14, s12, s24
	v_cndmask_b32_e64 v45, 0, 1, s10
	s_and_b32 s10, s12, s28
	v_cndmask_b32_e64 v22, 0, 1, s14
	s_and_b32 s14, s13, s25
	v_cndmask_b32_e64 v46, 0, 1, s10
	s_and_b32 s10, s13, s29
	v_cndmask_b32_e64 v43, 0, 1, s14
	v_cndmask_b32_e64 v47, 0, 1, s10
	v_cmp_ne_u32_e64 s10, 0, v4
	v_cmp_ne_u32_e64 s14, 0, v10
	;; [unrolled: 1-line block ×12, first 2 shown]
	s_bcnt1_i32_b32 s10, s10
	s_bcnt1_i32_b32 s14, s14
	s_bcnt1_i32_b32 s18, s18
	s_bcnt1_i32_b32 s22, s22
	v_cmp_ne_u32_e64 s13, 0, v9
	v_cmp_ne_u32_e64 s17, 0, v13
	;; [unrolled: 1-line block ×4, first 2 shown]
	s_bcnt1_i32_b32 s11, s11
	s_bcnt1_i32_b32 s15, s15
	s_bcnt1_i32_b32 s19, s19
	s_bcnt1_i32_b32 s23, s23
	s_add_co_i32 s10, s10, s48
	s_add_co_i32 s14, s14, s49
	s_add_co_i32 s18, s18, s50
	s_add_co_i32 s22, s22, s51
	s_bcnt1_i32_b32 s12, s12
	s_bcnt1_i32_b32 s16, s16
	s_bcnt1_i32_b32 s20, s20
	s_bcnt1_i32_b32 s24, s24
	s_add_co_i32 s14, s14, s15
	s_add_co_i32 s10, s10, s11
	s_add_co_i32 s11, s22, s23
	s_add_co_i32 s15, s18, s19
	;; [unrolled: 8-line block ×3, first 2 shown]
	s_add_co_i32 s49, s12, s17
	s_add_co_i32 s48, s10, s13
	;; [unrolled: 1-line block ×4, first 2 shown]
	v_mov_b64_e32 v[8:9], s[48:49]
	v_mov_b64_e32 v[10:11], s[50:51]
	s_or_b32 s90, vcc_lo, s90
	s_delay_alu instid0(SALU_CYCLE_1)
	s_and_not1_b32 exec_lo, exec_lo, s90
	s_cbranch_execnz .LBB43_48
; %bb.49:                               ;   in Loop: Header=BB43_6 Depth=1
	s_or_b32 exec_lo, exec_lo, s90
.LBB43_50:                              ;   in Loop: Header=BB43_6 Depth=1
	s_delay_alu instid0(SALU_CYCLE_1)
	s_or_b32 exec_lo, exec_lo, s89
	s_and_saveexec_b32 s14, s8
	s_cbranch_execz .LBB43_56
; %bb.51:                               ;   in Loop: Header=BB43_6 Depth=1
	global_load_b64 v[12:13], v[24:25], off
	v_dual_mov_b32 v3, v39 :: v_dual_mov_b32 v14, v33
	s_mov_b32 s15, 0
	s_branch .LBB43_53
.LBB43_52:                              ;   in Loop: Header=BB43_53 Depth=2
	s_wait_xcnt 0x0
	s_or_b32 exec_lo, exec_lo, s11
	s_wait_loadcnt 0x0
	v_xor_b32_e32 v13, 0x80000000, v13
	s_and_b32 s13, exec_lo, vcc_lo
	v_add_nc_u32_e32 v3, s53, v3
	s_or_b32 s15, s13, s15
	s_delay_alu instid0(VALU_DEP_2) | instskip(SKIP_2) | instid1(VALU_DEP_1)
	v_lshrrev_b64 v[44:45], s76, v[12:13]
	v_and_b32_e32 v12, v12, v30
	v_and_b32_e32 v13, v13, v31
	v_cmp_eq_u64_e64 s10, v[12:13], v[26:27]
	s_delay_alu instid0(VALU_DEP_4) | instskip(NEXT) | instid1(VALU_DEP_1)
	v_and_b32_e32 v22, 3, v44
	v_cmp_eq_u64_e64 s11, 0, v[22:23]
	v_cmp_eq_u64_e64 s12, 1, v[22:23]
	v_cmp_eq_u64_e32 vcc_lo, 2, v[22:23]
	v_cmp_eq_u64_e64 s13, 3, v[22:23]
	s_and_b32 s11, s10, s11
	s_delay_alu instid0(SALU_CYCLE_1) | instskip(SKIP_1) | instid1(SALU_CYCLE_1)
	v_cndmask_b32_e64 v12, 0, 1, s11
	s_and_b32 s11, s10, s12
	v_cndmask_b32_e64 v13, 0, 1, s11
	s_and_b32 s11, s10, vcc_lo
	s_and_b32 s10, s10, s13
	v_cndmask_b32_e64 v15, 0, 1, s11
	v_cndmask_b32_e64 v22, 0, 1, s10
	v_cmp_ne_u32_e32 vcc_lo, 0, v12
	v_cmp_ne_u32_e64 s10, 0, v13
	v_mov_b64_e32 v[12:13], v[4:5]
	v_cmp_ne_u32_e64 s11, 0, v15
	v_cmp_ne_u32_e64 s12, 0, v22
	s_bcnt1_i32_b32 s13, vcc_lo
	s_bcnt1_i32_b32 s10, s10
	s_bcnt1_i32_b32 s11, s11
	;; [unrolled: 1-line block ×3, first 2 shown]
	v_dual_add_nc_u32 v9, s10, v9 :: v_dual_add_nc_u32 v8, s13, v8
	v_dual_add_nc_u32 v10, s11, v10 :: v_dual_add_nc_u32 v11, s12, v11
	s_and_not1_b32 exec_lo, exec_lo, s15
	s_cbranch_execz .LBB43_55
.LBB43_53:                              ;   Parent Loop BB43_6 Depth=1
                                        ; =>  This Inner Loop Header: Depth=2
	v_mov_b64_e32 v[4:5], 0
	s_delay_alu instid0(VALU_DEP_2) | instskip(SKIP_1) | instid1(VALU_DEP_1)
	v_add_nc_u32_e32 v14, s33, v14
	s_mov_b32 s11, exec_lo
	v_cmp_le_u32_e32 vcc_lo, s36, v14
	s_wait_xcnt 0x0
	v_cmpx_gt_u32_e64 s36, v14
	s_cbranch_execz .LBB43_52
; %bb.54:                               ;   in Loop: Header=BB43_53 Depth=2
	global_load_b64 v[4:5], v3, s[30:31] scale_offset
	s_branch .LBB43_52
.LBB43_55:                              ;   in Loop: Header=BB43_6 Depth=1
	s_or_b32 exec_lo, exec_lo, s15
.LBB43_56:                              ;   in Loop: Header=BB43_6 Depth=1
	s_delay_alu instid0(SALU_CYCLE_1)
	s_or_b32 exec_lo, exec_lo, s14
	s_branch .LBB43_35
.LBB43_57:                              ;   in Loop: Header=BB43_6 Depth=1
	s_mul_u64 s[10:11], s[40:41], s[42:43]
	v_mov_b64_e32 v[10:11], 0
	s_mul_i32 s10, s11, s59
	v_mov_b64_e32 v[8:9], 0
	s_sub_co_i32 s10, s40, s10
	s_mov_b32 s90, exec_lo
	s_sub_co_i32 s11, s10, s59
	s_cmp_ge_u32 s10, s59
	s_cselect_b32 s10, s11, s10
	s_delay_alu instid0(SALU_CYCLE_1) | instskip(SKIP_2) | instid1(SALU_CYCLE_1)
	s_sub_co_i32 s11, s10, s59
	s_cmp_ge_u32 s10, s59
	s_cselect_b32 s10, s11, s10
	s_sub_co_i32 s89, s40, s10
	s_delay_alu instid0(SALU_CYCLE_1)
	v_cmpx_gt_u32_e64 s89, v17
	s_cbranch_execz .LBB43_61
; %bb.58:                               ;   in Loop: Header=BB43_6 Depth=1
	v_dual_mov_b32 v3, v40 :: v_dual_mov_b32 v4, v17
	s_mov_b32 s91, 0
	s_mov_b32 s48, 0
	s_mov_b32 s49, s91
	s_mov_b32 s50, 0
	s_mov_b32 s51, s91
.LBB43_59:                              ;   Parent Loop BB43_6 Depth=1
                                        ; =>  This Inner Loop Header: Depth=2
	ds_load_b128 v[12:15], v3
	ds_load_b128 v[8:11], v3 offset:16
	v_dual_add_nc_u32 v3, s74, v3 :: v_dual_add_nc_u32 v4, s59, v4
	v_dual_mov_b32 v45, v23 :: v_dual_mov_b32 v47, v23
	v_mov_b32_e32 v49, v23
	s_delay_alu instid0(VALU_DEP_3)
	v_cmp_le_u32_e32 vcc_lo, s89, v4
	s_wait_dscnt 0x1
	v_xor_b32_e32 v13, 0x80000000, v13
	v_xor_b32_e32 v15, 0x80000000, v15
	s_wait_dscnt 0x0
	v_xor_b32_e32 v9, 0x80000000, v9
	v_and_b32_e32 v50, v12, v30
	v_xor_b32_e32 v11, 0x80000000, v11
	v_and_b32_e32 v51, v13, v31
	v_lshrrev_b64 v[12:13], s76, v[12:13]
	v_and_b32_e32 v52, v14, v30
	v_and_b32_e32 v53, v15, v31
	v_lshrrev_b64 v[14:15], s76, v[14:15]
	v_and_b32_e32 v54, v8, v30
	;; [unrolled: 3-line block ×4, first 2 shown]
	v_and_b32_e32 v44, 3, v14
	v_cmp_eq_u64_e64 s10, v[50:51], v[26:27]
	v_and_b32_e32 v46, 3, v8
	v_cmp_eq_u64_e64 s11, v[52:53], v[26:27]
	v_cmp_eq_u64_e64 s14, 0, v[22:23]
	v_and_b32_e32 v48, 3, v10
	v_cmp_eq_u64_e64 s15, 0, v[44:45]
	v_cmp_eq_u64_e64 s12, v[54:55], v[26:27]
	;; [unrolled: 1-line block ×5, first 2 shown]
	s_and_b32 s14, s10, s14
	v_cmp_eq_u64_e64 s18, 1, v[22:23]
	v_cndmask_b32_e64 v5, 0, 1, s14
	s_and_b32 s14, s11, s15
	v_cmp_eq_u64_e64 s19, 1, v[44:45]
	v_cndmask_b32_e64 v8, 0, 1, s14
	;; [unrolled: 3-line block ×4, first 2 shown]
	s_and_b32 s14, s10, s18
	v_cmp_eq_u64_e64 s22, 2, v[22:23]
	v_cmp_eq_u64_e64 s26, 3, v[22:23]
	v_cndmask_b32_e64 v11, 0, 1, s14
	s_and_b32 s14, s11, s19
	v_cmp_eq_u64_e64 s23, 2, v[44:45]
	v_cmp_eq_u64_e64 s27, 3, v[44:45]
	v_cndmask_b32_e64 v12, 0, 1, s14
	;; [unrolled: 4-line block ×4, first 2 shown]
	s_and_b32 s14, s10, s22
	s_and_b32 s10, s10, s26
	v_cndmask_b32_e64 v15, 0, 1, s14
	s_and_b32 s14, s11, s23
	v_cndmask_b32_e64 v45, 0, 1, s10
	;; [unrolled: 2-line block ×7, first 2 shown]
	v_cndmask_b32_e64 v48, 0, 1, s10
	v_cmp_ne_u32_e64 s10, 0, v5
	v_cmp_ne_u32_e64 s14, 0, v11
	;; [unrolled: 1-line block ×12, first 2 shown]
	s_bcnt1_i32_b32 s10, s10
	s_bcnt1_i32_b32 s14, s14
	;; [unrolled: 1-line block ×4, first 2 shown]
	v_cmp_ne_u32_e64 s13, 0, v10
	v_cmp_ne_u32_e64 s17, 0, v14
	;; [unrolled: 1-line block ×4, first 2 shown]
	s_bcnt1_i32_b32 s11, s11
	s_bcnt1_i32_b32 s15, s15
	s_bcnt1_i32_b32 s19, s19
	s_bcnt1_i32_b32 s23, s23
	s_add_co_i32 s10, s10, s48
	s_add_co_i32 s14, s14, s49
	s_add_co_i32 s18, s18, s50
	s_add_co_i32 s22, s22, s51
	s_bcnt1_i32_b32 s12, s12
	s_bcnt1_i32_b32 s16, s16
	s_bcnt1_i32_b32 s20, s20
	s_bcnt1_i32_b32 s24, s24
	s_add_co_i32 s14, s14, s15
	s_add_co_i32 s10, s10, s11
	s_add_co_i32 s11, s22, s23
	s_add_co_i32 s15, s18, s19
	;; [unrolled: 8-line block ×3, first 2 shown]
	s_add_co_i32 s49, s12, s17
	s_add_co_i32 s48, s10, s13
	;; [unrolled: 1-line block ×4, first 2 shown]
	v_mov_b64_e32 v[8:9], s[48:49]
	v_mov_b64_e32 v[10:11], s[50:51]
	s_or_b32 s91, vcc_lo, s91
	s_delay_alu instid0(SALU_CYCLE_1)
	s_and_not1_b32 exec_lo, exec_lo, s91
	s_cbranch_execnz .LBB43_59
; %bb.60:                               ;   in Loop: Header=BB43_6 Depth=1
	s_or_b32 exec_lo, exec_lo, s91
.LBB43_61:                              ;   in Loop: Header=BB43_6 Depth=1
	s_delay_alu instid0(SALU_CYCLE_1) | instskip(SKIP_2) | instid1(VALU_DEP_1)
	s_or_b32 exec_lo, exec_lo, s90
	v_add_nc_u32_e32 v3, s89, v0
	s_mov_b32 s15, exec_lo
	v_cmpx_gt_u32_e64 s40, v3
	s_cbranch_execz .LBB43_65
; %bb.62:                               ;   in Loop: Header=BB43_6 Depth=1
	v_lshlrev_b32_e32 v4, 3, v3
	s_mov_b32 s16, 0
.LBB43_63:                              ;   Parent Loop BB43_6 Depth=1
                                        ; =>  This Inner Loop Header: Depth=2
	ds_load_b64 v[12:13], v4
	v_dual_add_nc_u32 v3, s33, v3 :: v_dual_add_nc_u32 v4, s75, v4
	s_delay_alu instid0(VALU_DEP_1) | instskip(SKIP_3) | instid1(VALU_DEP_2)
	v_cmp_le_u32_e32 vcc_lo, s40, v3
	s_wait_dscnt 0x0
	v_xor_b32_e32 v13, 0x80000000, v13
	v_and_b32_e32 v14, v12, v30
	v_lshrrev_b64 v[44:45], s76, v[12:13]
	v_and_b32_e32 v15, v13, v31
	s_delay_alu instid0(VALU_DEP_1) | instskip(NEXT) | instid1(VALU_DEP_3)
	v_cmp_eq_u64_e64 s10, v[14:15], v[26:27]
	v_and_b32_e32 v22, 3, v44
	s_delay_alu instid0(VALU_DEP_1) | instskip(SKIP_4) | instid1(SALU_CYCLE_1)
	v_cmp_eq_u64_e64 s11, 0, v[22:23]
	v_cmp_eq_u64_e64 s12, 1, v[22:23]
	;; [unrolled: 1-line block ×4, first 2 shown]
	s_and_b32 s11, s10, s11
	v_cndmask_b32_e64 v5, 0, 1, s11
	s_and_b32 s11, s10, s12
	s_delay_alu instid0(SALU_CYCLE_1)
	v_cndmask_b32_e64 v12, 0, 1, s11
	s_and_b32 s11, s10, s13
	s_and_b32 s10, s10, s14
	v_cndmask_b32_e64 v13, 0, 1, s11
	v_cndmask_b32_e64 v14, 0, 1, s10
	v_cmp_ne_u32_e64 s10, 0, v5
	v_cmp_ne_u32_e64 s11, 0, v12
	s_delay_alu instid0(VALU_DEP_4) | instskip(NEXT) | instid1(VALU_DEP_4)
	v_cmp_ne_u32_e64 s12, 0, v13
	v_cmp_ne_u32_e64 s13, 0, v14
	s_bcnt1_i32_b32 s10, s10
	s_bcnt1_i32_b32 s11, s11
	v_add_nc_u32_e32 v8, s10, v8
	s_bcnt1_i32_b32 s12, s12
	s_bcnt1_i32_b32 s13, s13
	s_delay_alu instid0(SALU_CYCLE_1) | instskip(SKIP_2) | instid1(SALU_CYCLE_1)
	v_dual_add_nc_u32 v9, s11, v9 :: v_dual_add_nc_u32 v11, s13, v11
	v_add_nc_u32_e32 v10, s12, v10
	s_or_b32 s16, vcc_lo, s16
	s_and_not1_b32 exec_lo, exec_lo, s16
	s_cbranch_execnz .LBB43_63
; %bb.64:                               ;   in Loop: Header=BB43_6 Depth=1
	s_or_b32 exec_lo, exec_lo, s16
.LBB43_65:                              ;   in Loop: Header=BB43_6 Depth=1
	s_delay_alu instid0(SALU_CYCLE_1)
	s_or_b32 exec_lo, exec_lo, s15
	s_lshl_b32 s12, s79, 7
	s_and_saveexec_b32 s10, s2
	s_cbranch_execnz .LBB43_36
	s_branch .LBB43_37
.LBB43_66:                              ;   in Loop: Header=BB43_6 Depth=1
	v_mov_b32_e32 v4, 0
	s_mov_b32 s10, 0
	s_cbranch_execz .LBB43_69
.LBB43_67:                              ;   in Loop: Header=BB43_6 Depth=1
	s_lshl_b32 s11, s79, 9
	s_lshl_b32 s14, s10, 4
	s_sub_co_i32 s10, s63, s10
	v_add3_u32 v5, s11, s14, v41
.LBB43_68:                              ;   Parent Loop BB43_6 Depth=1
                                        ; =>  This Inner Loop Header: Depth=2
	ds_load_b32 v8, v5
	v_add_nc_u32_e32 v5, 16, v5
	s_add_co_i32 s10, s10, -1
	s_delay_alu instid0(SALU_CYCLE_1)
	s_cmp_eq_u32 s10, 0
	s_wait_dscnt 0x0
	v_add_nc_u32_e32 v4, v8, v4
	s_cbranch_scc0 .LBB43_68
.LBB43_69:                              ;   in Loop: Header=BB43_6 Depth=1
	s_delay_alu instid0(VALU_DEP_1)
	v_lshlrev_b32_e32 v3, 2, v3
	ds_store_b32 v3, v4 offset:3072
.LBB43_70:                              ;   in Loop: Header=BB43_6 Depth=1
	s_or_b32 exec_lo, exec_lo, s13
	s_lshl_b32 s10, s12, 2
	s_wait_dscnt 0x0
	v_mov_b32_e32 v3, s10
	s_barrier_signal -1
	s_barrier_wait -1
	v_cmp_eq_u32_e64 s10, 1, v42
	ds_load_b128 v[8:11], v3 offset:3072
	s_lshl_b64 s[12:13], 3, s76
	s_mov_b32 s24, -1
	s_not_b64 s[14:15], s[12:13]
	s_mov_b32 s16, 0
	s_and_not1_b32 vcc_lo, exec_lo, s57
	s_mov_b32 s21, 0
	s_mov_b32 s11, 0
                                        ; implicit-def: $sgpr22
                                        ; implicit-def: $sgpr23
                                        ; implicit-def: $vgpr43
                                        ; implicit-def: $vgpr22
                                        ; implicit-def: $vgpr14_vgpr15
                                        ; implicit-def: $vgpr12_vgpr13
	s_wait_dscnt 0x0
	v_readfirstlane_b32 s17, v8
	v_readfirstlane_b32 s18, v9
	;; [unrolled: 1-line block ×4, first 2 shown]
                                        ; implicit-def: $vgpr10_vgpr11
	s_cbranch_vccnz .LBB43_232
; %bb.71:                               ;   in Loop: Header=BB43_6 Depth=1
	v_mov_b64_e32 v[14:15], v[26:27]
	v_mov_b64_e32 v[12:13], v[30:31]
	v_mov_b64_e32 v[10:11], v[6:7]
	s_cmp_eq_u32 s17, 1
	s_mov_b32 s27, -1
	s_cselect_b32 s11, -1, 0
                                        ; implicit-def: $sgpr23
                                        ; implicit-def: $sgpr22
	s_delay_alu instid0(SALU_CYCLE_1) | instskip(NEXT) | instid1(SALU_CYCLE_1)
	s_and_b32 s26, s11, s10
	s_and_saveexec_b32 s11, s26
	s_cbranch_execz .LBB43_101
; %bb.72:                               ;   in Loop: Header=BB43_6 Depth=1
	ds_load_b32 v3, v23 offset:4096
	s_wait_dscnt 0x0
	s_barrier_signal -1
	s_barrier_wait -1
	v_readfirstlane_b32 s24, v3
	s_and_saveexec_b32 s21, s6
; %bb.73:                               ;   in Loop: Header=BB43_6 Depth=1
	ds_store_b64 v32, v[28:29]
; %bb.74:                               ;   in Loop: Header=BB43_6 Depth=1
	s_or_b32 exec_lo, exec_lo, s21
	v_and_b32_e32 v15, s15, v27
	v_and_b32_e32 v14, s14, v26
	v_or_b32_e32 v13, s13, v31
	v_or_b32_e32 v12, s12, v30
	s_mov_b32 s22, -1
	s_mov_b32 s23, 0
	s_cmp_eq_u32 s24, 0
	s_mov_b32 s21, 0
	s_mov_b32 s25, -1
	s_wait_dscnt 0x0
	s_barrier_signal -1
	s_barrier_wait -1
                                        ; implicit-def: $vgpr10_vgpr11
	s_cbranch_scc1 .LBB43_88
; %bb.75:                               ;   in Loop: Header=BB43_6 Depth=1
	s_add_co_i32 s40, s24, s62
	s_mov_b32 s27, exec_lo
	s_mul_u64 s[28:29], s[40:41], s[44:45]
                                        ; implicit-def: $vgpr10_vgpr11
	s_delay_alu instid0(SALU_CYCLE_1) | instskip(NEXT) | instid1(SALU_CYCLE_1)
	s_mul_i32 s21, s29, s33
	s_sub_co_i32 s21, s40, s21
	s_delay_alu instid0(SALU_CYCLE_1) | instskip(SKIP_2) | instid1(SALU_CYCLE_1)
	s_sub_co_i32 s25, s21, s33
	s_cmp_ge_u32 s21, s33
	s_cselect_b32 s21, s25, s21
	s_sub_co_i32 s25, s21, s33
	s_cmp_ge_u32 s21, s33
	s_cselect_b32 s21, s25, s21
	s_mov_b32 s25, 0
	s_sub_co_i32 s28, s40, s21
	s_mov_b32 s21, 0
	v_cmpx_gt_u32_e64 s28, v0
	s_cbranch_execz .LBB43_87
; %bb.76:                               ;   in Loop: Header=BB43_6 Depth=1
	v_dual_mov_b32 v22, v21 :: v_dual_mov_b32 v43, v0
                                        ; implicit-def: $sgpr29
	s_branch .LBB43_79
.LBB43_77:                              ;   in Loop: Header=BB43_79 Depth=2
	s_or_b32 exec_lo, exec_lo, s40
	s_wait_dscnt 0x0
	s_barrier_signal -1
	s_barrier_wait -1
	ds_load_b128 v[8:11], v23 offset:3072
	s_mov_b32 s40, -1
	s_mov_b32 s48, -1
	s_wait_dscnt 0x0
	s_barrier_signal -1
	s_barrier_wait -1
	v_cmp_ne_u64_e32 vcc_lo, 0, v[8:9]
	s_cbranch_vccz .LBB43_82
.LBB43_78:                              ;   in Loop: Header=BB43_79 Depth=2
	s_and_b32 s40, exec_lo, s40
	s_delay_alu instid0(SALU_CYCLE_1) | instskip(SKIP_2) | instid1(SALU_CYCLE_1)
	s_or_b32 s21, s40, s21
	s_and_not1_b32 s29, s29, exec_lo
	s_and_b32 s40, s48, exec_lo
	s_or_b32 s29, s29, s40
	s_and_not1_b32 exec_lo, exec_lo, s21
	s_cbranch_execz .LBB43_86
.LBB43_79:                              ;   Parent Loop BB43_6 Depth=1
                                        ; =>  This Inner Loop Header: Depth=2
	s_mov_b32 s40, exec_lo
	s_delay_alu instid0(VALU_DEP_1)
	v_cmpx_gt_u32_e64 s24, v43
	s_cbranch_execz .LBB43_77
; %bb.80:                               ;   in Loop: Header=BB43_79 Depth=2
	ds_load_b64 v[4:5], v22
	s_wait_dscnt 0x0
	v_xor_b32_e32 v3, 0x80000000, v5
	v_and_b32_e32 v8, v4, v12
	s_delay_alu instid0(VALU_DEP_2) | instskip(NEXT) | instid1(VALU_DEP_1)
	v_and_b32_e32 v9, v3, v13
	v_cmp_eq_u64_e32 vcc_lo, v[8:9], v[14:15]
	s_and_b32 exec_lo, exec_lo, vcc_lo
	s_cbranch_execz .LBB43_77
; %bb.81:                               ;   in Loop: Header=BB43_79 Depth=2
	v_mov_b32_e32 v3, v23
	ds_store_b128 v23, v[2:5] offset:3072
	s_branch .LBB43_77
.LBB43_82:                              ;   in Loop: Header=BB43_79 Depth=2
	v_dual_add_nc_u32 v43, s33, v43 :: v_dual_add_nc_u32 v22, s75, v22
	s_mov_b32 s48, 0
	s_delay_alu instid0(VALU_DEP_1)
	v_cmp_le_u32_e32 vcc_lo, s28, v43
	s_or_not1_b32 s40, vcc_lo, exec_lo
	s_branch .LBB43_78
.LBB43_83:                              ;   in Loop: Header=BB43_6 Depth=1
	s_or_b32 exec_lo, exec_lo, s13
	s_wait_dscnt 0x0
	s_barrier_signal -1
	s_barrier_wait -1
	s_and_saveexec_b32 s10, s5
	s_cbranch_execz .LBB43_85
; %bb.84:                               ;   in Loop: Header=BB43_6 Depth=1
	ds_load_b32 v3, v23 offset:4104
	s_wait_dscnt 0x0
	ds_store_b32 v23, v3 offset:4096
.LBB43_85:                              ;   in Loop: Header=BB43_6 Depth=1
	s_or_b32 exec_lo, exec_lo, s10
	s_wait_dscnt 0x0
	s_barrier_signal -1
	s_mov_b32 s10, -1
	s_barrier_wait -1
	s_and_b32 vcc_lo, exec_lo, s12
	s_cbranch_vccnz .LBB43_22
	s_branch .LBB43_31
.LBB43_86:                              ;   in Loop: Header=BB43_6 Depth=1
	s_or_b32 exec_lo, exec_lo, s21
	s_delay_alu instid0(SALU_CYCLE_1)
	s_and_b32 s21, s29, exec_lo
.LBB43_87:                              ;   in Loop: Header=BB43_6 Depth=1
	s_or_b32 exec_lo, exec_lo, s27
.LBB43_88:                              ;   in Loop: Header=BB43_6 Depth=1
	s_delay_alu instid0(SALU_CYCLE_1)
	s_and_b32 vcc_lo, exec_lo, s25
	s_cbranch_vccz .LBB43_100
; %bb.89:                               ;   in Loop: Header=BB43_6 Depth=1
                                        ; implicit-def: $vgpr10_vgpr11
	s_and_saveexec_b32 s22, s9
	s_cbranch_execz .LBB43_99
; %bb.90:                               ;   in Loop: Header=BB43_6 Depth=1
	v_dual_mov_b32 v22, v20 :: v_dual_mov_b32 v43, v0
	s_mov_b32 s24, 0
                                        ; implicit-def: $sgpr23
	s_branch .LBB43_93
.LBB43_91:                              ;   in Loop: Header=BB43_93 Depth=2
	s_or_b32 exec_lo, exec_lo, s25
	s_wait_dscnt 0x0
	s_barrier_signal -1
	s_barrier_wait -1
	ds_load_b128 v[8:11], v23 offset:3072
	s_mov_b32 s25, -1
	s_mov_b32 s27, -1
	s_wait_dscnt 0x0
	s_barrier_signal -1
	s_barrier_wait -1
	v_cmp_ne_u64_e32 vcc_lo, 0, v[8:9]
	s_cbranch_vccz .LBB43_96
.LBB43_92:                              ;   in Loop: Header=BB43_93 Depth=2
	s_and_b32 s25, exec_lo, s25
	s_delay_alu instid0(SALU_CYCLE_1) | instskip(SKIP_2) | instid1(SALU_CYCLE_1)
	s_or_b32 s24, s25, s24
	s_and_not1_b32 s23, s23, exec_lo
	s_and_b32 s25, s27, exec_lo
	s_or_b32 s23, s23, s25
	s_and_not1_b32 exec_lo, exec_lo, s24
	s_cbranch_execz .LBB43_98
.LBB43_93:                              ;   Parent Loop BB43_6 Depth=1
                                        ; =>  This Inner Loop Header: Depth=2
	s_mov_b32 s25, exec_lo
	s_delay_alu instid0(VALU_DEP_1)
	v_cmpx_gt_u32_e64 s36, v43
	s_cbranch_execz .LBB43_91
; %bb.94:                               ;   in Loop: Header=BB43_93 Depth=2
	global_load_b64 v[4:5], v22, s[30:31] scale_offset
	s_wait_loadcnt 0x0
	v_xor_b32_e32 v3, 0x80000000, v5
	v_and_b32_e32 v8, v4, v12
	s_delay_alu instid0(VALU_DEP_2) | instskip(NEXT) | instid1(VALU_DEP_1)
	v_and_b32_e32 v9, v3, v13
	v_cmp_eq_u64_e32 vcc_lo, v[8:9], v[14:15]
	s_and_b32 exec_lo, exec_lo, vcc_lo
	s_cbranch_execz .LBB43_91
; %bb.95:                               ;   in Loop: Header=BB43_93 Depth=2
	v_mov_b32_e32 v3, v23
	ds_store_b128 v23, v[2:5] offset:3072
	s_branch .LBB43_91
.LBB43_96:                              ;   in Loop: Header=BB43_93 Depth=2
	v_dual_add_nc_u32 v43, s33, v43 :: v_dual_add_nc_u32 v22, s53, v22
	s_mov_b32 s27, 0
	s_delay_alu instid0(VALU_DEP_1)
	v_cmp_le_u32_e32 vcc_lo, s72, v43
	s_or_not1_b32 s25, vcc_lo, exec_lo
	s_branch .LBB43_92
.LBB43_97:                              ;   in Loop: Header=BB43_6 Depth=1
	s_mov_b64 s[10:11], 0x100000000
	v_mov_b64_e32 v[4:5], 0
	s_and_not1_b32 vcc_lo, exec_lo, s69
	s_mov_b32 s14, s66
	s_cbranch_vccz .LBB43_44
	s_branch .LBB43_45
.LBB43_98:                              ;   in Loop: Header=BB43_6 Depth=1
	s_or_b32 exec_lo, exec_lo, s24
	s_delay_alu instid0(SALU_CYCLE_1) | instskip(SKIP_1) | instid1(SALU_CYCLE_1)
	s_and_not1_b32 s21, s21, exec_lo
	s_and_b32 s23, s23, exec_lo
	s_or_b32 s21, s21, s23
.LBB43_99:                              ;   in Loop: Header=BB43_6 Depth=1
	s_or_b32 exec_lo, exec_lo, s22
	s_mov_b32 s22, 0
	s_mov_b32 s23, -1
.LBB43_100:                             ;   in Loop: Header=BB43_6 Depth=1
	s_or_not1_b32 s27, s21, exec_lo
.LBB43_101:                             ;   in Loop: Header=BB43_6 Depth=1
	s_or_b32 exec_lo, exec_lo, s11
	s_mov_b32 s24, 0
	s_mov_b32 s21, 0
	;; [unrolled: 1-line block ×3, first 2 shown]
                                        ; implicit-def: $vgpr43
                                        ; implicit-def: $vgpr22
	s_and_saveexec_b32 s25, s27
	s_cbranch_execz .LBB43_231
; %bb.102:                              ;   in Loop: Header=BB43_6 Depth=1
	v_dual_mov_b32 v43, 1 :: v_dual_mov_b32 v22, 1
	s_xor_b32 s21, s26, -1
	s_mov_b32 s28, 0
	s_and_saveexec_b32 s11, s21
	s_cbranch_execz .LBB43_111
; %bb.103:                              ;   in Loop: Header=BB43_6 Depth=1
	s_mov_b32 s21, exec_lo
	v_cmpx_ge_u32_e64 s17, v42
	s_xor_b32 s21, exec_lo, s21
	s_cbranch_execz .LBB43_108
; %bb.104:                              ;   in Loop: Header=BB43_6 Depth=1
	ds_load_b32 v3, v23 offset:4096
	v_and_b32_e32 v15, s15, v15
	v_and_b32_e32 v14, s14, v14
	v_or_b32_e32 v13, s13, v13
	v_or_b32_e32 v12, s12, v12
	s_wait_dscnt 0x0
	v_cmp_ne_u32_e32 vcc_lo, 0, v3
	s_cbranch_vccnz .LBB43_108
; %bb.105:                              ;   in Loop: Header=BB43_6 Depth=1
	s_and_saveexec_b32 s26, s5
; %bb.106:                              ;   in Loop: Header=BB43_6 Depth=1
	v_mov_b32_e32 v3, s17
	ds_store_b32 v23, v3 offset:4100
; %bb.107:                              ;   in Loop: Header=BB43_6 Depth=1
	s_or_b32 exec_lo, exec_lo, s26
	s_wait_dscnt 0x0
	s_barrier_signal -1
	s_barrier_wait -1
.LBB43_108:                             ;   in Loop: Header=BB43_6 Depth=1
	s_or_saveexec_b32 s21, s21
	v_dual_mov_b32 v22, 8 :: v_dual_mov_b32 v43, v42
	s_mov_b32 s26, 0
	s_xor_b32 exec_lo, exec_lo, s21
; %bb.109:                              ;   in Loop: Header=BB43_6 Depth=1
	v_subrev_nc_u32_e32 v43, s17, v42
	v_mov_b32_e32 v22, 0
	s_mov_b32 s26, exec_lo
; %bb.110:                              ;   in Loop: Header=BB43_6 Depth=1
	s_or_b32 exec_lo, exec_lo, s21
	s_delay_alu instid0(SALU_CYCLE_1)
	s_and_b32 s28, s26, exec_lo
.LBB43_111:                             ;   in Loop: Header=BB43_6 Depth=1
	s_or_b32 exec_lo, exec_lo, s11
	s_mov_b32 s27, -1
                                        ; implicit-def: $sgpr21
                                        ; implicit-def: $sgpr26
	s_and_saveexec_b32 s11, s28
	s_delay_alu instid0(SALU_CYCLE_1)
	s_xor_b32 s11, exec_lo, s11
	s_cbranch_execz .LBB43_228
; %bb.112:                              ;   in Loop: Header=BB43_6 Depth=1
	v_cmp_eq_u32_e32 vcc_lo, 1, v43
	s_cmp_eq_u32 s18, 1
	s_mov_b32 s29, -1
	s_cselect_b32 s21, -1, 0
                                        ; implicit-def: $sgpr26
	s_delay_alu instid0(SALU_CYCLE_1) | instskip(NEXT) | instid1(SALU_CYCLE_1)
	s_and_b32 s28, s21, vcc_lo
                                        ; implicit-def: $sgpr21
	s_and_saveexec_b32 s27, s28
	s_cbranch_execz .LBB43_138
; %bb.113:                              ;   in Loop: Header=BB43_6 Depth=1
	ds_load_b32 v3, v23 offset:4096
	s_wait_dscnt 0x0
	s_barrier_signal -1
	s_barrier_wait -1
	v_readfirstlane_b32 s48, v3
	s_and_saveexec_b32 s21, s6
; %bb.114:                              ;   in Loop: Header=BB43_6 Depth=1
	ds_store_b64 v32, v[28:29]
; %bb.115:                              ;   in Loop: Header=BB43_6 Depth=1
	s_or_b32 exec_lo, exec_lo, s21
	v_and_b32_e32 v3, s15, v15
	v_and_b32_e32 v4, s14, v14
	s_lshl_b64 s[50:51], 1, s76
	v_or_b32_e32 v13, s13, v13
	v_or_b32_e32 v12, s12, v12
	;; [unrolled: 1-line block ×4, first 2 shown]
	s_mov_b32 s21, -1
	s_mov_b32 s26, 0
	s_cmp_eq_u32 s48, 0
	s_mov_b32 s29, 0
	s_mov_b32 s40, -1
	s_wait_dscnt 0x0
	s_barrier_signal -1
	s_barrier_wait -1
                                        ; implicit-def: $vgpr10_vgpr11
	s_cbranch_scc1 .LBB43_126
; %bb.116:                              ;   in Loop: Header=BB43_6 Depth=1
	s_add_co_i32 s40, s48, s62
                                        ; implicit-def: $vgpr10_vgpr11
	s_delay_alu instid0(SALU_CYCLE_1) | instskip(NEXT) | instid1(SALU_CYCLE_1)
	s_mul_u64 s[50:51], s[40:41], s[44:45]
	s_mul_i32 s29, s51, s33
	s_delay_alu instid0(SALU_CYCLE_1) | instskip(NEXT) | instid1(SALU_CYCLE_1)
	s_sub_co_i32 s29, s40, s29
	s_sub_co_i32 s49, s29, s33
	s_cmp_ge_u32 s29, s33
	s_cselect_b32 s29, s49, s29
	s_delay_alu instid0(SALU_CYCLE_1)
	s_sub_co_i32 s49, s29, s33
	s_cmp_ge_u32 s29, s33
	s_cselect_b32 s29, s49, s29
	s_mov_b32 s49, exec_lo
	s_sub_co_i32 s50, s40, s29
	s_mov_b32 s40, 0
	s_mov_b32 s29, 0
	v_cmpx_gt_u32_e64 s50, v0
	s_cbranch_execz .LBB43_125
; %bb.117:                              ;   in Loop: Header=BB43_6 Depth=1
	v_dual_mov_b32 v44, v21 :: v_dual_mov_b32 v45, v0
                                        ; implicit-def: $sgpr51
	s_branch .LBB43_120
.LBB43_118:                             ;   in Loop: Header=BB43_120 Depth=2
	s_or_b32 exec_lo, exec_lo, s89
	s_wait_dscnt 0x0
	s_barrier_signal -1
	s_barrier_wait -1
	ds_load_b128 v[8:11], v23 offset:3072
	s_mov_b32 s89, -1
	s_mov_b32 s90, -1
	s_wait_dscnt 0x0
	s_barrier_signal -1
	s_barrier_wait -1
	v_cmp_ne_u64_e32 vcc_lo, 0, v[8:9]
	s_cbranch_vccz .LBB43_123
.LBB43_119:                             ;   in Loop: Header=BB43_120 Depth=2
	s_and_b32 s89, exec_lo, s89
	s_delay_alu instid0(SALU_CYCLE_1) | instskip(SKIP_2) | instid1(SALU_CYCLE_1)
	s_or_b32 s29, s89, s29
	s_and_not1_b32 s51, s51, exec_lo
	s_and_b32 s89, s90, exec_lo
	s_or_b32 s51, s51, s89
	s_and_not1_b32 exec_lo, exec_lo, s29
	s_cbranch_execz .LBB43_124
.LBB43_120:                             ;   Parent Loop BB43_6 Depth=1
                                        ; =>  This Inner Loop Header: Depth=2
	s_mov_b32 s89, exec_lo
	s_delay_alu instid0(VALU_DEP_1)
	v_cmpx_gt_u32_e64 s48, v45
	s_cbranch_execz .LBB43_118
; %bb.121:                              ;   in Loop: Header=BB43_120 Depth=2
	ds_load_b64 v[4:5], v44
	s_wait_dscnt 0x0
	v_xor_b32_e32 v3, 0x80000000, v5
	v_and_b32_e32 v8, v4, v12
	s_delay_alu instid0(VALU_DEP_2) | instskip(NEXT) | instid1(VALU_DEP_1)
	v_and_b32_e32 v9, v3, v13
	v_cmp_eq_u64_e32 vcc_lo, v[8:9], v[14:15]
	s_and_b32 exec_lo, exec_lo, vcc_lo
	s_cbranch_execz .LBB43_118
; %bb.122:                              ;   in Loop: Header=BB43_120 Depth=2
	v_mov_b32_e32 v3, v23
	ds_store_b128 v23, v[2:5] offset:3072
	s_branch .LBB43_118
.LBB43_123:                             ;   in Loop: Header=BB43_120 Depth=2
	v_dual_add_nc_u32 v45, s33, v45 :: v_dual_add_nc_u32 v44, s75, v44
	s_mov_b32 s90, 0
	s_delay_alu instid0(VALU_DEP_1)
	v_cmp_le_u32_e32 vcc_lo, s50, v45
	s_or_not1_b32 s89, vcc_lo, exec_lo
	s_branch .LBB43_119
.LBB43_124:                             ;   in Loop: Header=BB43_6 Depth=1
	s_or_b32 exec_lo, exec_lo, s29
	s_delay_alu instid0(SALU_CYCLE_1)
	s_and_b32 s29, s51, exec_lo
.LBB43_125:                             ;   in Loop: Header=BB43_6 Depth=1
	s_or_b32 exec_lo, exec_lo, s49
.LBB43_126:                             ;   in Loop: Header=BB43_6 Depth=1
	s_delay_alu instid0(SALU_CYCLE_1)
	s_and_b32 vcc_lo, exec_lo, s40
	s_cbranch_vccz .LBB43_137
; %bb.127:                              ;   in Loop: Header=BB43_6 Depth=1
                                        ; implicit-def: $vgpr10_vgpr11
	s_and_saveexec_b32 s21, s9
	s_cbranch_execz .LBB43_136
; %bb.128:                              ;   in Loop: Header=BB43_6 Depth=1
	v_dual_mov_b32 v44, v20 :: v_dual_mov_b32 v45, v0
	s_mov_b32 s26, 0
                                        ; implicit-def: $sgpr40
	s_branch .LBB43_131
.LBB43_129:                             ;   in Loop: Header=BB43_131 Depth=2
	s_or_b32 exec_lo, exec_lo, s48
	s_wait_dscnt 0x0
	s_barrier_signal -1
	s_barrier_wait -1
	ds_load_b128 v[8:11], v23 offset:3072
	s_mov_b32 s48, -1
	s_mov_b32 s49, -1
	s_wait_dscnt 0x0
	s_barrier_signal -1
	s_barrier_wait -1
	v_cmp_eq_u64_e32 vcc_lo, 0, v[8:9]
	s_cbranch_vccnz .LBB43_134
.LBB43_130:                             ;   in Loop: Header=BB43_131 Depth=2
	s_and_b32 s48, exec_lo, s48
	s_delay_alu instid0(SALU_CYCLE_1) | instskip(SKIP_2) | instid1(SALU_CYCLE_1)
	s_or_b32 s26, s48, s26
	s_and_not1_b32 s40, s40, exec_lo
	s_and_b32 s48, s49, exec_lo
	s_or_b32 s40, s40, s48
	s_and_not1_b32 exec_lo, exec_lo, s26
	s_cbranch_execz .LBB43_135
.LBB43_131:                             ;   Parent Loop BB43_6 Depth=1
                                        ; =>  This Inner Loop Header: Depth=2
	s_mov_b32 s48, exec_lo
	s_delay_alu instid0(VALU_DEP_1)
	v_cmpx_gt_u32_e64 s36, v45
	s_cbranch_execz .LBB43_129
; %bb.132:                              ;   in Loop: Header=BB43_131 Depth=2
	global_load_b64 v[4:5], v44, s[30:31] scale_offset
	s_wait_loadcnt 0x0
	v_xor_b32_e32 v3, 0x80000000, v5
	v_and_b32_e32 v8, v4, v12
	s_delay_alu instid0(VALU_DEP_2) | instskip(NEXT) | instid1(VALU_DEP_1)
	v_and_b32_e32 v9, v3, v13
	v_cmp_eq_u64_e32 vcc_lo, v[8:9], v[14:15]
	s_and_b32 exec_lo, exec_lo, vcc_lo
	s_cbranch_execz .LBB43_129
; %bb.133:                              ;   in Loop: Header=BB43_131 Depth=2
	v_mov_b32_e32 v3, v23
	ds_store_b128 v23, v[2:5] offset:3072
	s_branch .LBB43_129
.LBB43_134:                             ;   in Loop: Header=BB43_131 Depth=2
	v_dual_add_nc_u32 v45, s33, v45 :: v_dual_add_nc_u32 v44, s53, v44
	s_mov_b32 s49, 0
	s_delay_alu instid0(VALU_DEP_1)
	v_cmp_le_u32_e32 vcc_lo, s72, v45
	s_or_not1_b32 s48, vcc_lo, exec_lo
	s_branch .LBB43_130
.LBB43_135:                             ;   in Loop: Header=BB43_6 Depth=1
	s_or_b32 exec_lo, exec_lo, s26
	s_delay_alu instid0(SALU_CYCLE_1) | instskip(SKIP_1) | instid1(SALU_CYCLE_1)
	s_and_not1_b32 s26, s29, exec_lo
	s_and_b32 s29, s40, exec_lo
	s_or_b32 s29, s26, s29
.LBB43_136:                             ;   in Loop: Header=BB43_6 Depth=1
	s_or_b32 exec_lo, exec_lo, s21
	s_mov_b32 s21, 0
	s_mov_b32 s26, -1
.LBB43_137:                             ;   in Loop: Header=BB43_6 Depth=1
	s_or_not1_b32 s29, s29, exec_lo
.LBB43_138:                             ;   in Loop: Header=BB43_6 Depth=1
	s_or_b32 exec_lo, exec_lo, s27
	s_mov_b32 s40, 0
	s_and_saveexec_b32 s27, s29
	s_cbranch_execz .LBB43_227
; %bb.139:                              ;   in Loop: Header=BB43_6 Depth=1
	v_dual_mov_b32 v44, 1 :: v_dual_mov_b32 v22, 1
	s_xor_b32 s29, s28, -1
	s_mov_b32 s49, 0
	s_and_saveexec_b32 s28, s29
	s_cbranch_execz .LBB43_148
; %bb.140:                              ;   in Loop: Header=BB43_6 Depth=1
	s_mov_b32 s29, exec_lo
	v_cmpx_ge_u32_e64 s18, v43
	s_xor_b32 s29, exec_lo, s29
	s_cbranch_execz .LBB43_145
; %bb.141:                              ;   in Loop: Header=BB43_6 Depth=1
	ds_load_b32 v3, v23 offset:4096
	v_and_b32_e32 v4, s15, v15
	v_and_b32_e32 v5, s14, v14
	s_lshl_b64 s[48:49], 1, s76
	v_or_b32_e32 v13, s13, v13
	v_or_b32_e32 v12, s12, v12
	;; [unrolled: 1-line block ×4, first 2 shown]
	s_wait_dscnt 0x0
	v_cmp_ne_u32_e32 vcc_lo, 0, v3
	s_cbranch_vccnz .LBB43_145
; %bb.142:                              ;   in Loop: Header=BB43_6 Depth=1
	s_and_saveexec_b32 s40, s5
; %bb.143:                              ;   in Loop: Header=BB43_6 Depth=1
	v_mov_b32_e32 v3, s18
	ds_store_b32 v23, v3 offset:4100
; %bb.144:                              ;   in Loop: Header=BB43_6 Depth=1
	s_or_b32 exec_lo, exec_lo, s40
	s_wait_dscnt 0x0
	s_barrier_signal -1
	s_barrier_wait -1
.LBB43_145:                             ;   in Loop: Header=BB43_6 Depth=1
	s_or_saveexec_b32 s29, s29
	v_mov_b32_e32 v22, 8
	s_mov_b32 s40, 0
	s_xor_b32 exec_lo, exec_lo, s29
; %bb.146:                              ;   in Loop: Header=BB43_6 Depth=1
	v_subrev_nc_u32_e32 v43, s18, v43
	v_mov_b32_e32 v22, 0
	s_mov_b32 s40, exec_lo
; %bb.147:                              ;   in Loop: Header=BB43_6 Depth=1
	s_or_b32 exec_lo, exec_lo, s29
	s_delay_alu instid0(VALU_DEP_2)
	v_mov_b32_e32 v44, v43
	s_and_b32 s49, s40, exec_lo
.LBB43_148:                             ;   in Loop: Header=BB43_6 Depth=1
	s_or_b32 exec_lo, exec_lo, s28
	s_mov_b32 s40, -1
                                        ; implicit-def: $sgpr29
                                        ; implicit-def: $sgpr48
	s_and_saveexec_b32 s28, s49
	s_cbranch_execz .LBB43_226
; %bb.149:                              ;   in Loop: Header=BB43_6 Depth=1
	v_cmp_eq_u32_e32 vcc_lo, 1, v44
	s_cmp_eq_u32 s19, 1
                                        ; implicit-def: $sgpr48
	s_cselect_b32 s29, -1, 0
	s_delay_alu instid0(SALU_CYCLE_1) | instskip(NEXT) | instid1(SALU_CYCLE_1)
	s_and_b32 s50, s29, vcc_lo
                                        ; implicit-def: $sgpr29
	s_and_saveexec_b32 s49, s50
	s_cbranch_execz .LBB43_175
; %bb.150:                              ;   in Loop: Header=BB43_6 Depth=1
	ds_load_b32 v3, v23 offset:4096
	s_wait_dscnt 0x0
	s_barrier_signal -1
	s_barrier_wait -1
	v_readfirstlane_b32 s51, v3
	s_and_saveexec_b32 s29, s6
; %bb.151:                              ;   in Loop: Header=BB43_6 Depth=1
	ds_store_b64 v32, v[28:29]
; %bb.152:                              ;   in Loop: Header=BB43_6 Depth=1
	s_or_b32 exec_lo, exec_lo, s29
	v_and_b32_e32 v3, s15, v15
	v_and_b32_e32 v4, s14, v14
	s_lshl_b64 s[90:91], 2, s76
	v_or_b32_e32 v13, s13, v13
	v_or_b32_e32 v12, s12, v12
	;; [unrolled: 1-line block ×4, first 2 shown]
	s_mov_b32 s29, -1
	s_mov_b32 s48, 0
	s_cmp_eq_u32 s51, 0
	s_mov_b32 s40, 0
	s_mov_b32 s89, -1
	s_wait_dscnt 0x0
	s_barrier_signal -1
	s_barrier_wait -1
                                        ; implicit-def: $vgpr10_vgpr11
	s_cbranch_scc1 .LBB43_163
; %bb.153:                              ;   in Loop: Header=BB43_6 Depth=1
	s_add_co_i32 s40, s51, s62
                                        ; implicit-def: $vgpr10_vgpr11
	s_delay_alu instid0(SALU_CYCLE_1) | instskip(NEXT) | instid1(SALU_CYCLE_1)
	s_mul_u64 s[90:91], s[40:41], s[44:45]
	s_mul_i32 s89, s91, s33
	s_delay_alu instid0(SALU_CYCLE_1) | instskip(NEXT) | instid1(SALU_CYCLE_1)
	s_sub_co_i32 s89, s40, s89
	s_sub_co_i32 s90, s89, s33
	s_cmp_ge_u32 s89, s33
	s_cselect_b32 s89, s90, s89
	s_delay_alu instid0(SALU_CYCLE_1)
	s_sub_co_i32 s90, s89, s33
	s_cmp_ge_u32 s89, s33
	s_cselect_b32 s89, s90, s89
	s_mov_b32 s90, exec_lo
	s_sub_co_i32 s91, s40, s89
	s_mov_b32 s89, 0
	s_mov_b32 s40, 0
	v_cmpx_gt_u32_e64 s91, v0
	s_cbranch_execz .LBB43_162
; %bb.154:                              ;   in Loop: Header=BB43_6 Depth=1
	v_dual_mov_b32 v43, v21 :: v_dual_mov_b32 v45, v0
                                        ; implicit-def: $sgpr92
	s_branch .LBB43_157
.LBB43_155:                             ;   in Loop: Header=BB43_157 Depth=2
	s_or_b32 exec_lo, exec_lo, s93
	s_wait_dscnt 0x0
	s_barrier_signal -1
	s_barrier_wait -1
	ds_load_b128 v[8:11], v23 offset:3072
	s_mov_b32 s93, -1
	s_mov_b32 s94, -1
	s_wait_dscnt 0x0
	s_barrier_signal -1
	s_barrier_wait -1
	v_cmp_ne_u64_e32 vcc_lo, 0, v[8:9]
	s_cbranch_vccz .LBB43_160
.LBB43_156:                             ;   in Loop: Header=BB43_157 Depth=2
	s_and_b32 s93, exec_lo, s93
	s_delay_alu instid0(SALU_CYCLE_1) | instskip(SKIP_2) | instid1(SALU_CYCLE_1)
	s_or_b32 s40, s93, s40
	s_and_not1_b32 s92, s92, exec_lo
	s_and_b32 s93, s94, exec_lo
	s_or_b32 s92, s92, s93
	s_and_not1_b32 exec_lo, exec_lo, s40
	s_cbranch_execz .LBB43_161
.LBB43_157:                             ;   Parent Loop BB43_6 Depth=1
                                        ; =>  This Inner Loop Header: Depth=2
	s_mov_b32 s93, exec_lo
	s_delay_alu instid0(VALU_DEP_1)
	v_cmpx_gt_u32_e64 s51, v45
	s_cbranch_execz .LBB43_155
; %bb.158:                              ;   in Loop: Header=BB43_157 Depth=2
	ds_load_b64 v[4:5], v43
	s_wait_dscnt 0x0
	v_xor_b32_e32 v3, 0x80000000, v5
	v_and_b32_e32 v8, v4, v12
	s_delay_alu instid0(VALU_DEP_2) | instskip(NEXT) | instid1(VALU_DEP_1)
	v_and_b32_e32 v9, v3, v13
	v_cmp_eq_u64_e32 vcc_lo, v[8:9], v[14:15]
	s_and_b32 exec_lo, exec_lo, vcc_lo
	s_cbranch_execz .LBB43_155
; %bb.159:                              ;   in Loop: Header=BB43_157 Depth=2
	v_mov_b32_e32 v3, v23
	ds_store_b128 v23, v[2:5] offset:3072
	s_branch .LBB43_155
.LBB43_160:                             ;   in Loop: Header=BB43_157 Depth=2
	v_dual_add_nc_u32 v45, s33, v45 :: v_dual_add_nc_u32 v43, s75, v43
	s_mov_b32 s94, 0
	s_delay_alu instid0(VALU_DEP_1)
	v_cmp_le_u32_e32 vcc_lo, s91, v45
	s_or_not1_b32 s93, vcc_lo, exec_lo
	s_branch .LBB43_156
.LBB43_161:                             ;   in Loop: Header=BB43_6 Depth=1
	s_or_b32 exec_lo, exec_lo, s40
	s_delay_alu instid0(SALU_CYCLE_1)
	s_and_b32 s40, s92, exec_lo
.LBB43_162:                             ;   in Loop: Header=BB43_6 Depth=1
	s_or_b32 exec_lo, exec_lo, s90
.LBB43_163:                             ;   in Loop: Header=BB43_6 Depth=1
	s_delay_alu instid0(SALU_CYCLE_1)
	s_and_b32 vcc_lo, exec_lo, s89
	s_cbranch_vccz .LBB43_174
; %bb.164:                              ;   in Loop: Header=BB43_6 Depth=1
                                        ; implicit-def: $vgpr10_vgpr11
	s_and_saveexec_b32 s29, s9
	s_cbranch_execz .LBB43_173
; %bb.165:                              ;   in Loop: Header=BB43_6 Depth=1
	v_dual_mov_b32 v43, v20 :: v_dual_mov_b32 v45, v0
	s_mov_b32 s48, 0
                                        ; implicit-def: $sgpr51
	s_branch .LBB43_168
.LBB43_166:                             ;   in Loop: Header=BB43_168 Depth=2
	s_or_b32 exec_lo, exec_lo, s89
	s_wait_dscnt 0x0
	s_barrier_signal -1
	s_barrier_wait -1
	ds_load_b128 v[8:11], v23 offset:3072
	s_mov_b32 s89, -1
	s_mov_b32 s90, -1
	s_wait_dscnt 0x0
	s_barrier_signal -1
	s_barrier_wait -1
	v_cmp_eq_u64_e32 vcc_lo, 0, v[8:9]
	s_cbranch_vccnz .LBB43_171
.LBB43_167:                             ;   in Loop: Header=BB43_168 Depth=2
	s_and_b32 s89, exec_lo, s89
	s_delay_alu instid0(SALU_CYCLE_1) | instskip(SKIP_2) | instid1(SALU_CYCLE_1)
	s_or_b32 s48, s89, s48
	s_and_not1_b32 s51, s51, exec_lo
	s_and_b32 s89, s90, exec_lo
	s_or_b32 s51, s51, s89
	s_and_not1_b32 exec_lo, exec_lo, s48
	s_cbranch_execz .LBB43_172
.LBB43_168:                             ;   Parent Loop BB43_6 Depth=1
                                        ; =>  This Inner Loop Header: Depth=2
	s_mov_b32 s89, exec_lo
	s_delay_alu instid0(VALU_DEP_1)
	v_cmpx_gt_u32_e64 s36, v45
	s_cbranch_execz .LBB43_166
; %bb.169:                              ;   in Loop: Header=BB43_168 Depth=2
	global_load_b64 v[4:5], v43, s[30:31] scale_offset
	s_wait_loadcnt 0x0
	v_xor_b32_e32 v3, 0x80000000, v5
	v_and_b32_e32 v8, v4, v12
	s_delay_alu instid0(VALU_DEP_2) | instskip(NEXT) | instid1(VALU_DEP_1)
	v_and_b32_e32 v9, v3, v13
	v_cmp_eq_u64_e32 vcc_lo, v[8:9], v[14:15]
	s_and_b32 exec_lo, exec_lo, vcc_lo
	s_cbranch_execz .LBB43_166
; %bb.170:                              ;   in Loop: Header=BB43_168 Depth=2
	v_mov_b32_e32 v3, v23
	ds_store_b128 v23, v[2:5] offset:3072
	s_branch .LBB43_166
.LBB43_171:                             ;   in Loop: Header=BB43_168 Depth=2
	v_dual_add_nc_u32 v45, s33, v45 :: v_dual_add_nc_u32 v43, s53, v43
	s_mov_b32 s90, 0
	s_delay_alu instid0(VALU_DEP_1)
	v_cmp_le_u32_e32 vcc_lo, s72, v45
	s_or_not1_b32 s89, vcc_lo, exec_lo
	s_branch .LBB43_167
.LBB43_172:                             ;   in Loop: Header=BB43_6 Depth=1
	s_or_b32 exec_lo, exec_lo, s48
	s_delay_alu instid0(SALU_CYCLE_1) | instskip(SKIP_1) | instid1(SALU_CYCLE_1)
	s_and_not1_b32 s40, s40, exec_lo
	s_and_b32 s48, s51, exec_lo
	s_or_b32 s40, s40, s48
.LBB43_173:                             ;   in Loop: Header=BB43_6 Depth=1
	s_or_b32 exec_lo, exec_lo, s29
	s_mov_b32 s29, 0
	s_mov_b32 s48, -1
.LBB43_174:                             ;   in Loop: Header=BB43_6 Depth=1
	s_or_not1_b32 s40, s40, exec_lo
.LBB43_175:                             ;   in Loop: Header=BB43_6 Depth=1
	s_or_b32 exec_lo, exec_lo, s49
	s_mov_b32 s51, 0
	s_and_saveexec_b32 s49, s40
	s_cbranch_execz .LBB43_225
; %bb.176:                              ;   in Loop: Header=BB43_6 Depth=1
	v_dual_mov_b32 v43, 1 :: v_dual_mov_b32 v22, 1
	s_xor_b32 s50, s50, -1
	s_delay_alu instid0(SALU_CYCLE_1)
	s_and_saveexec_b32 s40, s50
	s_cbranch_execz .LBB43_185
; %bb.177:                              ;   in Loop: Header=BB43_6 Depth=1
	s_mov_b32 s50, exec_lo
	v_cmpx_ge_u32_e64 s19, v44
	s_xor_b32 s50, exec_lo, s50
	s_cbranch_execz .LBB43_182
; %bb.178:                              ;   in Loop: Header=BB43_6 Depth=1
	ds_load_b32 v3, v23 offset:4096
	v_and_b32_e32 v4, s15, v15
	v_and_b32_e32 v5, s14, v14
	s_lshl_b64 s[90:91], 2, s76
	v_or_b32_e32 v13, s13, v13
	v_or_b32_e32 v12, s12, v12
	;; [unrolled: 1-line block ×4, first 2 shown]
	s_wait_dscnt 0x0
	v_cmp_ne_u32_e32 vcc_lo, 0, v3
	s_cbranch_vccnz .LBB43_182
; %bb.179:                              ;   in Loop: Header=BB43_6 Depth=1
	s_and_saveexec_b32 s51, s5
; %bb.180:                              ;   in Loop: Header=BB43_6 Depth=1
	v_mov_b32_e32 v3, s19
	ds_store_b32 v23, v3 offset:4100
; %bb.181:                              ;   in Loop: Header=BB43_6 Depth=1
	s_or_b32 exec_lo, exec_lo, s51
	s_wait_dscnt 0x0
	s_barrier_signal -1
	s_barrier_wait -1
.LBB43_182:                             ;   in Loop: Header=BB43_6 Depth=1
	s_or_saveexec_b32 s50, s50
	v_mov_b32_e32 v22, 8
	s_mov_b32 s51, 0
	s_xor_b32 exec_lo, exec_lo, s50
; %bb.183:                              ;   in Loop: Header=BB43_6 Depth=1
	v_subrev_nc_u32_e32 v44, s19, v44
	v_mov_b32_e32 v22, 0
	s_mov_b32 s51, exec_lo
; %bb.184:                              ;   in Loop: Header=BB43_6 Depth=1
	s_or_b32 exec_lo, exec_lo, s50
	s_delay_alu instid0(VALU_DEP_2)
	v_mov_b32_e32 v43, v44
	s_and_b32 s51, s51, exec_lo
.LBB43_185:                             ;   in Loop: Header=BB43_6 Depth=1
	s_or_b32 exec_lo, exec_lo, s40
	s_mov_b32 s40, -1
                                        ; implicit-def: $sgpr90
                                        ; implicit-def: $sgpr89
	s_and_saveexec_b32 s50, s51
	s_cbranch_execz .LBB43_224
; %bb.186:                              ;   in Loop: Header=BB43_6 Depth=1
	v_cmp_eq_u32_e32 vcc_lo, 1, v43
	s_cmp_eq_u32 s20, 1
	s_mov_b32 s92, -1
	s_cselect_b32 s40, -1, 0
                                        ; implicit-def: $sgpr90
                                        ; implicit-def: $sgpr89
	s_delay_alu instid0(SALU_CYCLE_1) | instskip(NEXT) | instid1(SALU_CYCLE_1)
	s_and_b32 s51, s40, vcc_lo
	s_and_saveexec_b32 s91, s51
	s_cbranch_execz .LBB43_212
; %bb.187:                              ;   in Loop: Header=BB43_6 Depth=1
	ds_load_b32 v3, v23 offset:4096
	s_wait_dscnt 0x0
	s_barrier_signal -1
	s_barrier_wait -1
	v_readfirstlane_b32 s92, v3
	s_and_saveexec_b32 s40, s6
; %bb.188:                              ;   in Loop: Header=BB43_6 Depth=1
	ds_store_b64 v32, v[28:29]
; %bb.189:                              ;   in Loop: Header=BB43_6 Depth=1
	s_or_b32 exec_lo, exec_lo, s40
	v_or_b32_e32 v15, s13, v15
	v_or_b32_e32 v14, s12, v14
	;; [unrolled: 1-line block ×4, first 2 shown]
	s_mov_b32 s89, -1
	s_mov_b32 s90, 0
	s_cmp_eq_u32 s92, 0
	s_mov_b32 s40, 0
	s_mov_b32 s93, -1
	s_wait_dscnt 0x0
	s_barrier_signal -1
	s_barrier_wait -1
                                        ; implicit-def: $vgpr10_vgpr11
	s_cbranch_scc1 .LBB43_200
; %bb.190:                              ;   in Loop: Header=BB43_6 Depth=1
	s_add_co_i32 s40, s92, s62
                                        ; implicit-def: $vgpr10_vgpr11
	s_delay_alu instid0(SALU_CYCLE_1) | instskip(NEXT) | instid1(SALU_CYCLE_1)
	s_mul_u64 s[94:95], s[40:41], s[44:45]
	s_mul_i32 s93, s95, s33
	s_delay_alu instid0(SALU_CYCLE_1) | instskip(NEXT) | instid1(SALU_CYCLE_1)
	s_sub_co_i32 s93, s40, s93
	s_sub_co_i32 s94, s93, s33
	s_cmp_ge_u32 s93, s33
	s_cselect_b32 s93, s94, s93
	s_delay_alu instid0(SALU_CYCLE_1)
	s_sub_co_i32 s94, s93, s33
	s_cmp_ge_u32 s93, s33
	s_cselect_b32 s93, s94, s93
	s_mov_b32 s94, exec_lo
	s_sub_co_i32 s95, s40, s93
	s_mov_b32 s93, 0
	s_mov_b32 s40, 0
	v_cmpx_gt_u32_e64 s95, v0
	s_cbranch_execz .LBB43_199
; %bb.191:                              ;   in Loop: Header=BB43_6 Depth=1
	v_dual_mov_b32 v44, v21 :: v_dual_mov_b32 v45, v0
                                        ; implicit-def: $sgpr96
	s_branch .LBB43_194
.LBB43_192:                             ;   in Loop: Header=BB43_194 Depth=2
	s_or_b32 exec_lo, exec_lo, s97
	s_wait_dscnt 0x0
	s_barrier_signal -1
	s_barrier_wait -1
	ds_load_b128 v[8:11], v23 offset:3072
	s_mov_b32 s97, -1
	s_mov_b32 s98, -1
	s_wait_dscnt 0x0
	s_barrier_signal -1
	s_barrier_wait -1
	v_cmp_ne_u64_e32 vcc_lo, 0, v[8:9]
	s_cbranch_vccz .LBB43_197
.LBB43_193:                             ;   in Loop: Header=BB43_194 Depth=2
	s_and_b32 s97, exec_lo, s97
	s_delay_alu instid0(SALU_CYCLE_1) | instskip(SKIP_2) | instid1(SALU_CYCLE_1)
	s_or_b32 s40, s97, s40
	s_and_not1_b32 s96, s96, exec_lo
	s_and_b32 s97, s98, exec_lo
	s_or_b32 s96, s96, s97
	s_and_not1_b32 exec_lo, exec_lo, s40
	s_cbranch_execz .LBB43_198
.LBB43_194:                             ;   Parent Loop BB43_6 Depth=1
                                        ; =>  This Inner Loop Header: Depth=2
	s_mov_b32 s97, exec_lo
	s_delay_alu instid0(VALU_DEP_1)
	v_cmpx_gt_u32_e64 s92, v45
	s_cbranch_execz .LBB43_192
; %bb.195:                              ;   in Loop: Header=BB43_194 Depth=2
	ds_load_b64 v[4:5], v44
	s_wait_dscnt 0x0
	v_xor_b32_e32 v3, 0x80000000, v5
	v_and_b32_e32 v8, v4, v12
	s_delay_alu instid0(VALU_DEP_2) | instskip(NEXT) | instid1(VALU_DEP_1)
	v_and_b32_e32 v9, v3, v13
	v_cmp_eq_u64_e32 vcc_lo, v[8:9], v[14:15]
	s_and_b32 exec_lo, exec_lo, vcc_lo
	s_cbranch_execz .LBB43_192
; %bb.196:                              ;   in Loop: Header=BB43_194 Depth=2
	v_mov_b32_e32 v3, v23
	ds_store_b128 v23, v[2:5] offset:3072
	s_branch .LBB43_192
.LBB43_197:                             ;   in Loop: Header=BB43_194 Depth=2
	v_dual_add_nc_u32 v45, s33, v45 :: v_dual_add_nc_u32 v44, s75, v44
	s_mov_b32 s98, 0
	s_delay_alu instid0(VALU_DEP_1)
	v_cmp_le_u32_e32 vcc_lo, s95, v45
	s_or_not1_b32 s97, vcc_lo, exec_lo
	s_branch .LBB43_193
.LBB43_198:                             ;   in Loop: Header=BB43_6 Depth=1
	s_or_b32 exec_lo, exec_lo, s40
	s_delay_alu instid0(SALU_CYCLE_1)
	s_and_b32 s40, s96, exec_lo
.LBB43_199:                             ;   in Loop: Header=BB43_6 Depth=1
	s_or_b32 exec_lo, exec_lo, s94
.LBB43_200:                             ;   in Loop: Header=BB43_6 Depth=1
	s_delay_alu instid0(SALU_CYCLE_1)
	s_and_b32 vcc_lo, exec_lo, s93
	s_cbranch_vccz .LBB43_211
; %bb.201:                              ;   in Loop: Header=BB43_6 Depth=1
                                        ; implicit-def: $vgpr10_vgpr11
	s_and_saveexec_b32 s89, s9
	s_cbranch_execz .LBB43_210
; %bb.202:                              ;   in Loop: Header=BB43_6 Depth=1
	v_dual_mov_b32 v44, v20 :: v_dual_mov_b32 v45, v0
	s_mov_b32 s90, 0
                                        ; implicit-def: $sgpr92
	s_branch .LBB43_205
.LBB43_203:                             ;   in Loop: Header=BB43_205 Depth=2
	s_or_b32 exec_lo, exec_lo, s93
	s_wait_dscnt 0x0
	s_barrier_signal -1
	s_barrier_wait -1
	ds_load_b128 v[8:11], v23 offset:3072
	s_mov_b32 s93, -1
	s_mov_b32 s94, -1
	s_wait_dscnt 0x0
	s_barrier_signal -1
	s_barrier_wait -1
	v_cmp_eq_u64_e32 vcc_lo, 0, v[8:9]
	s_cbranch_vccnz .LBB43_208
.LBB43_204:                             ;   in Loop: Header=BB43_205 Depth=2
	s_and_b32 s93, exec_lo, s93
	s_delay_alu instid0(SALU_CYCLE_1) | instskip(SKIP_2) | instid1(SALU_CYCLE_1)
	s_or_b32 s90, s93, s90
	s_and_not1_b32 s92, s92, exec_lo
	s_and_b32 s93, s94, exec_lo
	s_or_b32 s92, s92, s93
	s_and_not1_b32 exec_lo, exec_lo, s90
	s_cbranch_execz .LBB43_209
.LBB43_205:                             ;   Parent Loop BB43_6 Depth=1
                                        ; =>  This Inner Loop Header: Depth=2
	s_mov_b32 s93, exec_lo
	s_delay_alu instid0(VALU_DEP_1)
	v_cmpx_gt_u32_e64 s36, v45
	s_cbranch_execz .LBB43_203
; %bb.206:                              ;   in Loop: Header=BB43_205 Depth=2
	global_load_b64 v[4:5], v44, s[30:31] scale_offset
	s_wait_loadcnt 0x0
	v_xor_b32_e32 v3, 0x80000000, v5
	v_and_b32_e32 v8, v4, v12
	s_delay_alu instid0(VALU_DEP_2) | instskip(NEXT) | instid1(VALU_DEP_1)
	v_and_b32_e32 v9, v3, v13
	v_cmp_eq_u64_e32 vcc_lo, v[8:9], v[14:15]
	s_and_b32 exec_lo, exec_lo, vcc_lo
	s_cbranch_execz .LBB43_203
; %bb.207:                              ;   in Loop: Header=BB43_205 Depth=2
	v_mov_b32_e32 v3, v23
	ds_store_b128 v23, v[2:5] offset:3072
	s_branch .LBB43_203
.LBB43_208:                             ;   in Loop: Header=BB43_205 Depth=2
	v_dual_add_nc_u32 v45, s33, v45 :: v_dual_add_nc_u32 v44, s53, v44
	s_mov_b32 s94, 0
	s_delay_alu instid0(VALU_DEP_1)
	v_cmp_le_u32_e32 vcc_lo, s72, v45
	s_or_not1_b32 s93, vcc_lo, exec_lo
	s_branch .LBB43_204
.LBB43_209:                             ;   in Loop: Header=BB43_6 Depth=1
	s_or_b32 exec_lo, exec_lo, s90
	s_delay_alu instid0(SALU_CYCLE_1) | instskip(SKIP_1) | instid1(SALU_CYCLE_1)
	s_and_not1_b32 s40, s40, exec_lo
	s_and_b32 s90, s92, exec_lo
	s_or_b32 s40, s40, s90
.LBB43_210:                             ;   in Loop: Header=BB43_6 Depth=1
	s_or_b32 exec_lo, exec_lo, s89
	s_mov_b32 s89, 0
	s_mov_b32 s90, -1
.LBB43_211:                             ;   in Loop: Header=BB43_6 Depth=1
	s_or_not1_b32 s92, s40, exec_lo
.LBB43_212:                             ;   in Loop: Header=BB43_6 Depth=1
	s_or_b32 exec_lo, exec_lo, s91
	s_mov_b32 s91, 0
	s_and_saveexec_b32 s40, s92
	s_cbranch_execz .LBB43_223
; %bb.213:                              ;   in Loop: Header=BB43_6 Depth=1
	v_dual_mov_b32 v22, 1 :: v_dual_mov_b32 v3, 1
	s_xor_b32 s91, s51, -1
	s_delay_alu instid0(SALU_CYCLE_1)
	s_and_saveexec_b32 s51, s91
	s_cbranch_execz .LBB43_222
; %bb.214:                              ;   in Loop: Header=BB43_6 Depth=1
	s_mov_b32 s91, exec_lo
	v_cmpx_ge_u32_e64 s20, v43
	s_xor_b32 s91, exec_lo, s91
	s_cbranch_execz .LBB43_219
; %bb.215:                              ;   in Loop: Header=BB43_6 Depth=1
	ds_load_b32 v3, v23 offset:4096
	v_or_b32_e32 v15, s13, v15
	v_or_b32_e32 v14, s12, v14
	;; [unrolled: 1-line block ×4, first 2 shown]
	s_wait_dscnt 0x0
	v_cmp_ne_u32_e32 vcc_lo, 0, v3
	s_cbranch_vccnz .LBB43_219
; %bb.216:                              ;   in Loop: Header=BB43_6 Depth=1
	s_and_saveexec_b32 s92, s5
; %bb.217:                              ;   in Loop: Header=BB43_6 Depth=1
	v_mov_b32_e32 v3, s20
	ds_store_b32 v23, v3 offset:4100
; %bb.218:                              ;   in Loop: Header=BB43_6 Depth=1
	s_or_b32 exec_lo, exec_lo, s92
	s_wait_dscnt 0x0
	s_barrier_signal -1
	s_barrier_wait -1
.LBB43_219:                             ;   in Loop: Header=BB43_6 Depth=1
	s_and_not1_saveexec_b32 s91, s91
; %bb.220:                              ;   in Loop: Header=BB43_6 Depth=1
	v_subrev_nc_u32_e32 v43, s20, v43
; %bb.221:                              ;   in Loop: Header=BB43_6 Depth=1
	s_or_b32 exec_lo, exec_lo, s91
	s_delay_alu instid0(VALU_DEP_1)
	v_dual_mov_b32 v22, 8 :: v_dual_mov_b32 v3, v43
.LBB43_222:                             ;   in Loop: Header=BB43_6 Depth=1
	s_or_b32 exec_lo, exec_lo, s51
	s_delay_alu instid0(VALU_DEP_1)
	v_mov_b32_e32 v43, v3
	s_mov_b32 s91, exec_lo
.LBB43_223:                             ;   in Loop: Header=BB43_6 Depth=1
	s_or_b32 exec_lo, exec_lo, s40
	s_delay_alu instid0(SALU_CYCLE_1)
	s_or_not1_b32 s40, s91, exec_lo
.LBB43_224:                             ;   in Loop: Header=BB43_6 Depth=1
	s_or_b32 exec_lo, exec_lo, s50
	v_mov_b32_e32 v44, v43
	s_and_not1_b32 s48, s48, exec_lo
	s_and_b32 s50, s90, exec_lo
	s_and_not1_b32 s29, s29, exec_lo
	s_and_b32 s51, s89, exec_lo
	s_or_b32 s48, s48, s50
	s_or_b32 s29, s29, s51
	s_and_b32 s51, s40, exec_lo
.LBB43_225:                             ;   in Loop: Header=BB43_6 Depth=1
	s_or_b32 exec_lo, exec_lo, s49
	s_delay_alu instid0(SALU_CYCLE_1)
	s_or_not1_b32 s40, s51, exec_lo
.LBB43_226:                             ;   in Loop: Header=BB43_6 Depth=1
	s_or_b32 exec_lo, exec_lo, s28
	v_mov_b32_e32 v43, v44
	s_and_not1_b32 s26, s26, exec_lo
	s_and_b32 s28, s48, exec_lo
	s_and_not1_b32 s21, s21, exec_lo
	s_and_b32 s29, s29, exec_lo
	s_or_b32 s26, s26, s28
	s_or_b32 s21, s21, s29
	s_and_b32 s40, s40, exec_lo
.LBB43_227:                             ;   in Loop: Header=BB43_6 Depth=1
	s_or_b32 exec_lo, exec_lo, s27
	s_delay_alu instid0(SALU_CYCLE_1)
	s_or_not1_b32 s27, s40, exec_lo
.LBB43_228:                             ;   in Loop: Header=BB43_6 Depth=1
	s_or_b32 exec_lo, exec_lo, s11
	s_mov_b32 s28, 0
	s_mov_b32 s29, 0
	s_and_saveexec_b32 s11, s27
	s_delay_alu instid0(SALU_CYCLE_1)
	s_xor_b32 s27, exec_lo, s11
; %bb.229:                              ;   in Loop: Header=BB43_6 Depth=1
	v_cmp_ne_u32_e32 vcc_lo, 8, v22
	v_cmp_eq_u32_e64 s11, 8, v22
	s_and_b32 s29, vcc_lo, exec_lo
	s_and_b32 s28, s11, exec_lo
; %bb.230:                              ;   in Loop: Header=BB43_6 Depth=1
	s_or_b32 exec_lo, exec_lo, s27
	s_delay_alu instid0(SALU_CYCLE_1)
	s_and_not1_b32 s11, s23, exec_lo
	s_and_b32 s23, s26, exec_lo
	s_and_not1_b32 s22, s22, exec_lo
	s_and_b32 s21, s21, exec_lo
	s_or_b32 s23, s11, s23
	s_or_b32 s22, s22, s21
	s_and_b32 s11, s29, exec_lo
	s_and_b32 s21, s28, exec_lo
.LBB43_231:                             ;   in Loop: Header=BB43_6 Depth=1
	s_or_b32 exec_lo, exec_lo, s25
.LBB43_232:                             ;   in Loop: Header=BB43_6 Depth=1
	s_delay_alu instid0(SALU_CYCLE_1)
	s_and_b32 vcc_lo, exec_lo, s24
	s_cbranch_vccz .LBB43_245
; %bb.233:                              ;   in Loop: Header=BB43_6 Depth=1
	s_cmp_eq_u32 s20, 1
	s_mov_b32 s23, -1
	s_cselect_b32 s16, -1, 0
                                        ; implicit-def: $sgpr24
	s_delay_alu instid0(SALU_CYCLE_1) | instskip(NEXT) | instid1(SALU_CYCLE_1)
	s_and_b32 s10, s16, s10
                                        ; implicit-def: $sgpr16
	s_and_saveexec_b32 s22, s10
	s_cbranch_execz .LBB43_260
; %bb.234:                              ;   in Loop: Header=BB43_6 Depth=1
	ds_load_b32 v3, v23 offset:4096
	s_wait_dscnt 0x0
	s_barrier_signal -1
	s_barrier_wait -1
	v_readfirstlane_b32 s25, v3
	s_and_saveexec_b32 s16, s6
; %bb.235:                              ;   in Loop: Header=BB43_6 Depth=1
	ds_store_b64 v32, v[28:29]
; %bb.236:                              ;   in Loop: Header=BB43_6 Depth=1
	s_or_b32 exec_lo, exec_lo, s16
	v_or_b32_e32 v27, s13, v27
	v_or_b32_e32 v26, s12, v26
	;; [unrolled: 1-line block ×4, first 2 shown]
	s_mov_b32 s16, -1
	s_mov_b32 s24, 0
	s_cmp_eq_u32 s25, 0
	s_mov_b32 s23, 0
	s_mov_b32 s26, -1
	s_wait_dscnt 0x0
	s_barrier_signal -1
	s_barrier_wait -1
                                        ; implicit-def: $vgpr6_vgpr7
	s_cbranch_scc1 .LBB43_248
; %bb.237:                              ;   in Loop: Header=BB43_6 Depth=1
	s_add_co_i32 s40, s25, s62
                                        ; implicit-def: $vgpr6_vgpr7
	s_delay_alu instid0(SALU_CYCLE_1) | instskip(NEXT) | instid1(SALU_CYCLE_1)
	s_mul_u64 s[26:27], s[40:41], s[44:45]
	s_mul_i32 s23, s27, s33
	s_mov_b32 s27, exec_lo
	s_sub_co_i32 s23, s40, s23
	s_delay_alu instid0(SALU_CYCLE_1) | instskip(SKIP_2) | instid1(SALU_CYCLE_1)
	s_sub_co_i32 s26, s23, s33
	s_cmp_ge_u32 s23, s33
	s_cselect_b32 s23, s26, s23
	s_sub_co_i32 s26, s23, s33
	s_cmp_ge_u32 s23, s33
	s_cselect_b32 s23, s26, s23
	s_mov_b32 s26, 0
	s_sub_co_i32 s28, s40, s23
	s_mov_b32 s23, 0
	v_cmpx_gt_u32_e64 s28, v0
	s_cbranch_execz .LBB43_247
; %bb.238:                              ;   in Loop: Header=BB43_6 Depth=1
	v_dual_mov_b32 v8, v21 :: v_dual_mov_b32 v9, v0
                                        ; implicit-def: $sgpr29
	s_branch .LBB43_241
.LBB43_239:                             ;   in Loop: Header=BB43_241 Depth=2
	s_or_b32 exec_lo, exec_lo, s40
	s_wait_dscnt 0x0
	s_barrier_signal -1
	s_barrier_wait -1
	ds_load_b128 v[4:7], v23 offset:3072
	s_mov_b32 s40, -1
	s_mov_b32 s48, -1
	s_wait_dscnt 0x0
	s_barrier_signal -1
	s_barrier_wait -1
	v_cmp_ne_u64_e32 vcc_lo, 0, v[4:5]
	s_cbranch_vccz .LBB43_244
.LBB43_240:                             ;   in Loop: Header=BB43_241 Depth=2
	s_and_b32 s40, exec_lo, s40
	s_delay_alu instid0(SALU_CYCLE_1) | instskip(SKIP_2) | instid1(SALU_CYCLE_1)
	s_or_b32 s23, s40, s23
	s_and_not1_b32 s29, s29, exec_lo
	s_and_b32 s40, s48, exec_lo
	s_or_b32 s29, s29, s40
	s_and_not1_b32 exec_lo, exec_lo, s23
	s_cbranch_execz .LBB43_246
.LBB43_241:                             ;   Parent Loop BB43_6 Depth=1
                                        ; =>  This Inner Loop Header: Depth=2
	s_mov_b32 s40, exec_lo
	s_delay_alu instid0(VALU_DEP_1)
	v_cmpx_gt_u32_e64 s25, v9
	s_cbranch_execz .LBB43_239
; %bb.242:                              ;   in Loop: Header=BB43_241 Depth=2
	ds_load_b64 v[4:5], v8
	s_wait_dscnt 0x0
	v_xor_b32_e32 v3, 0x80000000, v5
	v_and_b32_e32 v6, v4, v30
	s_delay_alu instid0(VALU_DEP_2) | instskip(NEXT) | instid1(VALU_DEP_1)
	v_and_b32_e32 v7, v3, v31
	v_cmp_eq_u64_e32 vcc_lo, v[6:7], v[26:27]
	s_and_b32 exec_lo, exec_lo, vcc_lo
	s_cbranch_execz .LBB43_239
; %bb.243:                              ;   in Loop: Header=BB43_241 Depth=2
	v_mov_b32_e32 v3, v23
	ds_store_b128 v23, v[2:5] offset:3072
	s_branch .LBB43_239
.LBB43_244:                             ;   in Loop: Header=BB43_241 Depth=2
	v_dual_add_nc_u32 v9, s33, v9 :: v_dual_add_nc_u32 v8, s75, v8
	s_mov_b32 s48, 0
	s_delay_alu instid0(VALU_DEP_1)
	v_cmp_le_u32_e32 vcc_lo, s28, v9
	s_or_not1_b32 s40, vcc_lo, exec_lo
	s_branch .LBB43_240
.LBB43_245:                             ;   in Loop: Header=BB43_6 Depth=1
	v_mov_b64_e32 v[26:27], v[14:15]
	v_mov_b64_e32 v[30:31], v[12:13]
	;; [unrolled: 1-line block ×3, first 2 shown]
	s_mov_b32 s24, 0
	s_and_saveexec_b32 s10, s21
	s_cbranch_execnz .LBB43_391
	s_branch .LBB43_392
.LBB43_246:                             ;   in Loop: Header=BB43_6 Depth=1
	s_or_b32 exec_lo, exec_lo, s23
	s_delay_alu instid0(SALU_CYCLE_1)
	s_and_b32 s23, s29, exec_lo
.LBB43_247:                             ;   in Loop: Header=BB43_6 Depth=1
	s_or_b32 exec_lo, exec_lo, s27
.LBB43_248:                             ;   in Loop: Header=BB43_6 Depth=1
	s_delay_alu instid0(SALU_CYCLE_1)
	s_and_b32 vcc_lo, exec_lo, s26
	s_cbranch_vccz .LBB43_259
; %bb.249:                              ;   in Loop: Header=BB43_6 Depth=1
                                        ; implicit-def: $vgpr6_vgpr7
	s_and_saveexec_b32 s16, s9
	s_cbranch_execz .LBB43_258
; %bb.250:                              ;   in Loop: Header=BB43_6 Depth=1
	v_dual_mov_b32 v8, v20 :: v_dual_mov_b32 v9, v0
	s_mov_b32 s25, 0
                                        ; implicit-def: $sgpr24
	s_branch .LBB43_253
.LBB43_251:                             ;   in Loop: Header=BB43_253 Depth=2
	s_or_b32 exec_lo, exec_lo, s26
	s_wait_dscnt 0x0
	s_barrier_signal -1
	s_barrier_wait -1
	ds_load_b128 v[4:7], v23 offset:3072
	s_mov_b32 s26, -1
	s_mov_b32 s27, -1
	s_wait_dscnt 0x0
	s_barrier_signal -1
	s_barrier_wait -1
	v_cmp_ne_u64_e32 vcc_lo, 0, v[4:5]
	s_cbranch_vccz .LBB43_256
.LBB43_252:                             ;   in Loop: Header=BB43_253 Depth=2
	s_and_b32 s26, exec_lo, s26
	s_delay_alu instid0(SALU_CYCLE_1) | instskip(SKIP_2) | instid1(SALU_CYCLE_1)
	s_or_b32 s25, s26, s25
	s_and_not1_b32 s24, s24, exec_lo
	s_and_b32 s26, s27, exec_lo
	s_or_b32 s24, s24, s26
	s_and_not1_b32 exec_lo, exec_lo, s25
	s_cbranch_execz .LBB43_257
.LBB43_253:                             ;   Parent Loop BB43_6 Depth=1
                                        ; =>  This Inner Loop Header: Depth=2
	s_mov_b32 s26, exec_lo
	s_delay_alu instid0(VALU_DEP_1)
	v_cmpx_gt_u32_e64 s36, v9
	s_cbranch_execz .LBB43_251
; %bb.254:                              ;   in Loop: Header=BB43_253 Depth=2
	global_load_b64 v[4:5], v8, s[30:31] scale_offset
	s_wait_loadcnt 0x0
	v_xor_b32_e32 v3, 0x80000000, v5
	v_and_b32_e32 v6, v4, v30
	s_delay_alu instid0(VALU_DEP_2) | instskip(NEXT) | instid1(VALU_DEP_1)
	v_and_b32_e32 v7, v3, v31
	v_cmp_eq_u64_e32 vcc_lo, v[6:7], v[26:27]
	s_and_b32 exec_lo, exec_lo, vcc_lo
	s_cbranch_execz .LBB43_251
; %bb.255:                              ;   in Loop: Header=BB43_253 Depth=2
	v_mov_b32_e32 v3, v23
	ds_store_b128 v23, v[2:5] offset:3072
	s_branch .LBB43_251
.LBB43_256:                             ;   in Loop: Header=BB43_253 Depth=2
	v_dual_add_nc_u32 v9, s33, v9 :: v_dual_add_nc_u32 v8, s53, v8
	s_mov_b32 s27, 0
	s_delay_alu instid0(VALU_DEP_1)
	v_cmp_le_u32_e32 vcc_lo, s72, v9
	s_or_not1_b32 s26, vcc_lo, exec_lo
	s_branch .LBB43_252
.LBB43_257:                             ;   in Loop: Header=BB43_6 Depth=1
	s_or_b32 exec_lo, exec_lo, s25
	s_delay_alu instid0(SALU_CYCLE_1) | instskip(SKIP_1) | instid1(SALU_CYCLE_1)
	s_and_not1_b32 s23, s23, exec_lo
	s_and_b32 s24, s24, exec_lo
	s_or_b32 s23, s23, s24
.LBB43_258:                             ;   in Loop: Header=BB43_6 Depth=1
	s_or_b32 exec_lo, exec_lo, s16
	s_mov_b32 s16, 0
	s_mov_b32 s24, -1
.LBB43_259:                             ;   in Loop: Header=BB43_6 Depth=1
	s_or_not1_b32 s23, s23, exec_lo
.LBB43_260:                             ;   in Loop: Header=BB43_6 Depth=1
	s_or_b32 exec_lo, exec_lo, s22
                                        ; implicit-def: $vgpr43
                                        ; implicit-def: $vgpr22
	s_and_saveexec_b32 s22, s23
	s_cbranch_execz .LBB43_390
; %bb.261:                              ;   in Loop: Header=BB43_6 Depth=1
	v_dual_mov_b32 v43, 1 :: v_dual_mov_b32 v22, 1
	s_xor_b32 s23, s10, -1
	s_mov_b32 s26, 0
	s_and_saveexec_b32 s10, s23
	s_cbranch_execz .LBB43_270
; %bb.262:                              ;   in Loop: Header=BB43_6 Depth=1
	s_mov_b32 s23, exec_lo
	v_cmpx_ge_u32_e64 s20, v42
	s_xor_b32 s23, exec_lo, s23
	s_cbranch_execz .LBB43_267
; %bb.263:                              ;   in Loop: Header=BB43_6 Depth=1
	ds_load_b32 v3, v23 offset:4096
	v_or_b32_e32 v27, s13, v27
	v_or_b32_e32 v26, s12, v26
	;; [unrolled: 1-line block ×4, first 2 shown]
	s_wait_dscnt 0x0
	v_cmp_ne_u32_e32 vcc_lo, 0, v3
	s_cbranch_vccnz .LBB43_267
; %bb.264:                              ;   in Loop: Header=BB43_6 Depth=1
	s_and_saveexec_b32 s25, s5
; %bb.265:                              ;   in Loop: Header=BB43_6 Depth=1
	v_mov_b32_e32 v3, s20
	ds_store_b32 v23, v3 offset:4100
; %bb.266:                              ;   in Loop: Header=BB43_6 Depth=1
	s_or_b32 exec_lo, exec_lo, s25
	s_wait_dscnt 0x0
	s_barrier_signal -1
	s_barrier_wait -1
.LBB43_267:                             ;   in Loop: Header=BB43_6 Depth=1
	s_or_saveexec_b32 s23, s23
	v_mov_b32_e32 v22, 5
	s_mov_b32 s25, 0
	s_xor_b32 exec_lo, exec_lo, s23
; %bb.268:                              ;   in Loop: Header=BB43_6 Depth=1
	v_subrev_nc_u32_e32 v42, s20, v42
	v_mov_b32_e32 v22, 0
	s_mov_b32 s25, exec_lo
; %bb.269:                              ;   in Loop: Header=BB43_6 Depth=1
	s_or_b32 exec_lo, exec_lo, s23
	s_delay_alu instid0(VALU_DEP_2)
	v_mov_b32_e32 v43, v42
	s_and_b32 s26, s25, exec_lo
.LBB43_270:                             ;   in Loop: Header=BB43_6 Depth=1
	s_or_b32 exec_lo, exec_lo, s10
	s_mov_b32 s25, -1
                                        ; implicit-def: $sgpr20
                                        ; implicit-def: $sgpr23
	s_and_saveexec_b32 s10, s26
	s_delay_alu instid0(SALU_CYCLE_1)
	s_xor_b32 s10, exec_lo, s10
	s_cbranch_execz .LBB43_387
; %bb.271:                              ;   in Loop: Header=BB43_6 Depth=1
	v_cmp_eq_u32_e32 vcc_lo, 1, v43
	s_cmp_eq_u32 s19, 1
	s_mov_b32 s27, -1
	s_cselect_b32 s20, -1, 0
                                        ; implicit-def: $sgpr23
	s_delay_alu instid0(SALU_CYCLE_1) | instskip(NEXT) | instid1(SALU_CYCLE_1)
	s_and_b32 s26, s20, vcc_lo
                                        ; implicit-def: $sgpr20
	s_and_saveexec_b32 s25, s26
	s_cbranch_execz .LBB43_297
; %bb.272:                              ;   in Loop: Header=BB43_6 Depth=1
	ds_load_b32 v3, v23 offset:4096
	s_wait_dscnt 0x0
	s_barrier_signal -1
	s_barrier_wait -1
	v_readfirstlane_b32 s28, v3
	s_and_saveexec_b32 s20, s6
; %bb.273:                              ;   in Loop: Header=BB43_6 Depth=1
	ds_store_b64 v32, v[28:29]
; %bb.274:                              ;   in Loop: Header=BB43_6 Depth=1
	s_or_b32 exec_lo, exec_lo, s20
	v_and_b32_e32 v3, s15, v27
	v_and_b32_e32 v4, s14, v26
	s_lshl_b64 s[48:49], 2, s76
	v_or_b32_e32 v31, s13, v31
	v_or_b32_e32 v30, s12, v30
	;; [unrolled: 1-line block ×4, first 2 shown]
	s_mov_b32 s20, -1
	s_mov_b32 s23, 0
	s_cmp_eq_u32 s28, 0
	s_mov_b32 s27, 0
	s_mov_b32 s29, -1
	s_wait_dscnt 0x0
	s_barrier_signal -1
	s_barrier_wait -1
                                        ; implicit-def: $vgpr6_vgpr7
	s_cbranch_scc1 .LBB43_285
; %bb.275:                              ;   in Loop: Header=BB43_6 Depth=1
	s_add_co_i32 s40, s28, s62
                                        ; implicit-def: $vgpr6_vgpr7
	s_delay_alu instid0(SALU_CYCLE_1) | instskip(NEXT) | instid1(SALU_CYCLE_1)
	s_mul_u64 s[48:49], s[40:41], s[44:45]
	s_mul_i32 s27, s49, s33
	s_delay_alu instid0(SALU_CYCLE_1) | instskip(NEXT) | instid1(SALU_CYCLE_1)
	s_sub_co_i32 s27, s40, s27
	s_sub_co_i32 s29, s27, s33
	s_cmp_ge_u32 s27, s33
	s_cselect_b32 s27, s29, s27
	s_delay_alu instid0(SALU_CYCLE_1)
	s_sub_co_i32 s29, s27, s33
	s_cmp_ge_u32 s27, s33
	s_cselect_b32 s27, s29, s27
	s_mov_b32 s29, 0
	s_sub_co_i32 s48, s40, s27
	s_mov_b32 s27, 0
	s_mov_b32 s40, exec_lo
	v_cmpx_gt_u32_e64 s48, v0
	s_cbranch_execz .LBB43_284
; %bb.276:                              ;   in Loop: Header=BB43_6 Depth=1
	v_dual_mov_b32 v8, v21 :: v_dual_mov_b32 v9, v0
                                        ; implicit-def: $sgpr49
	s_branch .LBB43_279
.LBB43_277:                             ;   in Loop: Header=BB43_279 Depth=2
	s_or_b32 exec_lo, exec_lo, s50
	s_wait_dscnt 0x0
	s_barrier_signal -1
	s_barrier_wait -1
	ds_load_b128 v[4:7], v23 offset:3072
	s_mov_b32 s50, -1
	s_mov_b32 s51, -1
	s_wait_dscnt 0x0
	s_barrier_signal -1
	s_barrier_wait -1
	v_cmp_ne_u64_e32 vcc_lo, 0, v[4:5]
	s_cbranch_vccz .LBB43_282
.LBB43_278:                             ;   in Loop: Header=BB43_279 Depth=2
	s_and_b32 s50, exec_lo, s50
	s_delay_alu instid0(SALU_CYCLE_1) | instskip(SKIP_2) | instid1(SALU_CYCLE_1)
	s_or_b32 s27, s50, s27
	s_and_not1_b32 s49, s49, exec_lo
	s_and_b32 s50, s51, exec_lo
	s_or_b32 s49, s49, s50
	s_and_not1_b32 exec_lo, exec_lo, s27
	s_cbranch_execz .LBB43_283
.LBB43_279:                             ;   Parent Loop BB43_6 Depth=1
                                        ; =>  This Inner Loop Header: Depth=2
	s_mov_b32 s50, exec_lo
	s_delay_alu instid0(VALU_DEP_1)
	v_cmpx_gt_u32_e64 s28, v9
	s_cbranch_execz .LBB43_277
; %bb.280:                              ;   in Loop: Header=BB43_279 Depth=2
	ds_load_b64 v[4:5], v8
	s_wait_dscnt 0x0
	v_xor_b32_e32 v3, 0x80000000, v5
	v_and_b32_e32 v6, v4, v30
	s_delay_alu instid0(VALU_DEP_2) | instskip(NEXT) | instid1(VALU_DEP_1)
	v_and_b32_e32 v7, v3, v31
	v_cmp_eq_u64_e32 vcc_lo, v[6:7], v[26:27]
	s_and_b32 exec_lo, exec_lo, vcc_lo
	s_cbranch_execz .LBB43_277
; %bb.281:                              ;   in Loop: Header=BB43_279 Depth=2
	v_mov_b32_e32 v3, v23
	ds_store_b128 v23, v[2:5] offset:3072
	s_branch .LBB43_277
.LBB43_282:                             ;   in Loop: Header=BB43_279 Depth=2
	v_dual_add_nc_u32 v9, s33, v9 :: v_dual_add_nc_u32 v8, s75, v8
	s_mov_b32 s51, 0
	s_delay_alu instid0(VALU_DEP_1)
	v_cmp_le_u32_e32 vcc_lo, s48, v9
	s_or_not1_b32 s50, vcc_lo, exec_lo
	s_branch .LBB43_278
.LBB43_283:                             ;   in Loop: Header=BB43_6 Depth=1
	s_or_b32 exec_lo, exec_lo, s27
	s_delay_alu instid0(SALU_CYCLE_1)
	s_and_b32 s27, s49, exec_lo
.LBB43_284:                             ;   in Loop: Header=BB43_6 Depth=1
	s_or_b32 exec_lo, exec_lo, s40
.LBB43_285:                             ;   in Loop: Header=BB43_6 Depth=1
	s_delay_alu instid0(SALU_CYCLE_1)
	s_and_b32 vcc_lo, exec_lo, s29
	s_cbranch_vccz .LBB43_296
; %bb.286:                              ;   in Loop: Header=BB43_6 Depth=1
                                        ; implicit-def: $vgpr6_vgpr7
	s_and_saveexec_b32 s20, s9
	s_cbranch_execz .LBB43_295
; %bb.287:                              ;   in Loop: Header=BB43_6 Depth=1
	v_dual_mov_b32 v8, v20 :: v_dual_mov_b32 v9, v0
	s_mov_b32 s23, 0
                                        ; implicit-def: $sgpr28
	s_branch .LBB43_290
.LBB43_288:                             ;   in Loop: Header=BB43_290 Depth=2
	s_or_b32 exec_lo, exec_lo, s29
	s_wait_dscnt 0x0
	s_barrier_signal -1
	s_barrier_wait -1
	ds_load_b128 v[4:7], v23 offset:3072
	s_mov_b32 s29, -1
	s_mov_b32 s40, -1
	s_wait_dscnt 0x0
	s_barrier_signal -1
	s_barrier_wait -1
	v_cmp_eq_u64_e32 vcc_lo, 0, v[4:5]
	s_cbranch_vccnz .LBB43_293
.LBB43_289:                             ;   in Loop: Header=BB43_290 Depth=2
	s_and_b32 s29, exec_lo, s29
	s_delay_alu instid0(SALU_CYCLE_1) | instskip(SKIP_2) | instid1(SALU_CYCLE_1)
	s_or_b32 s23, s29, s23
	s_and_not1_b32 s28, s28, exec_lo
	s_and_b32 s29, s40, exec_lo
	s_or_b32 s28, s28, s29
	s_and_not1_b32 exec_lo, exec_lo, s23
	s_cbranch_execz .LBB43_294
.LBB43_290:                             ;   Parent Loop BB43_6 Depth=1
                                        ; =>  This Inner Loop Header: Depth=2
	s_mov_b32 s29, exec_lo
	s_delay_alu instid0(VALU_DEP_1)
	v_cmpx_gt_u32_e64 s36, v9
	s_cbranch_execz .LBB43_288
; %bb.291:                              ;   in Loop: Header=BB43_290 Depth=2
	global_load_b64 v[4:5], v8, s[30:31] scale_offset
	s_wait_loadcnt 0x0
	v_xor_b32_e32 v3, 0x80000000, v5
	v_and_b32_e32 v6, v4, v30
	s_delay_alu instid0(VALU_DEP_2) | instskip(NEXT) | instid1(VALU_DEP_1)
	v_and_b32_e32 v7, v3, v31
	v_cmp_eq_u64_e32 vcc_lo, v[6:7], v[26:27]
	s_and_b32 exec_lo, exec_lo, vcc_lo
	s_cbranch_execz .LBB43_288
; %bb.292:                              ;   in Loop: Header=BB43_290 Depth=2
	v_mov_b32_e32 v3, v23
	ds_store_b128 v23, v[2:5] offset:3072
	s_branch .LBB43_288
.LBB43_293:                             ;   in Loop: Header=BB43_290 Depth=2
	v_dual_add_nc_u32 v9, s33, v9 :: v_dual_add_nc_u32 v8, s53, v8
	s_mov_b32 s40, 0
	s_delay_alu instid0(VALU_DEP_1)
	v_cmp_le_u32_e32 vcc_lo, s72, v9
	s_or_not1_b32 s29, vcc_lo, exec_lo
	s_branch .LBB43_289
.LBB43_294:                             ;   in Loop: Header=BB43_6 Depth=1
	s_or_b32 exec_lo, exec_lo, s23
	s_delay_alu instid0(SALU_CYCLE_1) | instskip(SKIP_1) | instid1(SALU_CYCLE_1)
	s_and_not1_b32 s23, s27, exec_lo
	s_and_b32 s27, s28, exec_lo
	s_or_b32 s27, s23, s27
.LBB43_295:                             ;   in Loop: Header=BB43_6 Depth=1
	s_or_b32 exec_lo, exec_lo, s20
	s_mov_b32 s20, 0
	s_mov_b32 s23, -1
.LBB43_296:                             ;   in Loop: Header=BB43_6 Depth=1
	s_or_not1_b32 s27, s27, exec_lo
.LBB43_297:                             ;   in Loop: Header=BB43_6 Depth=1
	s_or_b32 exec_lo, exec_lo, s25
	s_mov_b32 s28, 0
	s_and_saveexec_b32 s25, s27
	s_cbranch_execz .LBB43_386
; %bb.298:                              ;   in Loop: Header=BB43_6 Depth=1
	v_dual_mov_b32 v8, 1 :: v_dual_mov_b32 v22, 1
	s_xor_b32 s27, s26, -1
	s_mov_b32 s29, 0
	s_and_saveexec_b32 s26, s27
	s_cbranch_execz .LBB43_307
; %bb.299:                              ;   in Loop: Header=BB43_6 Depth=1
	s_mov_b32 s27, exec_lo
	v_cmpx_ge_u32_e64 s19, v43
	s_xor_b32 s27, exec_lo, s27
	s_cbranch_execz .LBB43_304
; %bb.300:                              ;   in Loop: Header=BB43_6 Depth=1
	ds_load_b32 v3, v23 offset:4096
	v_and_b32_e32 v4, s15, v27
	v_and_b32_e32 v5, s14, v26
	s_lshl_b64 s[28:29], 2, s76
	v_or_b32_e32 v31, s13, v31
	v_or_b32_e32 v30, s12, v30
	;; [unrolled: 1-line block ×4, first 2 shown]
	s_wait_dscnt 0x0
	v_cmp_ne_u32_e32 vcc_lo, 0, v3
	s_cbranch_vccnz .LBB43_304
; %bb.301:                              ;   in Loop: Header=BB43_6 Depth=1
	s_and_saveexec_b32 s28, s5
; %bb.302:                              ;   in Loop: Header=BB43_6 Depth=1
	v_mov_b32_e32 v3, s19
	ds_store_b32 v23, v3 offset:4100
; %bb.303:                              ;   in Loop: Header=BB43_6 Depth=1
	s_or_b32 exec_lo, exec_lo, s28
	s_wait_dscnt 0x0
	s_barrier_signal -1
	s_barrier_wait -1
.LBB43_304:                             ;   in Loop: Header=BB43_6 Depth=1
	s_or_saveexec_b32 s27, s27
	v_mov_b32_e32 v22, 5
	s_mov_b32 s28, 0
	s_xor_b32 exec_lo, exec_lo, s27
; %bb.305:                              ;   in Loop: Header=BB43_6 Depth=1
	v_subrev_nc_u32_e32 v43, s19, v43
	v_mov_b32_e32 v22, 0
	s_mov_b32 s28, exec_lo
; %bb.306:                              ;   in Loop: Header=BB43_6 Depth=1
	s_or_b32 exec_lo, exec_lo, s27
	s_delay_alu instid0(VALU_DEP_2)
	v_mov_b32_e32 v8, v43
	s_and_b32 s29, s28, exec_lo
.LBB43_307:                             ;   in Loop: Header=BB43_6 Depth=1
	s_or_b32 exec_lo, exec_lo, s26
	s_mov_b32 s28, -1
                                        ; implicit-def: $sgpr26
                                        ; implicit-def: $sgpr27
	s_and_saveexec_b32 s19, s29
	s_cbranch_execz .LBB43_385
; %bb.308:                              ;   in Loop: Header=BB43_6 Depth=1
	v_cmp_eq_u32_e32 vcc_lo, 1, v8
	s_cmp_eq_u32 s18, 1
	s_mov_b32 s40, -1
	s_cselect_b32 s26, -1, 0
                                        ; implicit-def: $sgpr27
	s_delay_alu instid0(SALU_CYCLE_1) | instskip(NEXT) | instid1(SALU_CYCLE_1)
	s_and_b32 s29, s26, vcc_lo
                                        ; implicit-def: $sgpr26
	s_and_saveexec_b32 s28, s29
	s_cbranch_execz .LBB43_334
; %bb.309:                              ;   in Loop: Header=BB43_6 Depth=1
	ds_load_b32 v3, v23 offset:4096
	s_wait_dscnt 0x0
	s_barrier_signal -1
	s_barrier_wait -1
	v_readfirstlane_b32 s48, v3
	s_and_saveexec_b32 s26, s6
; %bb.310:                              ;   in Loop: Header=BB43_6 Depth=1
	ds_store_b64 v32, v[28:29]
; %bb.311:                              ;   in Loop: Header=BB43_6 Depth=1
	s_or_b32 exec_lo, exec_lo, s26
	v_and_b32_e32 v3, s15, v27
	v_and_b32_e32 v4, s14, v26
	s_lshl_b64 s[26:27], 1, s76
	v_or_b32_e32 v31, s13, v31
	v_or_b32_e32 v30, s12, v30
	;; [unrolled: 1-line block ×4, first 2 shown]
	s_mov_b32 s26, -1
	s_mov_b32 s27, 0
	s_cmp_eq_u32 s48, 0
	s_mov_b32 s40, 0
	s_mov_b32 s49, -1
	s_wait_dscnt 0x0
	s_barrier_signal -1
	s_barrier_wait -1
                                        ; implicit-def: $vgpr6_vgpr7
	s_cbranch_scc1 .LBB43_322
; %bb.312:                              ;   in Loop: Header=BB43_6 Depth=1
	s_add_co_i32 s40, s48, s62
                                        ; implicit-def: $vgpr6_vgpr7
	s_delay_alu instid0(SALU_CYCLE_1) | instskip(NEXT) | instid1(SALU_CYCLE_1)
	s_mul_u64 s[50:51], s[40:41], s[44:45]
	s_mul_i32 s49, s51, s33
	s_delay_alu instid0(SALU_CYCLE_1) | instskip(NEXT) | instid1(SALU_CYCLE_1)
	s_sub_co_i32 s49, s40, s49
	s_sub_co_i32 s50, s49, s33
	s_cmp_ge_u32 s49, s33
	s_cselect_b32 s49, s50, s49
	s_delay_alu instid0(SALU_CYCLE_1)
	s_sub_co_i32 s50, s49, s33
	s_cmp_ge_u32 s49, s33
	s_cselect_b32 s49, s50, s49
	s_mov_b32 s50, exec_lo
	s_sub_co_i32 s51, s40, s49
	s_mov_b32 s49, 0
	s_mov_b32 s40, 0
	v_cmpx_gt_u32_e64 s51, v0
	s_cbranch_execz .LBB43_321
; %bb.313:                              ;   in Loop: Header=BB43_6 Depth=1
	v_dual_mov_b32 v9, v21 :: v_dual_mov_b32 v10, v0
                                        ; implicit-def: $sgpr89
	s_branch .LBB43_316
.LBB43_314:                             ;   in Loop: Header=BB43_316 Depth=2
	s_or_b32 exec_lo, exec_lo, s90
	s_wait_dscnt 0x0
	s_barrier_signal -1
	s_barrier_wait -1
	ds_load_b128 v[4:7], v23 offset:3072
	s_mov_b32 s90, -1
	s_mov_b32 s91, -1
	s_wait_dscnt 0x0
	s_barrier_signal -1
	s_barrier_wait -1
	v_cmp_ne_u64_e32 vcc_lo, 0, v[4:5]
	s_cbranch_vccz .LBB43_319
.LBB43_315:                             ;   in Loop: Header=BB43_316 Depth=2
	s_and_b32 s90, exec_lo, s90
	s_delay_alu instid0(SALU_CYCLE_1) | instskip(SKIP_2) | instid1(SALU_CYCLE_1)
	s_or_b32 s40, s90, s40
	s_and_not1_b32 s89, s89, exec_lo
	s_and_b32 s90, s91, exec_lo
	s_or_b32 s89, s89, s90
	s_and_not1_b32 exec_lo, exec_lo, s40
	s_cbranch_execz .LBB43_320
.LBB43_316:                             ;   Parent Loop BB43_6 Depth=1
                                        ; =>  This Inner Loop Header: Depth=2
	s_mov_b32 s90, exec_lo
	s_delay_alu instid0(VALU_DEP_1)
	v_cmpx_gt_u32_e64 s48, v10
	s_cbranch_execz .LBB43_314
; %bb.317:                              ;   in Loop: Header=BB43_316 Depth=2
	ds_load_b64 v[4:5], v9
	s_wait_dscnt 0x0
	v_xor_b32_e32 v3, 0x80000000, v5
	v_and_b32_e32 v6, v4, v30
	s_delay_alu instid0(VALU_DEP_2) | instskip(NEXT) | instid1(VALU_DEP_1)
	v_and_b32_e32 v7, v3, v31
	v_cmp_eq_u64_e32 vcc_lo, v[6:7], v[26:27]
	s_and_b32 exec_lo, exec_lo, vcc_lo
	s_cbranch_execz .LBB43_314
; %bb.318:                              ;   in Loop: Header=BB43_316 Depth=2
	v_mov_b32_e32 v3, v23
	ds_store_b128 v23, v[2:5] offset:3072
	s_branch .LBB43_314
.LBB43_319:                             ;   in Loop: Header=BB43_316 Depth=2
	v_dual_add_nc_u32 v10, s33, v10 :: v_dual_add_nc_u32 v9, s75, v9
	s_mov_b32 s91, 0
	s_delay_alu instid0(VALU_DEP_1)
	v_cmp_le_u32_e32 vcc_lo, s51, v10
	s_or_not1_b32 s90, vcc_lo, exec_lo
	s_branch .LBB43_315
.LBB43_320:                             ;   in Loop: Header=BB43_6 Depth=1
	s_or_b32 exec_lo, exec_lo, s40
	s_delay_alu instid0(SALU_CYCLE_1)
	s_and_b32 s40, s89, exec_lo
.LBB43_321:                             ;   in Loop: Header=BB43_6 Depth=1
	s_or_b32 exec_lo, exec_lo, s50
.LBB43_322:                             ;   in Loop: Header=BB43_6 Depth=1
	s_delay_alu instid0(SALU_CYCLE_1)
	s_and_b32 vcc_lo, exec_lo, s49
	s_cbranch_vccz .LBB43_333
; %bb.323:                              ;   in Loop: Header=BB43_6 Depth=1
                                        ; implicit-def: $vgpr6_vgpr7
	s_and_saveexec_b32 s26, s9
	s_cbranch_execz .LBB43_332
; %bb.324:                              ;   in Loop: Header=BB43_6 Depth=1
	v_dual_mov_b32 v9, v20 :: v_dual_mov_b32 v10, v0
	s_mov_b32 s27, 0
                                        ; implicit-def: $sgpr48
	s_branch .LBB43_327
.LBB43_325:                             ;   in Loop: Header=BB43_327 Depth=2
	s_or_b32 exec_lo, exec_lo, s49
	s_wait_dscnt 0x0
	s_barrier_signal -1
	s_barrier_wait -1
	ds_load_b128 v[4:7], v23 offset:3072
	s_mov_b32 s49, -1
	s_mov_b32 s50, -1
	s_wait_dscnt 0x0
	s_barrier_signal -1
	s_barrier_wait -1
	v_cmp_eq_u64_e32 vcc_lo, 0, v[4:5]
	s_cbranch_vccnz .LBB43_330
.LBB43_326:                             ;   in Loop: Header=BB43_327 Depth=2
	s_and_b32 s49, exec_lo, s49
	s_delay_alu instid0(SALU_CYCLE_1) | instskip(SKIP_2) | instid1(SALU_CYCLE_1)
	s_or_b32 s27, s49, s27
	s_and_not1_b32 s48, s48, exec_lo
	s_and_b32 s49, s50, exec_lo
	s_or_b32 s48, s48, s49
	s_and_not1_b32 exec_lo, exec_lo, s27
	s_cbranch_execz .LBB43_331
.LBB43_327:                             ;   Parent Loop BB43_6 Depth=1
                                        ; =>  This Inner Loop Header: Depth=2
	s_mov_b32 s49, exec_lo
	s_delay_alu instid0(VALU_DEP_1)
	v_cmpx_gt_u32_e64 s36, v10
	s_cbranch_execz .LBB43_325
; %bb.328:                              ;   in Loop: Header=BB43_327 Depth=2
	global_load_b64 v[4:5], v9, s[30:31] scale_offset
	s_wait_loadcnt 0x0
	v_xor_b32_e32 v3, 0x80000000, v5
	v_and_b32_e32 v6, v4, v30
	s_delay_alu instid0(VALU_DEP_2) | instskip(NEXT) | instid1(VALU_DEP_1)
	v_and_b32_e32 v7, v3, v31
	v_cmp_eq_u64_e32 vcc_lo, v[6:7], v[26:27]
	s_and_b32 exec_lo, exec_lo, vcc_lo
	s_cbranch_execz .LBB43_325
; %bb.329:                              ;   in Loop: Header=BB43_327 Depth=2
	v_mov_b32_e32 v3, v23
	ds_store_b128 v23, v[2:5] offset:3072
	s_branch .LBB43_325
.LBB43_330:                             ;   in Loop: Header=BB43_327 Depth=2
	v_dual_add_nc_u32 v10, s33, v10 :: v_dual_add_nc_u32 v9, s53, v9
	s_mov_b32 s50, 0
	s_delay_alu instid0(VALU_DEP_1)
	v_cmp_le_u32_e32 vcc_lo, s72, v10
	s_or_not1_b32 s49, vcc_lo, exec_lo
	s_branch .LBB43_326
.LBB43_331:                             ;   in Loop: Header=BB43_6 Depth=1
	s_or_b32 exec_lo, exec_lo, s27
	s_delay_alu instid0(SALU_CYCLE_1) | instskip(SKIP_1) | instid1(SALU_CYCLE_1)
	s_and_not1_b32 s27, s40, exec_lo
	s_and_b32 s40, s48, exec_lo
	s_or_b32 s40, s27, s40
.LBB43_332:                             ;   in Loop: Header=BB43_6 Depth=1
	s_or_b32 exec_lo, exec_lo, s26
	s_mov_b32 s26, 0
	s_mov_b32 s27, -1
.LBB43_333:                             ;   in Loop: Header=BB43_6 Depth=1
	s_or_not1_b32 s40, s40, exec_lo
.LBB43_334:                             ;   in Loop: Header=BB43_6 Depth=1
	s_or_b32 exec_lo, exec_lo, s28
	s_mov_b32 s48, 0
	s_and_saveexec_b32 s28, s40
	s_cbranch_execz .LBB43_384
; %bb.335:                              ;   in Loop: Header=BB43_6 Depth=1
	v_dual_mov_b32 v9, 1 :: v_dual_mov_b32 v22, 1
	s_xor_b32 s48, s29, -1
	s_mov_b32 s40, 0
	s_and_saveexec_b32 s29, s48
	s_cbranch_execz .LBB43_344
; %bb.336:                              ;   in Loop: Header=BB43_6 Depth=1
	s_mov_b32 s40, exec_lo
	v_cmpx_ge_u32_e64 s18, v8
	s_xor_b32 s40, exec_lo, s40
	s_cbranch_execz .LBB43_341
; %bb.337:                              ;   in Loop: Header=BB43_6 Depth=1
	ds_load_b32 v3, v23 offset:4096
	v_and_b32_e32 v4, s15, v27
	v_and_b32_e32 v5, s14, v26
	s_lshl_b64 s[48:49], 1, s76
	v_or_b32_e32 v31, s13, v31
	v_or_b32_e32 v30, s12, v30
	;; [unrolled: 1-line block ×4, first 2 shown]
	s_wait_dscnt 0x0
	v_cmp_ne_u32_e32 vcc_lo, 0, v3
	s_cbranch_vccnz .LBB43_341
; %bb.338:                              ;   in Loop: Header=BB43_6 Depth=1
	s_and_saveexec_b32 s48, s5
; %bb.339:                              ;   in Loop: Header=BB43_6 Depth=1
	v_mov_b32_e32 v3, s18
	ds_store_b32 v23, v3 offset:4100
; %bb.340:                              ;   in Loop: Header=BB43_6 Depth=1
	s_or_b32 exec_lo, exec_lo, s48
	s_wait_dscnt 0x0
	s_barrier_signal -1
	s_barrier_wait -1
.LBB43_341:                             ;   in Loop: Header=BB43_6 Depth=1
	s_or_saveexec_b32 s40, s40
	v_mov_b32_e32 v22, 5
	s_mov_b32 s48, 0
	s_xor_b32 exec_lo, exec_lo, s40
; %bb.342:                              ;   in Loop: Header=BB43_6 Depth=1
	v_subrev_nc_u32_e32 v8, s18, v8
	v_mov_b32_e32 v22, 0
	s_mov_b32 s48, exec_lo
; %bb.343:                              ;   in Loop: Header=BB43_6 Depth=1
	s_or_b32 exec_lo, exec_lo, s40
	s_delay_alu instid0(VALU_DEP_2)
	v_mov_b32_e32 v9, v8
	s_and_b32 s40, s48, exec_lo
.LBB43_344:                             ;   in Loop: Header=BB43_6 Depth=1
	s_or_b32 exec_lo, exec_lo, s29
	s_mov_b32 s29, -1
                                        ; implicit-def: $sgpr49
                                        ; implicit-def: $sgpr48
	s_and_saveexec_b32 s18, s40
	s_cbranch_execz .LBB43_383
; %bb.345:                              ;   in Loop: Header=BB43_6 Depth=1
	v_cmp_eq_u32_e32 vcc_lo, 1, v9
	s_cmp_eq_u32 s17, 1
	s_mov_b32 s51, -1
	s_cselect_b32 s29, -1, 0
                                        ; implicit-def: $sgpr49
                                        ; implicit-def: $sgpr48
	s_delay_alu instid0(SALU_CYCLE_1) | instskip(NEXT) | instid1(SALU_CYCLE_1)
	s_and_b32 s29, s29, vcc_lo
	s_and_saveexec_b32 s50, s29
	s_cbranch_execz .LBB43_371
; %bb.346:                              ;   in Loop: Header=BB43_6 Depth=1
	ds_load_b32 v3, v23 offset:4096
	s_wait_dscnt 0x0
	s_barrier_signal -1
	s_barrier_wait -1
	v_readfirstlane_b32 s51, v3
	s_and_saveexec_b32 s40, s6
; %bb.347:                              ;   in Loop: Header=BB43_6 Depth=1
	ds_store_b64 v32, v[28:29]
; %bb.348:                              ;   in Loop: Header=BB43_6 Depth=1
	s_or_b32 exec_lo, exec_lo, s40
	v_and_b32_e32 v27, s15, v27
	v_and_b32_e32 v26, s14, v26
	v_or_b32_e32 v31, s13, v31
	v_or_b32_e32 v30, s12, v30
	s_mov_b32 s48, -1
	s_mov_b32 s49, 0
	s_cmp_eq_u32 s51, 0
	s_mov_b32 s40, 0
	s_mov_b32 s89, -1
	s_wait_dscnt 0x0
	s_barrier_signal -1
	s_barrier_wait -1
                                        ; implicit-def: $vgpr6_vgpr7
	s_cbranch_scc1 .LBB43_359
; %bb.349:                              ;   in Loop: Header=BB43_6 Depth=1
	s_add_co_i32 s40, s51, s62
                                        ; implicit-def: $vgpr6_vgpr7
	s_delay_alu instid0(SALU_CYCLE_1) | instskip(NEXT) | instid1(SALU_CYCLE_1)
	s_mul_u64 s[90:91], s[40:41], s[44:45]
	s_mul_i32 s89, s91, s33
	s_delay_alu instid0(SALU_CYCLE_1) | instskip(NEXT) | instid1(SALU_CYCLE_1)
	s_sub_co_i32 s89, s40, s89
	s_sub_co_i32 s90, s89, s33
	s_cmp_ge_u32 s89, s33
	s_cselect_b32 s89, s90, s89
	s_delay_alu instid0(SALU_CYCLE_1)
	s_sub_co_i32 s90, s89, s33
	s_cmp_ge_u32 s89, s33
	s_cselect_b32 s89, s90, s89
	s_mov_b32 s90, exec_lo
	s_sub_co_i32 s91, s40, s89
	s_mov_b32 s89, 0
	s_mov_b32 s40, 0
	v_cmpx_gt_u32_e64 s91, v0
	s_cbranch_execz .LBB43_358
; %bb.350:                              ;   in Loop: Header=BB43_6 Depth=1
	v_dual_mov_b32 v8, v21 :: v_dual_mov_b32 v10, v0
                                        ; implicit-def: $sgpr92
	s_branch .LBB43_353
.LBB43_351:                             ;   in Loop: Header=BB43_353 Depth=2
	s_or_b32 exec_lo, exec_lo, s93
	s_wait_dscnt 0x0
	s_barrier_signal -1
	s_barrier_wait -1
	ds_load_b128 v[4:7], v23 offset:3072
	s_mov_b32 s93, -1
	s_mov_b32 s94, -1
	s_wait_dscnt 0x0
	s_barrier_signal -1
	s_barrier_wait -1
	v_cmp_ne_u64_e32 vcc_lo, 0, v[4:5]
	s_cbranch_vccz .LBB43_356
.LBB43_352:                             ;   in Loop: Header=BB43_353 Depth=2
	s_and_b32 s93, exec_lo, s93
	s_delay_alu instid0(SALU_CYCLE_1) | instskip(SKIP_2) | instid1(SALU_CYCLE_1)
	s_or_b32 s40, s93, s40
	s_and_not1_b32 s92, s92, exec_lo
	s_and_b32 s93, s94, exec_lo
	s_or_b32 s92, s92, s93
	s_and_not1_b32 exec_lo, exec_lo, s40
	s_cbranch_execz .LBB43_357
.LBB43_353:                             ;   Parent Loop BB43_6 Depth=1
                                        ; =>  This Inner Loop Header: Depth=2
	s_mov_b32 s93, exec_lo
	s_delay_alu instid0(VALU_DEP_1)
	v_cmpx_gt_u32_e64 s51, v10
	s_cbranch_execz .LBB43_351
; %bb.354:                              ;   in Loop: Header=BB43_353 Depth=2
	ds_load_b64 v[4:5], v8
	s_wait_dscnt 0x0
	v_xor_b32_e32 v3, 0x80000000, v5
	v_and_b32_e32 v6, v4, v30
	s_delay_alu instid0(VALU_DEP_2) | instskip(NEXT) | instid1(VALU_DEP_1)
	v_and_b32_e32 v7, v3, v31
	v_cmp_eq_u64_e32 vcc_lo, v[6:7], v[26:27]
	s_and_b32 exec_lo, exec_lo, vcc_lo
	s_cbranch_execz .LBB43_351
; %bb.355:                              ;   in Loop: Header=BB43_353 Depth=2
	v_mov_b32_e32 v3, v23
	ds_store_b128 v23, v[2:5] offset:3072
	s_branch .LBB43_351
.LBB43_356:                             ;   in Loop: Header=BB43_353 Depth=2
	v_dual_add_nc_u32 v10, s33, v10 :: v_dual_add_nc_u32 v8, s75, v8
	s_mov_b32 s94, 0
	s_delay_alu instid0(VALU_DEP_1)
	v_cmp_le_u32_e32 vcc_lo, s91, v10
	s_or_not1_b32 s93, vcc_lo, exec_lo
	s_branch .LBB43_352
.LBB43_357:                             ;   in Loop: Header=BB43_6 Depth=1
	s_or_b32 exec_lo, exec_lo, s40
	s_delay_alu instid0(SALU_CYCLE_1)
	s_and_b32 s40, s92, exec_lo
.LBB43_358:                             ;   in Loop: Header=BB43_6 Depth=1
	s_or_b32 exec_lo, exec_lo, s90
.LBB43_359:                             ;   in Loop: Header=BB43_6 Depth=1
	s_delay_alu instid0(SALU_CYCLE_1)
	s_and_b32 vcc_lo, exec_lo, s89
	s_cbranch_vccz .LBB43_370
; %bb.360:                              ;   in Loop: Header=BB43_6 Depth=1
                                        ; implicit-def: $vgpr6_vgpr7
	s_and_saveexec_b32 s48, s9
	s_cbranch_execz .LBB43_369
; %bb.361:                              ;   in Loop: Header=BB43_6 Depth=1
	v_dual_mov_b32 v8, v20 :: v_dual_mov_b32 v10, v0
	s_mov_b32 s49, 0
                                        ; implicit-def: $sgpr51
	s_branch .LBB43_364
.LBB43_362:                             ;   in Loop: Header=BB43_364 Depth=2
	s_or_b32 exec_lo, exec_lo, s89
	s_wait_dscnt 0x0
	s_barrier_signal -1
	s_barrier_wait -1
	ds_load_b128 v[4:7], v23 offset:3072
	s_mov_b32 s89, -1
	s_mov_b32 s90, -1
	s_wait_dscnt 0x0
	s_barrier_signal -1
	s_barrier_wait -1
	v_cmp_eq_u64_e32 vcc_lo, 0, v[4:5]
	s_cbranch_vccnz .LBB43_367
.LBB43_363:                             ;   in Loop: Header=BB43_364 Depth=2
	s_and_b32 s89, exec_lo, s89
	s_delay_alu instid0(SALU_CYCLE_1) | instskip(SKIP_2) | instid1(SALU_CYCLE_1)
	s_or_b32 s49, s89, s49
	s_and_not1_b32 s51, s51, exec_lo
	s_and_b32 s89, s90, exec_lo
	s_or_b32 s51, s51, s89
	s_and_not1_b32 exec_lo, exec_lo, s49
	s_cbranch_execz .LBB43_368
.LBB43_364:                             ;   Parent Loop BB43_6 Depth=1
                                        ; =>  This Inner Loop Header: Depth=2
	s_mov_b32 s89, exec_lo
	s_delay_alu instid0(VALU_DEP_1)
	v_cmpx_gt_u32_e64 s36, v10
	s_cbranch_execz .LBB43_362
; %bb.365:                              ;   in Loop: Header=BB43_364 Depth=2
	global_load_b64 v[4:5], v8, s[30:31] scale_offset
	s_wait_loadcnt 0x0
	v_xor_b32_e32 v3, 0x80000000, v5
	v_and_b32_e32 v6, v4, v30
	s_delay_alu instid0(VALU_DEP_2) | instskip(NEXT) | instid1(VALU_DEP_1)
	v_and_b32_e32 v7, v3, v31
	v_cmp_eq_u64_e32 vcc_lo, v[6:7], v[26:27]
	s_and_b32 exec_lo, exec_lo, vcc_lo
	s_cbranch_execz .LBB43_362
; %bb.366:                              ;   in Loop: Header=BB43_364 Depth=2
	v_mov_b32_e32 v3, v23
	ds_store_b128 v23, v[2:5] offset:3072
	s_branch .LBB43_362
.LBB43_367:                             ;   in Loop: Header=BB43_364 Depth=2
	v_dual_add_nc_u32 v10, s33, v10 :: v_dual_add_nc_u32 v8, s53, v8
	s_mov_b32 s90, 0
	s_delay_alu instid0(VALU_DEP_1)
	v_cmp_le_u32_e32 vcc_lo, s72, v10
	s_or_not1_b32 s89, vcc_lo, exec_lo
	s_branch .LBB43_363
.LBB43_368:                             ;   in Loop: Header=BB43_6 Depth=1
	s_or_b32 exec_lo, exec_lo, s49
	s_delay_alu instid0(SALU_CYCLE_1) | instskip(SKIP_1) | instid1(SALU_CYCLE_1)
	s_and_not1_b32 s40, s40, exec_lo
	s_and_b32 s49, s51, exec_lo
	s_or_b32 s40, s40, s49
.LBB43_369:                             ;   in Loop: Header=BB43_6 Depth=1
	s_or_b32 exec_lo, exec_lo, s48
	s_mov_b32 s48, 0
	s_mov_b32 s49, -1
.LBB43_370:                             ;   in Loop: Header=BB43_6 Depth=1
	s_or_not1_b32 s51, s40, exec_lo
.LBB43_371:                             ;   in Loop: Header=BB43_6 Depth=1
	s_or_b32 exec_lo, exec_lo, s50
	s_mov_b32 s50, 0
	s_and_saveexec_b32 s40, s51
	s_cbranch_execz .LBB43_382
; %bb.372:                              ;   in Loop: Header=BB43_6 Depth=1
	v_dual_mov_b32 v22, 1 :: v_dual_mov_b32 v3, 1
	s_xor_b32 s50, s29, -1
	s_delay_alu instid0(SALU_CYCLE_1)
	s_and_saveexec_b32 s29, s50
	s_cbranch_execz .LBB43_381
; %bb.373:                              ;   in Loop: Header=BB43_6 Depth=1
	s_mov_b32 s50, exec_lo
	v_cmpx_ge_u32_e64 s17, v9
	s_xor_b32 s50, exec_lo, s50
	s_cbranch_execz .LBB43_378
; %bb.374:                              ;   in Loop: Header=BB43_6 Depth=1
	ds_load_b32 v3, v23 offset:4096
	v_and_b32_e32 v27, s15, v27
	v_and_b32_e32 v26, s14, v26
	v_or_b32_e32 v31, s13, v31
	v_or_b32_e32 v30, s12, v30
	s_wait_dscnt 0x0
	v_cmp_ne_u32_e32 vcc_lo, 0, v3
	s_cbranch_vccnz .LBB43_378
; %bb.375:                              ;   in Loop: Header=BB43_6 Depth=1
	s_and_saveexec_b32 s12, s5
; %bb.376:                              ;   in Loop: Header=BB43_6 Depth=1
	v_mov_b32_e32 v3, s17
	ds_store_b32 v23, v3 offset:4100
; %bb.377:                              ;   in Loop: Header=BB43_6 Depth=1
	s_or_b32 exec_lo, exec_lo, s12
	s_wait_dscnt 0x0
	s_barrier_signal -1
	s_barrier_wait -1
.LBB43_378:                             ;   in Loop: Header=BB43_6 Depth=1
	s_and_not1_saveexec_b32 s12, s50
; %bb.379:                              ;   in Loop: Header=BB43_6 Depth=1
	v_subrev_nc_u32_e32 v9, s17, v9
; %bb.380:                              ;   in Loop: Header=BB43_6 Depth=1
	s_or_b32 exec_lo, exec_lo, s12
	s_delay_alu instid0(VALU_DEP_1)
	v_dual_mov_b32 v22, 5 :: v_dual_mov_b32 v3, v9
.LBB43_381:                             ;   in Loop: Header=BB43_6 Depth=1
	s_or_b32 exec_lo, exec_lo, s29
	s_delay_alu instid0(VALU_DEP_1)
	v_mov_b32_e32 v9, v3
	s_mov_b32 s50, exec_lo
.LBB43_382:                             ;   in Loop: Header=BB43_6 Depth=1
	s_or_b32 exec_lo, exec_lo, s40
	s_delay_alu instid0(SALU_CYCLE_1)
	s_or_not1_b32 s29, s50, exec_lo
.LBB43_383:                             ;   in Loop: Header=BB43_6 Depth=1
	s_or_b32 exec_lo, exec_lo, s18
	v_mov_b32_e32 v8, v9
	s_and_not1_b32 s12, s27, exec_lo
	s_and_b32 s13, s49, exec_lo
	s_and_not1_b32 s14, s26, exec_lo
	s_and_b32 s15, s48, exec_lo
	s_or_b32 s27, s12, s13
	s_or_b32 s26, s14, s15
	s_and_b32 s48, s29, exec_lo
.LBB43_384:                             ;   in Loop: Header=BB43_6 Depth=1
	s_or_b32 exec_lo, exec_lo, s28
	s_delay_alu instid0(SALU_CYCLE_1)
	s_or_not1_b32 s28, s48, exec_lo
.LBB43_385:                             ;   in Loop: Header=BB43_6 Depth=1
	s_or_b32 exec_lo, exec_lo, s19
	v_mov_b32_e32 v43, v8
	s_and_not1_b32 s12, s23, exec_lo
	s_and_b32 s13, s27, exec_lo
	s_and_not1_b32 s14, s20, exec_lo
	s_and_b32 s15, s26, exec_lo
	s_or_b32 s23, s12, s13
	s_or_b32 s20, s14, s15
	s_and_b32 s28, s28, exec_lo
.LBB43_386:                             ;   in Loop: Header=BB43_6 Depth=1
	s_or_b32 exec_lo, exec_lo, s25
	s_delay_alu instid0(SALU_CYCLE_1)
	s_or_not1_b32 s25, s28, exec_lo
.LBB43_387:                             ;   in Loop: Header=BB43_6 Depth=1
	s_or_b32 exec_lo, exec_lo, s10
	s_mov_b32 s10, s21
	s_mov_b32 s12, s11
	s_and_saveexec_b32 s13, s25
; %bb.388:                              ;   in Loop: Header=BB43_6 Depth=1
	v_cmp_ne_u32_e32 vcc_lo, 5, v22
	v_cmp_eq_u32_e64 s10, 5, v22
	s_and_not1_b32 s12, s11, exec_lo
	s_and_not1_b32 s14, s21, exec_lo
	s_and_b32 s15, vcc_lo, exec_lo
	s_and_b32 s10, s10, exec_lo
	s_or_b32 s12, s12, s15
	s_or_b32 s10, s14, s10
; %bb.389:                              ;   in Loop: Header=BB43_6 Depth=1
	s_or_b32 exec_lo, exec_lo, s13
	s_delay_alu instid0(SALU_CYCLE_1)
	s_and_not1_b32 s13, s24, exec_lo
	s_and_b32 s14, s23, exec_lo
	s_and_not1_b32 s15, s16, exec_lo
	s_and_b32 s16, s20, exec_lo
	s_or_b32 s24, s13, s14
	s_and_not1_b32 s11, s11, exec_lo
	s_and_b32 s12, s12, exec_lo
	s_and_not1_b32 s13, s21, exec_lo
	s_and_b32 s10, s10, exec_lo
	s_or_b32 s16, s15, s16
	s_or_b32 s11, s11, s12
	;; [unrolled: 1-line block ×3, first 2 shown]
.LBB43_390:                             ;   in Loop: Header=BB43_6 Depth=1
	s_or_b32 exec_lo, exec_lo, s22
	s_mov_b32 s22, 0
	s_mov_b32 s23, 0
	s_and_saveexec_b32 s10, s21
.LBB43_391:                             ;   in Loop: Header=BB43_6 Depth=1
	v_mov_b32_e32 v22, 0
	s_or_b32 s11, s11, exec_lo
.LBB43_392:                             ;   in Loop: Header=BB43_6 Depth=1
	s_or_b32 exec_lo, exec_lo, s10
	s_delay_alu instid0(SALU_CYCLE_1)
	s_and_not1_b32 s10, s86, exec_lo
	s_and_b32 s13, s24, exec_lo
	s_and_not1_b32 s14, s84, exec_lo
	s_and_b32 s15, s16, exec_lo
	v_mov_b32_e32 v42, v43
	s_or_b32 s86, s10, s13
	s_or_b32 s84, s14, s15
	s_and_not1_b32 s10, s88, exec_lo
	s_and_b32 s13, s23, exec_lo
	s_and_not1_b32 s14, s87, exec_lo
	s_and_b32 s15, s22, exec_lo
	s_mov_b32 s12, -1
	s_and_not1_b32 s85, s85, exec_lo
	s_or_b32 s88, s10, s13
	s_or_b32 s87, s14, s15
	s_and_saveexec_b32 s10, s11
	s_delay_alu instid0(SALU_CYCLE_1)
	s_xor_b32 s10, exec_lo, s10
	s_cbranch_execz .LBB43_5
; %bb.393:                              ;   in Loop: Header=BB43_6 Depth=1
	s_mov_b32 s11, -1
	s_mov_b32 s13, exec_lo
	v_cmpx_eq_u32_e32 0, v22
	s_cbranch_execz .LBB43_4
; %bb.394:                              ;   in Loop: Header=BB43_6 Depth=1
	s_xor_b32 s79, s79, 1
	s_add_co_i32 s14, s76, -2
	s_cmp_eq_u32 s76, 0
	s_mov_b32 s76, s14
	s_cselect_b32 s11, -1, 0
	s_xor_b32 s12, exec_lo, -1
	s_or_not1_b32 s11, s11, exec_lo
	s_branch .LBB43_4
.LBB43_395:
	s_or_b32 exec_lo, exec_lo, s77
	s_xor_b32 s7, s83, -1
	s_xor_b32 s9, s81, -1
	;; [unrolled: 1-line block ×5, first 2 shown]
	s_mov_b32 s8, 0
	s_and_saveexec_b32 s12, s11
	s_delay_alu instid0(SALU_CYCLE_1)
	s_xor_b32 s12, exec_lo, s12
	s_cbranch_execnz .LBB43_400
; %bb.396:
	s_wait_xcnt 0x0
	s_and_not1_saveexec_b32 s0, s12
	s_cbranch_execnz .LBB43_419
.LBB43_397:
	s_or_b32 exec_lo, exec_lo, s0
	s_and_saveexec_b32 s0, s8
.LBB43_398:
	; divergent unreachable
.LBB43_399:
	s_endpgm
.LBB43_400:
	s_and_saveexec_b32 s11, s10
	s_delay_alu instid0(SALU_CYCLE_1)
	s_xor_b32 s13, exec_lo, s11
	s_cbranch_execz .LBB43_417
; %bb.401:
	s_and_saveexec_b32 s10, s9
	s_delay_alu instid0(SALU_CYCLE_1)
	s_xor_b32 s14, exec_lo, s10
	s_cbranch_execz .LBB43_415
; %bb.402:
	;; [unrolled: 5-line block ×3, first 2 shown]
	s_and_saveexec_b32 s7, s6
	s_delay_alu instid0(SALU_CYCLE_1)
	s_xor_b32 s6, exec_lo, s7
; %bb.404:
	v_xor_b32_e32 v27, 0x80000000, v27
	s_delay_alu instid0(VALU_DEP_1)
	v_mov_b64_e32 v[6:7], v[26:27]
; %bb.405:
	s_or_b32 exec_lo, exec_lo, s6
	s_and_saveexec_b32 s6, s5
; %bb.406:
	v_mov_b32_e32 v1, 0
	ds_store_b32 v1, v1 offset:4108
; %bb.407:
	s_or_b32 exec_lo, exec_lo, s6
	v_mov_b64_e32 v[2:3], 0
	s_wait_dscnt 0x0
	s_barrier_signal -1
	s_barrier_wait -1
	s_and_saveexec_b32 s5, s4
	s_cbranch_execz .LBB43_409
; %bb.408:
	global_load_b64 v[2:3], v[18:19], off
.LBB43_409:
	s_wait_xcnt 0x0
	s_or_b32 exec_lo, exec_lo, s5
	s_clause 0x1
	s_load_b32 s5, s[0:1], 0x1c8
	s_load_b32 s16, s[0:1], 0x2a8
	s_add_co_i32 s17, s36, 31
	s_mov_b32 s11, 0
	s_and_not1_b32 s17, s17, 31
	s_wait_kmcnt 0x0
	s_mul_i32 s10, s56, s54
	s_mul_i32 s0, s55, s54
	s_mov_b32 s1, s11
	v_cmp_gt_u32_e32 vcc_lo, s17, v0
	s_lshl_b64 s[6:7], s[10:11], 3
	s_lshl_b64 s[0:1], s[0:1], 3
	s_add_nc_u64 s[6:7], s[38:39], s[6:7]
	s_add_nc_u64 s[8:9], s[34:35], s[0:1]
	s_mov_b32 s0, -1
	s_mov_b32 s1, 0
	s_and_saveexec_b32 s10, vcc_lo
	s_cbranch_execnz .LBB43_420
; %bb.410:
	s_or_b32 exec_lo, exec_lo, s10
	s_and_saveexec_b32 s3, s0
	s_cbranch_execnz .LBB43_435
.LBB43_411:
	s_or_b32 exec_lo, exec_lo, s3
	s_and_saveexec_b32 s0, s1
	s_delay_alu instid0(SALU_CYCLE_1)
	s_xor_b32 s0, exec_lo, s0
	s_cbranch_execnz .LBB43_458
.LBB43_412:
	s_or_b32 exec_lo, exec_lo, s0
	s_delay_alu instid0(SALU_CYCLE_1)
	s_and_b32 s8, s11, exec_lo
.LBB43_413:
	s_wait_xcnt 0x0
	s_and_not1_saveexec_b32 s0, s15
	s_cbranch_execnz .LBB43_460
.LBB43_414:
	s_or_b32 exec_lo, exec_lo, s0
	s_delay_alu instid0(SALU_CYCLE_1)
	s_and_b32 s8, s8, exec_lo
.LBB43_415:
	s_wait_xcnt 0x0
	s_and_not1_saveexec_b32 s0, s14
	s_cbranch_execnz .LBB43_459
.LBB43_416:
	s_or_b32 exec_lo, exec_lo, s0
	s_delay_alu instid0(SALU_CYCLE_1)
	s_and_b32 s8, s8, exec_lo
.LBB43_417:
	s_wait_xcnt 0x0
	s_and_not1_saveexec_b32 s0, s13
	s_cbranch_execnz .LBB43_454
.LBB43_418:
	s_or_b32 exec_lo, exec_lo, s0
	s_delay_alu instid0(SALU_CYCLE_1)
	s_and_b32 s8, s8, exec_lo
	s_and_not1_saveexec_b32 s0, s12
	s_cbranch_execz .LBB43_397
.LBB43_419:
	s_or_b32 s8, s8, exec_lo
	s_trap 2
	s_or_b32 exec_lo, exec_lo, s0
	s_and_saveexec_b32 s0, s8
	s_cbranch_execnz .LBB43_398
	s_branch .LBB43_399
.LBB43_420:
	v_dual_mov_b32 v4, v6 :: v_dual_add_nc_u32 v1, s33, v0
	v_xor_b32_e32 v5, 0x80000000, v7
	v_dual_mov_b32 v9, 0 :: v_dual_mov_b32 v8, v0
	s_delay_alu instid0(VALU_DEP_3)
	v_mul_lo_u32 v1, s52, v1
	s_mov_b32 s18, 0
                                        ; implicit-def: $sgpr19
                                        ; implicit-def: $vgpr13
	s_branch .LBB43_422
.LBB43_421:                             ;   in Loop: Header=BB43_422 Depth=1
	s_or_b32 exec_lo, exec_lo, s21
	s_xor_b32 s0, s20, -1
	s_and_b32 s1, exec_lo, s1
	v_mov_b64_e32 v[2:3], v[10:11]
	s_or_b32 s18, s1, s18
	v_mov_b32_e32 v8, v12
	s_and_not1_b32 s1, s19, exec_lo
	s_and_b32 s0, s0, exec_lo
	s_delay_alu instid0(SALU_CYCLE_1)
	s_or_b32 s19, s1, s0
	s_and_not1_b32 exec_lo, exec_lo, s18
	s_cbranch_execz .LBB43_434
.LBB43_422:                             ; =>This Inner Loop Header: Depth=1
	v_mov_b64_e32 v[10:11], 0
	v_add_nc_u32_e32 v12, s33, v8
	s_mov_b32 s1, exec_lo
	s_delay_alu instid0(VALU_DEP_1)
	v_cmpx_gt_u32_e64 s36, v12
	s_cbranch_execz .LBB43_424
; %bb.423:                              ;   in Loop: Header=BB43_422 Depth=1
	global_load_b64 v[10:11], v1, s[30:31] scale_offset
.LBB43_424:                             ;   in Loop: Header=BB43_422 Depth=1
	s_wait_xcnt 0x0
	s_or_b32 exec_lo, exec_lo, s1
	s_wait_loadcnt 0x0
	v_xor_b32_e32 v15, 0x80000000, v3
	v_mov_b32_e32 v14, v2
	s_delay_alu instid0(VALU_DEP_1) | instskip(NEXT) | instid1(VALU_DEP_1)
	v_cmp_gt_u64_e64 s0, v[14:15], v[4:5]
	v_cndmask_b32_e64 v17, 0, 1, s0
	v_cmp_lt_u64_e64 s0, v[14:15], v[4:5]
	s_delay_alu instid0(VALU_DEP_1) | instskip(SKIP_1) | instid1(VALU_DEP_2)
	v_cndmask_b32_e64 v14, 0, 1, s0
	v_cmp_gt_u32_e64 s0, s36, v8
	v_cndmask_b32_e64 v14, v14, v17, s3
	s_delay_alu instid0(VALU_DEP_1) | instskip(NEXT) | instid1(VALU_DEP_1)
	v_and_b32_e32 v14, 1, v14
	v_cmp_eq_u32_e64 s1, 1, v14
	s_and_b32 s20, s0, s1
	s_delay_alu instid0(SALU_CYCLE_1) | instskip(NEXT) | instid1(VALU_DEP_1)
	v_cndmask_b32_e64 v14, 0, 1, s20
	v_cmp_ne_u32_e64 s0, 0, v14
	s_cmp_lg_u32 s0, 0
	s_cselect_b32 s1, -1, 0
	s_delay_alu instid0(SALU_CYCLE_1) | instskip(NEXT) | instid1(SALU_CYCLE_1)
	s_and_b32 s1, s2, s1
	s_and_saveexec_b32 s21, s1
	s_cbranch_execz .LBB43_428
; %bb.425:                              ;   in Loop: Header=BB43_422 Depth=1
	s_mov_b32 s24, exec_lo
	s_bcnt1_i32_b32 s22, s0
	s_wait_dscnt 0x0
	v_mbcnt_lo_u32_b32 v13, s24, 0
	s_mov_b32 s23, exec_lo
                                        ; implicit-def: $vgpr14
	s_delay_alu instid0(VALU_DEP_1)
	v_cmpx_eq_u32_e32 0, v13
; %bb.426:                              ;   in Loop: Header=BB43_422 Depth=1
	s_bcnt1_i32_b32 s1, s24
	s_delay_alu instid0(SALU_CYCLE_1) | instskip(NEXT) | instid1(SALU_CYCLE_1)
	s_mul_i32 s1, s22, s1
	v_mov_b32_e32 v14, s1
	ds_add_rtn_u32 v14, v9, v14 offset:4108
; %bb.427:                              ;   in Loop: Header=BB43_422 Depth=1
	s_or_b32 exec_lo, exec_lo, s23
	s_wait_dscnt 0x0
	v_readfirstlane_b32 s1, v14
	s_delay_alu instid0(VALU_DEP_1)
	v_mad_u32_u24 v13, s22, v13, s1
.LBB43_428:                             ;   in Loop: Header=BB43_422 Depth=1
	s_or_b32 exec_lo, exec_lo, s21
	s_wait_dscnt 0x0
	ds_bpermute_b32 v13, v9, v13
	s_mov_b32 s1, -1
	s_mov_b32 s22, -1
	s_and_saveexec_b32 s21, s20
	s_cbranch_execz .LBB43_432
; %bb.429:                              ;   in Loop: Header=BB43_422 Depth=1
	v_and_b32_e32 v14, s0, v16
	s_mov_b32 s20, 0
	s_mov_b32 s22, exec_lo
	s_wait_dscnt 0x0
	s_delay_alu instid0(VALU_DEP_1) | instskip(NEXT) | instid1(VALU_DEP_1)
	v_bcnt_u32_b32 v14, v14, v13
	v_cmpx_gt_u32_e64 s37, v14
; %bb.430:                              ;   in Loop: Header=BB43_422 Depth=1
	v_mul_lo_u32 v15, v14, s5
	v_mul_lo_u32 v14, v14, s16
	s_mov_b32 s20, exec_lo
	global_store_b64 v15, v[2:3], s[6:7] scale_offset
	global_store_b64 v14, v[8:9], s[8:9] scale_offset
; %bb.431:                              ;   in Loop: Header=BB43_422 Depth=1
	s_wait_xcnt 0x0
	s_or_b32 exec_lo, exec_lo, s22
	s_delay_alu instid0(SALU_CYCLE_1)
	s_or_not1_b32 s22, s20, exec_lo
.LBB43_432:                             ;   in Loop: Header=BB43_422 Depth=1
	s_or_b32 exec_lo, exec_lo, s21
	s_mov_b32 s20, -1
	s_and_saveexec_b32 s21, s22
	s_cbranch_execz .LBB43_421
; %bb.433:                              ;   in Loop: Header=BB43_422 Depth=1
	v_cmp_le_u32_e64 s0, s17, v12
	v_add_nc_u32_e32 v1, s53, v1
	s_xor_b32 s20, exec_lo, -1
	s_or_not1_b32 s1, s0, exec_lo
	s_branch .LBB43_421
.LBB43_434:
	s_or_b32 exec_lo, exec_lo, s18
	s_delay_alu instid0(SALU_CYCLE_1)
	s_mov_b32 s1, exec_lo
	s_or_not1_b32 s0, s19, exec_lo
	s_or_b32 exec_lo, exec_lo, s10
	s_and_saveexec_b32 s3, s0
	s_cbranch_execz .LBB43_411
.LBB43_435:
	v_mov_b64_e32 v[4:5], 0
	s_wait_storecnt 0x0
	s_wait_loadcnt_dscnt 0x0
	s_barrier_signal -1
	s_barrier_wait -1
	s_and_saveexec_b32 s0, s4
	s_cbranch_execz .LBB43_437
; %bb.436:
	global_load_b64 v[4:5], v[18:19], off
.LBB43_437:
	s_wait_xcnt 0x0
	s_or_b32 exec_lo, exec_lo, s0
	s_mov_b32 s0, 0
	s_and_saveexec_b32 s4, vcc_lo
	s_cbranch_execz .LBB43_457
; %bb.438:
	v_add_nc_u32_e32 v1, s33, v0
	s_mov_b32 s10, 0
                                        ; implicit-def: $sgpr11
                                        ; implicit-def: $vgpr10
	s_delay_alu instid0(VALU_DEP_1)
	v_mul_lo_u32 v8, s52, v1
	v_mov_b32_e32 v1, 0
	s_branch .LBB43_441
.LBB43_439:                             ;   in Loop: Header=BB43_441 Depth=1
	s_or_b32 exec_lo, exec_lo, s20
	s_delay_alu instid0(SALU_CYCLE_1)
	s_or_not1_b32 s20, s18, exec_lo
	s_or_not1_b32 s19, s19, exec_lo
.LBB43_440:                             ;   in Loop: Header=BB43_441 Depth=1
	s_or_b32 exec_lo, exec_lo, s0
	s_xor_b32 s0, s20, -1
	s_and_b32 s18, exec_lo, s19
	v_mov_b64_e32 v[4:5], v[2:3]
	v_mov_b32_e32 v0, v9
	s_or_b32 s10, s18, s10
	s_and_not1_b32 s11, s11, exec_lo
	s_and_b32 s0, s0, exec_lo
	s_delay_alu instid0(SALU_CYCLE_1)
	s_or_b32 s11, s11, s0
	s_and_not1_b32 exec_lo, exec_lo, s10
	s_cbranch_execz .LBB43_455
.LBB43_441:                             ; =>This Inner Loop Header: Depth=1
	v_mov_b64_e32 v[2:3], 0
	v_add_nc_u32_e32 v9, s33, v0
	s_mov_b32 s0, exec_lo
	s_delay_alu instid0(VALU_DEP_1)
	v_cmpx_gt_u32_e64 s36, v9
	s_cbranch_execz .LBB43_443
; %bb.442:                              ;   in Loop: Header=BB43_441 Depth=1
	global_load_b64 v[2:3], v8, s[30:31] scale_offset
.LBB43_443:                             ;   in Loop: Header=BB43_441 Depth=1
	s_wait_xcnt 0x0
	s_or_b32 exec_lo, exec_lo, s0
	s_wait_loadcnt 0x0
	v_cmp_eq_u64_e32 vcc_lo, v[4:5], v[6:7]
	v_cmp_gt_u32_e64 s0, s36, v0
	s_and_b32 s18, s0, vcc_lo
	s_delay_alu instid0(SALU_CYCLE_1) | instskip(NEXT) | instid1(VALU_DEP_1)
	v_cndmask_b32_e64 v4, 0, 1, s18
	v_cmp_ne_u32_e32 vcc_lo, 0, v4
	s_cmp_lg_u32 vcc_lo, 0
	s_cselect_b32 s0, -1, 0
	s_delay_alu instid0(SALU_CYCLE_1) | instskip(NEXT) | instid1(SALU_CYCLE_1)
	s_and_b32 s0, s2, s0
	s_and_saveexec_b32 s19, s0
	s_cbranch_execz .LBB43_447
; %bb.444:                              ;   in Loop: Header=BB43_441 Depth=1
	s_mov_b32 s22, exec_lo
	s_bcnt1_i32_b32 s20, vcc_lo
	v_mbcnt_lo_u32_b32 v4, s22, 0
	s_mov_b32 s21, exec_lo
                                        ; implicit-def: $vgpr5
	s_delay_alu instid0(VALU_DEP_1)
	v_cmpx_eq_u32_e32 0, v4
; %bb.445:                              ;   in Loop: Header=BB43_441 Depth=1
	s_bcnt1_i32_b32 s0, s22
	s_delay_alu instid0(SALU_CYCLE_1) | instskip(NEXT) | instid1(SALU_CYCLE_1)
	s_mul_i32 s0, s20, s0
	v_mov_b32_e32 v5, s0
	ds_add_rtn_u32 v5, v1, v5 offset:4108
; %bb.446:                              ;   in Loop: Header=BB43_441 Depth=1
	s_or_b32 exec_lo, exec_lo, s21
	s_wait_dscnt 0x0
	v_readfirstlane_b32 s0, v5
	s_delay_alu instid0(VALU_DEP_1)
	v_mad_u32_u24 v10, s20, v4, s0
.LBB43_447:                             ;   in Loop: Header=BB43_441 Depth=1
	s_or_b32 exec_lo, exec_lo, s19
	ds_bpermute_b32 v10, v1, v10
	s_cmp_eq_u32 vcc_lo, 0
	s_mov_b32 s19, -1
	s_cselect_b32 s20, -1, 0
	s_wait_dscnt 0x0
	v_cmp_gt_u32_e64 s0, s37, v10
	s_or_b32 s21, s20, s0
	s_mov_b32 s20, -1
	s_and_saveexec_b32 s0, s21
	s_cbranch_execz .LBB43_440
; %bb.448:                              ;   in Loop: Header=BB43_441 Depth=1
	v_dual_sub_nc_u32 v5, s37, v10 :: v_dual_bitop2_b32 v4, vcc_lo, v16 bitop3:0x40
	s_mov_b32 s21, -1
	s_delay_alu instid0(VALU_DEP_1) | instskip(NEXT) | instid1(VALU_DEP_1)
	v_bcnt_u32_b32 v4, v4, 0
	v_bcnt_u32_b32 v4, 0, v4
	s_delay_alu instid0(VALU_DEP_1)
	v_cmp_gt_u32_e32 vcc_lo, v5, v4
	s_and_b32 s22, s18, vcc_lo
	s_mov_b32 s18, -1
	s_and_saveexec_b32 s20, s22
	s_cbranch_execz .LBB43_452
; %bb.449:                              ;   in Loop: Header=BB43_441 Depth=1
	v_add_nc_u32_e32 v4, v10, v4
	s_mov_b32 s21, 0
	s_mov_b32 s18, exec_lo
	s_delay_alu instid0(VALU_DEP_1)
	v_cmpx_gt_u32_e64 s37, v4
; %bb.450:                              ;   in Loop: Header=BB43_441 Depth=1
	v_mul_lo_u32 v5, v4, s5
	v_mul_lo_u32 v4, v4, s16
	s_mov_b32 s21, exec_lo
	global_store_b64 v5, v[6:7], s[6:7] scale_offset
	global_store_b64 v4, v[0:1], s[8:9] scale_offset
; %bb.451:                              ;   in Loop: Header=BB43_441 Depth=1
	s_wait_xcnt 0x0
	s_or_b32 exec_lo, exec_lo, s18
	s_delay_alu instid0(SALU_CYCLE_1)
	s_xor_b32 s18, exec_lo, -1
	s_or_not1_b32 s21, s21, exec_lo
.LBB43_452:                             ;   in Loop: Header=BB43_441 Depth=1
	s_or_b32 exec_lo, exec_lo, s20
	s_and_saveexec_b32 s20, s21
	s_cbranch_execz .LBB43_439
; %bb.453:                              ;   in Loop: Header=BB43_441 Depth=1
	v_cmp_le_u32_e32 vcc_lo, s17, v9
	v_add_nc_u32_e32 v8, s53, v8
	s_or_b32 s18, s18, exec_lo
	s_or_not1_b32 s19, vcc_lo, exec_lo
	s_branch .LBB43_439
.LBB43_454:
	s_or_b32 s8, s8, exec_lo
	s_trap 2
	s_branch .LBB43_418
.LBB43_455:
	s_or_b32 exec_lo, exec_lo, s10
	s_mov_b32 s0, 0
	s_and_saveexec_b32 s2, s11
	s_delay_alu instid0(SALU_CYCLE_1)
	s_xor_b32 s2, exec_lo, s2
	s_cbranch_execnz .LBB43_461
.LBB43_456:
	s_or_b32 exec_lo, exec_lo, s2
	s_delay_alu instid0(SALU_CYCLE_1)
	s_and_b32 s0, s0, exec_lo
.LBB43_457:
	s_or_b32 exec_lo, exec_lo, s4
	s_delay_alu instid0(SALU_CYCLE_1) | instskip(SKIP_3) | instid1(SALU_CYCLE_1)
	s_and_b32 s11, s0, exec_lo
	s_and_not1_b32 s1, s1, exec_lo
	s_or_b32 exec_lo, exec_lo, s3
	s_and_saveexec_b32 s0, s1
	s_xor_b32 s0, exec_lo, s0
	s_cbranch_execz .LBB43_412
.LBB43_458:
	s_or_b32 s11, s11, exec_lo
	s_trap 2
	s_branch .LBB43_412
.LBB43_459:
	s_or_b32 s8, s8, exec_lo
	s_trap 2
	s_branch .LBB43_416
.LBB43_460:
	s_or_b32 s8, s8, exec_lo
	s_trap 2
	s_branch .LBB43_414
.LBB43_461:
	s_mov_b32 s0, exec_lo
	s_trap 2
	s_branch .LBB43_456
	.section	.rodata,"a",@progbits
	.p2align	6, 0x0
	.amdhsa_kernel _ZN2at6native6sbtopk10gatherTopKIljLi1ELb0EEEvNS_4cuda6detail10TensorInfoIKT_T0_EES8_S8_bS8_S8_NS5_IS6_S8_EES8_NS5_IlS8_EES8_PS6_
		.amdhsa_group_segment_fixed_size 4112
		.amdhsa_private_segment_fixed_size 0
		.amdhsa_kernarg_size 952
		.amdhsa_user_sgpr_count 2
		.amdhsa_user_sgpr_dispatch_ptr 0
		.amdhsa_user_sgpr_queue_ptr 0
		.amdhsa_user_sgpr_kernarg_segment_ptr 1
		.amdhsa_user_sgpr_dispatch_id 0
		.amdhsa_user_sgpr_kernarg_preload_length 0
		.amdhsa_user_sgpr_kernarg_preload_offset 0
		.amdhsa_user_sgpr_private_segment_size 0
		.amdhsa_wavefront_size32 1
		.amdhsa_uses_dynamic_stack 0
		.amdhsa_enable_private_segment 0
		.amdhsa_system_sgpr_workgroup_id_x 1
		.amdhsa_system_sgpr_workgroup_id_y 1
		.amdhsa_system_sgpr_workgroup_id_z 1
		.amdhsa_system_sgpr_workgroup_info 0
		.amdhsa_system_vgpr_workitem_id 0
		.amdhsa_next_free_vgpr 58
		.amdhsa_next_free_sgpr 99
		.amdhsa_named_barrier_count 0
		.amdhsa_reserve_vcc 1
		.amdhsa_float_round_mode_32 0
		.amdhsa_float_round_mode_16_64 0
		.amdhsa_float_denorm_mode_32 3
		.amdhsa_float_denorm_mode_16_64 3
		.amdhsa_fp16_overflow 0
		.amdhsa_memory_ordered 1
		.amdhsa_forward_progress 1
		.amdhsa_inst_pref_size 113
		.amdhsa_round_robin_scheduling 0
		.amdhsa_exception_fp_ieee_invalid_op 0
		.amdhsa_exception_fp_denorm_src 0
		.amdhsa_exception_fp_ieee_div_zero 0
		.amdhsa_exception_fp_ieee_overflow 0
		.amdhsa_exception_fp_ieee_underflow 0
		.amdhsa_exception_fp_ieee_inexact 0
		.amdhsa_exception_int_div_zero 0
	.end_amdhsa_kernel
	.section	.text._ZN2at6native6sbtopk10gatherTopKIljLi1ELb0EEEvNS_4cuda6detail10TensorInfoIKT_T0_EES8_S8_bS8_S8_NS5_IS6_S8_EES8_NS5_IlS8_EES8_PS6_,"axG",@progbits,_ZN2at6native6sbtopk10gatherTopKIljLi1ELb0EEEvNS_4cuda6detail10TensorInfoIKT_T0_EES8_S8_bS8_S8_NS5_IS6_S8_EES8_NS5_IlS8_EES8_PS6_,comdat
.Lfunc_end43:
	.size	_ZN2at6native6sbtopk10gatherTopKIljLi1ELb0EEEvNS_4cuda6detail10TensorInfoIKT_T0_EES8_S8_bS8_S8_NS5_IS6_S8_EES8_NS5_IlS8_EES8_PS6_, .Lfunc_end43-_ZN2at6native6sbtopk10gatherTopKIljLi1ELb0EEEvNS_4cuda6detail10TensorInfoIKT_T0_EES8_S8_bS8_S8_NS5_IS6_S8_EES8_NS5_IlS8_EES8_PS6_
                                        ; -- End function
	.set _ZN2at6native6sbtopk10gatherTopKIljLi1ELb0EEEvNS_4cuda6detail10TensorInfoIKT_T0_EES8_S8_bS8_S8_NS5_IS6_S8_EES8_NS5_IlS8_EES8_PS6_.num_vgpr, 58
	.set _ZN2at6native6sbtopk10gatherTopKIljLi1ELb0EEEvNS_4cuda6detail10TensorInfoIKT_T0_EES8_S8_bS8_S8_NS5_IS6_S8_EES8_NS5_IlS8_EES8_PS6_.num_agpr, 0
	.set _ZN2at6native6sbtopk10gatherTopKIljLi1ELb0EEEvNS_4cuda6detail10TensorInfoIKT_T0_EES8_S8_bS8_S8_NS5_IS6_S8_EES8_NS5_IlS8_EES8_PS6_.numbered_sgpr, 99
	.set _ZN2at6native6sbtopk10gatherTopKIljLi1ELb0EEEvNS_4cuda6detail10TensorInfoIKT_T0_EES8_S8_bS8_S8_NS5_IS6_S8_EES8_NS5_IlS8_EES8_PS6_.num_named_barrier, 0
	.set _ZN2at6native6sbtopk10gatherTopKIljLi1ELb0EEEvNS_4cuda6detail10TensorInfoIKT_T0_EES8_S8_bS8_S8_NS5_IS6_S8_EES8_NS5_IlS8_EES8_PS6_.private_seg_size, 0
	.set _ZN2at6native6sbtopk10gatherTopKIljLi1ELb0EEEvNS_4cuda6detail10TensorInfoIKT_T0_EES8_S8_bS8_S8_NS5_IS6_S8_EES8_NS5_IlS8_EES8_PS6_.uses_vcc, 1
	.set _ZN2at6native6sbtopk10gatherTopKIljLi1ELb0EEEvNS_4cuda6detail10TensorInfoIKT_T0_EES8_S8_bS8_S8_NS5_IS6_S8_EES8_NS5_IlS8_EES8_PS6_.uses_flat_scratch, 0
	.set _ZN2at6native6sbtopk10gatherTopKIljLi1ELb0EEEvNS_4cuda6detail10TensorInfoIKT_T0_EES8_S8_bS8_S8_NS5_IS6_S8_EES8_NS5_IlS8_EES8_PS6_.has_dyn_sized_stack, 0
	.set _ZN2at6native6sbtopk10gatherTopKIljLi1ELb0EEEvNS_4cuda6detail10TensorInfoIKT_T0_EES8_S8_bS8_S8_NS5_IS6_S8_EES8_NS5_IlS8_EES8_PS6_.has_recursion, 0
	.set _ZN2at6native6sbtopk10gatherTopKIljLi1ELb0EEEvNS_4cuda6detail10TensorInfoIKT_T0_EES8_S8_bS8_S8_NS5_IS6_S8_EES8_NS5_IlS8_EES8_PS6_.has_indirect_call, 0
	.section	.AMDGPU.csdata,"",@progbits
; Kernel info:
; codeLenInByte = 14460
; TotalNumSgprs: 101
; NumVgprs: 58
; ScratchSize: 0
; MemoryBound: 0
; FloatMode: 240
; IeeeMode: 1
; LDSByteSize: 4112 bytes/workgroup (compile time only)
; SGPRBlocks: 0
; VGPRBlocks: 3
; NumSGPRsForWavesPerEU: 101
; NumVGPRsForWavesPerEU: 58
; NamedBarCnt: 0
; Occupancy: 16
; WaveLimiterHint : 1
; COMPUTE_PGM_RSRC2:SCRATCH_EN: 0
; COMPUTE_PGM_RSRC2:USER_SGPR: 2
; COMPUTE_PGM_RSRC2:TRAP_HANDLER: 0
; COMPUTE_PGM_RSRC2:TGID_X_EN: 1
; COMPUTE_PGM_RSRC2:TGID_Y_EN: 1
; COMPUTE_PGM_RSRC2:TGID_Z_EN: 1
; COMPUTE_PGM_RSRC2:TIDIG_COMP_CNT: 0
	.section	.text._ZN2at6native6mbtopk23computeBlockDigitCountsIljmLi2EEEvNS_4cuda6detail10TensorInfoIKT_T0_EEjPjjS8_iijT1_PSB_Ps,"axG",@progbits,_ZN2at6native6mbtopk23computeBlockDigitCountsIljmLi2EEEvNS_4cuda6detail10TensorInfoIKT_T0_EEjPjjS8_iijT1_PSB_Ps,comdat
	.protected	_ZN2at6native6mbtopk23computeBlockDigitCountsIljmLi2EEEvNS_4cuda6detail10TensorInfoIKT_T0_EEjPjjS8_iijT1_PSB_Ps ; -- Begin function _ZN2at6native6mbtopk23computeBlockDigitCountsIljmLi2EEEvNS_4cuda6detail10TensorInfoIKT_T0_EEjPjjS8_iijT1_PSB_Ps
	.globl	_ZN2at6native6mbtopk23computeBlockDigitCountsIljmLi2EEEvNS_4cuda6detail10TensorInfoIKT_T0_EEjPjjS8_iijT1_PSB_Ps
	.p2align	8
	.type	_ZN2at6native6mbtopk23computeBlockDigitCountsIljmLi2EEEvNS_4cuda6detail10TensorInfoIKT_T0_EEjPjjS8_iijT1_PSB_Ps,@function
_ZN2at6native6mbtopk23computeBlockDigitCountsIljmLi2EEEvNS_4cuda6detail10TensorInfoIKT_T0_EEjPjjS8_iijT1_PSB_Ps: ; @_ZN2at6native6mbtopk23computeBlockDigitCountsIljmLi2EEEvNS_4cuda6detail10TensorInfoIKT_T0_EEjPjjS8_iijT1_PSB_Ps
; %bb.0:
	s_load_b32 s18, s[0:1], 0xf8
	s_bfe_u32 s2, ttmp6, 0x40010
	s_and_b32 s4, ttmp7, 0xffff
	s_add_co_i32 s5, s2, 1
	s_bfe_u32 s6, ttmp6, 0x40004
	s_mul_i32 s5, s4, s5
	s_load_b64 s[2:3], s[0:1], 0x118
	s_add_co_i32 s6, s6, s5
	s_bfe_u32 s7, ttmp6, 0x4000c
	s_bfe_u32 s9, ttmp6, 0x40014
	s_add_co_i32 s7, s7, 1
	s_and_b32 s8, ttmp6, 15
	s_mul_i32 s7, ttmp9, s7
	s_add_co_i32 s9, s9, 1
	s_add_co_i32 s7, s8, s7
	s_getreg_b32 s10, hwreg(HW_REG_IB_STS2, 6, 4)
	s_mov_b32 s15, 0
	s_wait_kmcnt 0x0
	s_cvt_f32_u32 s5, s18
	s_delay_alu instid0(SALU_CYCLE_3) | instskip(SKIP_1) | instid1(SALU_CYCLE_1)
	v_rcp_iflag_f32_e32 v1, s5
	s_lshr_b32 s5, ttmp7, 16
	s_mul_i32 s8, s5, s9
	s_bfe_u32 s9, ttmp6, 0x40008
	s_delay_alu instid0(SALU_CYCLE_1) | instskip(SKIP_1) | instid1(TRANS32_DEP_1)
	s_add_co_i32 s9, s9, s8
	v_nop
	v_readfirstlane_b32 s11, v1
	s_cmp_eq_u32 s10, 0
	s_cselect_b32 s5, s5, s9
	s_cselect_b32 s4, s4, s6
	s_mul_f32 s12, s11, 0x4f7ffffe
	s_load_b128 s[8:11], s[0:1], 0xe8
	s_mul_i32 s3, s3, s5
	s_cselect_b32 s5, ttmp9, s7
	s_cvt_u32_f32 s7, s12
	s_sub_co_i32 s6, 0, s18
	s_add_co_i32 s3, s3, s4
	s_delay_alu instid0(SALU_CYCLE_1) | instskip(SKIP_3) | instid1(SALU_CYCLE_1)
	s_mul_i32 s16, s3, s2
	s_mul_i32 s6, s6, s7
	s_add_co_i32 s16, s16, s5
	s_mul_hi_u32 s2, s7, s6
	s_add_co_i32 s7, s7, s2
	s_delay_alu instid0(SALU_CYCLE_1) | instskip(NEXT) | instid1(SALU_CYCLE_1)
	s_mul_hi_u32 s2, s16, s7
	s_mul_i32 s3, s2, s18
	s_add_co_i32 s4, s2, 1
	s_sub_co_i32 s3, s16, s3
	s_delay_alu instid0(SALU_CYCLE_1)
	s_sub_co_i32 s5, s3, s18
	s_cmp_ge_u32 s3, s18
	s_cselect_b32 s2, s4, s2
	s_cselect_b32 s3, s5, s3
	s_add_co_i32 s4, s2, 1
	s_cmp_ge_u32 s3, s18
	s_cselect_b32 s14, s4, s2
	s_wait_kmcnt 0x0
	s_cmp_ge_u32 s14, s8
	s_cbranch_scc1 .LBB44_27
; %bb.1:
	s_clause 0x2
	s_load_b32 s19, s[0:1], 0xc
	s_load_b128 s[4:7], s[0:1], 0x100
	s_load_b64 s[2:3], s[0:1], 0x110
	v_cmp_gt_u32_e32 vcc_lo, 0x100, v0
	s_wait_kmcnt 0x0
	s_cvt_f32_u32 s8, s19
	s_delay_alu instid0(SALU_CYCLE_3) | instskip(SKIP_1) | instid1(TRANS32_DEP_1)
	v_rcp_iflag_f32_e32 v1, s8
	v_nop
	v_readfirstlane_b32 s20, v1
	v_lshlrev_b32_e32 v1, 2, v0
	s_and_saveexec_b32 s8, vcc_lo
; %bb.2:
	v_mov_b32_e32 v2, 0
	ds_store_b32 v1, v2
; %bb.3:
	s_or_b32 exec_lo, exec_lo, s8
	s_load_b32 s8, s[0:1], 0xd8
	s_mul_i32 s12, s14, s18
	s_mov_b32 s13, 0
	s_sub_co_i32 s21, s16, s12
	s_wait_dscnt 0x0
	s_mul_i32 s12, s11, s21
	s_add_co_i32 s21, s21, 1
	s_lshl_b32 s17, s12, 8
	s_barrier_signal -1
	s_barrier_wait -1
	s_wait_kmcnt 0x0
	s_sub_co_i32 s12, s8, s17
	s_delay_alu instid0(SALU_CYCLE_1) | instskip(NEXT) | instid1(SALU_CYCLE_1)
	s_add_nc_u64 s[22:23], s[12:13], 0xff
	s_lshr_b64 s[22:23], s[22:23], 8
	s_cmp_lt_u32 s21, s18
	s_cselect_b32 s18, s11, s22
	s_delay_alu instid0(SALU_CYCLE_1)
	s_cmp_lt_i32 s18, 1
	s_cbranch_scc1 .LBB44_25
; %bb.4:
	s_mul_f32 s11, s20, 0x4f7ffffe
	s_sub_co_i32 s12, 0, s19
	s_mov_b32 s21, s15
	s_clause 0x1
	s_load_b64 s[22:23], s[0:1], 0x6c
	s_load_b64 s[24:25], s[0:1], 0x0
	s_cvt_u32_f32 s11, s11
	s_load_b64 s[6:7], s[6:7], s14 offset:0x0 scale_offset
	s_delay_alu instid0(SALU_CYCLE_2) | instskip(NEXT) | instid1(SALU_CYCLE_1)
	s_mul_i32 s12, s12, s11
	s_mul_hi_u32 s12, s11, s12
	s_delay_alu instid0(SALU_CYCLE_1) | instskip(NEXT) | instid1(SALU_CYCLE_1)
	s_add_co_i32 s20, s11, s12
	s_mul_u64 s[20:21], s[14:15], s[20:21]
	s_delay_alu instid0(SALU_CYCLE_1) | instskip(SKIP_3) | instid1(SALU_CYCLE_1)
	s_mul_i32 s11, s21, s19
	s_wait_xcnt 0x0
	s_add_co_i32 s1, s21, 1
	s_sub_co_i32 s0, s14, s11
	s_sub_co_i32 s11, s0, s19
	s_cmp_ge_u32 s0, s19
	s_cselect_b32 s1, s1, s21
	s_cselect_b32 s0, s11, s0
	s_add_co_i32 s11, s1, 1
	s_cmp_ge_u32 s0, s19
	s_cselect_b32 s0, s11, s1
	s_delay_alu instid0(SALU_CYCLE_1) | instskip(SKIP_3) | instid1(SALU_CYCLE_1)
	s_mul_i32 s1, s0, s19
	s_wait_kmcnt 0x0
	s_mul_i32 s0, s0, s22
	s_sub_co_i32 s1, s14, s1
	s_mul_i32 s1, s1, s23
	s_delay_alu instid0(SALU_CYCLE_1)
	s_add_co_i32 s12, s0, s1
	s_and_b32 s1, s10, 0xff
	s_lshl_b64 s[14:15], s[12:13], 3
	s_cmp_lt_u32 s18, 4
	s_add_nc_u64 s[10:11], s[24:25], s[14:15]
	s_cbranch_scc1 .LBB44_19
; %bb.5:
	v_dual_mov_b32 v9, 1 :: v_dual_add_nc_u32 v2, s17, v0
	s_and_b32 s13, s18, 0x7ffffffc
	s_lshl_b32 s12, s9, 10
	s_mov_b32 s14, 0
	s_delay_alu instid0(VALU_DEP_1)
	v_add_nc_u32_e32 v4, 0x300, v2
	v_add_nc_u32_e32 v3, 0x200, v2
	v_add_nc_u32_e32 v7, 0x100, v2
	v_mul_lo_u32 v8, s9, v2
	s_mov_b32 s15, 0
	v_mul_lo_u32 v5, s9, v4
	v_mul_lo_u32 v6, s9, v3
	;; [unrolled: 1-line block ×3, first 2 shown]
	s_branch .LBB44_7
.LBB44_6:                               ;   in Loop: Header=BB44_7 Depth=1
	s_or_b32 exec_lo, exec_lo, s19
	v_add_nc_u32_e32 v4, 0x400, v4
	s_add_co_i32 s15, s15, 4
	s_add_co_i32 s14, s14, s12
	s_cmp_eq_u32 s13, s15
	s_cbranch_scc1 .LBB44_19
.LBB44_7:                               ; =>This Inner Loop Header: Depth=1
	v_add_nc_u32_e32 v2, 0xfffffd00, v4
	s_mov_b32 s19, exec_lo
	s_delay_alu instid0(VALU_DEP_1)
	v_cmpx_gt_u32_e64 s8, v2
	s_cbranch_execz .LBB44_10
; %bb.8:                                ;   in Loop: Header=BB44_7 Depth=1
	v_add_nc_u32_e32 v2, s14, v8
	global_load_b64 v[2:3], v2, s[10:11] scale_offset
	s_wait_loadcnt 0x0
	v_xor_b32_e32 v3, 0x80000000, v3
	v_xor_b32_e32 v12, s6, v2
	s_delay_alu instid0(VALU_DEP_2) | instskip(NEXT) | instid1(VALU_DEP_1)
	v_xor_b32_e32 v10, s7, v3
	v_and_b32_e32 v11, s5, v10
	s_delay_alu instid0(VALU_DEP_3) | instskip(NEXT) | instid1(VALU_DEP_1)
	v_and_b32_e32 v10, s4, v12
	v_cmp_eq_u64_e64 s0, 0, v[10:11]
	s_wait_xcnt 0x0
	s_and_b32 exec_lo, exec_lo, s0
	s_cbranch_execz .LBB44_10
; %bb.9:                                ;   in Loop: Header=BB44_7 Depth=1
	v_lshrrev_b64 v[2:3], s1, v[2:3]
	s_delay_alu instid0(VALU_DEP_1) | instskip(NEXT) | instid1(VALU_DEP_1)
	v_and_b32_e32 v2, 0xff, v2
	v_lshlrev_b32_e32 v2, 2, v2
	ds_add_u32 v2, v9
.LBB44_10:                              ;   in Loop: Header=BB44_7 Depth=1
	s_or_b32 exec_lo, exec_lo, s19
	v_add_nc_u32_e32 v2, 0xfffffe00, v4
	s_mov_b32 s19, exec_lo
	s_delay_alu instid0(VALU_DEP_1)
	v_cmpx_gt_u32_e64 s8, v2
	s_cbranch_execz .LBB44_13
; %bb.11:                               ;   in Loop: Header=BB44_7 Depth=1
	v_add_nc_u32_e32 v2, s14, v7
	global_load_b64 v[2:3], v2, s[10:11] scale_offset
	s_wait_loadcnt 0x0
	v_xor_b32_e32 v3, 0x80000000, v3
	v_xor_b32_e32 v12, s6, v2
	s_delay_alu instid0(VALU_DEP_2) | instskip(NEXT) | instid1(VALU_DEP_1)
	v_xor_b32_e32 v10, s7, v3
	v_and_b32_e32 v11, s5, v10
	s_delay_alu instid0(VALU_DEP_3) | instskip(NEXT) | instid1(VALU_DEP_1)
	v_and_b32_e32 v10, s4, v12
	v_cmp_eq_u64_e64 s0, 0, v[10:11]
	s_and_b32 exec_lo, exec_lo, s0
	s_cbranch_execz .LBB44_13
; %bb.12:                               ;   in Loop: Header=BB44_7 Depth=1
	v_lshrrev_b64 v[2:3], s1, v[2:3]
	s_delay_alu instid0(VALU_DEP_1) | instskip(NEXT) | instid1(VALU_DEP_1)
	v_and_b32_e32 v2, 0xff, v2
	v_lshlrev_b32_e32 v2, 2, v2
	ds_add_u32 v2, v9
.LBB44_13:                              ;   in Loop: Header=BB44_7 Depth=1
	s_or_b32 exec_lo, exec_lo, s19
	v_add_nc_u32_e32 v2, 0xffffff00, v4
	s_mov_b32 s19, exec_lo
	s_delay_alu instid0(VALU_DEP_1)
	v_cmpx_gt_u32_e64 s8, v2
	s_cbranch_execz .LBB44_16
; %bb.14:                               ;   in Loop: Header=BB44_7 Depth=1
	v_add_nc_u32_e32 v2, s14, v6
	global_load_b64 v[2:3], v2, s[10:11] scale_offset
	s_wait_loadcnt 0x0
	v_xor_b32_e32 v3, 0x80000000, v3
	v_xor_b32_e32 v12, s6, v2
	s_delay_alu instid0(VALU_DEP_2) | instskip(NEXT) | instid1(VALU_DEP_1)
	v_xor_b32_e32 v10, s7, v3
	v_and_b32_e32 v11, s5, v10
	s_delay_alu instid0(VALU_DEP_3) | instskip(NEXT) | instid1(VALU_DEP_1)
	v_and_b32_e32 v10, s4, v12
	v_cmp_eq_u64_e64 s0, 0, v[10:11]
	s_and_b32 exec_lo, exec_lo, s0
	s_cbranch_execz .LBB44_16
; %bb.15:                               ;   in Loop: Header=BB44_7 Depth=1
	v_lshrrev_b64 v[2:3], s1, v[2:3]
	s_delay_alu instid0(VALU_DEP_1) | instskip(NEXT) | instid1(VALU_DEP_1)
	v_and_b32_e32 v2, 0xff, v2
	v_lshlrev_b32_e32 v2, 2, v2
	ds_add_u32 v2, v9
.LBB44_16:                              ;   in Loop: Header=BB44_7 Depth=1
	s_or_b32 exec_lo, exec_lo, s19
	s_delay_alu instid0(SALU_CYCLE_1)
	s_mov_b32 s19, exec_lo
	v_cmpx_gt_u32_e64 s8, v4
	s_cbranch_execz .LBB44_6
; %bb.17:                               ;   in Loop: Header=BB44_7 Depth=1
	v_add_nc_u32_e32 v2, s14, v5
	global_load_b64 v[2:3], v2, s[10:11] scale_offset
	s_wait_loadcnt 0x0
	v_xor_b32_e32 v3, 0x80000000, v3
	v_xor_b32_e32 v12, s6, v2
	s_delay_alu instid0(VALU_DEP_2) | instskip(NEXT) | instid1(VALU_DEP_1)
	v_xor_b32_e32 v10, s7, v3
	v_and_b32_e32 v11, s5, v10
	s_delay_alu instid0(VALU_DEP_3) | instskip(NEXT) | instid1(VALU_DEP_1)
	v_and_b32_e32 v10, s4, v12
	v_cmp_eq_u64_e64 s0, 0, v[10:11]
	s_and_b32 exec_lo, exec_lo, s0
	s_cbranch_execz .LBB44_6
; %bb.18:                               ;   in Loop: Header=BB44_7 Depth=1
	v_lshrrev_b64 v[2:3], s1, v[2:3]
	s_delay_alu instid0(VALU_DEP_1) | instskip(NEXT) | instid1(VALU_DEP_1)
	v_and_b32_e32 v2, 0xff, v2
	v_lshlrev_b32_e32 v2, 2, v2
	ds_add_u32 v2, v9
	s_branch .LBB44_6
.LBB44_19:
	s_and_b32 s12, s18, 3
	s_delay_alu instid0(SALU_CYCLE_1)
	s_cmp_eq_u32 s12, 0
	s_cbranch_scc1 .LBB44_25
; %bb.20:
	s_lshl_b32 s0, s13, 8
	v_mov_b32_e32 v6, 1
	v_add3_u32 v4, s0, s17, v0
	s_delay_alu instid0(VALU_DEP_1)
	v_mul_lo_u32 v5, s9, v4
	s_lshl_b32 s9, s9, 8
	s_branch .LBB44_22
.LBB44_21:                              ;   in Loop: Header=BB44_22 Depth=1
	s_or_b32 exec_lo, exec_lo, s13
	s_delay_alu instid0(VALU_DEP_2) | instskip(SKIP_2) | instid1(SALU_CYCLE_1)
	v_add_nc_u32_e32 v5, s9, v5
	v_add_nc_u32_e32 v4, 0x100, v4
	s_add_co_i32 s12, s12, -1
	s_cmp_lg_u32 s12, 0
	s_cbranch_scc0 .LBB44_25
.LBB44_22:                              ; =>This Inner Loop Header: Depth=1
	s_mov_b32 s13, exec_lo
	v_cmpx_gt_u32_e64 s8, v4
	s_cbranch_execz .LBB44_21
; %bb.23:                               ;   in Loop: Header=BB44_22 Depth=1
	global_load_b64 v[2:3], v5, s[10:11] scale_offset
	s_wait_loadcnt 0x0
	v_xor_b32_e32 v3, 0x80000000, v3
	v_xor_b32_e32 v8, s6, v2
	s_delay_alu instid0(VALU_DEP_2) | instskip(NEXT) | instid1(VALU_DEP_2)
	v_xor_b32_e32 v7, s7, v3
	v_and_b32_e32 v8, s4, v8
	s_delay_alu instid0(VALU_DEP_2) | instskip(NEXT) | instid1(VALU_DEP_1)
	v_and_b32_e32 v9, s5, v7
	v_cmp_eq_u64_e64 s0, 0, v[8:9]
	s_and_b32 exec_lo, exec_lo, s0
	s_cbranch_execz .LBB44_21
; %bb.24:                               ;   in Loop: Header=BB44_22 Depth=1
	v_lshrrev_b64 v[2:3], s1, v[2:3]
	s_delay_alu instid0(VALU_DEP_1) | instskip(NEXT) | instid1(VALU_DEP_1)
	v_and_b32_e32 v2, 0xff, v2
	v_lshlrev_b32_e32 v2, 2, v2
	ds_add_u32 v2, v6
	s_branch .LBB44_21
.LBB44_25:
	s_wait_dscnt 0x0
	s_barrier_signal -1
	s_barrier_wait -1
	s_and_saveexec_b32 s0, vcc_lo
	s_cbranch_execz .LBB44_27
; %bb.26:
	ds_load_b32 v1, v1
	v_lshl_or_b32 v0, s16, 8, v0
	s_wait_dscnt 0x0
	global_store_b16 v0, v1, s[2:3] scale_offset
.LBB44_27:
	s_endpgm
	.section	.rodata,"a",@progbits
	.p2align	6, 0x0
	.amdhsa_kernel _ZN2at6native6mbtopk23computeBlockDigitCountsIljmLi2EEEvNS_4cuda6detail10TensorInfoIKT_T0_EEjPjjS8_iijT1_PSB_Ps
		.amdhsa_group_segment_fixed_size 1024
		.amdhsa_private_segment_fixed_size 0
		.amdhsa_kernarg_size 536
		.amdhsa_user_sgpr_count 2
		.amdhsa_user_sgpr_dispatch_ptr 0
		.amdhsa_user_sgpr_queue_ptr 0
		.amdhsa_user_sgpr_kernarg_segment_ptr 1
		.amdhsa_user_sgpr_dispatch_id 0
		.amdhsa_user_sgpr_kernarg_preload_length 0
		.amdhsa_user_sgpr_kernarg_preload_offset 0
		.amdhsa_user_sgpr_private_segment_size 0
		.amdhsa_wavefront_size32 1
		.amdhsa_uses_dynamic_stack 0
		.amdhsa_enable_private_segment 0
		.amdhsa_system_sgpr_workgroup_id_x 1
		.amdhsa_system_sgpr_workgroup_id_y 1
		.amdhsa_system_sgpr_workgroup_id_z 1
		.amdhsa_system_sgpr_workgroup_info 0
		.amdhsa_system_vgpr_workitem_id 0
		.amdhsa_next_free_vgpr 13
		.amdhsa_next_free_sgpr 26
		.amdhsa_named_barrier_count 0
		.amdhsa_reserve_vcc 1
		.amdhsa_float_round_mode_32 0
		.amdhsa_float_round_mode_16_64 0
		.amdhsa_float_denorm_mode_32 3
		.amdhsa_float_denorm_mode_16_64 3
		.amdhsa_fp16_overflow 0
		.amdhsa_memory_ordered 1
		.amdhsa_forward_progress 1
		.amdhsa_inst_pref_size 12
		.amdhsa_round_robin_scheduling 0
		.amdhsa_exception_fp_ieee_invalid_op 0
		.amdhsa_exception_fp_denorm_src 0
		.amdhsa_exception_fp_ieee_div_zero 0
		.amdhsa_exception_fp_ieee_overflow 0
		.amdhsa_exception_fp_ieee_underflow 0
		.amdhsa_exception_fp_ieee_inexact 0
		.amdhsa_exception_int_div_zero 0
	.end_amdhsa_kernel
	.section	.text._ZN2at6native6mbtopk23computeBlockDigitCountsIljmLi2EEEvNS_4cuda6detail10TensorInfoIKT_T0_EEjPjjS8_iijT1_PSB_Ps,"axG",@progbits,_ZN2at6native6mbtopk23computeBlockDigitCountsIljmLi2EEEvNS_4cuda6detail10TensorInfoIKT_T0_EEjPjjS8_iijT1_PSB_Ps,comdat
.Lfunc_end44:
	.size	_ZN2at6native6mbtopk23computeBlockDigitCountsIljmLi2EEEvNS_4cuda6detail10TensorInfoIKT_T0_EEjPjjS8_iijT1_PSB_Ps, .Lfunc_end44-_ZN2at6native6mbtopk23computeBlockDigitCountsIljmLi2EEEvNS_4cuda6detail10TensorInfoIKT_T0_EEjPjjS8_iijT1_PSB_Ps
                                        ; -- End function
	.set _ZN2at6native6mbtopk23computeBlockDigitCountsIljmLi2EEEvNS_4cuda6detail10TensorInfoIKT_T0_EEjPjjS8_iijT1_PSB_Ps.num_vgpr, 13
	.set _ZN2at6native6mbtopk23computeBlockDigitCountsIljmLi2EEEvNS_4cuda6detail10TensorInfoIKT_T0_EEjPjjS8_iijT1_PSB_Ps.num_agpr, 0
	.set _ZN2at6native6mbtopk23computeBlockDigitCountsIljmLi2EEEvNS_4cuda6detail10TensorInfoIKT_T0_EEjPjjS8_iijT1_PSB_Ps.numbered_sgpr, 26
	.set _ZN2at6native6mbtopk23computeBlockDigitCountsIljmLi2EEEvNS_4cuda6detail10TensorInfoIKT_T0_EEjPjjS8_iijT1_PSB_Ps.num_named_barrier, 0
	.set _ZN2at6native6mbtopk23computeBlockDigitCountsIljmLi2EEEvNS_4cuda6detail10TensorInfoIKT_T0_EEjPjjS8_iijT1_PSB_Ps.private_seg_size, 0
	.set _ZN2at6native6mbtopk23computeBlockDigitCountsIljmLi2EEEvNS_4cuda6detail10TensorInfoIKT_T0_EEjPjjS8_iijT1_PSB_Ps.uses_vcc, 1
	.set _ZN2at6native6mbtopk23computeBlockDigitCountsIljmLi2EEEvNS_4cuda6detail10TensorInfoIKT_T0_EEjPjjS8_iijT1_PSB_Ps.uses_flat_scratch, 0
	.set _ZN2at6native6mbtopk23computeBlockDigitCountsIljmLi2EEEvNS_4cuda6detail10TensorInfoIKT_T0_EEjPjjS8_iijT1_PSB_Ps.has_dyn_sized_stack, 0
	.set _ZN2at6native6mbtopk23computeBlockDigitCountsIljmLi2EEEvNS_4cuda6detail10TensorInfoIKT_T0_EEjPjjS8_iijT1_PSB_Ps.has_recursion, 0
	.set _ZN2at6native6mbtopk23computeBlockDigitCountsIljmLi2EEEvNS_4cuda6detail10TensorInfoIKT_T0_EEjPjjS8_iijT1_PSB_Ps.has_indirect_call, 0
	.section	.AMDGPU.csdata,"",@progbits
; Kernel info:
; codeLenInByte = 1528
; TotalNumSgprs: 28
; NumVgprs: 13
; ScratchSize: 0
; MemoryBound: 0
; FloatMode: 240
; IeeeMode: 1
; LDSByteSize: 1024 bytes/workgroup (compile time only)
; SGPRBlocks: 0
; VGPRBlocks: 0
; NumSGPRsForWavesPerEU: 28
; NumVGPRsForWavesPerEU: 13
; NamedBarCnt: 0
; Occupancy: 16
; WaveLimiterHint : 1
; COMPUTE_PGM_RSRC2:SCRATCH_EN: 0
; COMPUTE_PGM_RSRC2:USER_SGPR: 2
; COMPUTE_PGM_RSRC2:TRAP_HANDLER: 0
; COMPUTE_PGM_RSRC2:TGID_X_EN: 1
; COMPUTE_PGM_RSRC2:TGID_Y_EN: 1
; COMPUTE_PGM_RSRC2:TGID_Z_EN: 1
; COMPUTE_PGM_RSRC2:TIDIG_COMP_CNT: 0
	.section	.text._ZN2at6native6mbtopk10gatherTopKIljLi2EEEvNS_4cuda6detail10TensorInfoIKT_T0_EES8_S8_bjS8_NS5_IS6_S8_EES8_NS5_IlS8_EES8_jjPS6_PjSD_j,"axG",@progbits,_ZN2at6native6mbtopk10gatherTopKIljLi2EEEvNS_4cuda6detail10TensorInfoIKT_T0_EES8_S8_bjS8_NS5_IS6_S8_EES8_NS5_IlS8_EES8_jjPS6_PjSD_j,comdat
	.protected	_ZN2at6native6mbtopk10gatherTopKIljLi2EEEvNS_4cuda6detail10TensorInfoIKT_T0_EES8_S8_bjS8_NS5_IS6_S8_EES8_NS5_IlS8_EES8_jjPS6_PjSD_j ; -- Begin function _ZN2at6native6mbtopk10gatherTopKIljLi2EEEvNS_4cuda6detail10TensorInfoIKT_T0_EES8_S8_bjS8_NS5_IS6_S8_EES8_NS5_IlS8_EES8_jjPS6_PjSD_j
	.globl	_ZN2at6native6mbtopk10gatherTopKIljLi2EEEvNS_4cuda6detail10TensorInfoIKT_T0_EES8_S8_bjS8_NS5_IS6_S8_EES8_NS5_IlS8_EES8_jjPS6_PjSD_j
	.p2align	8
	.type	_ZN2at6native6mbtopk10gatherTopKIljLi2EEEvNS_4cuda6detail10TensorInfoIKT_T0_EES8_S8_bjS8_NS5_IS6_S8_EES8_NS5_IlS8_EES8_jjPS6_PjSD_j,@function
_ZN2at6native6mbtopk10gatherTopKIljLi2EEEvNS_4cuda6detail10TensorInfoIKT_T0_EES8_S8_bjS8_NS5_IS6_S8_EES8_NS5_IlS8_EES8_jjPS6_PjSD_j: ; @_ZN2at6native6mbtopk10gatherTopKIljLi2EEEvNS_4cuda6detail10TensorInfoIKT_T0_EES8_S8_bjS8_NS5_IS6_S8_EES8_NS5_IlS8_EES8_jjPS6_PjSD_j
; %bb.0:
	s_bfe_u32 s2, ttmp6, 0x40010
	s_and_b32 s4, ttmp7, 0xffff
	s_add_co_i32 s5, s2, 1
	s_clause 0x1
	s_load_b32 s6, s[0:1], 0x2d0
	s_load_b64 s[2:3], s[0:1], 0x2d8
	s_bfe_u32 s8, ttmp6, 0x4000c
	s_mul_i32 s5, s4, s5
	s_bfe_u32 s7, ttmp6, 0x40004
	s_add_co_i32 s8, s8, 1
	s_bfe_u32 s9, ttmp6, 0x40014
	s_add_co_i32 s7, s7, s5
	s_and_b32 s5, ttmp6, 15
	s_mul_i32 s8, ttmp9, s8
	s_lshr_b32 s10, ttmp7, 16
	s_add_co_i32 s9, s9, 1
	s_add_co_i32 s5, s5, s8
	s_mul_i32 s8, s10, s9
	s_bfe_u32 s9, ttmp6, 0x40008
	s_getreg_b32 s11, hwreg(HW_REG_IB_STS2, 6, 4)
	s_add_co_i32 s9, s9, s8
	s_cmp_eq_u32 s11, 0
	s_mov_b32 s19, 0
	s_cselect_b32 s8, s10, s9
	s_cselect_b32 s4, s4, s7
	s_wait_kmcnt 0x0
	s_mul_i32 s3, s3, s8
	s_cselect_b32 s5, ttmp9, s5
	s_add_co_i32 s3, s3, s4
	s_delay_alu instid0(SALU_CYCLE_1) | instskip(NEXT) | instid1(SALU_CYCLE_1)
	s_mul_i32 s2, s3, s2
	s_add_co_i32 s2, s2, s5
	s_delay_alu instid0(SALU_CYCLE_1)
	s_cmp_ge_u32 s2, s6
	s_cbranch_scc1 .LBB45_40
; %bb.1:
	s_clause 0x6
	s_load_b96 s[12:14], s[0:1], 0x2a8
	s_load_b32 s42, s[0:1], 0xc
	s_load_b32 s33, s[0:1], 0xfc
	;; [unrolled: 1-line block ×3, first 2 shown]
	s_load_b64 s[20:21], s[0:1], 0x23c
	s_load_b64 s[22:23], s[0:1], 0x15c
	;; [unrolled: 1-line block ×3, first 2 shown]
	s_mov_b32 s27, s19
	s_mov_b32 s29, s19
	s_wait_kmcnt 0x0
	s_cvt_f32_u32 s3, s14
	s_cvt_f32_u32 s4, s42
	;; [unrolled: 1-line block ×4, first 2 shown]
	v_rcp_iflag_f32_e32 v1, s3
	s_sub_co_i32 s8, 0, s14
	v_rcp_iflag_f32_e32 v2, s5
	v_rcp_iflag_f32_e32 v3, s6
	s_delay_alu instid0(TRANS32_DEP_3) | instskip(SKIP_2) | instid1(TRANS32_DEP_3)
	v_readfirstlane_b32 s3, v1
	v_rcp_iflag_f32_e32 v1, s4
	s_load_b128 s[4:7], s[0:1], 0x2b8
	v_readfirstlane_b32 s10, v2
	s_mul_f32 s3, s3, 0x4f7ffffe
	s_delay_alu instid0(TRANS32_DEP_1) | instskip(NEXT) | instid1(SALU_CYCLE_2)
	v_readfirstlane_b32 s9, v1
	s_cvt_u32_f32 s3, s3
	s_mul_f32 s10, s10, 0x4f7ffffe
	s_mul_f32 s9, s9, 0x4f7ffffe
	s_delay_alu instid0(SALU_CYCLE_1) | instskip(NEXT) | instid1(SALU_CYCLE_1)
	s_mul_i32 s8, s8, s3
	s_mul_hi_u32 s8, s3, s8
	s_delay_alu instid0(SALU_CYCLE_1) | instskip(SKIP_3) | instid1(SALU_CYCLE_1)
	s_cvt_u32_f32 s9, s9
	s_add_co_i32 s3, s3, s8
	v_readfirstlane_b32 s8, v3
	s_mul_hi_u32 s3, s2, s3
	s_mul_i32 s11, s3, s14
	s_add_co_i32 s16, s3, 1
	s_sub_co_i32 s11, s2, s11
	s_mul_f32 s8, s8, 0x4f7ffffe
	s_sub_co_i32 s17, s11, s14
	s_cmp_ge_u32 s11, s14
	s_cselect_b32 s3, s16, s3
	s_cselect_b32 s11, s17, s11
	s_add_co_i32 s16, s3, 1
	s_cmp_ge_u32 s11, s14
	s_cvt_u32_f32 s8, s8
	s_cselect_b32 s18, s16, s3
	s_sub_co_i32 s3, 0, s42
	s_wait_kmcnt 0x0
	s_load_b64 s[16:17], s[4:5], s18 offset:0x0 scale_offset
	s_mul_i32 s30, s18, s14
	s_mul_i32 s3, s3, s9
	s_sub_co_i32 s43, s2, s30
	s_mul_hi_u32 s3, s9, s3
	s_cvt_u32_f32 s2, s10
	s_wait_xcnt 0x0
	s_add_co_i32 s4, s9, s3
	s_sub_co_i32 s3, 0, s33
	s_sub_co_i32 s9, 0, s15
	s_mul_i32 s3, s3, s2
	s_mul_i32 s9, s9, s8
	s_mul_hi_u32 s3, s2, s3
	s_mul_hi_u32 s9, s8, s9
	s_add_co_i32 s26, s2, s3
	v_cmp_ne_u32_e64 s2, 0, v0
	v_cmp_eq_u32_e64 s3, 0, v0
	s_mov_b32 s5, s19
	s_add_co_i32 s28, s8, s9
	s_and_saveexec_b32 s44, s3
	s_cbranch_execz .LBB45_17
; %bb.2:
	s_load_b64 s[36:37], s[0:1], 0x2c8
	s_mov_b32 s31, 0
	s_delay_alu instid0(SALU_CYCLE_1)
	s_lshl_b64 s[38:39], s[30:31], 2
	s_cmp_lt_u32 s14, 4
	s_cbranch_scc1 .LBB45_14
; %bb.3:
	s_mov_b64 s[34:35], 0
	s_mov_b32 s30, 0
.LBB45_4:                               ; =>This Inner Loop Header: Depth=1
	s_add_nc_u64 s[40:41], s[6:7], s[38:39]
	s_cmp_ge_u32 s30, s43
	s_load_b128 s[8:11], s[40:41], 0x0
	s_wait_kmcnt 0x0
	s_add_nc_u64 s[40:41], s[36:37], s[38:39]
	s_cbranch_scc0 .LBB45_11
; %bb.5:                                ;   in Loop: Header=BB45_4 Depth=1
	s_add_co_i32 s45, s30, 1
	s_delay_alu instid0(SALU_CYCLE_1)
	s_cmp_ge_u32 s45, s43
	s_cbranch_scc0 .LBB45_12
.LBB45_6:                               ;   in Loop: Header=BB45_4 Depth=1
	s_add_co_i32 s45, s45, 1
	s_delay_alu instid0(SALU_CYCLE_1)
	s_cmp_ge_u32 s45, s43
	s_cbranch_scc0 .LBB45_13
.LBB45_7:                               ;   in Loop: Header=BB45_4 Depth=1
	s_add_co_i32 s45, s45, 1
	s_delay_alu instid0(SALU_CYCLE_1)
	s_cmp_ge_u32 s45, s43
	s_cbranch_scc1 .LBB45_9
.LBB45_8:                               ;   in Loop: Header=BB45_4 Depth=1
	s_load_b32 s40, s[40:41], 0xc
	s_add_co_i32 s35, s11, s35
	s_wait_kmcnt 0x0
	s_add_co_i32 s34, s40, s34
.LBB45_9:                               ;   in Loop: Header=BB45_4 Depth=1
	s_add_co_i32 s8, s8, s31
	s_add_nc_u64 s[6:7], s[6:7], 16
	s_add_co_i32 s8, s8, s9
	s_add_co_i32 s9, s45, 4
	;; [unrolled: 1-line block ×3, first 2 shown]
	s_add_nc_u64 s[36:37], s[36:37], 16
	s_add_co_i32 s31, s8, s11
	s_add_co_i32 s8, s45, 1
	s_cmp_ge_u32 s9, s14
	s_cbranch_scc1 .LBB45_15
; %bb.10:                               ;   in Loop: Header=BB45_4 Depth=1
	s_mov_b32 s30, s8
	s_branch .LBB45_4
.LBB45_11:                              ;   in Loop: Header=BB45_4 Depth=1
	s_load_b32 s45, s[40:41], 0x0
	s_add_co_i32 s35, s8, s35
	s_wait_kmcnt 0x0
	s_add_co_i32 s34, s45, s34
	s_add_co_i32 s45, s30, 1
	s_delay_alu instid0(SALU_CYCLE_1)
	s_cmp_ge_u32 s45, s43
	s_cbranch_scc1 .LBB45_6
.LBB45_12:                              ;   in Loop: Header=BB45_4 Depth=1
	s_load_b32 s46, s[40:41], 0x4
	s_add_co_i32 s35, s9, s35
	s_wait_kmcnt 0x0
	s_add_co_i32 s34, s46, s34
	s_add_co_i32 s45, s45, 1
	s_delay_alu instid0(SALU_CYCLE_1)
	s_cmp_ge_u32 s45, s43
	s_cbranch_scc1 .LBB45_7
.LBB45_13:                              ;   in Loop: Header=BB45_4 Depth=1
	s_load_b32 s46, s[40:41], 0x8
	s_add_co_i32 s35, s10, s35
	s_wait_kmcnt 0x0
	s_add_co_i32 s34, s46, s34
	s_add_co_i32 s45, s45, 1
	s_delay_alu instid0(SALU_CYCLE_1)
	s_cmp_ge_u32 s45, s43
	s_cbranch_scc0 .LBB45_8
	s_branch .LBB45_9
.LBB45_14:
	s_mov_b64 s[34:35], 0
	s_add_nc_u64 s[6:7], s[6:7], s[38:39]
	s_wait_kmcnt 0x0
	s_add_nc_u64 s[8:9], s[36:37], s[38:39]
	s_mov_b32 s10, 0
	s_delay_alu instid0(SALU_CYCLE_1)
	s_cmp_ge_u32 s10, s14
	s_cbranch_scc0 .LBB45_38
	s_branch .LBB45_16
.LBB45_15:
	s_add_co_i32 s10, s30, 4
	s_add_nc_u64 s[8:9], s[36:37], s[38:39]
	s_add_nc_u64 s[6:7], s[6:7], s[38:39]
	s_cmp_ge_u32 s10, s14
	s_cbranch_scc0 .LBB45_38
.LBB45_16:
	v_dual_mov_b32 v2, s34 :: v_dual_mov_b32 v3, s31
	v_dual_mov_b32 v4, s35 :: v_dual_mov_b32 v1, 0
	ds_store_b96 v1, v[2:4] offset:1056
.LBB45_17:
	s_or_b32 exec_lo, exec_lo, s44
	s_mul_u64 s[6:7], s[18:19], s[28:29]
	s_mul_u64 s[36:37], s[18:19], s[4:5]
	s_clause 0x3
	s_load_b96 s[4:6], s[0:1], 0xd8
	s_load_b64 s[30:31], s[0:1], 0x1d0
	s_load_b64 s[10:11], s[0:1], 0xf0
	;; [unrolled: 1-line block ×3, first 2 shown]
	s_mul_u64 s[34:35], s[18:19], s[26:27]
	s_mul_i32 s19, s13, s43
	s_mov_b32 s27, 0
	s_lshl_b32 s19, s19, 8
	s_add_co_i32 s43, s43, 1
	s_wait_dscnt 0x0
	s_barrier_signal -1
	s_barrier_wait -1
	s_wait_kmcnt 0x0
	s_sub_co_i32 s26, s4, s19
	s_delay_alu instid0(SALU_CYCLE_1) | instskip(NEXT) | instid1(SALU_CYCLE_1)
	s_add_nc_u64 s[28:29], s[26:27], 0xff
	s_lshr_b64 s[28:29], s[28:29], 8
	s_cmp_lt_u32 s43, s14
	s_cselect_b32 s13, s13, s28
	s_delay_alu instid0(SALU_CYCLE_1)
	s_cmp_eq_u32 s13, 0
	s_cbranch_scc1 .LBB45_40
; %bb.18:
	s_mul_i32 s14, s37, s42
	s_add_co_i32 s26, s37, 1
	s_sub_co_i32 s14, s18, s14
	s_mul_i32 s28, s35, s33
	s_sub_co_i32 s29, s14, s42
	s_cmp_ge_u32 s14, s42
	s_mul_i32 s34, s7, s15
	s_cselect_b32 s26, s26, s37
	s_cselect_b32 s14, s29, s14
	s_add_co_i32 s36, s26, 1
	s_cmp_ge_u32 s14, s42
	v_dual_mov_b32 v7, 0 :: v_dual_lshrrev_b32 v1, 3, v0
	s_cselect_b32 s14, s36, s26
	s_sub_co_i32 s28, s18, s28
	s_mul_i32 s26, s14, s42
	s_mul_i32 s14, s14, s24
	s_sub_co_i32 s26, s18, s26
	s_add_co_i32 s36, s35, 1
	s_mul_i32 s26, s26, s25
	s_sub_co_i32 s24, s28, s33
	s_add_co_i32 s26, s14, s26
	s_cmp_ge_u32 s28, s33
	ds_load_b96 v[2:4], v7 offset:1056
	s_cselect_b32 s14, s36, s35
	s_cselect_b32 s24, s24, s28
	s_add_co_i32 s28, s14, 1
	s_cmp_ge_u32 s24, s33
	v_dual_add_nc_u32 v9, -1, v0 :: v_dual_bitop2_b32 v1, 28, v1 bitop3:0x40
	s_cselect_b32 s14, s28, s14
	s_sub_co_i32 s24, s18, s34
	s_mul_i32 s28, s14, s33
	s_mul_i32 s14, s14, s22
	s_sub_co_i32 s28, s18, s28
	s_add_co_i32 s33, s7, 1
	s_mul_i32 s28, s28, s23
	s_sub_co_i32 s22, s24, s15
	s_add_co_i32 s28, s14, s28
	s_cmp_ge_u32 s24, s15
	v_dual_add_nc_u32 v6, s19, v0 :: v_dual_lshlrev_b32 v11, 5, v0
	s_cselect_b32 s7, s33, s7
	s_cselect_b32 s14, s22, s24
	s_add_co_i32 s22, s7, 1
	s_load_b32 s33, s[0:1], 0xe8
	s_cmp_ge_u32 s14, s15
	s_wait_dscnt 0x0
	v_dual_lshrrev_b32 v5, 3, v9 :: v_dual_add_nc_u32 v2, v2, v3
	s_cselect_b32 s7, s22, s7
	v_lshl_add_u32 v3, v0, 2, v1
	s_mul_i32 s24, s7, s15
	s_mul_i32 s7, s7, s20
	s_sub_co_i32 s18, s18, s24
	v_and_b32_e32 v1, 0xfc, v0
	s_mul_i32 s18, s18, s21
	v_and_b32_e32 v10, 0x1ffffffc, v5
	s_add_co_i32 s24, s7, s18
	s_load_b32 s18, s[0:1], 0x1c8
	v_mbcnt_lo_u32_b32 v5, -1, 0
	s_mov_b32 s29, s27
	s_mov_b32 s25, s27
	s_lshl_b64 s[14:15], s[28:29], 3
	s_lshl_b64 s[22:23], s[26:27], 3
	s_add_nc_u64 s[10:11], s[10:11], s[14:15]
	s_wait_kmcnt 0x0
	v_mul_lo_u32 v8, s33, v6
	s_lshl_b64 s[20:21], s[24:25], 3
	s_xor_b64 s[14:15], s[16:17], 0x8000000000000000
	v_cmp_gt_u32_e64 s0, 32, v0
	v_lshl_add_u32 v9, v9, 2, v10
	v_dual_add_nc_u32 v10, v1, v11 :: v_dual_bitop2_b32 v11, 15, v5 bitop3:0x40
	v_bfe_i32 v12, v5, 4, 1
	v_add_nc_u32_e32 v13, -1, v5
	s_bitcmp1_b32 s6, 0
	s_add_nc_u64 s[8:9], s[8:9], s[22:23]
	s_add_nc_u64 s[6:7], s[30:31], s[20:21]
	s_cselect_b32 s1, -1, 0
	s_lshl_b32 s19, s33, 8
                                        ; implicit-def: $vgpr0_vgpr1
	s_branch .LBB45_21
.LBB45_19:                              ;   in Loop: Header=BB45_21 Depth=1
	s_wait_xcnt 0x0
	s_or_b32 exec_lo, exec_lo, s20
	v_add_nc_u32_e32 v2, v16, v2
.LBB45_20:                              ;   in Loop: Header=BB45_21 Depth=1
	v_add_nc_u32_e32 v4, v15, v4
	v_add_nc_u32_e32 v8, s19, v8
	;; [unrolled: 1-line block ×3, first 2 shown]
	s_add_co_i32 s13, s13, -1
	s_delay_alu instid0(SALU_CYCLE_1)
	s_cmp_lg_u32 s13, 0
	s_cbranch_scc0 .LBB45_40
.LBB45_21:                              ; =>This Inner Loop Header: Depth=1
	v_dual_mov_b32 v16, 0 :: v_dual_mov_b32 v14, 0
	s_mov_b32 s20, exec_lo
	v_cmpx_gt_u32_e64 s4, v6
	s_cbranch_execz .LBB45_23
; %bb.22:                               ;   in Loop: Header=BB45_21 Depth=1
	global_load_b64 v[0:1], v8, s[8:9] scale_offset
	s_wait_loadcnt 0x0
	v_xor_b32_e32 v15, 0x80000000, v1
	v_mov_b32_e32 v14, v0
	s_delay_alu instid0(VALU_DEP_1) | instskip(SKIP_4) | instid1(VALU_DEP_2)
	v_cmp_lt_u64_e32 vcc_lo, s[14:15], v[14:15]
	v_cndmask_b32_e64 v16, 0, 1, vcc_lo
	v_cmp_gt_u64_e32 vcc_lo, s[14:15], v[14:15]
	v_cndmask_b32_e64 v14, 0, 1, vcc_lo
	v_cmp_eq_u64_e32 vcc_lo, s[16:17], v[0:1]
	v_cndmask_b32_e64 v14, v14, v16, s1
	s_delay_alu instid0(VALU_DEP_1)
	v_and_b32_e32 v16, 1, v14
	v_cndmask_b32_e64 v14, 0, 1, vcc_lo
.LBB45_23:                              ;   in Loop: Header=BB45_21 Depth=1
	s_wait_xcnt 0x0
	s_or_b32 exec_lo, exec_lo, s20
	ds_store_b32 v3, v16
	s_wait_dscnt 0x0
	s_barrier_signal -1
	s_barrier_wait -1
	s_and_saveexec_b32 s20, s0
	s_cbranch_execz .LBB45_25
; %bb.24:                               ;   in Loop: Header=BB45_21 Depth=1
	ds_load_2addr_b32 v[18:19], v10 offset1:1
	ds_load_2addr_b32 v[20:21], v10 offset0:2 offset1:3
	ds_load_2addr_b32 v[22:23], v10 offset0:4 offset1:5
	;; [unrolled: 1-line block ×3, first 2 shown]
	v_cmp_ne_u32_e32 vcc_lo, 0, v11
	; wave barrier
	s_wait_dscnt 0x3
	v_add_nc_u32_e32 v15, v19, v18
	s_wait_dscnt 0x2
	s_delay_alu instid0(VALU_DEP_1) | instskip(SKIP_1) | instid1(VALU_DEP_1)
	v_add3_u32 v15, v15, v20, v21
	s_wait_dscnt 0x1
	v_add3_u32 v15, v15, v22, v23
	s_wait_dscnt 0x0
	s_delay_alu instid0(VALU_DEP_1) | instskip(NEXT) | instid1(VALU_DEP_1)
	v_add3_u32 v15, v15, v24, v25
	v_mov_b32_dpp v17, v15 row_shr:1 row_mask:0xf bank_mask:0xf
	s_delay_alu instid0(VALU_DEP_1) | instskip(SKIP_1) | instid1(VALU_DEP_2)
	v_cndmask_b32_e32 v17, 0, v17, vcc_lo
	v_cmp_lt_u32_e32 vcc_lo, 1, v11
	v_add_nc_u32_e32 v15, v17, v15
	s_delay_alu instid0(VALU_DEP_1) | instskip(NEXT) | instid1(VALU_DEP_1)
	v_mov_b32_dpp v17, v15 row_shr:2 row_mask:0xf bank_mask:0xf
	v_cndmask_b32_e32 v17, 0, v17, vcc_lo
	v_cmp_lt_u32_e32 vcc_lo, 3, v11
	s_delay_alu instid0(VALU_DEP_2) | instskip(NEXT) | instid1(VALU_DEP_1)
	v_add_nc_u32_e32 v15, v15, v17
	v_mov_b32_dpp v17, v15 row_shr:4 row_mask:0xf bank_mask:0xf
	s_delay_alu instid0(VALU_DEP_1) | instskip(SKIP_1) | instid1(VALU_DEP_2)
	v_cndmask_b32_e32 v17, 0, v17, vcc_lo
	v_cmp_lt_u32_e32 vcc_lo, 7, v11
	v_add_nc_u32_e32 v15, v15, v17
	s_delay_alu instid0(VALU_DEP_1) | instskip(NEXT) | instid1(VALU_DEP_1)
	v_mov_b32_dpp v17, v15 row_shr:8 row_mask:0xf bank_mask:0xf
	v_cndmask_b32_e32 v17, 0, v17, vcc_lo
	v_cmp_gt_i32_e32 vcc_lo, 0, v13
	s_delay_alu instid0(VALU_DEP_2) | instskip(SKIP_4) | instid1(VALU_DEP_1)
	v_add_nc_u32_e32 v15, v15, v17
	v_cndmask_b32_e32 v19, v13, v5, vcc_lo
	ds_swizzle_b32 v17, v15 offset:swizzle(BROADCAST,32,15)
	s_wait_dscnt 0x0
	v_dual_lshlrev_b32 v19, 2, v19 :: v_dual_bitop2_b32 v17, v12, v17 bitop3:0x40
	v_add_nc_u32_e32 v15, v15, v17
	ds_bpermute_b32 v15, v19, v15
	s_wait_dscnt 0x0
	v_add_nc_u32_e32 v15, v15, v18
	s_delay_alu instid0(VALU_DEP_1)
	v_cndmask_b32_e64 v15, v15, v16, s3
	ds_store_b32 v10, v15
	; wave barrier
	ds_load_2addr_b32 v[18:19], v10 offset0:1 offset1:2
	ds_load_2addr_b32 v[20:21], v10 offset0:3 offset1:4
	;; [unrolled: 1-line block ×3, first 2 shown]
	ds_load_b32 v17, v10 offset:28
	s_wait_dscnt 0x3
	v_add_nc_u32_e32 v15, v18, v15
	s_delay_alu instid0(VALU_DEP_1) | instskip(SKIP_1) | instid1(VALU_DEP_1)
	v_add_nc_u32_e32 v18, v19, v15
	s_wait_dscnt 0x2
	v_add_nc_u32_e32 v19, v20, v18
	s_delay_alu instid0(VALU_DEP_1) | instskip(SKIP_1) | instid1(VALU_DEP_1)
	v_add_nc_u32_e32 v20, v21, v19
	;; [unrolled: 4-line block ×3, first 2 shown]
	s_wait_dscnt 0x0
	v_add_nc_u32_e32 v17, v17, v22
	ds_store_2addr_b32 v10, v15, v18 offset0:1 offset1:2
	ds_store_2addr_b32 v10, v19, v20 offset0:3 offset1:4
	;; [unrolled: 1-line block ×3, first 2 shown]
	ds_store_b32 v10, v17 offset:28
.LBB45_25:                              ;   in Loop: Header=BB45_21 Depth=1
	s_or_b32 exec_lo, exec_lo, s20
	v_mov_b32_e32 v17, 0
	s_wait_dscnt 0x0
	s_barrier_signal -1
	s_barrier_wait -1
	s_and_saveexec_b32 s20, s2
; %bb.26:                               ;   in Loop: Header=BB45_21 Depth=1
	ds_load_b32 v17, v9
; %bb.27:                               ;   in Loop: Header=BB45_21 Depth=1
	s_or_b32 exec_lo, exec_lo, s20
	ds_load_b32 v15, v7 offset:1048
	s_mov_b32 s20, exec_lo
	s_wait_dscnt 0x0
	s_barrier_signal -1
	s_barrier_wait -1
	v_cmpx_ne_u32_e32 0, v16
	s_cbranch_execz .LBB45_29
; %bb.28:                               ;   in Loop: Header=BB45_21 Depth=1
	v_add_nc_u32_e32 v16, v17, v4
	s_delay_alu instid0(VALU_DEP_1)
	v_mul_lo_u32 v17, v16, s18
	v_mul_lo_u32 v16, v16, s12
	global_store_b64 v17, v[0:1], s[10:11] scale_offset
	global_store_b64 v16, v[6:7], s[6:7] scale_offset
.LBB45_29:                              ;   in Loop: Header=BB45_21 Depth=1
	s_wait_xcnt 0x0
	s_or_b32 exec_lo, exec_lo, s20
	v_cmp_le_u32_e32 vcc_lo, s5, v2
	s_cbranch_vccnz .LBB45_20
; %bb.30:                               ;   in Loop: Header=BB45_21 Depth=1
	ds_store_b32 v3, v14
	s_wait_storecnt_dscnt 0x0
	s_barrier_signal -1
	s_barrier_wait -1
	s_and_saveexec_b32 s20, s0
	s_cbranch_execz .LBB45_32
; %bb.31:                               ;   in Loop: Header=BB45_21 Depth=1
	ds_load_2addr_b32 v[16:17], v10 offset1:1
	ds_load_2addr_b32 v[18:19], v10 offset0:2 offset1:3
	ds_load_2addr_b32 v[20:21], v10 offset0:4 offset1:5
	;; [unrolled: 1-line block ×3, first 2 shown]
	v_cmp_ne_u32_e32 vcc_lo, 0, v11
	; wave barrier
	s_wait_dscnt 0x3
	v_add_nc_u32_e32 v17, v17, v16
	s_wait_dscnt 0x2
	s_delay_alu instid0(VALU_DEP_1) | instskip(SKIP_1) | instid1(VALU_DEP_1)
	v_add3_u32 v17, v17, v18, v19
	s_wait_dscnt 0x1
	v_add3_u32 v17, v17, v20, v21
	s_wait_dscnt 0x0
	s_delay_alu instid0(VALU_DEP_1) | instskip(NEXT) | instid1(VALU_DEP_1)
	v_add3_u32 v17, v17, v22, v23
	v_mov_b32_dpp v18, v17 row_shr:1 row_mask:0xf bank_mask:0xf
	s_delay_alu instid0(VALU_DEP_1) | instskip(SKIP_1) | instid1(VALU_DEP_2)
	v_cndmask_b32_e32 v18, 0, v18, vcc_lo
	v_cmp_lt_u32_e32 vcc_lo, 1, v11
	v_add_nc_u32_e32 v17, v18, v17
	s_delay_alu instid0(VALU_DEP_1) | instskip(NEXT) | instid1(VALU_DEP_1)
	v_mov_b32_dpp v18, v17 row_shr:2 row_mask:0xf bank_mask:0xf
	v_cndmask_b32_e32 v18, 0, v18, vcc_lo
	v_cmp_lt_u32_e32 vcc_lo, 3, v11
	s_delay_alu instid0(VALU_DEP_2) | instskip(NEXT) | instid1(VALU_DEP_1)
	v_add_nc_u32_e32 v17, v17, v18
	v_mov_b32_dpp v18, v17 row_shr:4 row_mask:0xf bank_mask:0xf
	s_delay_alu instid0(VALU_DEP_1) | instskip(SKIP_1) | instid1(VALU_DEP_2)
	v_cndmask_b32_e32 v18, 0, v18, vcc_lo
	v_cmp_lt_u32_e32 vcc_lo, 7, v11
	v_add_nc_u32_e32 v17, v17, v18
	s_delay_alu instid0(VALU_DEP_1) | instskip(NEXT) | instid1(VALU_DEP_1)
	v_mov_b32_dpp v18, v17 row_shr:8 row_mask:0xf bank_mask:0xf
	v_cndmask_b32_e32 v18, 0, v18, vcc_lo
	v_cmp_gt_i32_e32 vcc_lo, 0, v13
	s_delay_alu instid0(VALU_DEP_2) | instskip(SKIP_4) | instid1(VALU_DEP_1)
	v_add_nc_u32_e32 v17, v17, v18
	v_cndmask_b32_e32 v19, v13, v5, vcc_lo
	ds_swizzle_b32 v18, v17 offset:swizzle(BROADCAST,32,15)
	s_wait_dscnt 0x0
	v_dual_lshlrev_b32 v19, 2, v19 :: v_dual_bitop2_b32 v18, v12, v18 bitop3:0x40
	v_add_nc_u32_e32 v17, v17, v18
	ds_bpermute_b32 v17, v19, v17
	s_wait_dscnt 0x0
	v_add_nc_u32_e32 v16, v17, v16
	s_delay_alu instid0(VALU_DEP_1)
	v_cndmask_b32_e64 v22, v16, v14, s3
	ds_store_b32 v10, v22
	; wave barrier
	ds_load_2addr_b32 v[16:17], v10 offset0:1 offset1:2
	ds_load_2addr_b32 v[18:19], v10 offset0:3 offset1:4
	ds_load_2addr_b32 v[20:21], v10 offset0:5 offset1:6
	ds_load_b32 v23, v10 offset:28
	s_wait_dscnt 0x3
	v_add_nc_u32_e32 v16, v16, v22
	s_delay_alu instid0(VALU_DEP_1) | instskip(SKIP_1) | instid1(VALU_DEP_1)
	v_add_nc_u32_e32 v17, v17, v16
	s_wait_dscnt 0x2
	v_add_nc_u32_e32 v18, v18, v17
	s_delay_alu instid0(VALU_DEP_1) | instskip(SKIP_1) | instid1(VALU_DEP_1)
	v_add_nc_u32_e32 v19, v19, v18
	;; [unrolled: 4-line block ×3, first 2 shown]
	s_wait_dscnt 0x0
	v_add_nc_u32_e32 v22, v23, v21
	ds_store_2addr_b32 v10, v16, v17 offset0:1 offset1:2
	ds_store_2addr_b32 v10, v18, v19 offset0:3 offset1:4
	;; [unrolled: 1-line block ×3, first 2 shown]
	ds_store_b32 v10, v22 offset:28
.LBB45_32:                              ;   in Loop: Header=BB45_21 Depth=1
	s_or_b32 exec_lo, exec_lo, s20
	v_mov_b32_e32 v17, 0
	s_wait_dscnt 0x0
	s_barrier_signal -1
	s_barrier_wait -1
	s_and_saveexec_b32 s20, s2
; %bb.33:                               ;   in Loop: Header=BB45_21 Depth=1
	ds_load_b32 v17, v9
; %bb.34:                               ;   in Loop: Header=BB45_21 Depth=1
	s_or_b32 exec_lo, exec_lo, s20
	ds_load_b32 v16, v7 offset:1048
	s_mov_b32 s20, exec_lo
	s_wait_dscnt 0x0
	s_barrier_signal -1
	s_barrier_wait -1
	v_cmpx_ne_u32_e32 0, v14
	s_cbranch_execz .LBB45_19
; %bb.35:                               ;   in Loop: Header=BB45_21 Depth=1
	v_add_nc_u32_e32 v14, v17, v2
	s_delay_alu instid0(VALU_DEP_1)
	v_cmp_gt_u32_e32 vcc_lo, s5, v14
	s_and_b32 exec_lo, exec_lo, vcc_lo
	s_cbranch_execz .LBB45_19
; %bb.36:                               ;   in Loop: Header=BB45_21 Depth=1
	v_mul_lo_u32 v17, v14, s18
	v_mul_lo_u32 v14, v14, s12
	global_store_b64 v17, v[0:1], s[10:11] scale_offset
	global_store_b64 v14, v[6:7], s[6:7] scale_offset
	s_branch .LBB45_19
.LBB45_37:                              ;   in Loop: Header=BB45_38 Depth=1
	s_add_co_i32 s10, s10, 1
	s_wait_kmcnt 0x0
	s_add_co_i32 s31, s11, s31
	s_add_nc_u64 s[6:7], s[6:7], 4
	s_cmp_lt_u32 s10, s14
	s_add_nc_u64 s[8:9], s[8:9], 4
	s_cbranch_scc0 .LBB45_16
.LBB45_38:                              ; =>This Inner Loop Header: Depth=1
	s_load_b32 s11, s[6:7], 0x0
	s_cmp_ge_u32 s10, s43
	s_cbranch_scc1 .LBB45_37
; %bb.39:                               ;   in Loop: Header=BB45_38 Depth=1
	s_load_b32 s30, s[8:9], 0x0
	s_wait_kmcnt 0x0
	s_add_co_i32 s35, s11, s35
	s_add_co_i32 s34, s30, s34
	s_branch .LBB45_37
.LBB45_40:
	s_endpgm
	.section	.rodata,"a",@progbits
	.p2align	6, 0x0
	.amdhsa_kernel _ZN2at6native6mbtopk10gatherTopKIljLi2EEEvNS_4cuda6detail10TensorInfoIKT_T0_EES8_S8_bjS8_NS5_IS6_S8_EES8_NS5_IlS8_EES8_jjPS6_PjSD_j
		.amdhsa_group_segment_fixed_size 1068
		.amdhsa_private_segment_fixed_size 0
		.amdhsa_kernarg_size 984
		.amdhsa_user_sgpr_count 2
		.amdhsa_user_sgpr_dispatch_ptr 0
		.amdhsa_user_sgpr_queue_ptr 0
		.amdhsa_user_sgpr_kernarg_segment_ptr 1
		.amdhsa_user_sgpr_dispatch_id 0
		.amdhsa_user_sgpr_kernarg_preload_length 0
		.amdhsa_user_sgpr_kernarg_preload_offset 0
		.amdhsa_user_sgpr_private_segment_size 0
		.amdhsa_wavefront_size32 1
		.amdhsa_uses_dynamic_stack 0
		.amdhsa_enable_private_segment 0
		.amdhsa_system_sgpr_workgroup_id_x 1
		.amdhsa_system_sgpr_workgroup_id_y 1
		.amdhsa_system_sgpr_workgroup_id_z 1
		.amdhsa_system_sgpr_workgroup_info 0
		.amdhsa_system_vgpr_workitem_id 0
		.amdhsa_next_free_vgpr 26
		.amdhsa_next_free_sgpr 47
		.amdhsa_named_barrier_count 0
		.amdhsa_reserve_vcc 1
		.amdhsa_float_round_mode_32 0
		.amdhsa_float_round_mode_16_64 0
		.amdhsa_float_denorm_mode_32 3
		.amdhsa_float_denorm_mode_16_64 3
		.amdhsa_fp16_overflow 0
		.amdhsa_memory_ordered 1
		.amdhsa_forward_progress 1
		.amdhsa_inst_pref_size 22
		.amdhsa_round_robin_scheduling 0
		.amdhsa_exception_fp_ieee_invalid_op 0
		.amdhsa_exception_fp_denorm_src 0
		.amdhsa_exception_fp_ieee_div_zero 0
		.amdhsa_exception_fp_ieee_overflow 0
		.amdhsa_exception_fp_ieee_underflow 0
		.amdhsa_exception_fp_ieee_inexact 0
		.amdhsa_exception_int_div_zero 0
	.end_amdhsa_kernel
	.section	.text._ZN2at6native6mbtopk10gatherTopKIljLi2EEEvNS_4cuda6detail10TensorInfoIKT_T0_EES8_S8_bjS8_NS5_IS6_S8_EES8_NS5_IlS8_EES8_jjPS6_PjSD_j,"axG",@progbits,_ZN2at6native6mbtopk10gatherTopKIljLi2EEEvNS_4cuda6detail10TensorInfoIKT_T0_EES8_S8_bjS8_NS5_IS6_S8_EES8_NS5_IlS8_EES8_jjPS6_PjSD_j,comdat
.Lfunc_end45:
	.size	_ZN2at6native6mbtopk10gatherTopKIljLi2EEEvNS_4cuda6detail10TensorInfoIKT_T0_EES8_S8_bjS8_NS5_IS6_S8_EES8_NS5_IlS8_EES8_jjPS6_PjSD_j, .Lfunc_end45-_ZN2at6native6mbtopk10gatherTopKIljLi2EEEvNS_4cuda6detail10TensorInfoIKT_T0_EES8_S8_bjS8_NS5_IS6_S8_EES8_NS5_IlS8_EES8_jjPS6_PjSD_j
                                        ; -- End function
	.set _ZN2at6native6mbtopk10gatherTopKIljLi2EEEvNS_4cuda6detail10TensorInfoIKT_T0_EES8_S8_bjS8_NS5_IS6_S8_EES8_NS5_IlS8_EES8_jjPS6_PjSD_j.num_vgpr, 26
	.set _ZN2at6native6mbtopk10gatherTopKIljLi2EEEvNS_4cuda6detail10TensorInfoIKT_T0_EES8_S8_bjS8_NS5_IS6_S8_EES8_NS5_IlS8_EES8_jjPS6_PjSD_j.num_agpr, 0
	.set _ZN2at6native6mbtopk10gatherTopKIljLi2EEEvNS_4cuda6detail10TensorInfoIKT_T0_EES8_S8_bjS8_NS5_IS6_S8_EES8_NS5_IlS8_EES8_jjPS6_PjSD_j.numbered_sgpr, 47
	.set _ZN2at6native6mbtopk10gatherTopKIljLi2EEEvNS_4cuda6detail10TensorInfoIKT_T0_EES8_S8_bjS8_NS5_IS6_S8_EES8_NS5_IlS8_EES8_jjPS6_PjSD_j.num_named_barrier, 0
	.set _ZN2at6native6mbtopk10gatherTopKIljLi2EEEvNS_4cuda6detail10TensorInfoIKT_T0_EES8_S8_bjS8_NS5_IS6_S8_EES8_NS5_IlS8_EES8_jjPS6_PjSD_j.private_seg_size, 0
	.set _ZN2at6native6mbtopk10gatherTopKIljLi2EEEvNS_4cuda6detail10TensorInfoIKT_T0_EES8_S8_bjS8_NS5_IS6_S8_EES8_NS5_IlS8_EES8_jjPS6_PjSD_j.uses_vcc, 1
	.set _ZN2at6native6mbtopk10gatherTopKIljLi2EEEvNS_4cuda6detail10TensorInfoIKT_T0_EES8_S8_bjS8_NS5_IS6_S8_EES8_NS5_IlS8_EES8_jjPS6_PjSD_j.uses_flat_scratch, 0
	.set _ZN2at6native6mbtopk10gatherTopKIljLi2EEEvNS_4cuda6detail10TensorInfoIKT_T0_EES8_S8_bjS8_NS5_IS6_S8_EES8_NS5_IlS8_EES8_jjPS6_PjSD_j.has_dyn_sized_stack, 0
	.set _ZN2at6native6mbtopk10gatherTopKIljLi2EEEvNS_4cuda6detail10TensorInfoIKT_T0_EES8_S8_bjS8_NS5_IS6_S8_EES8_NS5_IlS8_EES8_jjPS6_PjSD_j.has_recursion, 0
	.set _ZN2at6native6mbtopk10gatherTopKIljLi2EEEvNS_4cuda6detail10TensorInfoIKT_T0_EES8_S8_bjS8_NS5_IS6_S8_EES8_NS5_IlS8_EES8_jjPS6_PjSD_j.has_indirect_call, 0
	.section	.AMDGPU.csdata,"",@progbits
; Kernel info:
; codeLenInByte = 2736
; TotalNumSgprs: 49
; NumVgprs: 26
; ScratchSize: 0
; MemoryBound: 0
; FloatMode: 240
; IeeeMode: 1
; LDSByteSize: 1068 bytes/workgroup (compile time only)
; SGPRBlocks: 0
; VGPRBlocks: 1
; NumSGPRsForWavesPerEU: 49
; NumVGPRsForWavesPerEU: 26
; NamedBarCnt: 0
; Occupancy: 16
; WaveLimiterHint : 1
; COMPUTE_PGM_RSRC2:SCRATCH_EN: 0
; COMPUTE_PGM_RSRC2:USER_SGPR: 2
; COMPUTE_PGM_RSRC2:TRAP_HANDLER: 0
; COMPUTE_PGM_RSRC2:TGID_X_EN: 1
; COMPUTE_PGM_RSRC2:TGID_Y_EN: 1
; COMPUTE_PGM_RSRC2:TGID_Z_EN: 1
; COMPUTE_PGM_RSRC2:TIDIG_COMP_CNT: 0
	.section	.text._ZN2at6native6sbtopk10gatherTopKIljLi2ELb0EEEvNS_4cuda6detail10TensorInfoIKT_T0_EES8_S8_bS8_S8_NS5_IS6_S8_EES8_NS5_IlS8_EES8_PS6_,"axG",@progbits,_ZN2at6native6sbtopk10gatherTopKIljLi2ELb0EEEvNS_4cuda6detail10TensorInfoIKT_T0_EES8_S8_bS8_S8_NS5_IS6_S8_EES8_NS5_IlS8_EES8_PS6_,comdat
	.protected	_ZN2at6native6sbtopk10gatherTopKIljLi2ELb0EEEvNS_4cuda6detail10TensorInfoIKT_T0_EES8_S8_bS8_S8_NS5_IS6_S8_EES8_NS5_IlS8_EES8_PS6_ ; -- Begin function _ZN2at6native6sbtopk10gatherTopKIljLi2ELb0EEEvNS_4cuda6detail10TensorInfoIKT_T0_EES8_S8_bS8_S8_NS5_IS6_S8_EES8_NS5_IlS8_EES8_PS6_
	.globl	_ZN2at6native6sbtopk10gatherTopKIljLi2ELb0EEEvNS_4cuda6detail10TensorInfoIKT_T0_EES8_S8_bS8_S8_NS5_IS6_S8_EES8_NS5_IlS8_EES8_PS6_
	.p2align	8
	.type	_ZN2at6native6sbtopk10gatherTopKIljLi2ELb0EEEvNS_4cuda6detail10TensorInfoIKT_T0_EES8_S8_bS8_S8_NS5_IS6_S8_EES8_NS5_IlS8_EES8_PS6_,@function
_ZN2at6native6sbtopk10gatherTopKIljLi2ELb0EEEvNS_4cuda6detail10TensorInfoIKT_T0_EES8_S8_bS8_S8_NS5_IS6_S8_EES8_NS5_IlS8_EES8_PS6_: ; @_ZN2at6native6sbtopk10gatherTopKIljLi2ELb0EEEvNS_4cuda6detail10TensorInfoIKT_T0_EES8_S8_bS8_S8_NS5_IS6_S8_EES8_NS5_IlS8_EES8_PS6_
; %bb.0:
	s_clause 0x1
	s_load_b128 s[36:39], s[0:1], 0xd8
	s_load_b64 s[4:5], s[0:1], 0x2b8
	s_bfe_u32 s2, ttmp6, 0x40010
	s_and_b32 s3, ttmp7, 0xffff
	s_add_co_i32 s2, s2, 1
	s_bfe_u32 s7, ttmp6, 0x4000c
	s_mul_i32 s2, s3, s2
	s_bfe_u32 s6, ttmp6, 0x40004
	s_add_co_i32 s7, s7, 1
	s_bfe_u32 s8, ttmp6, 0x40014
	s_add_co_i32 s6, s6, s2
	s_and_b32 s2, ttmp6, 15
	s_mul_i32 s7, ttmp9, s7
	s_lshr_b32 s9, ttmp7, 16
	s_add_co_i32 s8, s8, 1
	s_add_co_i32 s2, s2, s7
	s_mul_i32 s7, s9, s8
	s_bfe_u32 s8, ttmp6, 0x40008
	s_getreg_b32 s10, hwreg(HW_REG_IB_STS2, 6, 4)
	s_add_co_i32 s8, s8, s7
	s_cmp_eq_u32 s10, 0
	s_mov_b32 s35, 0
	s_cselect_b32 s7, s9, s8
	s_cselect_b32 s3, s3, s6
	s_wait_kmcnt 0x0
	s_mul_i32 s5, s5, s7
	s_cselect_b32 s16, ttmp9, s2
	s_add_co_i32 s2, s5, s3
	s_delay_alu instid0(SALU_CYCLE_1) | instskip(NEXT) | instid1(SALU_CYCLE_1)
	s_mul_i32 s2, s2, s4
	s_add_co_i32 s34, s2, s16
	s_delay_alu instid0(SALU_CYCLE_1)
	s_cmp_ge_u32 s34, s39
	s_cbranch_scc1 .LBB46_399
; %bb.1:
	s_clause 0x7
	s_load_b32 s17, s[0:1], 0xc
	s_load_b32 s64, s[0:1], 0xfc
	;; [unrolled: 1-line block ×3, first 2 shown]
	s_load_b64 s[42:43], s[0:1], 0x15c
	s_load_b32 s62, s[0:1], 0xe8
	s_load_b64 s[2:3], s[0:1], 0x6c
	s_load_b64 s[6:7], s[0:1], 0x0
	;; [unrolled: 1-line block ×3, first 2 shown]
	s_mov_b32 s15, s35
	s_add_nc_u64 s[10:11], s[0:1], 0x2b8
	s_wait_kmcnt 0x0
	s_cvt_f32_u32 s5, s17
	s_cvt_f32_u32 s8, s64
	;; [unrolled: 1-line block ×3, first 2 shown]
	s_sub_co_i32 s14, 0, s17
	v_rcp_iflag_f32_e32 v1, s5
	v_rcp_iflag_f32_e32 v2, s8
	;; [unrolled: 1-line block ×3, first 2 shown]
	s_sub_co_i32 s18, 0, s64
	s_sub_co_i32 s19, 0, s63
	v_cmp_eq_u32_e64 s5, 0, v0
	s_mov_b32 s9, s35
	v_readfirstlane_b32 s8, v1
	v_readfirstlane_b32 s12, v2
	;; [unrolled: 1-line block ×3, first 2 shown]
	s_mul_f32 s8, s8, 0x4f7ffffe
	s_mul_f32 s12, s12, 0x4f7ffffe
	s_mul_f32 s13, s13, 0x4f7ffffe
	s_delay_alu instid0(SALU_CYCLE_1) | instskip(NEXT) | instid1(SALU_CYCLE_1)
	s_cvt_u32_f32 s8, s8
	s_cvt_u32_f32 s12, s12
	s_delay_alu instid0(SALU_CYCLE_1) | instskip(NEXT) | instid1(SALU_CYCLE_1)
	s_cvt_u32_f32 s13, s13
	s_mul_i32 s14, s14, s8
	s_delay_alu instid0(SALU_CYCLE_1) | instskip(NEXT) | instid1(SALU_CYCLE_1)
	s_mul_i32 s18, s18, s12
	s_mul_i32 s19, s19, s13
	s_mul_hi_u32 s14, s8, s14
	s_mul_hi_u32 s18, s12, s18
	;; [unrolled: 1-line block ×3, first 2 shown]
	s_add_co_i32 s14, s8, s14
	s_add_co_i32 s8, s12, s18
	;; [unrolled: 1-line block ×3, first 2 shown]
	s_mul_u64 s[14:15], s[34:35], s[14:15]
	s_mov_b32 s13, s35
	s_and_saveexec_b32 s14, s5
; %bb.2:
	v_dual_mov_b32 v2, 0 :: v_dual_mov_b32 v3, s36
	s_delay_alu instid0(VALU_DEP_1)
	v_mov_b32_e32 v4, v2
	ds_store_b96 v2, v[2:4] offset:4096
; %bb.3:
	s_or_b32 exec_lo, exec_lo, s14
	s_mul_i32 s14, s15, s17
	s_add_co_i32 s18, s15, 1
	s_sub_co_i32 s14, s34, s14
	s_wait_dscnt 0x0
	s_sub_co_i32 s19, s14, s17
	s_cmp_ge_u32 s14, s17
	s_barrier_signal -1
	s_cselect_b32 s15, s18, s15
	s_barrier_wait -1
	s_load_b32 s18, s[10:11], 0xc
	s_cselect_b32 s14, s19, s14
	s_add_co_i32 s19, s15, 1
	s_cmp_ge_u32 s14, s17
	v_mbcnt_lo_u32_b32 v1, -1, 0
	s_cselect_b32 s14, s19, s15
	s_mov_b32 s51, 0
	s_mul_i32 s15, s14, s17
	s_mul_i32 s2, s14, s2
	s_sub_co_i32 s15, s34, s15
	v_cmp_gt_u32_e32 vcc_lo, 32, v0
	s_mul_i32 s15, s15, s3
	s_mul_u64 s[48:49], s[34:35], s[8:9]
	s_add_co_i32 s50, s2, s15
	v_cmp_gt_i32_e64 s2, 4, v1
	s_lshl_b64 s[14:15], s[50:51], 3
	s_bitcmp1_b32 s38, 0
	s_mul_u64 s[46:47], s[34:35], s[12:13]
	s_cselect_b32 s3, -1, 0
	s_and_b32 s67, vcc_lo, s2
	s_wait_kmcnt 0x0
	s_and_b32 s33, s18, 0xffff
	s_xor_b32 s65, s3, -1
	s_lshl_b32 s66, s33, 2
	s_cmp_gt_u32 s36, 0x180
	s_cvt_f32_u32 s2, s66
	s_cselect_b32 s68, -1, 0
	s_cmp_gt_u32 s33, 31
	s_add_nc_u64 s[30:31], s[6:7], s[14:15]
	s_cselect_b32 s69, -1, 0
	s_add_co_i32 s70, s33, -1
	v_rcp_iflag_f32_e32 v2, s2
	s_add_co_i32 s9, s70, s36
	s_cmp_lt_u32 s16, s4
	s_cvt_f32_u32 s7, s33
	s_cselect_b32 s50, 12, 18
	s_bfe_u32 s46, s18, 0xb0005
	v_mul_lo_u32 v20, s62, v0
	s_add_co_i32 s4, s46, -2
	v_dual_lshlrev_b32 v17, 2, v0 :: v_dual_mov_b32 v23, 0
	s_lshr_b32 s6, s4, 1
	s_clause 0x1
	s_load_b64 s[38:39], s[0:1], 0x1d0
	s_load_b64 s[44:45], s[0:1], 0xf0
	s_add_co_i32 s6, s6, 1
	s_cmp_gt_u32 s33, 63
	v_dual_lshlrev_b32 v40, 5, v0 :: v_dual_bitop2_b32 v4, 3, v17 bitop3:0x54
	s_cselect_b32 s48, -1, 0
	s_and_b32 s71, s46, 0x7fe
	s_and_b32 s72, s6, 7
	s_cmp_gt_u32 s4, 13
	v_readfirstlane_b32 s4, v2
	s_cselect_b32 s73, -1, 0
	s_and_b32 s74, s6, -8
	s_cmp_lg_u32 s72, 0
	v_rcp_iflag_f32_e32 v2, s7
	s_mul_f32 s4, s4, 0x4f7ffffe
	s_cselect_b32 s75, -1, 0
	s_cmp_lg_u32 s71, s46
	v_mad_u32 v35, s62, v17, s62
	s_cvt_u32_f32 s6, s4
	s_cselect_b32 s76, -1, 0
	s_sub_co_i32 s4, 0, s66
	v_mul_lo_u32 v37, s62, v4
	s_mul_i32 s4, s4, s6
	v_lshlrev_b32_e32 v38, 2, v20
	s_mul_hi_u32 s8, s6, s4
	v_mov_b64_e32 v[28:29], 0
	s_add_co_i32 s52, s6, s8
	v_readfirstlane_b32 s8, v2
	s_mul_hi_u32 s7, s36, s52
	v_lshlrev_b64_e64 v[2:3], v1, -1
	s_mul_i32 s7, s7, s66
	v_or_b32_e32 v3, 2, v17
	s_sub_co_i32 s7, s36, s7
	s_mul_f32 s8, s8, 0x4f7ffffe
	s_sub_co_i32 s12, s7, s66
	s_cmp_ge_u32 s7, s66
	v_not_b32_e32 v16, v2
	s_cselect_b32 s7, s12, s7
	s_cvt_u32_f32 s8, s8
	s_sub_co_i32 s12, s7, s66
	s_cmp_ge_u32 s7, s66
	v_lshrrev_b32_e32 v2, 1, v0
	s_cselect_b32 s12, s12, s7
	s_sub_co_i32 s7, 0, s33
	s_sub_co_i32 s77, s36, s12
	s_delay_alu instid0(SALU_CYCLE_1) | instskip(SKIP_3) | instid1(VALU_DEP_2)
	v_dual_mov_b32 v21, v23 :: v_dual_add_nc_u32 v33, s77, v0
	s_mul_i32 s7, s7, s8
	v_mul_lo_u32 v36, s62, v3
	s_mul_hi_u32 s7, s8, s7
	v_lshl_add_u64 v[18:19], v[20:21], 3, s[30:31]
	v_lshlrev_b32_e32 v21, 3, v0
	s_add_co_i32 s54, s8, s7
	s_movk_i32 s8, 0x1f0
	s_mul_hi_u32 s7, s9, s54
	v_and_or_b32 v34, v2, s8, 0xc00
	s_mul_i32 s7, s7, s33
	v_add3_u32 v2, s33, s36, v0
	s_sub_co_i32 s7, s9, s7
	v_mul_lo_u32 v22, v33, s62
	s_sub_co_i32 s8, s7, s33
	s_cmp_ge_u32 s7, s33
	v_subrev_nc_u32_e32 v2, s12, v2
	s_cselect_b32 s13, s8, s7
	v_mov_b64_e32 v[6:7], 0
	s_sub_co_i32 s14, s13, s33
	s_cmp_ge_u32 s13, s33
	v_mul_lo_u32 v39, s62, v2
	s_cselect_b32 s13, s14, s13
	v_mov_b64_e32 v[26:27], 0
	s_sub_co_i32 s78, s9, s13
	v_mov_b64_e32 v[30:31], 0
	v_cmp_eq_u32_e64 s2, 0, v1
	v_cmp_gt_u32_e64 s4, s36, v0
	v_cmp_gt_u32_e64 s6, 2, v0
	v_add_nc_u32_e32 v32, 0xc00, v21
	v_cmp_gt_u32_e64 s7, s77, v17
	v_cmp_gt_u32_e64 s8, s36, v33
	v_lshl_add_u64 v[24:25], v[22:23], 3, s[30:31]
	v_cmp_gt_u32_e64 s9, s78, v0
	v_lshl_or_b32 v41, v1, 2, 0xc00
	v_dual_mov_b32 v42, s37 :: v_dual_mov_b32 v2, 1
	s_mul_i32 s35, s62, s33
	s_mov_b32 s53, s51
	s_mov_b32 s55, s51
	s_lshl_b32 s79, s35, 2
	s_lshl_b32 s80, s33, 5
	;; [unrolled: 1-line block ×3, first 2 shown]
	s_mov_b32 s82, 62
	s_add_nc_u64 s[56:57], s[10:11], s[50:51]
	s_mov_b32 s83, 0
	s_mov_b32 s85, 0
                                        ; implicit-def: $sgpr84
                                        ; implicit-def: $sgpr88
                                        ; implicit-def: $sgpr87
                                        ; implicit-def: $sgpr89
                                        ; implicit-def: $sgpr86
                                        ; implicit-def: $sgpr93
                                        ; implicit-def: $sgpr94
                                        ; implicit-def: $sgpr90
                                        ; implicit-def: $sgpr92
                                        ; implicit-def: $sgpr91
	s_branch .LBB46_6
.LBB46_4:                               ;   in Loop: Header=BB46_6 Depth=1
	s_or_b32 exec_lo, exec_lo, s13
	v_mov_b32_e32 v42, v43
	s_and_not1_b32 s13, s91, exec_lo
	s_and_b32 s12, s12, exec_lo
	s_and_not1_b32 s92, s92, exec_lo
	s_or_b32 s91, s13, s12
	s_and_not1_b32 s90, s90, exec_lo
	s_and_not1_b32 s94, s94, exec_lo
	s_and_not1_b32 s93, s93, exec_lo
	s_or_not1_b32 s12, s11, exec_lo
.LBB46_5:                               ;   in Loop: Header=BB46_6 Depth=1
	s_or_b32 exec_lo, exec_lo, s10
	s_delay_alu instid0(SALU_CYCLE_1) | instskip(NEXT) | instid1(SALU_CYCLE_1)
	s_and_b32 s10, exec_lo, s12
	s_or_b32 s83, s10, s83
	s_and_not1_b32 s10, s86, exec_lo
	s_and_b32 s11, s91, exec_lo
	s_and_not1_b32 s12, s89, exec_lo
	s_or_b32 s86, s10, s11
	s_and_b32 s10, s92, exec_lo
	s_and_not1_b32 s11, s87, exec_lo
	s_and_b32 s13, s90, exec_lo
	s_or_b32 s89, s12, s10
	s_or_b32 s87, s11, s13
	s_and_not1_b32 s10, s88, exec_lo
	s_and_b32 s11, s94, exec_lo
	s_and_not1_b32 s12, s84, exec_lo
	s_and_b32 s13, s93, exec_lo
	s_or_b32 s88, s10, s11
	s_or_b32 s84, s12, s13
	s_and_not1_b32 exec_lo, exec_lo, s83
	s_cbranch_execz .LBB46_395
.LBB46_6:                               ; =>This Loop Header: Depth=1
                                        ;     Child Loop BB46_12 Depth 2
                                        ;     Child Loop BB46_25 Depth 2
	;; [unrolled: 1-line block ×25, first 2 shown]
	ds_load_b64 v[4:5], v23 offset:4096
	s_wait_dscnt 0x0
	v_readfirstlane_b32 s50, v4
	s_cmp_lg_u32 s50, 0
	s_cbranch_scc1 .LBB46_33
; %bb.7:                                ;   in Loop: Header=BB46_6 Depth=1
	s_and_b32 vcc_lo, exec_lo, s68
	s_cbranch_vccz .LBB46_20
; %bb.8:                                ;   in Loop: Header=BB46_6 Depth=1
	v_cmp_gt_u32_e32 vcc_lo, 0x181, v5
	s_mov_b32 s12, 0
	s_mov_b32 s10, 0
	s_cbranch_vccz .LBB46_21
; %bb.9:                                ;   in Loop: Header=BB46_6 Depth=1
	s_and_saveexec_b32 s13, s4
	s_cbranch_execz .LBB46_83
; %bb.10:                               ;   in Loop: Header=BB46_6 Depth=1
	global_load_b64 v[4:5], v[18:19], off
	s_load_u16 s14, s[56:57], 0x0
	s_mov_b32 s16, 0
	s_wait_kmcnt 0x0
	v_dual_mov_b32 v10, v0 :: v_dual_add_nc_u32 v3, s14, v0
	s_mul_i32 s15, s62, s14
	s_delay_alu instid0(VALU_DEP_1)
	v_mul_lo_u32 v3, s62, v3
	s_branch .LBB46_12
.LBB46_11:                              ;   in Loop: Header=BB46_12 Depth=2
	s_or_b32 exec_lo, exec_lo, s11
	v_mov_b64_e32 v[4:5], v[8:9]
	v_add_nc_u32_e32 v3, s15, v3
	s_and_not1_b32 exec_lo, exec_lo, s16
	s_cbranch_execz .LBB46_83
.LBB46_12:                              ;   Parent Loop BB46_6 Depth=1
                                        ; =>  This Inner Loop Header: Depth=2
	v_mov_b64_e32 v[8:9], 0
	v_add_nc_u32_e32 v10, s14, v10
	s_mov_b32 s11, exec_lo
	s_delay_alu instid0(VALU_DEP_1)
	v_cmp_le_u32_e32 vcc_lo, s36, v10
	v_cmpx_gt_u32_e64 s36, v10
	s_cbranch_execz .LBB46_14
; %bb.13:                               ;   in Loop: Header=BB46_12 Depth=2
	global_load_b64 v[8:9], v3, s[30:31] scale_offset
.LBB46_14:                              ;   in Loop: Header=BB46_12 Depth=2
	s_wait_xcnt 0x0
	s_or_b32 exec_lo, exec_lo, s11
	s_wait_loadcnt_dscnt 0x0
	v_xor_b32_e32 v11, 0x80000000, v5
	v_and_b32_e32 v12, v4, v30
	s_delay_alu instid0(VALU_DEP_2) | instskip(NEXT) | instid1(VALU_DEP_1)
	v_dual_mov_b32 v11, 0 :: v_dual_bitop2_b32 v13, v11, v31 bitop3:0x40
	v_cmp_eq_u64_e64 s10, v[12:13], v[26:27]
	s_cmp_lg_u32 s10, 0
	s_cselect_b32 s11, -1, 0
	s_delay_alu instid0(SALU_CYCLE_1) | instskip(NEXT) | instid1(SALU_CYCLE_1)
	s_and_b32 s11, s2, s11
	s_and_saveexec_b32 s17, s11
	s_cbranch_execz .LBB46_18
; %bb.15:                               ;   in Loop: Header=BB46_12 Depth=2
	s_mov_b32 s20, exec_lo
	s_bcnt1_i32_b32 s18, s10
	v_mbcnt_lo_u32_b32 v11, s20, 0
	s_mov_b32 s19, exec_lo
                                        ; implicit-def: $vgpr12
	s_delay_alu instid0(VALU_DEP_1)
	v_cmpx_eq_u32_e32 0, v11
; %bb.16:                               ;   in Loop: Header=BB46_12 Depth=2
	s_bcnt1_i32_b32 s11, s20
	s_delay_alu instid0(SALU_CYCLE_1) | instskip(NEXT) | instid1(SALU_CYCLE_1)
	s_mul_i32 s11, s18, s11
	v_mov_b32_e32 v12, s11
	ds_add_rtn_u32 v12, v23, v12 offset:4104
; %bb.17:                               ;   in Loop: Header=BB46_12 Depth=2
	s_or_b32 exec_lo, exec_lo, s19
	s_wait_dscnt 0x0
	v_readfirstlane_b32 s11, v12
	s_delay_alu instid0(VALU_DEP_1)
	v_mad_u32_u24 v11, s18, v11, s11
.LBB46_18:                              ;   in Loop: Header=BB46_12 Depth=2
	s_or_b32 exec_lo, exec_lo, s17
	ds_bpermute_b32 v11, v23, v11
	s_and_b32 s11, exec_lo, vcc_lo
	s_delay_alu instid0(SALU_CYCLE_1)
	s_or_b32 s16, s11, s16
	s_and_saveexec_b32 s11, s10
	s_cbranch_execz .LBB46_11
; %bb.19:                               ;   in Loop: Header=BB46_12 Depth=2
	v_and_b32_e32 v12, s10, v16
	s_delay_alu instid0(VALU_DEP_1) | instskip(NEXT) | instid1(VALU_DEP_1)
	v_bcnt_u32_b32 v12, v12, 0
	v_lshlrev_b32_e32 v12, 3, v12
	s_wait_dscnt 0x0
	s_delay_alu instid0(VALU_DEP_1)
	v_lshl_add_u32 v11, v11, 3, v12
	ds_store_b64 v11, v[4:5]
	s_branch .LBB46_11
.LBB46_20:                              ;   in Loop: Header=BB46_6 Depth=1
	s_mov_b32 s12, -1
	s_mov_b32 s10, 0
.LBB46_21:                              ;   in Loop: Header=BB46_6 Depth=1
	s_and_b32 vcc_lo, exec_lo, s12
	s_cbranch_vccz .LBB46_31
.LBB46_22:                              ;   in Loop: Header=BB46_6 Depth=1
	s_and_saveexec_b32 s10, s4
	s_cbranch_execz .LBB46_28
; %bb.23:                               ;   in Loop: Header=BB46_6 Depth=1
	global_load_b64 v[4:5], v[18:19], off
	s_load_u16 s12, s[56:57], 0x0
	s_mov_b32 s11, exec_lo
	s_wait_kmcnt 0x0
	v_dual_mov_b32 v3, v0 :: v_dual_add_nc_u32 v8, s12, v0
	s_delay_alu instid0(VALU_DEP_1)
	v_cmpx_gt_u32_e64 s36, v8
	s_cbranch_execz .LBB46_27
; %bb.24:                               ;   in Loop: Header=BB46_6 Depth=1
	v_mul_lo_u32 v10, s62, v8
	v_dual_mov_b32 v11, v21 :: v_dual_mov_b32 v3, v0
	s_lshl_b32 s13, s12, 3
	s_mul_i32 s15, s62, s12
	s_mov_b32 s14, 0
.LBB46_25:                              ;   Parent Loop BB46_6 Depth=1
                                        ; =>  This Inner Loop Header: Depth=2
	global_load_b64 v[8:9], v10, s[30:31] scale_offset
	s_wait_xcnt 0x0
	v_dual_add_nc_u32 v3, s12, v3 :: v_dual_add_nc_u32 v10, s15, v10
	s_wait_loadcnt 0x1
	ds_store_b64 v11, v[4:5]
	v_add_nc_u32_e32 v11, s13, v11
	v_add_nc_u32_e32 v12, s12, v3
	s_delay_alu instid0(VALU_DEP_1)
	v_cmp_le_u32_e32 vcc_lo, s36, v12
	s_or_b32 s14, vcc_lo, s14
	s_wait_loadcnt 0x0
	v_mov_b64_e32 v[4:5], v[8:9]
	s_and_not1_b32 exec_lo, exec_lo, s14
	s_cbranch_execnz .LBB46_25
; %bb.26:                               ;   in Loop: Header=BB46_6 Depth=1
	s_or_b32 exec_lo, exec_lo, s14
	v_mov_b64_e32 v[4:5], v[8:9]
.LBB46_27:                              ;   in Loop: Header=BB46_6 Depth=1
	s_or_b32 exec_lo, exec_lo, s11
	s_delay_alu instid0(VALU_DEP_2)
	v_lshlrev_b32_e32 v3, 3, v3
	s_wait_loadcnt 0x0
	ds_store_b64 v3, v[4:5]
.LBB46_28:                              ;   in Loop: Header=BB46_6 Depth=1
	s_or_b32 exec_lo, exec_lo, s10
	s_wait_dscnt 0x0
	s_barrier_signal -1
	s_barrier_wait -1
	s_and_saveexec_b32 s10, s5
; %bb.29:                               ;   in Loop: Header=BB46_6 Depth=1
	v_mov_b32_e32 v3, s36
	ds_store_b32 v23, v3 offset:4096
; %bb.30:                               ;   in Loop: Header=BB46_6 Depth=1
	s_or_b32 exec_lo, exec_lo, s10
	s_mov_b32 s10, -1
	s_wait_dscnt 0x0
	s_barrier_signal -1
	s_barrier_wait -1
.LBB46_31:                              ;   in Loop: Header=BB46_6 Depth=1
	s_and_b32 vcc_lo, exec_lo, s10
	s_mov_b32 s50, 0
	s_cbranch_vccz .LBB46_33
; %bb.32:                               ;   in Loop: Header=BB46_6 Depth=1
	ds_load_b32 v3, v23 offset:4096
	s_wait_dscnt 0x0
	v_readfirstlane_b32 s50, v3
.LBB46_33:                              ;   in Loop: Header=BB46_6 Depth=1
	s_delay_alu instid0(VALU_DEP_1)
	s_cmp_lt_i32 s50, 1
	s_mov_b32 s10, -1
                                        ; implicit-def: $vgpr10_vgpr11
	s_cbranch_scc1 .LBB46_46
; %bb.34:                               ;   in Loop: Header=BB46_6 Depth=1
	s_and_b32 vcc_lo, exec_lo, s10
	s_cbranch_vccnz .LBB46_57
.LBB46_35:                              ;   in Loop: Header=BB46_6 Depth=1
	s_lshl_b32 s12, s85, 7
	s_and_saveexec_b32 s10, s2
.LBB46_36:                              ;   in Loop: Header=BB46_6 Depth=1
	v_lshl_add_u32 v3, s12, 2, v34
	ds_store_b128 v3, v[8:11]
.LBB46_37:                              ;   in Loop: Header=BB46_6 Depth=1
	s_or_b32 exec_lo, exec_lo, s10
	s_wait_dscnt 0x0
	s_barrier_signal -1
	s_barrier_wait -1
	s_and_saveexec_b32 s13, s67
	s_cbranch_execz .LBB46_70
; %bb.38:                               ;   in Loop: Header=BB46_6 Depth=1
	v_dual_mov_b32 v4, 0 :: v_dual_add_nc_u32 v3, s12, v1
	s_and_not1_b32 vcc_lo, exec_lo, s69
	s_cbranch_vccnz .LBB46_69
; %bb.39:                               ;   in Loop: Header=BB46_6 Depth=1
	s_and_not1_b32 vcc_lo, exec_lo, s48
	s_cbranch_vccnz .LBB46_66
; %bb.40:                               ;   in Loop: Header=BB46_6 Depth=1
	v_lshl_add_u32 v8, v3, 2, 0xc00
	s_and_not1_b32 vcc_lo, exec_lo, s73
	s_cbranch_vccnz .LBB46_97
; %bb.41:                               ;   in Loop: Header=BB46_6 Depth=1
	v_dual_mov_b32 v4, 0 :: v_dual_mov_b32 v5, 0
	s_mov_b32 s11, 1
	s_mov_b32 s10, 0
	;; [unrolled: 1-line block ×3, first 2 shown]
.LBB46_42:                              ;   Parent Loop BB46_6 Depth=1
                                        ; =>  This Inner Loop Header: Depth=2
	v_lshl_add_u32 v9, s11, 4, v8
	v_lshl_add_u32 v22, s10, 4, v8
	s_add_co_i32 s14, s14, -8
	s_add_co_i32 s11, s11, 16
	s_add_co_i32 s10, s10, 16
	ds_load_2addr_b32 v[10:11], v9 offset1:8
	ds_load_2addr_b32 v[12:13], v22 offset1:8
	ds_load_2addr_b32 v[14:15], v9 offset0:16 offset1:24
	ds_load_2addr_b32 v[44:45], v22 offset0:16 offset1:24
	;; [unrolled: 1-line block ×6, first 2 shown]
	s_cmp_lg_u32 s14, 0
	s_wait_dscnt 0x7
	v_add3_u32 v5, v10, v5, v11
	s_wait_dscnt 0x6
	v_add3_u32 v4, v12, v4, v13
	s_wait_dscnt 0x5
	s_delay_alu instid0(VALU_DEP_2) | instskip(SKIP_1) | instid1(VALU_DEP_2)
	v_add3_u32 v5, v14, v5, v15
	s_wait_dscnt 0x4
	v_add3_u32 v4, v44, v4, v45
	s_wait_dscnt 0x3
	s_delay_alu instid0(VALU_DEP_2) | instskip(SKIP_1) | instid1(VALU_DEP_2)
	;; [unrolled: 5-line block ×3, first 2 shown]
	v_add3_u32 v5, v50, v5, v51
	s_wait_dscnt 0x0
	v_add3_u32 v4, v52, v4, v53
	s_cbranch_scc1 .LBB46_42
; %bb.43:                               ;   in Loop: Header=BB46_6 Depth=1
	s_and_not1_b32 vcc_lo, exec_lo, s75
	s_mov_b32 s14, s72
	s_cbranch_vccnz .LBB46_45
.LBB46_44:                              ;   Parent Loop BB46_6 Depth=1
                                        ; =>  This Inner Loop Header: Depth=2
	v_lshl_add_u32 v9, s11, 4, v8
	v_lshl_add_u32 v10, s10, 4, v8
	s_add_co_i32 s14, s14, -1
	s_add_co_i32 s11, s11, 2
	s_add_co_i32 s10, s10, 2
	ds_load_b32 v9, v9
	ds_load_b32 v10, v10
	s_cmp_lg_u32 s14, 0
	s_wait_dscnt 0x0
	v_dual_add_nc_u32 v5, v9, v5 :: v_dual_add_nc_u32 v4, v10, v4
	s_cbranch_scc1 .LBB46_44
.LBB46_45:                              ;   in Loop: Header=BB46_6 Depth=1
	s_delay_alu instid0(VALU_DEP_1) | instskip(SKIP_2) | instid1(SALU_CYCLE_1)
	v_add_nc_u32_e32 v4, v4, v5
	s_mov_b32 s10, s71
	s_mov_b32 s11, s76
	s_and_b32 vcc_lo, exec_lo, s11
	s_cbranch_vccnz .LBB46_67
	s_branch .LBB46_69
.LBB46_46:                              ;   in Loop: Header=BB46_6 Depth=1
	v_mov_b64_e32 v[10:11], 0
	v_mov_b64_e32 v[8:9], 0
	s_and_saveexec_b32 s95, s7
	s_cbranch_execz .LBB46_50
; %bb.47:                               ;   in Loop: Header=BB46_6 Depth=1
	v_mov_b32_e32 v3, v17
	s_mov_b32 s96, 0
	s_mov_b32 s97, 0
	;; [unrolled: 1-line block ×6, first 2 shown]
.LBB46_48:                              ;   Parent Loop BB46_6 Depth=1
                                        ; =>  This Inner Loop Header: Depth=2
	v_dual_add_nc_u32 v4, s97, v38 :: v_dual_add_nc_u32 v5, s97, v35
	v_dual_add_nc_u32 v8, s97, v36 :: v_dual_add_nc_u32 v14, s97, v37
	v_dual_add_nc_u32 v3, s66, v3 :: v_dual_mov_b32 v15, v23
	s_clause 0x3
	global_load_b64 v[12:13], v4, s[30:31] scale_offset
	global_load_b64 v[10:11], v5, s[30:31] scale_offset
	;; [unrolled: 1-line block ×4, first 2 shown]
	v_dual_mov_b32 v45, v23 :: v_dual_mov_b32 v47, v23
	v_cmp_le_u32_e32 vcc_lo, s77, v3
	s_add_co_i32 s97, s97, s79
	s_wait_loadcnt 0x3
	v_xor_b32_e32 v13, 0x80000000, v13
	s_wait_loadcnt 0x2
	v_xor_b32_e32 v11, 0x80000000, v11
	;; [unrolled: 2-line block ×3, first 2 shown]
	v_and_b32_e32 v48, v12, v30
	s_wait_loadcnt 0x0
	v_xor_b32_e32 v5, 0x80000000, v5
	v_and_b32_e32 v49, v13, v31
	v_lshrrev_b64 v[12:13], s82, v[12:13]
	v_and_b32_e32 v50, v10, v30
	v_and_b32_e32 v51, v11, v31
	v_lshrrev_b64 v[10:11], s82, v[10:11]
	v_and_b32_e32 v52, v8, v30
	;; [unrolled: 3-line block ×4, first 2 shown]
	v_and_b32_e32 v14, 3, v10
	v_cmp_eq_u64_e64 s10, v[48:49], v[26:27]
	v_and_b32_e32 v44, 3, v8
	v_cmp_eq_u64_e64 s11, v[50:51], v[26:27]
	v_cmp_eq_u64_e64 s14, 0, v[22:23]
	v_and_b32_e32 v46, 3, v4
	v_cmp_eq_u64_e64 s15, 0, v[14:15]
	v_cmp_eq_u64_e64 s12, v[52:53], v[26:27]
	;; [unrolled: 1-line block ×5, first 2 shown]
	s_and_b32 s14, s10, s14
	v_cmp_eq_u64_e64 s18, 1, v[22:23]
	v_cndmask_b32_e64 v4, 0, 1, s14
	s_and_b32 s14, s11, s15
	v_cmp_eq_u64_e64 s19, 1, v[14:15]
	v_cndmask_b32_e64 v5, 0, 1, s14
	;; [unrolled: 3-line block ×4, first 2 shown]
	s_and_b32 s14, s10, s18
	v_cmp_eq_u64_e64 s22, 2, v[22:23]
	v_cmp_eq_u64_e64 s26, 3, v[22:23]
	v_cndmask_b32_e64 v10, 0, 1, s14
	s_and_b32 s14, s11, s19
	v_cmp_eq_u64_e64 s23, 2, v[14:15]
	v_cmp_eq_u64_e64 s27, 3, v[14:15]
	v_cndmask_b32_e64 v11, 0, 1, s14
	;; [unrolled: 4-line block ×4, first 2 shown]
	s_and_b32 s14, s10, s22
	s_and_b32 s10, s10, s26
	v_cndmask_b32_e64 v14, 0, 1, s14
	s_and_b32 s14, s11, s23
	v_cndmask_b32_e64 v44, 0, 1, s10
	;; [unrolled: 2-line block ×7, first 2 shown]
	v_cndmask_b32_e64 v47, 0, 1, s10
	v_cmp_ne_u32_e64 s10, 0, v4
	v_cmp_ne_u32_e64 s14, 0, v10
	;; [unrolled: 1-line block ×12, first 2 shown]
	s_bcnt1_i32_b32 s10, s10
	s_bcnt1_i32_b32 s14, s14
	;; [unrolled: 1-line block ×4, first 2 shown]
	v_cmp_ne_u32_e64 s13, 0, v9
	v_cmp_ne_u32_e64 s17, 0, v13
	;; [unrolled: 1-line block ×4, first 2 shown]
	s_bcnt1_i32_b32 s11, s11
	s_bcnt1_i32_b32 s15, s15
	s_bcnt1_i32_b32 s19, s19
	s_bcnt1_i32_b32 s23, s23
	s_add_co_i32 s10, s10, s58
	s_add_co_i32 s14, s14, s59
	s_add_co_i32 s18, s18, s60
	s_add_co_i32 s22, s22, s61
	s_bcnt1_i32_b32 s12, s12
	s_bcnt1_i32_b32 s16, s16
	s_bcnt1_i32_b32 s20, s20
	s_bcnt1_i32_b32 s24, s24
	s_add_co_i32 s14, s14, s15
	s_add_co_i32 s10, s10, s11
	s_add_co_i32 s11, s22, s23
	s_add_co_i32 s15, s18, s19
	;; [unrolled: 8-line block ×3, first 2 shown]
	s_add_co_i32 s59, s12, s17
	s_add_co_i32 s58, s10, s13
	;; [unrolled: 1-line block ×4, first 2 shown]
	v_mov_b64_e32 v[8:9], s[58:59]
	v_mov_b64_e32 v[10:11], s[60:61]
	s_or_b32 s96, vcc_lo, s96
	s_delay_alu instid0(SALU_CYCLE_1)
	s_and_not1_b32 exec_lo, exec_lo, s96
	s_cbranch_execnz .LBB46_48
; %bb.49:                               ;   in Loop: Header=BB46_6 Depth=1
	s_or_b32 exec_lo, exec_lo, s96
.LBB46_50:                              ;   in Loop: Header=BB46_6 Depth=1
	s_delay_alu instid0(SALU_CYCLE_1)
	s_or_b32 exec_lo, exec_lo, s95
	s_and_saveexec_b32 s14, s8
	s_cbranch_execz .LBB46_56
; %bb.51:                               ;   in Loop: Header=BB46_6 Depth=1
	global_load_b64 v[12:13], v[24:25], off
	v_dual_mov_b32 v3, v39 :: v_dual_mov_b32 v14, v33
	s_mov_b32 s15, 0
	s_branch .LBB46_53
.LBB46_52:                              ;   in Loop: Header=BB46_53 Depth=2
	s_wait_xcnt 0x0
	s_or_b32 exec_lo, exec_lo, s11
	s_wait_loadcnt 0x0
	v_xor_b32_e32 v13, 0x80000000, v13
	s_and_b32 s13, exec_lo, vcc_lo
	v_add_nc_u32_e32 v3, s35, v3
	s_or_b32 s15, s13, s15
	s_delay_alu instid0(VALU_DEP_2) | instskip(SKIP_2) | instid1(VALU_DEP_1)
	v_lshrrev_b64 v[44:45], s82, v[12:13]
	v_and_b32_e32 v12, v12, v30
	v_and_b32_e32 v13, v13, v31
	v_cmp_eq_u64_e64 s10, v[12:13], v[26:27]
	s_delay_alu instid0(VALU_DEP_4) | instskip(NEXT) | instid1(VALU_DEP_1)
	v_and_b32_e32 v22, 3, v44
	v_cmp_eq_u64_e64 s11, 0, v[22:23]
	v_cmp_eq_u64_e64 s12, 1, v[22:23]
	v_cmp_eq_u64_e32 vcc_lo, 2, v[22:23]
	v_cmp_eq_u64_e64 s13, 3, v[22:23]
	s_and_b32 s11, s10, s11
	s_delay_alu instid0(SALU_CYCLE_1) | instskip(SKIP_1) | instid1(SALU_CYCLE_1)
	v_cndmask_b32_e64 v12, 0, 1, s11
	s_and_b32 s11, s10, s12
	v_cndmask_b32_e64 v13, 0, 1, s11
	s_and_b32 s11, s10, vcc_lo
	s_and_b32 s10, s10, s13
	v_cndmask_b32_e64 v15, 0, 1, s11
	v_cndmask_b32_e64 v22, 0, 1, s10
	v_cmp_ne_u32_e32 vcc_lo, 0, v12
	v_cmp_ne_u32_e64 s10, 0, v13
	v_mov_b64_e32 v[12:13], v[4:5]
	v_cmp_ne_u32_e64 s11, 0, v15
	v_cmp_ne_u32_e64 s12, 0, v22
	s_bcnt1_i32_b32 s13, vcc_lo
	s_bcnt1_i32_b32 s10, s10
	s_bcnt1_i32_b32 s11, s11
	;; [unrolled: 1-line block ×3, first 2 shown]
	v_dual_add_nc_u32 v9, s10, v9 :: v_dual_add_nc_u32 v8, s13, v8
	v_dual_add_nc_u32 v10, s11, v10 :: v_dual_add_nc_u32 v11, s12, v11
	s_and_not1_b32 exec_lo, exec_lo, s15
	s_cbranch_execz .LBB46_55
.LBB46_53:                              ;   Parent Loop BB46_6 Depth=1
                                        ; =>  This Inner Loop Header: Depth=2
	v_mov_b64_e32 v[4:5], 0
	s_delay_alu instid0(VALU_DEP_2) | instskip(SKIP_1) | instid1(VALU_DEP_1)
	v_add_nc_u32_e32 v14, s33, v14
	s_mov_b32 s11, exec_lo
	v_cmp_le_u32_e32 vcc_lo, s36, v14
	s_wait_xcnt 0x0
	v_cmpx_gt_u32_e64 s36, v14
	s_cbranch_execz .LBB46_52
; %bb.54:                               ;   in Loop: Header=BB46_53 Depth=2
	global_load_b64 v[4:5], v3, s[30:31] scale_offset
	s_branch .LBB46_52
.LBB46_55:                              ;   in Loop: Header=BB46_6 Depth=1
	s_or_b32 exec_lo, exec_lo, s15
.LBB46_56:                              ;   in Loop: Header=BB46_6 Depth=1
	s_delay_alu instid0(SALU_CYCLE_1)
	s_or_b32 exec_lo, exec_lo, s14
	s_branch .LBB46_35
.LBB46_57:                              ;   in Loop: Header=BB46_6 Depth=1
	s_mul_u64 s[10:11], s[50:51], s[52:53]
	v_mov_b64_e32 v[10:11], 0
	s_mul_i32 s10, s11, s66
	v_mov_b64_e32 v[8:9], 0
	s_sub_co_i32 s10, s50, s10
	s_mov_b32 s96, exec_lo
	s_sub_co_i32 s11, s10, s66
	s_cmp_ge_u32 s10, s66
	s_cselect_b32 s10, s11, s10
	s_delay_alu instid0(SALU_CYCLE_1) | instskip(SKIP_2) | instid1(SALU_CYCLE_1)
	s_sub_co_i32 s11, s10, s66
	s_cmp_ge_u32 s10, s66
	s_cselect_b32 s10, s11, s10
	s_sub_co_i32 s95, s50, s10
	s_delay_alu instid0(SALU_CYCLE_1)
	v_cmpx_gt_u32_e64 s95, v17
	s_cbranch_execz .LBB46_61
; %bb.58:                               ;   in Loop: Header=BB46_6 Depth=1
	v_dual_mov_b32 v3, v40 :: v_dual_mov_b32 v4, v17
	s_mov_b32 s97, 0
	s_mov_b32 s58, 0
	;; [unrolled: 1-line block ×5, first 2 shown]
.LBB46_59:                              ;   Parent Loop BB46_6 Depth=1
                                        ; =>  This Inner Loop Header: Depth=2
	ds_load_b128 v[12:15], v3
	ds_load_b128 v[8:11], v3 offset:16
	v_dual_add_nc_u32 v3, s80, v3 :: v_dual_add_nc_u32 v4, s66, v4
	v_dual_mov_b32 v45, v23 :: v_dual_mov_b32 v47, v23
	v_mov_b32_e32 v49, v23
	s_delay_alu instid0(VALU_DEP_3)
	v_cmp_le_u32_e32 vcc_lo, s95, v4
	s_wait_dscnt 0x1
	v_xor_b32_e32 v13, 0x80000000, v13
	v_xor_b32_e32 v15, 0x80000000, v15
	s_wait_dscnt 0x0
	v_xor_b32_e32 v9, 0x80000000, v9
	v_and_b32_e32 v50, v12, v30
	v_xor_b32_e32 v11, 0x80000000, v11
	v_and_b32_e32 v51, v13, v31
	v_lshrrev_b64 v[12:13], s82, v[12:13]
	v_and_b32_e32 v52, v14, v30
	v_and_b32_e32 v53, v15, v31
	v_lshrrev_b64 v[14:15], s82, v[14:15]
	v_and_b32_e32 v54, v8, v30
	;; [unrolled: 3-line block ×4, first 2 shown]
	v_and_b32_e32 v44, 3, v14
	v_cmp_eq_u64_e64 s10, v[50:51], v[26:27]
	v_and_b32_e32 v46, 3, v8
	v_cmp_eq_u64_e64 s11, v[52:53], v[26:27]
	v_cmp_eq_u64_e64 s14, 0, v[22:23]
	v_and_b32_e32 v48, 3, v10
	v_cmp_eq_u64_e64 s15, 0, v[44:45]
	v_cmp_eq_u64_e64 s12, v[54:55], v[26:27]
	;; [unrolled: 1-line block ×5, first 2 shown]
	s_and_b32 s14, s10, s14
	v_cmp_eq_u64_e64 s18, 1, v[22:23]
	v_cndmask_b32_e64 v5, 0, 1, s14
	s_and_b32 s14, s11, s15
	v_cmp_eq_u64_e64 s19, 1, v[44:45]
	v_cndmask_b32_e64 v8, 0, 1, s14
	;; [unrolled: 3-line block ×4, first 2 shown]
	s_and_b32 s14, s10, s18
	v_cmp_eq_u64_e64 s22, 2, v[22:23]
	v_cmp_eq_u64_e64 s26, 3, v[22:23]
	v_cndmask_b32_e64 v11, 0, 1, s14
	s_and_b32 s14, s11, s19
	v_cmp_eq_u64_e64 s23, 2, v[44:45]
	v_cmp_eq_u64_e64 s27, 3, v[44:45]
	v_cndmask_b32_e64 v12, 0, 1, s14
	;; [unrolled: 4-line block ×4, first 2 shown]
	s_and_b32 s14, s10, s22
	s_and_b32 s10, s10, s26
	v_cndmask_b32_e64 v15, 0, 1, s14
	s_and_b32 s14, s11, s23
	v_cndmask_b32_e64 v45, 0, 1, s10
	;; [unrolled: 2-line block ×7, first 2 shown]
	v_cndmask_b32_e64 v48, 0, 1, s10
	v_cmp_ne_u32_e64 s10, 0, v5
	v_cmp_ne_u32_e64 s14, 0, v11
	;; [unrolled: 1-line block ×12, first 2 shown]
	s_bcnt1_i32_b32 s10, s10
	s_bcnt1_i32_b32 s14, s14
	;; [unrolled: 1-line block ×4, first 2 shown]
	v_cmp_ne_u32_e64 s13, 0, v10
	v_cmp_ne_u32_e64 s17, 0, v14
	;; [unrolled: 1-line block ×4, first 2 shown]
	s_bcnt1_i32_b32 s11, s11
	s_bcnt1_i32_b32 s15, s15
	s_bcnt1_i32_b32 s19, s19
	s_bcnt1_i32_b32 s23, s23
	s_add_co_i32 s10, s10, s58
	s_add_co_i32 s14, s14, s59
	s_add_co_i32 s18, s18, s60
	s_add_co_i32 s22, s22, s61
	s_bcnt1_i32_b32 s12, s12
	s_bcnt1_i32_b32 s16, s16
	s_bcnt1_i32_b32 s20, s20
	s_bcnt1_i32_b32 s24, s24
	s_add_co_i32 s14, s14, s15
	s_add_co_i32 s10, s10, s11
	s_add_co_i32 s11, s22, s23
	s_add_co_i32 s15, s18, s19
	;; [unrolled: 8-line block ×3, first 2 shown]
	s_add_co_i32 s59, s12, s17
	s_add_co_i32 s58, s10, s13
	;; [unrolled: 1-line block ×4, first 2 shown]
	v_mov_b64_e32 v[8:9], s[58:59]
	v_mov_b64_e32 v[10:11], s[60:61]
	s_or_b32 s97, vcc_lo, s97
	s_delay_alu instid0(SALU_CYCLE_1)
	s_and_not1_b32 exec_lo, exec_lo, s97
	s_cbranch_execnz .LBB46_59
; %bb.60:                               ;   in Loop: Header=BB46_6 Depth=1
	s_or_b32 exec_lo, exec_lo, s97
.LBB46_61:                              ;   in Loop: Header=BB46_6 Depth=1
	s_delay_alu instid0(SALU_CYCLE_1) | instskip(SKIP_2) | instid1(VALU_DEP_1)
	s_or_b32 exec_lo, exec_lo, s96
	v_add_nc_u32_e32 v3, s95, v0
	s_mov_b32 s15, exec_lo
	v_cmpx_gt_u32_e64 s50, v3
	s_cbranch_execz .LBB46_65
; %bb.62:                               ;   in Loop: Header=BB46_6 Depth=1
	v_lshlrev_b32_e32 v4, 3, v3
	s_mov_b32 s16, 0
.LBB46_63:                              ;   Parent Loop BB46_6 Depth=1
                                        ; =>  This Inner Loop Header: Depth=2
	ds_load_b64 v[12:13], v4
	v_dual_add_nc_u32 v3, s33, v3 :: v_dual_add_nc_u32 v4, s81, v4
	s_delay_alu instid0(VALU_DEP_1) | instskip(SKIP_3) | instid1(VALU_DEP_2)
	v_cmp_le_u32_e32 vcc_lo, s50, v3
	s_wait_dscnt 0x0
	v_xor_b32_e32 v13, 0x80000000, v13
	v_and_b32_e32 v14, v12, v30
	v_lshrrev_b64 v[44:45], s82, v[12:13]
	v_and_b32_e32 v15, v13, v31
	s_delay_alu instid0(VALU_DEP_1) | instskip(NEXT) | instid1(VALU_DEP_3)
	v_cmp_eq_u64_e64 s10, v[14:15], v[26:27]
	v_and_b32_e32 v22, 3, v44
	s_delay_alu instid0(VALU_DEP_1) | instskip(SKIP_4) | instid1(SALU_CYCLE_1)
	v_cmp_eq_u64_e64 s11, 0, v[22:23]
	v_cmp_eq_u64_e64 s12, 1, v[22:23]
	;; [unrolled: 1-line block ×4, first 2 shown]
	s_and_b32 s11, s10, s11
	v_cndmask_b32_e64 v5, 0, 1, s11
	s_and_b32 s11, s10, s12
	s_delay_alu instid0(SALU_CYCLE_1)
	v_cndmask_b32_e64 v12, 0, 1, s11
	s_and_b32 s11, s10, s13
	s_and_b32 s10, s10, s14
	v_cndmask_b32_e64 v13, 0, 1, s11
	v_cndmask_b32_e64 v14, 0, 1, s10
	v_cmp_ne_u32_e64 s10, 0, v5
	v_cmp_ne_u32_e64 s11, 0, v12
	s_delay_alu instid0(VALU_DEP_4) | instskip(NEXT) | instid1(VALU_DEP_4)
	v_cmp_ne_u32_e64 s12, 0, v13
	v_cmp_ne_u32_e64 s13, 0, v14
	s_bcnt1_i32_b32 s10, s10
	s_bcnt1_i32_b32 s11, s11
	v_add_nc_u32_e32 v8, s10, v8
	s_bcnt1_i32_b32 s12, s12
	s_bcnt1_i32_b32 s13, s13
	s_delay_alu instid0(SALU_CYCLE_1) | instskip(SKIP_2) | instid1(SALU_CYCLE_1)
	v_dual_add_nc_u32 v9, s11, v9 :: v_dual_add_nc_u32 v11, s13, v11
	v_add_nc_u32_e32 v10, s12, v10
	s_or_b32 s16, vcc_lo, s16
	s_and_not1_b32 exec_lo, exec_lo, s16
	s_cbranch_execnz .LBB46_63
; %bb.64:                               ;   in Loop: Header=BB46_6 Depth=1
	s_or_b32 exec_lo, exec_lo, s16
.LBB46_65:                              ;   in Loop: Header=BB46_6 Depth=1
	s_delay_alu instid0(SALU_CYCLE_1)
	s_or_b32 exec_lo, exec_lo, s15
	s_lshl_b32 s12, s85, 7
	s_and_saveexec_b32 s10, s2
	s_cbranch_execnz .LBB46_36
	s_branch .LBB46_37
.LBB46_66:                              ;   in Loop: Header=BB46_6 Depth=1
	v_mov_b32_e32 v4, 0
	s_mov_b32 s10, 0
	s_cbranch_execz .LBB46_69
.LBB46_67:                              ;   in Loop: Header=BB46_6 Depth=1
	s_lshl_b32 s11, s85, 9
	s_lshl_b32 s14, s10, 4
	s_sub_co_i32 s10, s46, s10
	v_add3_u32 v5, s11, s14, v41
.LBB46_68:                              ;   Parent Loop BB46_6 Depth=1
                                        ; =>  This Inner Loop Header: Depth=2
	ds_load_b32 v8, v5
	v_add_nc_u32_e32 v5, 16, v5
	s_add_co_i32 s10, s10, -1
	s_delay_alu instid0(SALU_CYCLE_1)
	s_cmp_eq_u32 s10, 0
	s_wait_dscnt 0x0
	v_add_nc_u32_e32 v4, v8, v4
	s_cbranch_scc0 .LBB46_68
.LBB46_69:                              ;   in Loop: Header=BB46_6 Depth=1
	s_delay_alu instid0(VALU_DEP_1)
	v_lshlrev_b32_e32 v3, 2, v3
	ds_store_b32 v3, v4 offset:3072
.LBB46_70:                              ;   in Loop: Header=BB46_6 Depth=1
	s_or_b32 exec_lo, exec_lo, s13
	s_lshl_b32 s10, s12, 2
	s_wait_dscnt 0x0
	v_mov_b32_e32 v3, s10
	s_barrier_signal -1
	s_barrier_wait -1
	v_cmp_eq_u32_e64 s10, 1, v42
	ds_load_b128 v[8:11], v3 offset:3072
	s_lshl_b64 s[12:13], 3, s82
	s_mov_b32 s24, -1
	s_not_b64 s[14:15], s[12:13]
	s_mov_b32 s16, 0
	s_and_not1_b32 vcc_lo, exec_lo, s65
	s_mov_b32 s21, 0
	s_mov_b32 s11, 0
                                        ; implicit-def: $sgpr22
                                        ; implicit-def: $sgpr23
                                        ; implicit-def: $vgpr43
                                        ; implicit-def: $vgpr22
                                        ; implicit-def: $vgpr14_vgpr15
                                        ; implicit-def: $vgpr12_vgpr13
	s_wait_dscnt 0x0
	v_readfirstlane_b32 s17, v8
	v_readfirstlane_b32 s18, v9
	;; [unrolled: 1-line block ×4, first 2 shown]
                                        ; implicit-def: $vgpr10_vgpr11
	s_cbranch_vccnz .LBB46_232
; %bb.71:                               ;   in Loop: Header=BB46_6 Depth=1
	v_mov_b64_e32 v[14:15], v[26:27]
	v_mov_b64_e32 v[12:13], v[30:31]
	;; [unrolled: 1-line block ×3, first 2 shown]
	s_cmp_eq_u32 s17, 1
	s_mov_b32 s27, -1
	s_cselect_b32 s11, -1, 0
                                        ; implicit-def: $sgpr23
                                        ; implicit-def: $sgpr22
	s_delay_alu instid0(SALU_CYCLE_1) | instskip(NEXT) | instid1(SALU_CYCLE_1)
	s_and_b32 s26, s11, s10
	s_and_saveexec_b32 s11, s26
	s_cbranch_execz .LBB46_101
; %bb.72:                               ;   in Loop: Header=BB46_6 Depth=1
	ds_load_b32 v3, v23 offset:4096
	s_wait_dscnt 0x0
	s_barrier_signal -1
	s_barrier_wait -1
	v_readfirstlane_b32 s24, v3
	s_and_saveexec_b32 s21, s6
; %bb.73:                               ;   in Loop: Header=BB46_6 Depth=1
	ds_store_b64 v32, v[28:29]
; %bb.74:                               ;   in Loop: Header=BB46_6 Depth=1
	s_or_b32 exec_lo, exec_lo, s21
	v_and_b32_e32 v15, s15, v27
	v_and_b32_e32 v14, s14, v26
	v_or_b32_e32 v13, s13, v31
	v_or_b32_e32 v12, s12, v30
	s_mov_b32 s22, -1
	s_mov_b32 s23, 0
	s_cmp_eq_u32 s24, 0
	s_mov_b32 s21, 0
	s_mov_b32 s25, -1
	s_wait_dscnt 0x0
	s_barrier_signal -1
	s_barrier_wait -1
                                        ; implicit-def: $vgpr10_vgpr11
	s_cbranch_scc1 .LBB46_88
; %bb.75:                               ;   in Loop: Header=BB46_6 Depth=1
	s_add_co_i32 s50, s24, s70
	s_mov_b32 s27, exec_lo
	s_mul_u64 s[28:29], s[50:51], s[54:55]
                                        ; implicit-def: $vgpr10_vgpr11
	s_delay_alu instid0(SALU_CYCLE_1) | instskip(NEXT) | instid1(SALU_CYCLE_1)
	s_mul_i32 s21, s29, s33
	s_sub_co_i32 s21, s50, s21
	s_delay_alu instid0(SALU_CYCLE_1) | instskip(SKIP_2) | instid1(SALU_CYCLE_1)
	s_sub_co_i32 s25, s21, s33
	s_cmp_ge_u32 s21, s33
	s_cselect_b32 s21, s25, s21
	s_sub_co_i32 s25, s21, s33
	s_cmp_ge_u32 s21, s33
	s_cselect_b32 s21, s25, s21
	s_mov_b32 s25, 0
	s_sub_co_i32 s28, s50, s21
	s_mov_b32 s21, 0
	v_cmpx_gt_u32_e64 s28, v0
	s_cbranch_execz .LBB46_87
; %bb.76:                               ;   in Loop: Header=BB46_6 Depth=1
	v_dual_mov_b32 v22, v21 :: v_dual_mov_b32 v43, v0
                                        ; implicit-def: $sgpr29
	s_branch .LBB46_79
.LBB46_77:                              ;   in Loop: Header=BB46_79 Depth=2
	s_or_b32 exec_lo, exec_lo, s50
	s_wait_dscnt 0x0
	s_barrier_signal -1
	s_barrier_wait -1
	ds_load_b128 v[8:11], v23 offset:3072
	s_mov_b32 s50, -1
	s_mov_b32 s58, -1
	s_wait_dscnt 0x0
	s_barrier_signal -1
	s_barrier_wait -1
	v_cmp_ne_u64_e32 vcc_lo, 0, v[8:9]
	s_cbranch_vccz .LBB46_82
.LBB46_78:                              ;   in Loop: Header=BB46_79 Depth=2
	s_and_b32 s50, exec_lo, s50
	s_delay_alu instid0(SALU_CYCLE_1) | instskip(SKIP_2) | instid1(SALU_CYCLE_1)
	s_or_b32 s21, s50, s21
	s_and_not1_b32 s29, s29, exec_lo
	s_and_b32 s50, s58, exec_lo
	s_or_b32 s29, s29, s50
	s_and_not1_b32 exec_lo, exec_lo, s21
	s_cbranch_execz .LBB46_86
.LBB46_79:                              ;   Parent Loop BB46_6 Depth=1
                                        ; =>  This Inner Loop Header: Depth=2
	s_mov_b32 s50, exec_lo
	s_delay_alu instid0(VALU_DEP_1)
	v_cmpx_gt_u32_e64 s24, v43
	s_cbranch_execz .LBB46_77
; %bb.80:                               ;   in Loop: Header=BB46_79 Depth=2
	ds_load_b64 v[4:5], v22
	s_wait_dscnt 0x0
	v_xor_b32_e32 v3, 0x80000000, v5
	v_and_b32_e32 v8, v4, v12
	s_delay_alu instid0(VALU_DEP_2) | instskip(NEXT) | instid1(VALU_DEP_1)
	v_and_b32_e32 v9, v3, v13
	v_cmp_eq_u64_e32 vcc_lo, v[8:9], v[14:15]
	s_and_b32 exec_lo, exec_lo, vcc_lo
	s_cbranch_execz .LBB46_77
; %bb.81:                               ;   in Loop: Header=BB46_79 Depth=2
	v_mov_b32_e32 v3, v23
	ds_store_b128 v23, v[2:5] offset:3072
	s_branch .LBB46_77
.LBB46_82:                              ;   in Loop: Header=BB46_79 Depth=2
	v_dual_add_nc_u32 v43, s33, v43 :: v_dual_add_nc_u32 v22, s81, v22
	s_mov_b32 s58, 0
	s_delay_alu instid0(VALU_DEP_1)
	v_cmp_le_u32_e32 vcc_lo, s28, v43
	s_or_not1_b32 s50, vcc_lo, exec_lo
	s_branch .LBB46_78
.LBB46_83:                              ;   in Loop: Header=BB46_6 Depth=1
	s_or_b32 exec_lo, exec_lo, s13
	s_wait_dscnt 0x0
	s_barrier_signal -1
	s_barrier_wait -1
	s_and_saveexec_b32 s10, s5
	s_cbranch_execz .LBB46_85
; %bb.84:                               ;   in Loop: Header=BB46_6 Depth=1
	ds_load_b32 v3, v23 offset:4104
	s_wait_dscnt 0x0
	ds_store_b32 v23, v3 offset:4096
.LBB46_85:                              ;   in Loop: Header=BB46_6 Depth=1
	s_or_b32 exec_lo, exec_lo, s10
	s_wait_dscnt 0x0
	s_barrier_signal -1
	s_mov_b32 s10, -1
	s_barrier_wait -1
	s_and_b32 vcc_lo, exec_lo, s12
	s_cbranch_vccnz .LBB46_22
	s_branch .LBB46_31
.LBB46_86:                              ;   in Loop: Header=BB46_6 Depth=1
	s_or_b32 exec_lo, exec_lo, s21
	s_delay_alu instid0(SALU_CYCLE_1)
	s_and_b32 s21, s29, exec_lo
.LBB46_87:                              ;   in Loop: Header=BB46_6 Depth=1
	s_or_b32 exec_lo, exec_lo, s27
.LBB46_88:                              ;   in Loop: Header=BB46_6 Depth=1
	s_delay_alu instid0(SALU_CYCLE_1)
	s_and_b32 vcc_lo, exec_lo, s25
	s_cbranch_vccz .LBB46_100
; %bb.89:                               ;   in Loop: Header=BB46_6 Depth=1
                                        ; implicit-def: $vgpr10_vgpr11
	s_and_saveexec_b32 s22, s9
	s_cbranch_execz .LBB46_99
; %bb.90:                               ;   in Loop: Header=BB46_6 Depth=1
	v_dual_mov_b32 v22, v20 :: v_dual_mov_b32 v43, v0
	s_mov_b32 s24, 0
                                        ; implicit-def: $sgpr23
	s_branch .LBB46_93
.LBB46_91:                              ;   in Loop: Header=BB46_93 Depth=2
	s_or_b32 exec_lo, exec_lo, s25
	s_wait_dscnt 0x0
	s_barrier_signal -1
	s_barrier_wait -1
	ds_load_b128 v[8:11], v23 offset:3072
	s_mov_b32 s25, -1
	s_mov_b32 s27, -1
	s_wait_dscnt 0x0
	s_barrier_signal -1
	s_barrier_wait -1
	v_cmp_ne_u64_e32 vcc_lo, 0, v[8:9]
	s_cbranch_vccz .LBB46_96
.LBB46_92:                              ;   in Loop: Header=BB46_93 Depth=2
	s_and_b32 s25, exec_lo, s25
	s_delay_alu instid0(SALU_CYCLE_1) | instskip(SKIP_2) | instid1(SALU_CYCLE_1)
	s_or_b32 s24, s25, s24
	s_and_not1_b32 s23, s23, exec_lo
	s_and_b32 s25, s27, exec_lo
	s_or_b32 s23, s23, s25
	s_and_not1_b32 exec_lo, exec_lo, s24
	s_cbranch_execz .LBB46_98
.LBB46_93:                              ;   Parent Loop BB46_6 Depth=1
                                        ; =>  This Inner Loop Header: Depth=2
	s_mov_b32 s25, exec_lo
	s_delay_alu instid0(VALU_DEP_1)
	v_cmpx_gt_u32_e64 s36, v43
	s_cbranch_execz .LBB46_91
; %bb.94:                               ;   in Loop: Header=BB46_93 Depth=2
	global_load_b64 v[4:5], v22, s[30:31] scale_offset
	s_wait_loadcnt 0x0
	v_xor_b32_e32 v3, 0x80000000, v5
	v_and_b32_e32 v8, v4, v12
	s_delay_alu instid0(VALU_DEP_2) | instskip(NEXT) | instid1(VALU_DEP_1)
	v_and_b32_e32 v9, v3, v13
	v_cmp_eq_u64_e32 vcc_lo, v[8:9], v[14:15]
	s_and_b32 exec_lo, exec_lo, vcc_lo
	s_cbranch_execz .LBB46_91
; %bb.95:                               ;   in Loop: Header=BB46_93 Depth=2
	v_mov_b32_e32 v3, v23
	ds_store_b128 v23, v[2:5] offset:3072
	s_branch .LBB46_91
.LBB46_96:                              ;   in Loop: Header=BB46_93 Depth=2
	v_dual_add_nc_u32 v43, s33, v43 :: v_dual_add_nc_u32 v22, s35, v22
	s_mov_b32 s27, 0
	s_delay_alu instid0(VALU_DEP_1)
	v_cmp_le_u32_e32 vcc_lo, s78, v43
	s_or_not1_b32 s25, vcc_lo, exec_lo
	s_branch .LBB46_92
.LBB46_97:                              ;   in Loop: Header=BB46_6 Depth=1
	s_mov_b64 s[10:11], 0x100000000
	v_mov_b64_e32 v[4:5], 0
	s_and_not1_b32 vcc_lo, exec_lo, s75
	s_mov_b32 s14, s72
	s_cbranch_vccz .LBB46_44
	s_branch .LBB46_45
.LBB46_98:                              ;   in Loop: Header=BB46_6 Depth=1
	s_or_b32 exec_lo, exec_lo, s24
	s_delay_alu instid0(SALU_CYCLE_1) | instskip(SKIP_1) | instid1(SALU_CYCLE_1)
	s_and_not1_b32 s21, s21, exec_lo
	s_and_b32 s23, s23, exec_lo
	s_or_b32 s21, s21, s23
.LBB46_99:                              ;   in Loop: Header=BB46_6 Depth=1
	s_or_b32 exec_lo, exec_lo, s22
	s_mov_b32 s22, 0
	s_mov_b32 s23, -1
.LBB46_100:                             ;   in Loop: Header=BB46_6 Depth=1
	s_or_not1_b32 s27, s21, exec_lo
.LBB46_101:                             ;   in Loop: Header=BB46_6 Depth=1
	s_or_b32 exec_lo, exec_lo, s11
	s_mov_b32 s24, 0
	s_mov_b32 s21, 0
	;; [unrolled: 1-line block ×3, first 2 shown]
                                        ; implicit-def: $vgpr43
                                        ; implicit-def: $vgpr22
	s_and_saveexec_b32 s25, s27
	s_cbranch_execz .LBB46_231
; %bb.102:                              ;   in Loop: Header=BB46_6 Depth=1
	v_dual_mov_b32 v43, 1 :: v_dual_mov_b32 v22, 1
	s_xor_b32 s21, s26, -1
	s_mov_b32 s28, 0
	s_and_saveexec_b32 s11, s21
	s_cbranch_execz .LBB46_111
; %bb.103:                              ;   in Loop: Header=BB46_6 Depth=1
	s_mov_b32 s21, exec_lo
	v_cmpx_ge_u32_e64 s17, v42
	s_xor_b32 s21, exec_lo, s21
	s_cbranch_execz .LBB46_108
; %bb.104:                              ;   in Loop: Header=BB46_6 Depth=1
	ds_load_b32 v3, v23 offset:4096
	v_and_b32_e32 v15, s15, v15
	v_and_b32_e32 v14, s14, v14
	v_or_b32_e32 v13, s13, v13
	v_or_b32_e32 v12, s12, v12
	s_wait_dscnt 0x0
	v_cmp_ne_u32_e32 vcc_lo, 0, v3
	s_cbranch_vccnz .LBB46_108
; %bb.105:                              ;   in Loop: Header=BB46_6 Depth=1
	s_and_saveexec_b32 s26, s5
; %bb.106:                              ;   in Loop: Header=BB46_6 Depth=1
	v_mov_b32_e32 v3, s17
	ds_store_b32 v23, v3 offset:4100
; %bb.107:                              ;   in Loop: Header=BB46_6 Depth=1
	s_or_b32 exec_lo, exec_lo, s26
	s_wait_dscnt 0x0
	s_barrier_signal -1
	s_barrier_wait -1
.LBB46_108:                             ;   in Loop: Header=BB46_6 Depth=1
	s_or_saveexec_b32 s21, s21
	v_dual_mov_b32 v22, 8 :: v_dual_mov_b32 v43, v42
	s_mov_b32 s26, 0
	s_xor_b32 exec_lo, exec_lo, s21
; %bb.109:                              ;   in Loop: Header=BB46_6 Depth=1
	v_subrev_nc_u32_e32 v43, s17, v42
	v_mov_b32_e32 v22, 0
	s_mov_b32 s26, exec_lo
; %bb.110:                              ;   in Loop: Header=BB46_6 Depth=1
	s_or_b32 exec_lo, exec_lo, s21
	s_delay_alu instid0(SALU_CYCLE_1)
	s_and_b32 s28, s26, exec_lo
.LBB46_111:                             ;   in Loop: Header=BB46_6 Depth=1
	s_or_b32 exec_lo, exec_lo, s11
	s_mov_b32 s27, -1
                                        ; implicit-def: $sgpr21
                                        ; implicit-def: $sgpr26
	s_and_saveexec_b32 s11, s28
	s_delay_alu instid0(SALU_CYCLE_1)
	s_xor_b32 s11, exec_lo, s11
	s_cbranch_execz .LBB46_228
; %bb.112:                              ;   in Loop: Header=BB46_6 Depth=1
	v_cmp_eq_u32_e32 vcc_lo, 1, v43
	s_cmp_eq_u32 s18, 1
	s_mov_b32 s29, -1
	s_cselect_b32 s21, -1, 0
                                        ; implicit-def: $sgpr26
	s_delay_alu instid0(SALU_CYCLE_1) | instskip(NEXT) | instid1(SALU_CYCLE_1)
	s_and_b32 s28, s21, vcc_lo
                                        ; implicit-def: $sgpr21
	s_and_saveexec_b32 s27, s28
	s_cbranch_execz .LBB46_138
; %bb.113:                              ;   in Loop: Header=BB46_6 Depth=1
	ds_load_b32 v3, v23 offset:4096
	s_wait_dscnt 0x0
	s_barrier_signal -1
	s_barrier_wait -1
	v_readfirstlane_b32 s58, v3
	s_and_saveexec_b32 s21, s6
; %bb.114:                              ;   in Loop: Header=BB46_6 Depth=1
	ds_store_b64 v32, v[28:29]
; %bb.115:                              ;   in Loop: Header=BB46_6 Depth=1
	s_or_b32 exec_lo, exec_lo, s21
	v_and_b32_e32 v3, s15, v15
	v_and_b32_e32 v4, s14, v14
	s_lshl_b64 s[60:61], 1, s82
	v_or_b32_e32 v13, s13, v13
	v_or_b32_e32 v12, s12, v12
	;; [unrolled: 1-line block ×4, first 2 shown]
	s_mov_b32 s21, -1
	s_mov_b32 s26, 0
	s_cmp_eq_u32 s58, 0
	s_mov_b32 s29, 0
	s_mov_b32 s50, -1
	s_wait_dscnt 0x0
	s_barrier_signal -1
	s_barrier_wait -1
                                        ; implicit-def: $vgpr10_vgpr11
	s_cbranch_scc1 .LBB46_126
; %bb.116:                              ;   in Loop: Header=BB46_6 Depth=1
	s_add_co_i32 s50, s58, s70
                                        ; implicit-def: $vgpr10_vgpr11
	s_delay_alu instid0(SALU_CYCLE_1) | instskip(NEXT) | instid1(SALU_CYCLE_1)
	s_mul_u64 s[60:61], s[50:51], s[54:55]
	s_mul_i32 s29, s61, s33
	s_delay_alu instid0(SALU_CYCLE_1) | instskip(NEXT) | instid1(SALU_CYCLE_1)
	s_sub_co_i32 s29, s50, s29
	s_sub_co_i32 s59, s29, s33
	s_cmp_ge_u32 s29, s33
	s_cselect_b32 s29, s59, s29
	s_delay_alu instid0(SALU_CYCLE_1)
	s_sub_co_i32 s59, s29, s33
	s_cmp_ge_u32 s29, s33
	s_cselect_b32 s29, s59, s29
	s_mov_b32 s59, exec_lo
	s_sub_co_i32 s60, s50, s29
	s_mov_b32 s50, 0
	s_mov_b32 s29, 0
	v_cmpx_gt_u32_e64 s60, v0
	s_cbranch_execz .LBB46_125
; %bb.117:                              ;   in Loop: Header=BB46_6 Depth=1
	v_dual_mov_b32 v44, v21 :: v_dual_mov_b32 v45, v0
                                        ; implicit-def: $sgpr61
	s_branch .LBB46_120
.LBB46_118:                             ;   in Loop: Header=BB46_120 Depth=2
	s_or_b32 exec_lo, exec_lo, s95
	s_wait_dscnt 0x0
	s_barrier_signal -1
	s_barrier_wait -1
	ds_load_b128 v[8:11], v23 offset:3072
	s_mov_b32 s95, -1
	s_mov_b32 s96, -1
	s_wait_dscnt 0x0
	s_barrier_signal -1
	s_barrier_wait -1
	v_cmp_ne_u64_e32 vcc_lo, 0, v[8:9]
	s_cbranch_vccz .LBB46_123
.LBB46_119:                             ;   in Loop: Header=BB46_120 Depth=2
	s_and_b32 s95, exec_lo, s95
	s_delay_alu instid0(SALU_CYCLE_1) | instskip(SKIP_2) | instid1(SALU_CYCLE_1)
	s_or_b32 s29, s95, s29
	s_and_not1_b32 s61, s61, exec_lo
	s_and_b32 s95, s96, exec_lo
	s_or_b32 s61, s61, s95
	s_and_not1_b32 exec_lo, exec_lo, s29
	s_cbranch_execz .LBB46_124
.LBB46_120:                             ;   Parent Loop BB46_6 Depth=1
                                        ; =>  This Inner Loop Header: Depth=2
	s_mov_b32 s95, exec_lo
	s_delay_alu instid0(VALU_DEP_1)
	v_cmpx_gt_u32_e64 s58, v45
	s_cbranch_execz .LBB46_118
; %bb.121:                              ;   in Loop: Header=BB46_120 Depth=2
	ds_load_b64 v[4:5], v44
	s_wait_dscnt 0x0
	v_xor_b32_e32 v3, 0x80000000, v5
	v_and_b32_e32 v8, v4, v12
	s_delay_alu instid0(VALU_DEP_2) | instskip(NEXT) | instid1(VALU_DEP_1)
	v_and_b32_e32 v9, v3, v13
	v_cmp_eq_u64_e32 vcc_lo, v[8:9], v[14:15]
	s_and_b32 exec_lo, exec_lo, vcc_lo
	s_cbranch_execz .LBB46_118
; %bb.122:                              ;   in Loop: Header=BB46_120 Depth=2
	v_mov_b32_e32 v3, v23
	ds_store_b128 v23, v[2:5] offset:3072
	s_branch .LBB46_118
.LBB46_123:                             ;   in Loop: Header=BB46_120 Depth=2
	v_dual_add_nc_u32 v45, s33, v45 :: v_dual_add_nc_u32 v44, s81, v44
	s_mov_b32 s96, 0
	s_delay_alu instid0(VALU_DEP_1)
	v_cmp_le_u32_e32 vcc_lo, s60, v45
	s_or_not1_b32 s95, vcc_lo, exec_lo
	s_branch .LBB46_119
.LBB46_124:                             ;   in Loop: Header=BB46_6 Depth=1
	s_or_b32 exec_lo, exec_lo, s29
	s_delay_alu instid0(SALU_CYCLE_1)
	s_and_b32 s29, s61, exec_lo
.LBB46_125:                             ;   in Loop: Header=BB46_6 Depth=1
	s_or_b32 exec_lo, exec_lo, s59
.LBB46_126:                             ;   in Loop: Header=BB46_6 Depth=1
	s_delay_alu instid0(SALU_CYCLE_1)
	s_and_b32 vcc_lo, exec_lo, s50
	s_cbranch_vccz .LBB46_137
; %bb.127:                              ;   in Loop: Header=BB46_6 Depth=1
                                        ; implicit-def: $vgpr10_vgpr11
	s_and_saveexec_b32 s21, s9
	s_cbranch_execz .LBB46_136
; %bb.128:                              ;   in Loop: Header=BB46_6 Depth=1
	v_dual_mov_b32 v44, v20 :: v_dual_mov_b32 v45, v0
	s_mov_b32 s26, 0
                                        ; implicit-def: $sgpr50
	s_branch .LBB46_131
.LBB46_129:                             ;   in Loop: Header=BB46_131 Depth=2
	s_or_b32 exec_lo, exec_lo, s58
	s_wait_dscnt 0x0
	s_barrier_signal -1
	s_barrier_wait -1
	ds_load_b128 v[8:11], v23 offset:3072
	s_mov_b32 s58, -1
	s_mov_b32 s59, -1
	s_wait_dscnt 0x0
	s_barrier_signal -1
	s_barrier_wait -1
	v_cmp_eq_u64_e32 vcc_lo, 0, v[8:9]
	s_cbranch_vccnz .LBB46_134
.LBB46_130:                             ;   in Loop: Header=BB46_131 Depth=2
	s_and_b32 s58, exec_lo, s58
	s_delay_alu instid0(SALU_CYCLE_1) | instskip(SKIP_2) | instid1(SALU_CYCLE_1)
	s_or_b32 s26, s58, s26
	s_and_not1_b32 s50, s50, exec_lo
	s_and_b32 s58, s59, exec_lo
	s_or_b32 s50, s50, s58
	s_and_not1_b32 exec_lo, exec_lo, s26
	s_cbranch_execz .LBB46_135
.LBB46_131:                             ;   Parent Loop BB46_6 Depth=1
                                        ; =>  This Inner Loop Header: Depth=2
	s_mov_b32 s58, exec_lo
	s_delay_alu instid0(VALU_DEP_1)
	v_cmpx_gt_u32_e64 s36, v45
	s_cbranch_execz .LBB46_129
; %bb.132:                              ;   in Loop: Header=BB46_131 Depth=2
	global_load_b64 v[4:5], v44, s[30:31] scale_offset
	s_wait_loadcnt 0x0
	v_xor_b32_e32 v3, 0x80000000, v5
	v_and_b32_e32 v8, v4, v12
	s_delay_alu instid0(VALU_DEP_2) | instskip(NEXT) | instid1(VALU_DEP_1)
	v_and_b32_e32 v9, v3, v13
	v_cmp_eq_u64_e32 vcc_lo, v[8:9], v[14:15]
	s_and_b32 exec_lo, exec_lo, vcc_lo
	s_cbranch_execz .LBB46_129
; %bb.133:                              ;   in Loop: Header=BB46_131 Depth=2
	v_mov_b32_e32 v3, v23
	ds_store_b128 v23, v[2:5] offset:3072
	s_branch .LBB46_129
.LBB46_134:                             ;   in Loop: Header=BB46_131 Depth=2
	v_dual_add_nc_u32 v45, s33, v45 :: v_dual_add_nc_u32 v44, s35, v44
	s_mov_b32 s59, 0
	s_delay_alu instid0(VALU_DEP_1)
	v_cmp_le_u32_e32 vcc_lo, s78, v45
	s_or_not1_b32 s58, vcc_lo, exec_lo
	s_branch .LBB46_130
.LBB46_135:                             ;   in Loop: Header=BB46_6 Depth=1
	s_or_b32 exec_lo, exec_lo, s26
	s_delay_alu instid0(SALU_CYCLE_1) | instskip(SKIP_1) | instid1(SALU_CYCLE_1)
	s_and_not1_b32 s26, s29, exec_lo
	s_and_b32 s29, s50, exec_lo
	s_or_b32 s29, s26, s29
.LBB46_136:                             ;   in Loop: Header=BB46_6 Depth=1
	s_or_b32 exec_lo, exec_lo, s21
	s_mov_b32 s21, 0
	s_mov_b32 s26, -1
.LBB46_137:                             ;   in Loop: Header=BB46_6 Depth=1
	s_or_not1_b32 s29, s29, exec_lo
.LBB46_138:                             ;   in Loop: Header=BB46_6 Depth=1
	s_or_b32 exec_lo, exec_lo, s27
	s_mov_b32 s50, 0
	s_and_saveexec_b32 s27, s29
	s_cbranch_execz .LBB46_227
; %bb.139:                              ;   in Loop: Header=BB46_6 Depth=1
	v_dual_mov_b32 v44, 1 :: v_dual_mov_b32 v22, 1
	s_xor_b32 s29, s28, -1
	s_mov_b32 s59, 0
	s_and_saveexec_b32 s28, s29
	s_cbranch_execz .LBB46_148
; %bb.140:                              ;   in Loop: Header=BB46_6 Depth=1
	s_mov_b32 s29, exec_lo
	v_cmpx_ge_u32_e64 s18, v43
	s_xor_b32 s29, exec_lo, s29
	s_cbranch_execz .LBB46_145
; %bb.141:                              ;   in Loop: Header=BB46_6 Depth=1
	ds_load_b32 v3, v23 offset:4096
	v_and_b32_e32 v4, s15, v15
	v_and_b32_e32 v5, s14, v14
	s_lshl_b64 s[58:59], 1, s82
	v_or_b32_e32 v13, s13, v13
	v_or_b32_e32 v12, s12, v12
	;; [unrolled: 1-line block ×4, first 2 shown]
	s_wait_dscnt 0x0
	v_cmp_ne_u32_e32 vcc_lo, 0, v3
	s_cbranch_vccnz .LBB46_145
; %bb.142:                              ;   in Loop: Header=BB46_6 Depth=1
	s_and_saveexec_b32 s50, s5
; %bb.143:                              ;   in Loop: Header=BB46_6 Depth=1
	v_mov_b32_e32 v3, s18
	ds_store_b32 v23, v3 offset:4100
; %bb.144:                              ;   in Loop: Header=BB46_6 Depth=1
	s_or_b32 exec_lo, exec_lo, s50
	s_wait_dscnt 0x0
	s_barrier_signal -1
	s_barrier_wait -1
.LBB46_145:                             ;   in Loop: Header=BB46_6 Depth=1
	s_or_saveexec_b32 s29, s29
	v_mov_b32_e32 v22, 8
	s_mov_b32 s50, 0
	s_xor_b32 exec_lo, exec_lo, s29
; %bb.146:                              ;   in Loop: Header=BB46_6 Depth=1
	v_subrev_nc_u32_e32 v43, s18, v43
	v_mov_b32_e32 v22, 0
	s_mov_b32 s50, exec_lo
; %bb.147:                              ;   in Loop: Header=BB46_6 Depth=1
	s_or_b32 exec_lo, exec_lo, s29
	s_delay_alu instid0(VALU_DEP_2)
	v_mov_b32_e32 v44, v43
	s_and_b32 s59, s50, exec_lo
.LBB46_148:                             ;   in Loop: Header=BB46_6 Depth=1
	s_or_b32 exec_lo, exec_lo, s28
	s_mov_b32 s50, -1
                                        ; implicit-def: $sgpr29
                                        ; implicit-def: $sgpr58
	s_and_saveexec_b32 s28, s59
	s_cbranch_execz .LBB46_226
; %bb.149:                              ;   in Loop: Header=BB46_6 Depth=1
	v_cmp_eq_u32_e32 vcc_lo, 1, v44
	s_cmp_eq_u32 s19, 1
                                        ; implicit-def: $sgpr58
	s_cselect_b32 s29, -1, 0
	s_delay_alu instid0(SALU_CYCLE_1) | instskip(NEXT) | instid1(SALU_CYCLE_1)
	s_and_b32 s60, s29, vcc_lo
                                        ; implicit-def: $sgpr29
	s_and_saveexec_b32 s59, s60
	s_cbranch_execz .LBB46_175
; %bb.150:                              ;   in Loop: Header=BB46_6 Depth=1
	ds_load_b32 v3, v23 offset:4096
	s_wait_dscnt 0x0
	s_barrier_signal -1
	s_barrier_wait -1
	v_readfirstlane_b32 s61, v3
	s_and_saveexec_b32 s29, s6
; %bb.151:                              ;   in Loop: Header=BB46_6 Depth=1
	ds_store_b64 v32, v[28:29]
; %bb.152:                              ;   in Loop: Header=BB46_6 Depth=1
	s_or_b32 exec_lo, exec_lo, s29
	v_and_b32_e32 v3, s15, v15
	v_and_b32_e32 v4, s14, v14
	s_lshl_b64 s[96:97], 2, s82
	v_or_b32_e32 v13, s13, v13
	v_or_b32_e32 v12, s12, v12
	;; [unrolled: 1-line block ×4, first 2 shown]
	s_mov_b32 s29, -1
	s_mov_b32 s58, 0
	s_cmp_eq_u32 s61, 0
	s_mov_b32 s50, 0
	s_mov_b32 s95, -1
	s_wait_dscnt 0x0
	s_barrier_signal -1
	s_barrier_wait -1
                                        ; implicit-def: $vgpr10_vgpr11
	s_cbranch_scc1 .LBB46_163
; %bb.153:                              ;   in Loop: Header=BB46_6 Depth=1
	s_add_co_i32 s50, s61, s70
                                        ; implicit-def: $vgpr10_vgpr11
	s_delay_alu instid0(SALU_CYCLE_1) | instskip(NEXT) | instid1(SALU_CYCLE_1)
	s_mul_u64 s[96:97], s[50:51], s[54:55]
	s_mul_i32 s95, s97, s33
	s_delay_alu instid0(SALU_CYCLE_1) | instskip(NEXT) | instid1(SALU_CYCLE_1)
	s_sub_co_i32 s95, s50, s95
	s_sub_co_i32 s96, s95, s33
	s_cmp_ge_u32 s95, s33
	s_cselect_b32 s95, s96, s95
	s_delay_alu instid0(SALU_CYCLE_1)
	s_sub_co_i32 s96, s95, s33
	s_cmp_ge_u32 s95, s33
	s_cselect_b32 s95, s96, s95
	s_mov_b32 s96, exec_lo
	s_sub_co_i32 s97, s50, s95
	s_mov_b32 s95, 0
	s_mov_b32 s50, 0
	v_cmpx_gt_u32_e64 s97, v0
	s_cbranch_execz .LBB46_162
; %bb.154:                              ;   in Loop: Header=BB46_6 Depth=1
	v_dual_mov_b32 v43, v21 :: v_dual_mov_b32 v45, v0
                                        ; implicit-def: $sgpr98
	s_branch .LBB46_157
.LBB46_155:                             ;   in Loop: Header=BB46_157 Depth=2
	s_or_b32 exec_lo, exec_lo, s99
	s_wait_dscnt 0x0
	s_barrier_signal -1
	s_barrier_wait -1
	ds_load_b128 v[8:11], v23 offset:3072
	s_mov_b32 s99, -1
	s_mov_b32 s100, -1
	s_wait_dscnt 0x0
	s_barrier_signal -1
	s_barrier_wait -1
	v_cmp_ne_u64_e32 vcc_lo, 0, v[8:9]
	s_cbranch_vccz .LBB46_160
.LBB46_156:                             ;   in Loop: Header=BB46_157 Depth=2
	s_and_b32 s99, exec_lo, s99
	s_delay_alu instid0(SALU_CYCLE_1) | instskip(SKIP_2) | instid1(SALU_CYCLE_1)
	s_or_b32 s50, s99, s50
	s_and_not1_b32 s98, s98, exec_lo
	s_and_b32 s99, s100, exec_lo
	s_or_b32 s98, s98, s99
	s_and_not1_b32 exec_lo, exec_lo, s50
	s_cbranch_execz .LBB46_161
.LBB46_157:                             ;   Parent Loop BB46_6 Depth=1
                                        ; =>  This Inner Loop Header: Depth=2
	s_mov_b32 s99, exec_lo
	s_delay_alu instid0(VALU_DEP_1)
	v_cmpx_gt_u32_e64 s61, v45
	s_cbranch_execz .LBB46_155
; %bb.158:                              ;   in Loop: Header=BB46_157 Depth=2
	ds_load_b64 v[4:5], v43
	s_wait_dscnt 0x0
	v_xor_b32_e32 v3, 0x80000000, v5
	v_and_b32_e32 v8, v4, v12
	s_delay_alu instid0(VALU_DEP_2) | instskip(NEXT) | instid1(VALU_DEP_1)
	v_and_b32_e32 v9, v3, v13
	v_cmp_eq_u64_e32 vcc_lo, v[8:9], v[14:15]
	s_and_b32 exec_lo, exec_lo, vcc_lo
	s_cbranch_execz .LBB46_155
; %bb.159:                              ;   in Loop: Header=BB46_157 Depth=2
	v_mov_b32_e32 v3, v23
	ds_store_b128 v23, v[2:5] offset:3072
	s_branch .LBB46_155
.LBB46_160:                             ;   in Loop: Header=BB46_157 Depth=2
	v_dual_add_nc_u32 v45, s33, v45 :: v_dual_add_nc_u32 v43, s81, v43
	s_mov_b32 s100, 0
	s_delay_alu instid0(VALU_DEP_1)
	v_cmp_le_u32_e32 vcc_lo, s97, v45
	s_or_not1_b32 s99, vcc_lo, exec_lo
	s_branch .LBB46_156
.LBB46_161:                             ;   in Loop: Header=BB46_6 Depth=1
	s_or_b32 exec_lo, exec_lo, s50
	s_delay_alu instid0(SALU_CYCLE_1)
	s_and_b32 s50, s98, exec_lo
.LBB46_162:                             ;   in Loop: Header=BB46_6 Depth=1
	s_or_b32 exec_lo, exec_lo, s96
.LBB46_163:                             ;   in Loop: Header=BB46_6 Depth=1
	s_delay_alu instid0(SALU_CYCLE_1)
	s_and_b32 vcc_lo, exec_lo, s95
	s_cbranch_vccz .LBB46_174
; %bb.164:                              ;   in Loop: Header=BB46_6 Depth=1
                                        ; implicit-def: $vgpr10_vgpr11
	s_and_saveexec_b32 s29, s9
	s_cbranch_execz .LBB46_173
; %bb.165:                              ;   in Loop: Header=BB46_6 Depth=1
	v_dual_mov_b32 v43, v20 :: v_dual_mov_b32 v45, v0
	s_mov_b32 s58, 0
                                        ; implicit-def: $sgpr61
	s_branch .LBB46_168
.LBB46_166:                             ;   in Loop: Header=BB46_168 Depth=2
	s_or_b32 exec_lo, exec_lo, s95
	s_wait_dscnt 0x0
	s_barrier_signal -1
	s_barrier_wait -1
	ds_load_b128 v[8:11], v23 offset:3072
	s_mov_b32 s95, -1
	s_mov_b32 s96, -1
	s_wait_dscnt 0x0
	s_barrier_signal -1
	s_barrier_wait -1
	v_cmp_eq_u64_e32 vcc_lo, 0, v[8:9]
	s_cbranch_vccnz .LBB46_171
.LBB46_167:                             ;   in Loop: Header=BB46_168 Depth=2
	s_and_b32 s95, exec_lo, s95
	s_delay_alu instid0(SALU_CYCLE_1) | instskip(SKIP_2) | instid1(SALU_CYCLE_1)
	s_or_b32 s58, s95, s58
	s_and_not1_b32 s61, s61, exec_lo
	s_and_b32 s95, s96, exec_lo
	s_or_b32 s61, s61, s95
	s_and_not1_b32 exec_lo, exec_lo, s58
	s_cbranch_execz .LBB46_172
.LBB46_168:                             ;   Parent Loop BB46_6 Depth=1
                                        ; =>  This Inner Loop Header: Depth=2
	s_mov_b32 s95, exec_lo
	s_delay_alu instid0(VALU_DEP_1)
	v_cmpx_gt_u32_e64 s36, v45
	s_cbranch_execz .LBB46_166
; %bb.169:                              ;   in Loop: Header=BB46_168 Depth=2
	global_load_b64 v[4:5], v43, s[30:31] scale_offset
	s_wait_loadcnt 0x0
	v_xor_b32_e32 v3, 0x80000000, v5
	v_and_b32_e32 v8, v4, v12
	s_delay_alu instid0(VALU_DEP_2) | instskip(NEXT) | instid1(VALU_DEP_1)
	v_and_b32_e32 v9, v3, v13
	v_cmp_eq_u64_e32 vcc_lo, v[8:9], v[14:15]
	s_and_b32 exec_lo, exec_lo, vcc_lo
	s_cbranch_execz .LBB46_166
; %bb.170:                              ;   in Loop: Header=BB46_168 Depth=2
	v_mov_b32_e32 v3, v23
	ds_store_b128 v23, v[2:5] offset:3072
	s_branch .LBB46_166
.LBB46_171:                             ;   in Loop: Header=BB46_168 Depth=2
	v_dual_add_nc_u32 v45, s33, v45 :: v_dual_add_nc_u32 v43, s35, v43
	s_mov_b32 s96, 0
	s_delay_alu instid0(VALU_DEP_1)
	v_cmp_le_u32_e32 vcc_lo, s78, v45
	s_or_not1_b32 s95, vcc_lo, exec_lo
	s_branch .LBB46_167
.LBB46_172:                             ;   in Loop: Header=BB46_6 Depth=1
	s_or_b32 exec_lo, exec_lo, s58
	s_delay_alu instid0(SALU_CYCLE_1) | instskip(SKIP_1) | instid1(SALU_CYCLE_1)
	s_and_not1_b32 s50, s50, exec_lo
	s_and_b32 s58, s61, exec_lo
	s_or_b32 s50, s50, s58
.LBB46_173:                             ;   in Loop: Header=BB46_6 Depth=1
	s_or_b32 exec_lo, exec_lo, s29
	s_mov_b32 s29, 0
	s_mov_b32 s58, -1
.LBB46_174:                             ;   in Loop: Header=BB46_6 Depth=1
	s_or_not1_b32 s50, s50, exec_lo
.LBB46_175:                             ;   in Loop: Header=BB46_6 Depth=1
	s_or_b32 exec_lo, exec_lo, s59
	s_mov_b32 s61, 0
	s_and_saveexec_b32 s59, s50
	s_cbranch_execz .LBB46_225
; %bb.176:                              ;   in Loop: Header=BB46_6 Depth=1
	v_dual_mov_b32 v43, 1 :: v_dual_mov_b32 v22, 1
	s_xor_b32 s60, s60, -1
	s_delay_alu instid0(SALU_CYCLE_1)
	s_and_saveexec_b32 s50, s60
	s_cbranch_execz .LBB46_185
; %bb.177:                              ;   in Loop: Header=BB46_6 Depth=1
	s_mov_b32 s60, exec_lo
	v_cmpx_ge_u32_e64 s19, v44
	s_xor_b32 s60, exec_lo, s60
	s_cbranch_execz .LBB46_182
; %bb.178:                              ;   in Loop: Header=BB46_6 Depth=1
	ds_load_b32 v3, v23 offset:4096
	v_and_b32_e32 v4, s15, v15
	v_and_b32_e32 v5, s14, v14
	s_lshl_b64 s[96:97], 2, s82
	v_or_b32_e32 v13, s13, v13
	v_or_b32_e32 v12, s12, v12
	;; [unrolled: 1-line block ×4, first 2 shown]
	s_wait_dscnt 0x0
	v_cmp_ne_u32_e32 vcc_lo, 0, v3
	s_cbranch_vccnz .LBB46_182
; %bb.179:                              ;   in Loop: Header=BB46_6 Depth=1
	s_and_saveexec_b32 s61, s5
; %bb.180:                              ;   in Loop: Header=BB46_6 Depth=1
	v_mov_b32_e32 v3, s19
	ds_store_b32 v23, v3 offset:4100
; %bb.181:                              ;   in Loop: Header=BB46_6 Depth=1
	s_or_b32 exec_lo, exec_lo, s61
	s_wait_dscnt 0x0
	s_barrier_signal -1
	s_barrier_wait -1
.LBB46_182:                             ;   in Loop: Header=BB46_6 Depth=1
	s_or_saveexec_b32 s60, s60
	v_mov_b32_e32 v22, 8
	s_mov_b32 s61, 0
	s_xor_b32 exec_lo, exec_lo, s60
; %bb.183:                              ;   in Loop: Header=BB46_6 Depth=1
	v_subrev_nc_u32_e32 v44, s19, v44
	v_mov_b32_e32 v22, 0
	s_mov_b32 s61, exec_lo
; %bb.184:                              ;   in Loop: Header=BB46_6 Depth=1
	s_or_b32 exec_lo, exec_lo, s60
	s_delay_alu instid0(VALU_DEP_2)
	v_mov_b32_e32 v43, v44
	s_and_b32 s61, s61, exec_lo
.LBB46_185:                             ;   in Loop: Header=BB46_6 Depth=1
	s_or_b32 exec_lo, exec_lo, s50
	s_mov_b32 s50, -1
                                        ; implicit-def: $sgpr96
                                        ; implicit-def: $sgpr95
	s_and_saveexec_b32 s60, s61
	s_cbranch_execz .LBB46_224
; %bb.186:                              ;   in Loop: Header=BB46_6 Depth=1
	v_cmp_eq_u32_e32 vcc_lo, 1, v43
	s_cmp_eq_u32 s20, 1
	s_mov_b32 s98, -1
	s_cselect_b32 s50, -1, 0
                                        ; implicit-def: $sgpr96
                                        ; implicit-def: $sgpr95
	s_delay_alu instid0(SALU_CYCLE_1) | instskip(NEXT) | instid1(SALU_CYCLE_1)
	s_and_b32 s61, s50, vcc_lo
	s_and_saveexec_b32 s97, s61
	s_cbranch_execz .LBB46_212
; %bb.187:                              ;   in Loop: Header=BB46_6 Depth=1
	ds_load_b32 v3, v23 offset:4096
	s_wait_dscnt 0x0
	s_barrier_signal -1
	s_barrier_wait -1
	v_readfirstlane_b32 s98, v3
	s_and_saveexec_b32 s50, s6
; %bb.188:                              ;   in Loop: Header=BB46_6 Depth=1
	ds_store_b64 v32, v[28:29]
; %bb.189:                              ;   in Loop: Header=BB46_6 Depth=1
	s_or_b32 exec_lo, exec_lo, s50
	v_or_b32_e32 v15, s13, v15
	v_or_b32_e32 v14, s12, v14
	v_or_b32_e32 v13, s13, v13
	v_or_b32_e32 v12, s12, v12
	s_mov_b32 s95, -1
	s_mov_b32 s96, 0
	s_cmp_eq_u32 s98, 0
	s_mov_b32 s50, 0
	s_mov_b32 s99, -1
	s_wait_dscnt 0x0
	s_barrier_signal -1
	s_barrier_wait -1
                                        ; implicit-def: $vgpr10_vgpr11
	s_cbranch_scc1 .LBB46_200
; %bb.190:                              ;   in Loop: Header=BB46_6 Depth=1
	s_add_co_i32 s50, s98, s70
                                        ; implicit-def: $vgpr10_vgpr11
	s_delay_alu instid0(SALU_CYCLE_1) | instskip(NEXT) | instid1(SALU_CYCLE_1)
	s_mul_u64 s[100:101], s[50:51], s[54:55]
	s_mul_i32 s99, s101, s33
	s_delay_alu instid0(SALU_CYCLE_1) | instskip(NEXT) | instid1(SALU_CYCLE_1)
	s_sub_co_i32 s99, s50, s99
	s_sub_co_i32 s100, s99, s33
	s_cmp_ge_u32 s99, s33
	s_cselect_b32 s99, s100, s99
	s_delay_alu instid0(SALU_CYCLE_1)
	s_sub_co_i32 s100, s99, s33
	s_cmp_ge_u32 s99, s33
	s_cselect_b32 s99, s100, s99
	s_mov_b32 s100, exec_lo
	s_sub_co_i32 s101, s50, s99
	s_mov_b32 s99, 0
	s_mov_b32 s50, 0
	v_cmpx_gt_u32_e64 s101, v0
	s_cbranch_execz .LBB46_199
; %bb.191:                              ;   in Loop: Header=BB46_6 Depth=1
	v_dual_mov_b32 v44, v21 :: v_dual_mov_b32 v45, v0
                                        ; implicit-def: $sgpr102
	s_branch .LBB46_194
.LBB46_192:                             ;   in Loop: Header=BB46_194 Depth=2
	s_or_b32 exec_lo, exec_lo, s103
	s_wait_dscnt 0x0
	s_barrier_signal -1
	s_barrier_wait -1
	ds_load_b128 v[8:11], v23 offset:3072
	s_mov_b32 s103, -1
	s_mov_b32 s104, -1
	s_wait_dscnt 0x0
	s_barrier_signal -1
	s_barrier_wait -1
	v_cmp_ne_u64_e32 vcc_lo, 0, v[8:9]
	s_cbranch_vccz .LBB46_197
.LBB46_193:                             ;   in Loop: Header=BB46_194 Depth=2
	s_and_b32 s103, exec_lo, s103
	s_delay_alu instid0(SALU_CYCLE_1) | instskip(SKIP_2) | instid1(SALU_CYCLE_1)
	s_or_b32 s50, s103, s50
	s_and_not1_b32 s102, s102, exec_lo
	s_and_b32 s103, s104, exec_lo
	s_or_b32 s102, s102, s103
	s_and_not1_b32 exec_lo, exec_lo, s50
	s_cbranch_execz .LBB46_198
.LBB46_194:                             ;   Parent Loop BB46_6 Depth=1
                                        ; =>  This Inner Loop Header: Depth=2
	s_mov_b32 s103, exec_lo
	s_delay_alu instid0(VALU_DEP_1)
	v_cmpx_gt_u32_e64 s98, v45
	s_cbranch_execz .LBB46_192
; %bb.195:                              ;   in Loop: Header=BB46_194 Depth=2
	ds_load_b64 v[4:5], v44
	s_wait_dscnt 0x0
	v_xor_b32_e32 v3, 0x80000000, v5
	v_and_b32_e32 v8, v4, v12
	s_delay_alu instid0(VALU_DEP_2) | instskip(NEXT) | instid1(VALU_DEP_1)
	v_and_b32_e32 v9, v3, v13
	v_cmp_eq_u64_e32 vcc_lo, v[8:9], v[14:15]
	s_and_b32 exec_lo, exec_lo, vcc_lo
	s_cbranch_execz .LBB46_192
; %bb.196:                              ;   in Loop: Header=BB46_194 Depth=2
	v_mov_b32_e32 v3, v23
	ds_store_b128 v23, v[2:5] offset:3072
	s_branch .LBB46_192
.LBB46_197:                             ;   in Loop: Header=BB46_194 Depth=2
	v_dual_add_nc_u32 v45, s33, v45 :: v_dual_add_nc_u32 v44, s81, v44
	s_mov_b32 s104, 0
	s_delay_alu instid0(VALU_DEP_1)
	v_cmp_le_u32_e32 vcc_lo, s101, v45
	s_or_not1_b32 s103, vcc_lo, exec_lo
	s_branch .LBB46_193
.LBB46_198:                             ;   in Loop: Header=BB46_6 Depth=1
	s_or_b32 exec_lo, exec_lo, s50
	s_delay_alu instid0(SALU_CYCLE_1)
	s_and_b32 s50, s102, exec_lo
.LBB46_199:                             ;   in Loop: Header=BB46_6 Depth=1
	s_or_b32 exec_lo, exec_lo, s100
.LBB46_200:                             ;   in Loop: Header=BB46_6 Depth=1
	s_delay_alu instid0(SALU_CYCLE_1)
	s_and_b32 vcc_lo, exec_lo, s99
	s_cbranch_vccz .LBB46_211
; %bb.201:                              ;   in Loop: Header=BB46_6 Depth=1
                                        ; implicit-def: $vgpr10_vgpr11
	s_and_saveexec_b32 s95, s9
	s_cbranch_execz .LBB46_210
; %bb.202:                              ;   in Loop: Header=BB46_6 Depth=1
	v_dual_mov_b32 v44, v20 :: v_dual_mov_b32 v45, v0
	s_mov_b32 s96, 0
                                        ; implicit-def: $sgpr98
	s_branch .LBB46_205
.LBB46_203:                             ;   in Loop: Header=BB46_205 Depth=2
	s_or_b32 exec_lo, exec_lo, s99
	s_wait_dscnt 0x0
	s_barrier_signal -1
	s_barrier_wait -1
	ds_load_b128 v[8:11], v23 offset:3072
	s_mov_b32 s99, -1
	s_mov_b32 s100, -1
	s_wait_dscnt 0x0
	s_barrier_signal -1
	s_barrier_wait -1
	v_cmp_eq_u64_e32 vcc_lo, 0, v[8:9]
	s_cbranch_vccnz .LBB46_208
.LBB46_204:                             ;   in Loop: Header=BB46_205 Depth=2
	s_and_b32 s99, exec_lo, s99
	s_delay_alu instid0(SALU_CYCLE_1) | instskip(SKIP_2) | instid1(SALU_CYCLE_1)
	s_or_b32 s96, s99, s96
	s_and_not1_b32 s98, s98, exec_lo
	s_and_b32 s99, s100, exec_lo
	s_or_b32 s98, s98, s99
	s_and_not1_b32 exec_lo, exec_lo, s96
	s_cbranch_execz .LBB46_209
.LBB46_205:                             ;   Parent Loop BB46_6 Depth=1
                                        ; =>  This Inner Loop Header: Depth=2
	s_mov_b32 s99, exec_lo
	s_delay_alu instid0(VALU_DEP_1)
	v_cmpx_gt_u32_e64 s36, v45
	s_cbranch_execz .LBB46_203
; %bb.206:                              ;   in Loop: Header=BB46_205 Depth=2
	global_load_b64 v[4:5], v44, s[30:31] scale_offset
	s_wait_loadcnt 0x0
	v_xor_b32_e32 v3, 0x80000000, v5
	v_and_b32_e32 v8, v4, v12
	s_delay_alu instid0(VALU_DEP_2) | instskip(NEXT) | instid1(VALU_DEP_1)
	v_and_b32_e32 v9, v3, v13
	v_cmp_eq_u64_e32 vcc_lo, v[8:9], v[14:15]
	s_and_b32 exec_lo, exec_lo, vcc_lo
	s_cbranch_execz .LBB46_203
; %bb.207:                              ;   in Loop: Header=BB46_205 Depth=2
	v_mov_b32_e32 v3, v23
	ds_store_b128 v23, v[2:5] offset:3072
	s_branch .LBB46_203
.LBB46_208:                             ;   in Loop: Header=BB46_205 Depth=2
	v_dual_add_nc_u32 v45, s33, v45 :: v_dual_add_nc_u32 v44, s35, v44
	s_mov_b32 s100, 0
	s_delay_alu instid0(VALU_DEP_1)
	v_cmp_le_u32_e32 vcc_lo, s78, v45
	s_or_not1_b32 s99, vcc_lo, exec_lo
	s_branch .LBB46_204
.LBB46_209:                             ;   in Loop: Header=BB46_6 Depth=1
	s_or_b32 exec_lo, exec_lo, s96
	s_delay_alu instid0(SALU_CYCLE_1) | instskip(SKIP_1) | instid1(SALU_CYCLE_1)
	s_and_not1_b32 s50, s50, exec_lo
	s_and_b32 s96, s98, exec_lo
	s_or_b32 s50, s50, s96
.LBB46_210:                             ;   in Loop: Header=BB46_6 Depth=1
	s_or_b32 exec_lo, exec_lo, s95
	s_mov_b32 s95, 0
	s_mov_b32 s96, -1
.LBB46_211:                             ;   in Loop: Header=BB46_6 Depth=1
	s_or_not1_b32 s98, s50, exec_lo
.LBB46_212:                             ;   in Loop: Header=BB46_6 Depth=1
	s_or_b32 exec_lo, exec_lo, s97
	s_mov_b32 s97, 0
	s_and_saveexec_b32 s50, s98
	s_cbranch_execz .LBB46_223
; %bb.213:                              ;   in Loop: Header=BB46_6 Depth=1
	v_dual_mov_b32 v22, 1 :: v_dual_mov_b32 v3, 1
	s_xor_b32 s97, s61, -1
	s_delay_alu instid0(SALU_CYCLE_1)
	s_and_saveexec_b32 s61, s97
	s_cbranch_execz .LBB46_222
; %bb.214:                              ;   in Loop: Header=BB46_6 Depth=1
	s_mov_b32 s97, exec_lo
	v_cmpx_ge_u32_e64 s20, v43
	s_xor_b32 s97, exec_lo, s97
	s_cbranch_execz .LBB46_219
; %bb.215:                              ;   in Loop: Header=BB46_6 Depth=1
	ds_load_b32 v3, v23 offset:4096
	v_or_b32_e32 v15, s13, v15
	v_or_b32_e32 v14, s12, v14
	;; [unrolled: 1-line block ×4, first 2 shown]
	s_wait_dscnt 0x0
	v_cmp_ne_u32_e32 vcc_lo, 0, v3
	s_cbranch_vccnz .LBB46_219
; %bb.216:                              ;   in Loop: Header=BB46_6 Depth=1
	s_and_saveexec_b32 s98, s5
; %bb.217:                              ;   in Loop: Header=BB46_6 Depth=1
	v_mov_b32_e32 v3, s20
	ds_store_b32 v23, v3 offset:4100
; %bb.218:                              ;   in Loop: Header=BB46_6 Depth=1
	s_or_b32 exec_lo, exec_lo, s98
	s_wait_dscnt 0x0
	s_barrier_signal -1
	s_barrier_wait -1
.LBB46_219:                             ;   in Loop: Header=BB46_6 Depth=1
	s_and_not1_saveexec_b32 s97, s97
; %bb.220:                              ;   in Loop: Header=BB46_6 Depth=1
	v_subrev_nc_u32_e32 v43, s20, v43
; %bb.221:                              ;   in Loop: Header=BB46_6 Depth=1
	s_or_b32 exec_lo, exec_lo, s97
	s_delay_alu instid0(VALU_DEP_1)
	v_dual_mov_b32 v22, 8 :: v_dual_mov_b32 v3, v43
.LBB46_222:                             ;   in Loop: Header=BB46_6 Depth=1
	s_or_b32 exec_lo, exec_lo, s61
	s_delay_alu instid0(VALU_DEP_1)
	v_mov_b32_e32 v43, v3
	s_mov_b32 s97, exec_lo
.LBB46_223:                             ;   in Loop: Header=BB46_6 Depth=1
	s_or_b32 exec_lo, exec_lo, s50
	s_delay_alu instid0(SALU_CYCLE_1)
	s_or_not1_b32 s50, s97, exec_lo
.LBB46_224:                             ;   in Loop: Header=BB46_6 Depth=1
	s_or_b32 exec_lo, exec_lo, s60
	v_mov_b32_e32 v44, v43
	s_and_not1_b32 s58, s58, exec_lo
	s_and_b32 s60, s96, exec_lo
	s_and_not1_b32 s29, s29, exec_lo
	s_and_b32 s61, s95, exec_lo
	s_or_b32 s58, s58, s60
	s_or_b32 s29, s29, s61
	s_and_b32 s61, s50, exec_lo
.LBB46_225:                             ;   in Loop: Header=BB46_6 Depth=1
	s_or_b32 exec_lo, exec_lo, s59
	s_delay_alu instid0(SALU_CYCLE_1)
	s_or_not1_b32 s50, s61, exec_lo
.LBB46_226:                             ;   in Loop: Header=BB46_6 Depth=1
	s_or_b32 exec_lo, exec_lo, s28
	v_mov_b32_e32 v43, v44
	s_and_not1_b32 s26, s26, exec_lo
	s_and_b32 s28, s58, exec_lo
	s_and_not1_b32 s21, s21, exec_lo
	s_and_b32 s29, s29, exec_lo
	s_or_b32 s26, s26, s28
	s_or_b32 s21, s21, s29
	s_and_b32 s50, s50, exec_lo
.LBB46_227:                             ;   in Loop: Header=BB46_6 Depth=1
	s_or_b32 exec_lo, exec_lo, s27
	s_delay_alu instid0(SALU_CYCLE_1)
	s_or_not1_b32 s27, s50, exec_lo
.LBB46_228:                             ;   in Loop: Header=BB46_6 Depth=1
	s_or_b32 exec_lo, exec_lo, s11
	s_mov_b32 s28, 0
	s_mov_b32 s29, 0
	s_and_saveexec_b32 s11, s27
	s_delay_alu instid0(SALU_CYCLE_1)
	s_xor_b32 s27, exec_lo, s11
; %bb.229:                              ;   in Loop: Header=BB46_6 Depth=1
	v_cmp_ne_u32_e32 vcc_lo, 8, v22
	v_cmp_eq_u32_e64 s11, 8, v22
	s_and_b32 s29, vcc_lo, exec_lo
	s_and_b32 s28, s11, exec_lo
; %bb.230:                              ;   in Loop: Header=BB46_6 Depth=1
	s_or_b32 exec_lo, exec_lo, s27
	s_delay_alu instid0(SALU_CYCLE_1)
	s_and_not1_b32 s11, s23, exec_lo
	s_and_b32 s23, s26, exec_lo
	s_and_not1_b32 s22, s22, exec_lo
	s_and_b32 s21, s21, exec_lo
	s_or_b32 s23, s11, s23
	s_or_b32 s22, s22, s21
	s_and_b32 s11, s29, exec_lo
	s_and_b32 s21, s28, exec_lo
.LBB46_231:                             ;   in Loop: Header=BB46_6 Depth=1
	s_or_b32 exec_lo, exec_lo, s25
.LBB46_232:                             ;   in Loop: Header=BB46_6 Depth=1
	s_delay_alu instid0(SALU_CYCLE_1)
	s_and_b32 vcc_lo, exec_lo, s24
	s_cbranch_vccz .LBB46_245
; %bb.233:                              ;   in Loop: Header=BB46_6 Depth=1
	s_cmp_eq_u32 s20, 1
	s_mov_b32 s23, -1
	s_cselect_b32 s16, -1, 0
                                        ; implicit-def: $sgpr24
	s_delay_alu instid0(SALU_CYCLE_1) | instskip(NEXT) | instid1(SALU_CYCLE_1)
	s_and_b32 s10, s16, s10
                                        ; implicit-def: $sgpr16
	s_and_saveexec_b32 s22, s10
	s_cbranch_execz .LBB46_260
; %bb.234:                              ;   in Loop: Header=BB46_6 Depth=1
	ds_load_b32 v3, v23 offset:4096
	s_wait_dscnt 0x0
	s_barrier_signal -1
	s_barrier_wait -1
	v_readfirstlane_b32 s25, v3
	s_and_saveexec_b32 s16, s6
; %bb.235:                              ;   in Loop: Header=BB46_6 Depth=1
	ds_store_b64 v32, v[28:29]
; %bb.236:                              ;   in Loop: Header=BB46_6 Depth=1
	s_or_b32 exec_lo, exec_lo, s16
	v_or_b32_e32 v27, s13, v27
	v_or_b32_e32 v26, s12, v26
	;; [unrolled: 1-line block ×4, first 2 shown]
	s_mov_b32 s16, -1
	s_mov_b32 s24, 0
	s_cmp_eq_u32 s25, 0
	s_mov_b32 s23, 0
	s_mov_b32 s26, -1
	s_wait_dscnt 0x0
	s_barrier_signal -1
	s_barrier_wait -1
                                        ; implicit-def: $vgpr6_vgpr7
	s_cbranch_scc1 .LBB46_248
; %bb.237:                              ;   in Loop: Header=BB46_6 Depth=1
	s_add_co_i32 s50, s25, s70
                                        ; implicit-def: $vgpr6_vgpr7
	s_delay_alu instid0(SALU_CYCLE_1) | instskip(NEXT) | instid1(SALU_CYCLE_1)
	s_mul_u64 s[26:27], s[50:51], s[54:55]
	s_mul_i32 s23, s27, s33
	s_mov_b32 s27, exec_lo
	s_sub_co_i32 s23, s50, s23
	s_delay_alu instid0(SALU_CYCLE_1) | instskip(SKIP_2) | instid1(SALU_CYCLE_1)
	s_sub_co_i32 s26, s23, s33
	s_cmp_ge_u32 s23, s33
	s_cselect_b32 s23, s26, s23
	s_sub_co_i32 s26, s23, s33
	s_cmp_ge_u32 s23, s33
	s_cselect_b32 s23, s26, s23
	s_mov_b32 s26, 0
	s_sub_co_i32 s28, s50, s23
	s_mov_b32 s23, 0
	v_cmpx_gt_u32_e64 s28, v0
	s_cbranch_execz .LBB46_247
; %bb.238:                              ;   in Loop: Header=BB46_6 Depth=1
	v_dual_mov_b32 v8, v21 :: v_dual_mov_b32 v9, v0
                                        ; implicit-def: $sgpr29
	s_branch .LBB46_241
.LBB46_239:                             ;   in Loop: Header=BB46_241 Depth=2
	s_or_b32 exec_lo, exec_lo, s50
	s_wait_dscnt 0x0
	s_barrier_signal -1
	s_barrier_wait -1
	ds_load_b128 v[4:7], v23 offset:3072
	s_mov_b32 s50, -1
	s_mov_b32 s58, -1
	s_wait_dscnt 0x0
	s_barrier_signal -1
	s_barrier_wait -1
	v_cmp_ne_u64_e32 vcc_lo, 0, v[4:5]
	s_cbranch_vccz .LBB46_244
.LBB46_240:                             ;   in Loop: Header=BB46_241 Depth=2
	s_and_b32 s50, exec_lo, s50
	s_delay_alu instid0(SALU_CYCLE_1) | instskip(SKIP_2) | instid1(SALU_CYCLE_1)
	s_or_b32 s23, s50, s23
	s_and_not1_b32 s29, s29, exec_lo
	s_and_b32 s50, s58, exec_lo
	s_or_b32 s29, s29, s50
	s_and_not1_b32 exec_lo, exec_lo, s23
	s_cbranch_execz .LBB46_246
.LBB46_241:                             ;   Parent Loop BB46_6 Depth=1
                                        ; =>  This Inner Loop Header: Depth=2
	s_mov_b32 s50, exec_lo
	s_delay_alu instid0(VALU_DEP_1)
	v_cmpx_gt_u32_e64 s25, v9
	s_cbranch_execz .LBB46_239
; %bb.242:                              ;   in Loop: Header=BB46_241 Depth=2
	ds_load_b64 v[4:5], v8
	s_wait_dscnt 0x0
	v_xor_b32_e32 v3, 0x80000000, v5
	v_and_b32_e32 v6, v4, v30
	s_delay_alu instid0(VALU_DEP_2) | instskip(NEXT) | instid1(VALU_DEP_1)
	v_and_b32_e32 v7, v3, v31
	v_cmp_eq_u64_e32 vcc_lo, v[6:7], v[26:27]
	s_and_b32 exec_lo, exec_lo, vcc_lo
	s_cbranch_execz .LBB46_239
; %bb.243:                              ;   in Loop: Header=BB46_241 Depth=2
	v_mov_b32_e32 v3, v23
	ds_store_b128 v23, v[2:5] offset:3072
	s_branch .LBB46_239
.LBB46_244:                             ;   in Loop: Header=BB46_241 Depth=2
	v_dual_add_nc_u32 v9, s33, v9 :: v_dual_add_nc_u32 v8, s81, v8
	s_mov_b32 s58, 0
	s_delay_alu instid0(VALU_DEP_1)
	v_cmp_le_u32_e32 vcc_lo, s28, v9
	s_or_not1_b32 s50, vcc_lo, exec_lo
	s_branch .LBB46_240
.LBB46_245:                             ;   in Loop: Header=BB46_6 Depth=1
	v_mov_b64_e32 v[26:27], v[14:15]
	v_mov_b64_e32 v[30:31], v[12:13]
	;; [unrolled: 1-line block ×3, first 2 shown]
	s_mov_b32 s24, 0
	s_and_saveexec_b32 s10, s21
	s_cbranch_execnz .LBB46_391
	s_branch .LBB46_392
.LBB46_246:                             ;   in Loop: Header=BB46_6 Depth=1
	s_or_b32 exec_lo, exec_lo, s23
	s_delay_alu instid0(SALU_CYCLE_1)
	s_and_b32 s23, s29, exec_lo
.LBB46_247:                             ;   in Loop: Header=BB46_6 Depth=1
	s_or_b32 exec_lo, exec_lo, s27
.LBB46_248:                             ;   in Loop: Header=BB46_6 Depth=1
	s_delay_alu instid0(SALU_CYCLE_1)
	s_and_b32 vcc_lo, exec_lo, s26
	s_cbranch_vccz .LBB46_259
; %bb.249:                              ;   in Loop: Header=BB46_6 Depth=1
                                        ; implicit-def: $vgpr6_vgpr7
	s_and_saveexec_b32 s16, s9
	s_cbranch_execz .LBB46_258
; %bb.250:                              ;   in Loop: Header=BB46_6 Depth=1
	v_dual_mov_b32 v8, v20 :: v_dual_mov_b32 v9, v0
	s_mov_b32 s25, 0
                                        ; implicit-def: $sgpr24
	s_branch .LBB46_253
.LBB46_251:                             ;   in Loop: Header=BB46_253 Depth=2
	s_or_b32 exec_lo, exec_lo, s26
	s_wait_dscnt 0x0
	s_barrier_signal -1
	s_barrier_wait -1
	ds_load_b128 v[4:7], v23 offset:3072
	s_mov_b32 s26, -1
	s_mov_b32 s27, -1
	s_wait_dscnt 0x0
	s_barrier_signal -1
	s_barrier_wait -1
	v_cmp_ne_u64_e32 vcc_lo, 0, v[4:5]
	s_cbranch_vccz .LBB46_256
.LBB46_252:                             ;   in Loop: Header=BB46_253 Depth=2
	s_and_b32 s26, exec_lo, s26
	s_delay_alu instid0(SALU_CYCLE_1) | instskip(SKIP_2) | instid1(SALU_CYCLE_1)
	s_or_b32 s25, s26, s25
	s_and_not1_b32 s24, s24, exec_lo
	s_and_b32 s26, s27, exec_lo
	s_or_b32 s24, s24, s26
	s_and_not1_b32 exec_lo, exec_lo, s25
	s_cbranch_execz .LBB46_257
.LBB46_253:                             ;   Parent Loop BB46_6 Depth=1
                                        ; =>  This Inner Loop Header: Depth=2
	s_mov_b32 s26, exec_lo
	s_delay_alu instid0(VALU_DEP_1)
	v_cmpx_gt_u32_e64 s36, v9
	s_cbranch_execz .LBB46_251
; %bb.254:                              ;   in Loop: Header=BB46_253 Depth=2
	global_load_b64 v[4:5], v8, s[30:31] scale_offset
	s_wait_loadcnt 0x0
	v_xor_b32_e32 v3, 0x80000000, v5
	v_and_b32_e32 v6, v4, v30
	s_delay_alu instid0(VALU_DEP_2) | instskip(NEXT) | instid1(VALU_DEP_1)
	v_and_b32_e32 v7, v3, v31
	v_cmp_eq_u64_e32 vcc_lo, v[6:7], v[26:27]
	s_and_b32 exec_lo, exec_lo, vcc_lo
	s_cbranch_execz .LBB46_251
; %bb.255:                              ;   in Loop: Header=BB46_253 Depth=2
	v_mov_b32_e32 v3, v23
	ds_store_b128 v23, v[2:5] offset:3072
	s_branch .LBB46_251
.LBB46_256:                             ;   in Loop: Header=BB46_253 Depth=2
	v_dual_add_nc_u32 v9, s33, v9 :: v_dual_add_nc_u32 v8, s35, v8
	s_mov_b32 s27, 0
	s_delay_alu instid0(VALU_DEP_1)
	v_cmp_le_u32_e32 vcc_lo, s78, v9
	s_or_not1_b32 s26, vcc_lo, exec_lo
	s_branch .LBB46_252
.LBB46_257:                             ;   in Loop: Header=BB46_6 Depth=1
	s_or_b32 exec_lo, exec_lo, s25
	s_delay_alu instid0(SALU_CYCLE_1) | instskip(SKIP_1) | instid1(SALU_CYCLE_1)
	s_and_not1_b32 s23, s23, exec_lo
	s_and_b32 s24, s24, exec_lo
	s_or_b32 s23, s23, s24
.LBB46_258:                             ;   in Loop: Header=BB46_6 Depth=1
	s_or_b32 exec_lo, exec_lo, s16
	s_mov_b32 s16, 0
	s_mov_b32 s24, -1
.LBB46_259:                             ;   in Loop: Header=BB46_6 Depth=1
	s_or_not1_b32 s23, s23, exec_lo
.LBB46_260:                             ;   in Loop: Header=BB46_6 Depth=1
	s_or_b32 exec_lo, exec_lo, s22
                                        ; implicit-def: $vgpr43
                                        ; implicit-def: $vgpr22
	s_and_saveexec_b32 s22, s23
	s_cbranch_execz .LBB46_390
; %bb.261:                              ;   in Loop: Header=BB46_6 Depth=1
	v_dual_mov_b32 v43, 1 :: v_dual_mov_b32 v22, 1
	s_xor_b32 s23, s10, -1
	s_mov_b32 s26, 0
	s_and_saveexec_b32 s10, s23
	s_cbranch_execz .LBB46_270
; %bb.262:                              ;   in Loop: Header=BB46_6 Depth=1
	s_mov_b32 s23, exec_lo
	v_cmpx_ge_u32_e64 s20, v42
	s_xor_b32 s23, exec_lo, s23
	s_cbranch_execz .LBB46_267
; %bb.263:                              ;   in Loop: Header=BB46_6 Depth=1
	ds_load_b32 v3, v23 offset:4096
	v_or_b32_e32 v27, s13, v27
	v_or_b32_e32 v26, s12, v26
	;; [unrolled: 1-line block ×4, first 2 shown]
	s_wait_dscnt 0x0
	v_cmp_ne_u32_e32 vcc_lo, 0, v3
	s_cbranch_vccnz .LBB46_267
; %bb.264:                              ;   in Loop: Header=BB46_6 Depth=1
	s_and_saveexec_b32 s25, s5
; %bb.265:                              ;   in Loop: Header=BB46_6 Depth=1
	v_mov_b32_e32 v3, s20
	ds_store_b32 v23, v3 offset:4100
; %bb.266:                              ;   in Loop: Header=BB46_6 Depth=1
	s_or_b32 exec_lo, exec_lo, s25
	s_wait_dscnt 0x0
	s_barrier_signal -1
	s_barrier_wait -1
.LBB46_267:                             ;   in Loop: Header=BB46_6 Depth=1
	s_or_saveexec_b32 s23, s23
	v_mov_b32_e32 v22, 5
	s_mov_b32 s25, 0
	s_xor_b32 exec_lo, exec_lo, s23
; %bb.268:                              ;   in Loop: Header=BB46_6 Depth=1
	v_subrev_nc_u32_e32 v42, s20, v42
	v_mov_b32_e32 v22, 0
	s_mov_b32 s25, exec_lo
; %bb.269:                              ;   in Loop: Header=BB46_6 Depth=1
	s_or_b32 exec_lo, exec_lo, s23
	s_delay_alu instid0(VALU_DEP_2)
	v_mov_b32_e32 v43, v42
	s_and_b32 s26, s25, exec_lo
.LBB46_270:                             ;   in Loop: Header=BB46_6 Depth=1
	s_or_b32 exec_lo, exec_lo, s10
	s_mov_b32 s25, -1
                                        ; implicit-def: $sgpr20
                                        ; implicit-def: $sgpr23
	s_and_saveexec_b32 s10, s26
	s_delay_alu instid0(SALU_CYCLE_1)
	s_xor_b32 s10, exec_lo, s10
	s_cbranch_execz .LBB46_387
; %bb.271:                              ;   in Loop: Header=BB46_6 Depth=1
	v_cmp_eq_u32_e32 vcc_lo, 1, v43
	s_cmp_eq_u32 s19, 1
	s_mov_b32 s27, -1
	s_cselect_b32 s20, -1, 0
                                        ; implicit-def: $sgpr23
	s_delay_alu instid0(SALU_CYCLE_1) | instskip(NEXT) | instid1(SALU_CYCLE_1)
	s_and_b32 s26, s20, vcc_lo
                                        ; implicit-def: $sgpr20
	s_and_saveexec_b32 s25, s26
	s_cbranch_execz .LBB46_297
; %bb.272:                              ;   in Loop: Header=BB46_6 Depth=1
	ds_load_b32 v3, v23 offset:4096
	s_wait_dscnt 0x0
	s_barrier_signal -1
	s_barrier_wait -1
	v_readfirstlane_b32 s28, v3
	s_and_saveexec_b32 s20, s6
; %bb.273:                              ;   in Loop: Header=BB46_6 Depth=1
	ds_store_b64 v32, v[28:29]
; %bb.274:                              ;   in Loop: Header=BB46_6 Depth=1
	s_or_b32 exec_lo, exec_lo, s20
	v_and_b32_e32 v3, s15, v27
	v_and_b32_e32 v4, s14, v26
	s_lshl_b64 s[58:59], 2, s82
	v_or_b32_e32 v31, s13, v31
	v_or_b32_e32 v30, s12, v30
	;; [unrolled: 1-line block ×4, first 2 shown]
	s_mov_b32 s20, -1
	s_mov_b32 s23, 0
	s_cmp_eq_u32 s28, 0
	s_mov_b32 s27, 0
	s_mov_b32 s29, -1
	s_wait_dscnt 0x0
	s_barrier_signal -1
	s_barrier_wait -1
                                        ; implicit-def: $vgpr6_vgpr7
	s_cbranch_scc1 .LBB46_285
; %bb.275:                              ;   in Loop: Header=BB46_6 Depth=1
	s_add_co_i32 s50, s28, s70
                                        ; implicit-def: $vgpr6_vgpr7
	s_delay_alu instid0(SALU_CYCLE_1) | instskip(NEXT) | instid1(SALU_CYCLE_1)
	s_mul_u64 s[58:59], s[50:51], s[54:55]
	s_mul_i32 s27, s59, s33
	s_delay_alu instid0(SALU_CYCLE_1) | instskip(NEXT) | instid1(SALU_CYCLE_1)
	s_sub_co_i32 s27, s50, s27
	s_sub_co_i32 s29, s27, s33
	s_cmp_ge_u32 s27, s33
	s_cselect_b32 s27, s29, s27
	s_delay_alu instid0(SALU_CYCLE_1)
	s_sub_co_i32 s29, s27, s33
	s_cmp_ge_u32 s27, s33
	s_cselect_b32 s27, s29, s27
	s_mov_b32 s29, 0
	s_sub_co_i32 s58, s50, s27
	s_mov_b32 s27, 0
	s_mov_b32 s50, exec_lo
	v_cmpx_gt_u32_e64 s58, v0
	s_cbranch_execz .LBB46_284
; %bb.276:                              ;   in Loop: Header=BB46_6 Depth=1
	v_dual_mov_b32 v8, v21 :: v_dual_mov_b32 v9, v0
                                        ; implicit-def: $sgpr59
	s_branch .LBB46_279
.LBB46_277:                             ;   in Loop: Header=BB46_279 Depth=2
	s_or_b32 exec_lo, exec_lo, s60
	s_wait_dscnt 0x0
	s_barrier_signal -1
	s_barrier_wait -1
	ds_load_b128 v[4:7], v23 offset:3072
	s_mov_b32 s60, -1
	s_mov_b32 s61, -1
	s_wait_dscnt 0x0
	s_barrier_signal -1
	s_barrier_wait -1
	v_cmp_ne_u64_e32 vcc_lo, 0, v[4:5]
	s_cbranch_vccz .LBB46_282
.LBB46_278:                             ;   in Loop: Header=BB46_279 Depth=2
	s_and_b32 s60, exec_lo, s60
	s_delay_alu instid0(SALU_CYCLE_1) | instskip(SKIP_2) | instid1(SALU_CYCLE_1)
	s_or_b32 s27, s60, s27
	s_and_not1_b32 s59, s59, exec_lo
	s_and_b32 s60, s61, exec_lo
	s_or_b32 s59, s59, s60
	s_and_not1_b32 exec_lo, exec_lo, s27
	s_cbranch_execz .LBB46_283
.LBB46_279:                             ;   Parent Loop BB46_6 Depth=1
                                        ; =>  This Inner Loop Header: Depth=2
	s_mov_b32 s60, exec_lo
	s_delay_alu instid0(VALU_DEP_1)
	v_cmpx_gt_u32_e64 s28, v9
	s_cbranch_execz .LBB46_277
; %bb.280:                              ;   in Loop: Header=BB46_279 Depth=2
	ds_load_b64 v[4:5], v8
	s_wait_dscnt 0x0
	v_xor_b32_e32 v3, 0x80000000, v5
	v_and_b32_e32 v6, v4, v30
	s_delay_alu instid0(VALU_DEP_2) | instskip(NEXT) | instid1(VALU_DEP_1)
	v_and_b32_e32 v7, v3, v31
	v_cmp_eq_u64_e32 vcc_lo, v[6:7], v[26:27]
	s_and_b32 exec_lo, exec_lo, vcc_lo
	s_cbranch_execz .LBB46_277
; %bb.281:                              ;   in Loop: Header=BB46_279 Depth=2
	v_mov_b32_e32 v3, v23
	ds_store_b128 v23, v[2:5] offset:3072
	s_branch .LBB46_277
.LBB46_282:                             ;   in Loop: Header=BB46_279 Depth=2
	v_dual_add_nc_u32 v9, s33, v9 :: v_dual_add_nc_u32 v8, s81, v8
	s_mov_b32 s61, 0
	s_delay_alu instid0(VALU_DEP_1)
	v_cmp_le_u32_e32 vcc_lo, s58, v9
	s_or_not1_b32 s60, vcc_lo, exec_lo
	s_branch .LBB46_278
.LBB46_283:                             ;   in Loop: Header=BB46_6 Depth=1
	s_or_b32 exec_lo, exec_lo, s27
	s_delay_alu instid0(SALU_CYCLE_1)
	s_and_b32 s27, s59, exec_lo
.LBB46_284:                             ;   in Loop: Header=BB46_6 Depth=1
	s_or_b32 exec_lo, exec_lo, s50
.LBB46_285:                             ;   in Loop: Header=BB46_6 Depth=1
	s_delay_alu instid0(SALU_CYCLE_1)
	s_and_b32 vcc_lo, exec_lo, s29
	s_cbranch_vccz .LBB46_296
; %bb.286:                              ;   in Loop: Header=BB46_6 Depth=1
                                        ; implicit-def: $vgpr6_vgpr7
	s_and_saveexec_b32 s20, s9
	s_cbranch_execz .LBB46_295
; %bb.287:                              ;   in Loop: Header=BB46_6 Depth=1
	v_dual_mov_b32 v8, v20 :: v_dual_mov_b32 v9, v0
	s_mov_b32 s23, 0
                                        ; implicit-def: $sgpr28
	s_branch .LBB46_290
.LBB46_288:                             ;   in Loop: Header=BB46_290 Depth=2
	s_or_b32 exec_lo, exec_lo, s29
	s_wait_dscnt 0x0
	s_barrier_signal -1
	s_barrier_wait -1
	ds_load_b128 v[4:7], v23 offset:3072
	s_mov_b32 s29, -1
	s_mov_b32 s50, -1
	s_wait_dscnt 0x0
	s_barrier_signal -1
	s_barrier_wait -1
	v_cmp_eq_u64_e32 vcc_lo, 0, v[4:5]
	s_cbranch_vccnz .LBB46_293
.LBB46_289:                             ;   in Loop: Header=BB46_290 Depth=2
	s_and_b32 s29, exec_lo, s29
	s_delay_alu instid0(SALU_CYCLE_1) | instskip(SKIP_2) | instid1(SALU_CYCLE_1)
	s_or_b32 s23, s29, s23
	s_and_not1_b32 s28, s28, exec_lo
	s_and_b32 s29, s50, exec_lo
	s_or_b32 s28, s28, s29
	s_and_not1_b32 exec_lo, exec_lo, s23
	s_cbranch_execz .LBB46_294
.LBB46_290:                             ;   Parent Loop BB46_6 Depth=1
                                        ; =>  This Inner Loop Header: Depth=2
	s_mov_b32 s29, exec_lo
	s_delay_alu instid0(VALU_DEP_1)
	v_cmpx_gt_u32_e64 s36, v9
	s_cbranch_execz .LBB46_288
; %bb.291:                              ;   in Loop: Header=BB46_290 Depth=2
	global_load_b64 v[4:5], v8, s[30:31] scale_offset
	s_wait_loadcnt 0x0
	v_xor_b32_e32 v3, 0x80000000, v5
	v_and_b32_e32 v6, v4, v30
	s_delay_alu instid0(VALU_DEP_2) | instskip(NEXT) | instid1(VALU_DEP_1)
	v_and_b32_e32 v7, v3, v31
	v_cmp_eq_u64_e32 vcc_lo, v[6:7], v[26:27]
	s_and_b32 exec_lo, exec_lo, vcc_lo
	s_cbranch_execz .LBB46_288
; %bb.292:                              ;   in Loop: Header=BB46_290 Depth=2
	v_mov_b32_e32 v3, v23
	ds_store_b128 v23, v[2:5] offset:3072
	s_branch .LBB46_288
.LBB46_293:                             ;   in Loop: Header=BB46_290 Depth=2
	v_dual_add_nc_u32 v9, s33, v9 :: v_dual_add_nc_u32 v8, s35, v8
	s_mov_b32 s50, 0
	s_delay_alu instid0(VALU_DEP_1)
	v_cmp_le_u32_e32 vcc_lo, s78, v9
	s_or_not1_b32 s29, vcc_lo, exec_lo
	s_branch .LBB46_289
.LBB46_294:                             ;   in Loop: Header=BB46_6 Depth=1
	s_or_b32 exec_lo, exec_lo, s23
	s_delay_alu instid0(SALU_CYCLE_1) | instskip(SKIP_1) | instid1(SALU_CYCLE_1)
	s_and_not1_b32 s23, s27, exec_lo
	s_and_b32 s27, s28, exec_lo
	s_or_b32 s27, s23, s27
.LBB46_295:                             ;   in Loop: Header=BB46_6 Depth=1
	s_or_b32 exec_lo, exec_lo, s20
	s_mov_b32 s20, 0
	s_mov_b32 s23, -1
.LBB46_296:                             ;   in Loop: Header=BB46_6 Depth=1
	s_or_not1_b32 s27, s27, exec_lo
.LBB46_297:                             ;   in Loop: Header=BB46_6 Depth=1
	s_or_b32 exec_lo, exec_lo, s25
	s_mov_b32 s28, 0
	s_and_saveexec_b32 s25, s27
	s_cbranch_execz .LBB46_386
; %bb.298:                              ;   in Loop: Header=BB46_6 Depth=1
	v_dual_mov_b32 v8, 1 :: v_dual_mov_b32 v22, 1
	s_xor_b32 s27, s26, -1
	s_mov_b32 s29, 0
	s_and_saveexec_b32 s26, s27
	s_cbranch_execz .LBB46_307
; %bb.299:                              ;   in Loop: Header=BB46_6 Depth=1
	s_mov_b32 s27, exec_lo
	v_cmpx_ge_u32_e64 s19, v43
	s_xor_b32 s27, exec_lo, s27
	s_cbranch_execz .LBB46_304
; %bb.300:                              ;   in Loop: Header=BB46_6 Depth=1
	ds_load_b32 v3, v23 offset:4096
	v_and_b32_e32 v4, s15, v27
	v_and_b32_e32 v5, s14, v26
	s_lshl_b64 s[28:29], 2, s82
	v_or_b32_e32 v31, s13, v31
	v_or_b32_e32 v30, s12, v30
	;; [unrolled: 1-line block ×4, first 2 shown]
	s_wait_dscnt 0x0
	v_cmp_ne_u32_e32 vcc_lo, 0, v3
	s_cbranch_vccnz .LBB46_304
; %bb.301:                              ;   in Loop: Header=BB46_6 Depth=1
	s_and_saveexec_b32 s28, s5
; %bb.302:                              ;   in Loop: Header=BB46_6 Depth=1
	v_mov_b32_e32 v3, s19
	ds_store_b32 v23, v3 offset:4100
; %bb.303:                              ;   in Loop: Header=BB46_6 Depth=1
	s_or_b32 exec_lo, exec_lo, s28
	s_wait_dscnt 0x0
	s_barrier_signal -1
	s_barrier_wait -1
.LBB46_304:                             ;   in Loop: Header=BB46_6 Depth=1
	s_or_saveexec_b32 s27, s27
	v_mov_b32_e32 v22, 5
	s_mov_b32 s28, 0
	s_xor_b32 exec_lo, exec_lo, s27
; %bb.305:                              ;   in Loop: Header=BB46_6 Depth=1
	v_subrev_nc_u32_e32 v43, s19, v43
	v_mov_b32_e32 v22, 0
	s_mov_b32 s28, exec_lo
; %bb.306:                              ;   in Loop: Header=BB46_6 Depth=1
	s_or_b32 exec_lo, exec_lo, s27
	s_delay_alu instid0(VALU_DEP_2)
	v_mov_b32_e32 v8, v43
	s_and_b32 s29, s28, exec_lo
.LBB46_307:                             ;   in Loop: Header=BB46_6 Depth=1
	s_or_b32 exec_lo, exec_lo, s26
	s_mov_b32 s28, -1
                                        ; implicit-def: $sgpr26
                                        ; implicit-def: $sgpr27
	s_and_saveexec_b32 s19, s29
	s_cbranch_execz .LBB46_385
; %bb.308:                              ;   in Loop: Header=BB46_6 Depth=1
	v_cmp_eq_u32_e32 vcc_lo, 1, v8
	s_cmp_eq_u32 s18, 1
	s_mov_b32 s50, -1
	s_cselect_b32 s26, -1, 0
                                        ; implicit-def: $sgpr27
	s_delay_alu instid0(SALU_CYCLE_1) | instskip(NEXT) | instid1(SALU_CYCLE_1)
	s_and_b32 s29, s26, vcc_lo
                                        ; implicit-def: $sgpr26
	s_and_saveexec_b32 s28, s29
	s_cbranch_execz .LBB46_334
; %bb.309:                              ;   in Loop: Header=BB46_6 Depth=1
	ds_load_b32 v3, v23 offset:4096
	s_wait_dscnt 0x0
	s_barrier_signal -1
	s_barrier_wait -1
	v_readfirstlane_b32 s58, v3
	s_and_saveexec_b32 s26, s6
; %bb.310:                              ;   in Loop: Header=BB46_6 Depth=1
	ds_store_b64 v32, v[28:29]
; %bb.311:                              ;   in Loop: Header=BB46_6 Depth=1
	s_or_b32 exec_lo, exec_lo, s26
	v_and_b32_e32 v3, s15, v27
	v_and_b32_e32 v4, s14, v26
	s_lshl_b64 s[26:27], 1, s82
	v_or_b32_e32 v31, s13, v31
	v_or_b32_e32 v30, s12, v30
	;; [unrolled: 1-line block ×4, first 2 shown]
	s_mov_b32 s26, -1
	s_mov_b32 s27, 0
	s_cmp_eq_u32 s58, 0
	s_mov_b32 s50, 0
	s_mov_b32 s59, -1
	s_wait_dscnt 0x0
	s_barrier_signal -1
	s_barrier_wait -1
                                        ; implicit-def: $vgpr6_vgpr7
	s_cbranch_scc1 .LBB46_322
; %bb.312:                              ;   in Loop: Header=BB46_6 Depth=1
	s_add_co_i32 s50, s58, s70
                                        ; implicit-def: $vgpr6_vgpr7
	s_delay_alu instid0(SALU_CYCLE_1) | instskip(NEXT) | instid1(SALU_CYCLE_1)
	s_mul_u64 s[60:61], s[50:51], s[54:55]
	s_mul_i32 s59, s61, s33
	s_delay_alu instid0(SALU_CYCLE_1) | instskip(NEXT) | instid1(SALU_CYCLE_1)
	s_sub_co_i32 s59, s50, s59
	s_sub_co_i32 s60, s59, s33
	s_cmp_ge_u32 s59, s33
	s_cselect_b32 s59, s60, s59
	s_delay_alu instid0(SALU_CYCLE_1)
	s_sub_co_i32 s60, s59, s33
	s_cmp_ge_u32 s59, s33
	s_cselect_b32 s59, s60, s59
	s_mov_b32 s60, exec_lo
	s_sub_co_i32 s61, s50, s59
	s_mov_b32 s59, 0
	s_mov_b32 s50, 0
	v_cmpx_gt_u32_e64 s61, v0
	s_cbranch_execz .LBB46_321
; %bb.313:                              ;   in Loop: Header=BB46_6 Depth=1
	v_dual_mov_b32 v9, v21 :: v_dual_mov_b32 v10, v0
                                        ; implicit-def: $sgpr95
	s_branch .LBB46_316
.LBB46_314:                             ;   in Loop: Header=BB46_316 Depth=2
	s_or_b32 exec_lo, exec_lo, s96
	s_wait_dscnt 0x0
	s_barrier_signal -1
	s_barrier_wait -1
	ds_load_b128 v[4:7], v23 offset:3072
	s_mov_b32 s96, -1
	s_mov_b32 s97, -1
	s_wait_dscnt 0x0
	s_barrier_signal -1
	s_barrier_wait -1
	v_cmp_ne_u64_e32 vcc_lo, 0, v[4:5]
	s_cbranch_vccz .LBB46_319
.LBB46_315:                             ;   in Loop: Header=BB46_316 Depth=2
	s_and_b32 s96, exec_lo, s96
	s_delay_alu instid0(SALU_CYCLE_1) | instskip(SKIP_2) | instid1(SALU_CYCLE_1)
	s_or_b32 s50, s96, s50
	s_and_not1_b32 s95, s95, exec_lo
	s_and_b32 s96, s97, exec_lo
	s_or_b32 s95, s95, s96
	s_and_not1_b32 exec_lo, exec_lo, s50
	s_cbranch_execz .LBB46_320
.LBB46_316:                             ;   Parent Loop BB46_6 Depth=1
                                        ; =>  This Inner Loop Header: Depth=2
	s_mov_b32 s96, exec_lo
	s_delay_alu instid0(VALU_DEP_1)
	v_cmpx_gt_u32_e64 s58, v10
	s_cbranch_execz .LBB46_314
; %bb.317:                              ;   in Loop: Header=BB46_316 Depth=2
	ds_load_b64 v[4:5], v9
	s_wait_dscnt 0x0
	v_xor_b32_e32 v3, 0x80000000, v5
	v_and_b32_e32 v6, v4, v30
	s_delay_alu instid0(VALU_DEP_2) | instskip(NEXT) | instid1(VALU_DEP_1)
	v_and_b32_e32 v7, v3, v31
	v_cmp_eq_u64_e32 vcc_lo, v[6:7], v[26:27]
	s_and_b32 exec_lo, exec_lo, vcc_lo
	s_cbranch_execz .LBB46_314
; %bb.318:                              ;   in Loop: Header=BB46_316 Depth=2
	v_mov_b32_e32 v3, v23
	ds_store_b128 v23, v[2:5] offset:3072
	s_branch .LBB46_314
.LBB46_319:                             ;   in Loop: Header=BB46_316 Depth=2
	v_dual_add_nc_u32 v10, s33, v10 :: v_dual_add_nc_u32 v9, s81, v9
	s_mov_b32 s97, 0
	s_delay_alu instid0(VALU_DEP_1)
	v_cmp_le_u32_e32 vcc_lo, s61, v10
	s_or_not1_b32 s96, vcc_lo, exec_lo
	s_branch .LBB46_315
.LBB46_320:                             ;   in Loop: Header=BB46_6 Depth=1
	s_or_b32 exec_lo, exec_lo, s50
	s_delay_alu instid0(SALU_CYCLE_1)
	s_and_b32 s50, s95, exec_lo
.LBB46_321:                             ;   in Loop: Header=BB46_6 Depth=1
	s_or_b32 exec_lo, exec_lo, s60
.LBB46_322:                             ;   in Loop: Header=BB46_6 Depth=1
	s_delay_alu instid0(SALU_CYCLE_1)
	s_and_b32 vcc_lo, exec_lo, s59
	s_cbranch_vccz .LBB46_333
; %bb.323:                              ;   in Loop: Header=BB46_6 Depth=1
                                        ; implicit-def: $vgpr6_vgpr7
	s_and_saveexec_b32 s26, s9
	s_cbranch_execz .LBB46_332
; %bb.324:                              ;   in Loop: Header=BB46_6 Depth=1
	v_dual_mov_b32 v9, v20 :: v_dual_mov_b32 v10, v0
	s_mov_b32 s27, 0
                                        ; implicit-def: $sgpr58
	s_branch .LBB46_327
.LBB46_325:                             ;   in Loop: Header=BB46_327 Depth=2
	s_or_b32 exec_lo, exec_lo, s59
	s_wait_dscnt 0x0
	s_barrier_signal -1
	s_barrier_wait -1
	ds_load_b128 v[4:7], v23 offset:3072
	s_mov_b32 s59, -1
	s_mov_b32 s60, -1
	s_wait_dscnt 0x0
	s_barrier_signal -1
	s_barrier_wait -1
	v_cmp_eq_u64_e32 vcc_lo, 0, v[4:5]
	s_cbranch_vccnz .LBB46_330
.LBB46_326:                             ;   in Loop: Header=BB46_327 Depth=2
	s_and_b32 s59, exec_lo, s59
	s_delay_alu instid0(SALU_CYCLE_1) | instskip(SKIP_2) | instid1(SALU_CYCLE_1)
	s_or_b32 s27, s59, s27
	s_and_not1_b32 s58, s58, exec_lo
	s_and_b32 s59, s60, exec_lo
	s_or_b32 s58, s58, s59
	s_and_not1_b32 exec_lo, exec_lo, s27
	s_cbranch_execz .LBB46_331
.LBB46_327:                             ;   Parent Loop BB46_6 Depth=1
                                        ; =>  This Inner Loop Header: Depth=2
	s_mov_b32 s59, exec_lo
	s_delay_alu instid0(VALU_DEP_1)
	v_cmpx_gt_u32_e64 s36, v10
	s_cbranch_execz .LBB46_325
; %bb.328:                              ;   in Loop: Header=BB46_327 Depth=2
	global_load_b64 v[4:5], v9, s[30:31] scale_offset
	s_wait_loadcnt 0x0
	v_xor_b32_e32 v3, 0x80000000, v5
	v_and_b32_e32 v6, v4, v30
	s_delay_alu instid0(VALU_DEP_2) | instskip(NEXT) | instid1(VALU_DEP_1)
	v_and_b32_e32 v7, v3, v31
	v_cmp_eq_u64_e32 vcc_lo, v[6:7], v[26:27]
	s_and_b32 exec_lo, exec_lo, vcc_lo
	s_cbranch_execz .LBB46_325
; %bb.329:                              ;   in Loop: Header=BB46_327 Depth=2
	v_mov_b32_e32 v3, v23
	ds_store_b128 v23, v[2:5] offset:3072
	s_branch .LBB46_325
.LBB46_330:                             ;   in Loop: Header=BB46_327 Depth=2
	v_dual_add_nc_u32 v10, s33, v10 :: v_dual_add_nc_u32 v9, s35, v9
	s_mov_b32 s60, 0
	s_delay_alu instid0(VALU_DEP_1)
	v_cmp_le_u32_e32 vcc_lo, s78, v10
	s_or_not1_b32 s59, vcc_lo, exec_lo
	s_branch .LBB46_326
.LBB46_331:                             ;   in Loop: Header=BB46_6 Depth=1
	s_or_b32 exec_lo, exec_lo, s27
	s_delay_alu instid0(SALU_CYCLE_1) | instskip(SKIP_1) | instid1(SALU_CYCLE_1)
	s_and_not1_b32 s27, s50, exec_lo
	s_and_b32 s50, s58, exec_lo
	s_or_b32 s50, s27, s50
.LBB46_332:                             ;   in Loop: Header=BB46_6 Depth=1
	s_or_b32 exec_lo, exec_lo, s26
	s_mov_b32 s26, 0
	s_mov_b32 s27, -1
.LBB46_333:                             ;   in Loop: Header=BB46_6 Depth=1
	s_or_not1_b32 s50, s50, exec_lo
.LBB46_334:                             ;   in Loop: Header=BB46_6 Depth=1
	s_or_b32 exec_lo, exec_lo, s28
	s_mov_b32 s58, 0
	s_and_saveexec_b32 s28, s50
	s_cbranch_execz .LBB46_384
; %bb.335:                              ;   in Loop: Header=BB46_6 Depth=1
	v_dual_mov_b32 v9, 1 :: v_dual_mov_b32 v22, 1
	s_xor_b32 s58, s29, -1
	s_mov_b32 s50, 0
	s_and_saveexec_b32 s29, s58
	s_cbranch_execz .LBB46_344
; %bb.336:                              ;   in Loop: Header=BB46_6 Depth=1
	s_mov_b32 s50, exec_lo
	v_cmpx_ge_u32_e64 s18, v8
	s_xor_b32 s50, exec_lo, s50
	s_cbranch_execz .LBB46_341
; %bb.337:                              ;   in Loop: Header=BB46_6 Depth=1
	ds_load_b32 v3, v23 offset:4096
	v_and_b32_e32 v4, s15, v27
	v_and_b32_e32 v5, s14, v26
	s_lshl_b64 s[58:59], 1, s82
	v_or_b32_e32 v31, s13, v31
	v_or_b32_e32 v30, s12, v30
	v_or_b32_e32 v27, s59, v4
	v_or_b32_e32 v26, s58, v5
	s_wait_dscnt 0x0
	v_cmp_ne_u32_e32 vcc_lo, 0, v3
	s_cbranch_vccnz .LBB46_341
; %bb.338:                              ;   in Loop: Header=BB46_6 Depth=1
	s_and_saveexec_b32 s58, s5
; %bb.339:                              ;   in Loop: Header=BB46_6 Depth=1
	v_mov_b32_e32 v3, s18
	ds_store_b32 v23, v3 offset:4100
; %bb.340:                              ;   in Loop: Header=BB46_6 Depth=1
	s_or_b32 exec_lo, exec_lo, s58
	s_wait_dscnt 0x0
	s_barrier_signal -1
	s_barrier_wait -1
.LBB46_341:                             ;   in Loop: Header=BB46_6 Depth=1
	s_or_saveexec_b32 s50, s50
	v_mov_b32_e32 v22, 5
	s_mov_b32 s58, 0
	s_xor_b32 exec_lo, exec_lo, s50
; %bb.342:                              ;   in Loop: Header=BB46_6 Depth=1
	v_subrev_nc_u32_e32 v8, s18, v8
	v_mov_b32_e32 v22, 0
	s_mov_b32 s58, exec_lo
; %bb.343:                              ;   in Loop: Header=BB46_6 Depth=1
	s_or_b32 exec_lo, exec_lo, s50
	s_delay_alu instid0(VALU_DEP_2)
	v_mov_b32_e32 v9, v8
	s_and_b32 s50, s58, exec_lo
.LBB46_344:                             ;   in Loop: Header=BB46_6 Depth=1
	s_or_b32 exec_lo, exec_lo, s29
	s_mov_b32 s29, -1
                                        ; implicit-def: $sgpr59
                                        ; implicit-def: $sgpr58
	s_and_saveexec_b32 s18, s50
	s_cbranch_execz .LBB46_383
; %bb.345:                              ;   in Loop: Header=BB46_6 Depth=1
	v_cmp_eq_u32_e32 vcc_lo, 1, v9
	s_cmp_eq_u32 s17, 1
	s_mov_b32 s61, -1
	s_cselect_b32 s29, -1, 0
                                        ; implicit-def: $sgpr59
                                        ; implicit-def: $sgpr58
	s_delay_alu instid0(SALU_CYCLE_1) | instskip(NEXT) | instid1(SALU_CYCLE_1)
	s_and_b32 s29, s29, vcc_lo
	s_and_saveexec_b32 s60, s29
	s_cbranch_execz .LBB46_371
; %bb.346:                              ;   in Loop: Header=BB46_6 Depth=1
	ds_load_b32 v3, v23 offset:4096
	s_wait_dscnt 0x0
	s_barrier_signal -1
	s_barrier_wait -1
	v_readfirstlane_b32 s61, v3
	s_and_saveexec_b32 s50, s6
; %bb.347:                              ;   in Loop: Header=BB46_6 Depth=1
	ds_store_b64 v32, v[28:29]
; %bb.348:                              ;   in Loop: Header=BB46_6 Depth=1
	s_or_b32 exec_lo, exec_lo, s50
	v_and_b32_e32 v27, s15, v27
	v_and_b32_e32 v26, s14, v26
	v_or_b32_e32 v31, s13, v31
	v_or_b32_e32 v30, s12, v30
	s_mov_b32 s58, -1
	s_mov_b32 s59, 0
	s_cmp_eq_u32 s61, 0
	s_mov_b32 s50, 0
	s_mov_b32 s95, -1
	s_wait_dscnt 0x0
	s_barrier_signal -1
	s_barrier_wait -1
                                        ; implicit-def: $vgpr6_vgpr7
	s_cbranch_scc1 .LBB46_359
; %bb.349:                              ;   in Loop: Header=BB46_6 Depth=1
	s_add_co_i32 s50, s61, s70
                                        ; implicit-def: $vgpr6_vgpr7
	s_delay_alu instid0(SALU_CYCLE_1) | instskip(NEXT) | instid1(SALU_CYCLE_1)
	s_mul_u64 s[96:97], s[50:51], s[54:55]
	s_mul_i32 s95, s97, s33
	s_delay_alu instid0(SALU_CYCLE_1) | instskip(NEXT) | instid1(SALU_CYCLE_1)
	s_sub_co_i32 s95, s50, s95
	s_sub_co_i32 s96, s95, s33
	s_cmp_ge_u32 s95, s33
	s_cselect_b32 s95, s96, s95
	s_delay_alu instid0(SALU_CYCLE_1)
	s_sub_co_i32 s96, s95, s33
	s_cmp_ge_u32 s95, s33
	s_cselect_b32 s95, s96, s95
	s_mov_b32 s96, exec_lo
	s_sub_co_i32 s97, s50, s95
	s_mov_b32 s95, 0
	s_mov_b32 s50, 0
	v_cmpx_gt_u32_e64 s97, v0
	s_cbranch_execz .LBB46_358
; %bb.350:                              ;   in Loop: Header=BB46_6 Depth=1
	v_dual_mov_b32 v8, v21 :: v_dual_mov_b32 v10, v0
                                        ; implicit-def: $sgpr98
	s_branch .LBB46_353
.LBB46_351:                             ;   in Loop: Header=BB46_353 Depth=2
	s_or_b32 exec_lo, exec_lo, s99
	s_wait_dscnt 0x0
	s_barrier_signal -1
	s_barrier_wait -1
	ds_load_b128 v[4:7], v23 offset:3072
	s_mov_b32 s99, -1
	s_mov_b32 s100, -1
	s_wait_dscnt 0x0
	s_barrier_signal -1
	s_barrier_wait -1
	v_cmp_ne_u64_e32 vcc_lo, 0, v[4:5]
	s_cbranch_vccz .LBB46_356
.LBB46_352:                             ;   in Loop: Header=BB46_353 Depth=2
	s_and_b32 s99, exec_lo, s99
	s_delay_alu instid0(SALU_CYCLE_1) | instskip(SKIP_2) | instid1(SALU_CYCLE_1)
	s_or_b32 s50, s99, s50
	s_and_not1_b32 s98, s98, exec_lo
	s_and_b32 s99, s100, exec_lo
	s_or_b32 s98, s98, s99
	s_and_not1_b32 exec_lo, exec_lo, s50
	s_cbranch_execz .LBB46_357
.LBB46_353:                             ;   Parent Loop BB46_6 Depth=1
                                        ; =>  This Inner Loop Header: Depth=2
	s_mov_b32 s99, exec_lo
	s_delay_alu instid0(VALU_DEP_1)
	v_cmpx_gt_u32_e64 s61, v10
	s_cbranch_execz .LBB46_351
; %bb.354:                              ;   in Loop: Header=BB46_353 Depth=2
	ds_load_b64 v[4:5], v8
	s_wait_dscnt 0x0
	v_xor_b32_e32 v3, 0x80000000, v5
	v_and_b32_e32 v6, v4, v30
	s_delay_alu instid0(VALU_DEP_2) | instskip(NEXT) | instid1(VALU_DEP_1)
	v_and_b32_e32 v7, v3, v31
	v_cmp_eq_u64_e32 vcc_lo, v[6:7], v[26:27]
	s_and_b32 exec_lo, exec_lo, vcc_lo
	s_cbranch_execz .LBB46_351
; %bb.355:                              ;   in Loop: Header=BB46_353 Depth=2
	v_mov_b32_e32 v3, v23
	ds_store_b128 v23, v[2:5] offset:3072
	s_branch .LBB46_351
.LBB46_356:                             ;   in Loop: Header=BB46_353 Depth=2
	v_dual_add_nc_u32 v10, s33, v10 :: v_dual_add_nc_u32 v8, s81, v8
	s_mov_b32 s100, 0
	s_delay_alu instid0(VALU_DEP_1)
	v_cmp_le_u32_e32 vcc_lo, s97, v10
	s_or_not1_b32 s99, vcc_lo, exec_lo
	s_branch .LBB46_352
.LBB46_357:                             ;   in Loop: Header=BB46_6 Depth=1
	s_or_b32 exec_lo, exec_lo, s50
	s_delay_alu instid0(SALU_CYCLE_1)
	s_and_b32 s50, s98, exec_lo
.LBB46_358:                             ;   in Loop: Header=BB46_6 Depth=1
	s_or_b32 exec_lo, exec_lo, s96
.LBB46_359:                             ;   in Loop: Header=BB46_6 Depth=1
	s_delay_alu instid0(SALU_CYCLE_1)
	s_and_b32 vcc_lo, exec_lo, s95
	s_cbranch_vccz .LBB46_370
; %bb.360:                              ;   in Loop: Header=BB46_6 Depth=1
                                        ; implicit-def: $vgpr6_vgpr7
	s_and_saveexec_b32 s58, s9
	s_cbranch_execz .LBB46_369
; %bb.361:                              ;   in Loop: Header=BB46_6 Depth=1
	v_dual_mov_b32 v8, v20 :: v_dual_mov_b32 v10, v0
	s_mov_b32 s59, 0
                                        ; implicit-def: $sgpr61
	s_branch .LBB46_364
.LBB46_362:                             ;   in Loop: Header=BB46_364 Depth=2
	s_or_b32 exec_lo, exec_lo, s95
	s_wait_dscnt 0x0
	s_barrier_signal -1
	s_barrier_wait -1
	ds_load_b128 v[4:7], v23 offset:3072
	s_mov_b32 s95, -1
	s_mov_b32 s96, -1
	s_wait_dscnt 0x0
	s_barrier_signal -1
	s_barrier_wait -1
	v_cmp_eq_u64_e32 vcc_lo, 0, v[4:5]
	s_cbranch_vccnz .LBB46_367
.LBB46_363:                             ;   in Loop: Header=BB46_364 Depth=2
	s_and_b32 s95, exec_lo, s95
	s_delay_alu instid0(SALU_CYCLE_1) | instskip(SKIP_2) | instid1(SALU_CYCLE_1)
	s_or_b32 s59, s95, s59
	s_and_not1_b32 s61, s61, exec_lo
	s_and_b32 s95, s96, exec_lo
	s_or_b32 s61, s61, s95
	s_and_not1_b32 exec_lo, exec_lo, s59
	s_cbranch_execz .LBB46_368
.LBB46_364:                             ;   Parent Loop BB46_6 Depth=1
                                        ; =>  This Inner Loop Header: Depth=2
	s_mov_b32 s95, exec_lo
	s_delay_alu instid0(VALU_DEP_1)
	v_cmpx_gt_u32_e64 s36, v10
	s_cbranch_execz .LBB46_362
; %bb.365:                              ;   in Loop: Header=BB46_364 Depth=2
	global_load_b64 v[4:5], v8, s[30:31] scale_offset
	s_wait_loadcnt 0x0
	v_xor_b32_e32 v3, 0x80000000, v5
	v_and_b32_e32 v6, v4, v30
	s_delay_alu instid0(VALU_DEP_2) | instskip(NEXT) | instid1(VALU_DEP_1)
	v_and_b32_e32 v7, v3, v31
	v_cmp_eq_u64_e32 vcc_lo, v[6:7], v[26:27]
	s_and_b32 exec_lo, exec_lo, vcc_lo
	s_cbranch_execz .LBB46_362
; %bb.366:                              ;   in Loop: Header=BB46_364 Depth=2
	v_mov_b32_e32 v3, v23
	ds_store_b128 v23, v[2:5] offset:3072
	s_branch .LBB46_362
.LBB46_367:                             ;   in Loop: Header=BB46_364 Depth=2
	v_dual_add_nc_u32 v10, s33, v10 :: v_dual_add_nc_u32 v8, s35, v8
	s_mov_b32 s96, 0
	s_delay_alu instid0(VALU_DEP_1)
	v_cmp_le_u32_e32 vcc_lo, s78, v10
	s_or_not1_b32 s95, vcc_lo, exec_lo
	s_branch .LBB46_363
.LBB46_368:                             ;   in Loop: Header=BB46_6 Depth=1
	s_or_b32 exec_lo, exec_lo, s59
	s_delay_alu instid0(SALU_CYCLE_1) | instskip(SKIP_1) | instid1(SALU_CYCLE_1)
	s_and_not1_b32 s50, s50, exec_lo
	s_and_b32 s59, s61, exec_lo
	s_or_b32 s50, s50, s59
.LBB46_369:                             ;   in Loop: Header=BB46_6 Depth=1
	s_or_b32 exec_lo, exec_lo, s58
	s_mov_b32 s58, 0
	s_mov_b32 s59, -1
.LBB46_370:                             ;   in Loop: Header=BB46_6 Depth=1
	s_or_not1_b32 s61, s50, exec_lo
.LBB46_371:                             ;   in Loop: Header=BB46_6 Depth=1
	s_or_b32 exec_lo, exec_lo, s60
	s_mov_b32 s60, 0
	s_and_saveexec_b32 s50, s61
	s_cbranch_execz .LBB46_382
; %bb.372:                              ;   in Loop: Header=BB46_6 Depth=1
	v_dual_mov_b32 v22, 1 :: v_dual_mov_b32 v3, 1
	s_xor_b32 s60, s29, -1
	s_delay_alu instid0(SALU_CYCLE_1)
	s_and_saveexec_b32 s29, s60
	s_cbranch_execz .LBB46_381
; %bb.373:                              ;   in Loop: Header=BB46_6 Depth=1
	s_mov_b32 s60, exec_lo
	v_cmpx_ge_u32_e64 s17, v9
	s_xor_b32 s60, exec_lo, s60
	s_cbranch_execz .LBB46_378
; %bb.374:                              ;   in Loop: Header=BB46_6 Depth=1
	ds_load_b32 v3, v23 offset:4096
	v_and_b32_e32 v27, s15, v27
	v_and_b32_e32 v26, s14, v26
	v_or_b32_e32 v31, s13, v31
	v_or_b32_e32 v30, s12, v30
	s_wait_dscnt 0x0
	v_cmp_ne_u32_e32 vcc_lo, 0, v3
	s_cbranch_vccnz .LBB46_378
; %bb.375:                              ;   in Loop: Header=BB46_6 Depth=1
	s_and_saveexec_b32 s12, s5
; %bb.376:                              ;   in Loop: Header=BB46_6 Depth=1
	v_mov_b32_e32 v3, s17
	ds_store_b32 v23, v3 offset:4100
; %bb.377:                              ;   in Loop: Header=BB46_6 Depth=1
	s_or_b32 exec_lo, exec_lo, s12
	s_wait_dscnt 0x0
	s_barrier_signal -1
	s_barrier_wait -1
.LBB46_378:                             ;   in Loop: Header=BB46_6 Depth=1
	s_and_not1_saveexec_b32 s12, s60
; %bb.379:                              ;   in Loop: Header=BB46_6 Depth=1
	v_subrev_nc_u32_e32 v9, s17, v9
; %bb.380:                              ;   in Loop: Header=BB46_6 Depth=1
	s_or_b32 exec_lo, exec_lo, s12
	s_delay_alu instid0(VALU_DEP_1)
	v_dual_mov_b32 v22, 5 :: v_dual_mov_b32 v3, v9
.LBB46_381:                             ;   in Loop: Header=BB46_6 Depth=1
	s_or_b32 exec_lo, exec_lo, s29
	s_delay_alu instid0(VALU_DEP_1)
	v_mov_b32_e32 v9, v3
	s_mov_b32 s60, exec_lo
.LBB46_382:                             ;   in Loop: Header=BB46_6 Depth=1
	s_or_b32 exec_lo, exec_lo, s50
	s_delay_alu instid0(SALU_CYCLE_1)
	s_or_not1_b32 s29, s60, exec_lo
.LBB46_383:                             ;   in Loop: Header=BB46_6 Depth=1
	s_or_b32 exec_lo, exec_lo, s18
	v_mov_b32_e32 v8, v9
	s_and_not1_b32 s12, s27, exec_lo
	s_and_b32 s13, s59, exec_lo
	s_and_not1_b32 s14, s26, exec_lo
	s_and_b32 s15, s58, exec_lo
	s_or_b32 s27, s12, s13
	s_or_b32 s26, s14, s15
	s_and_b32 s58, s29, exec_lo
.LBB46_384:                             ;   in Loop: Header=BB46_6 Depth=1
	s_or_b32 exec_lo, exec_lo, s28
	s_delay_alu instid0(SALU_CYCLE_1)
	s_or_not1_b32 s28, s58, exec_lo
.LBB46_385:                             ;   in Loop: Header=BB46_6 Depth=1
	s_or_b32 exec_lo, exec_lo, s19
	v_mov_b32_e32 v43, v8
	s_and_not1_b32 s12, s23, exec_lo
	s_and_b32 s13, s27, exec_lo
	s_and_not1_b32 s14, s20, exec_lo
	s_and_b32 s15, s26, exec_lo
	s_or_b32 s23, s12, s13
	s_or_b32 s20, s14, s15
	s_and_b32 s28, s28, exec_lo
.LBB46_386:                             ;   in Loop: Header=BB46_6 Depth=1
	s_or_b32 exec_lo, exec_lo, s25
	s_delay_alu instid0(SALU_CYCLE_1)
	s_or_not1_b32 s25, s28, exec_lo
.LBB46_387:                             ;   in Loop: Header=BB46_6 Depth=1
	s_or_b32 exec_lo, exec_lo, s10
	s_mov_b32 s10, s21
	s_mov_b32 s12, s11
	s_and_saveexec_b32 s13, s25
; %bb.388:                              ;   in Loop: Header=BB46_6 Depth=1
	v_cmp_ne_u32_e32 vcc_lo, 5, v22
	v_cmp_eq_u32_e64 s10, 5, v22
	s_and_not1_b32 s12, s11, exec_lo
	s_and_not1_b32 s14, s21, exec_lo
	s_and_b32 s15, vcc_lo, exec_lo
	s_and_b32 s10, s10, exec_lo
	s_or_b32 s12, s12, s15
	s_or_b32 s10, s14, s10
; %bb.389:                              ;   in Loop: Header=BB46_6 Depth=1
	s_or_b32 exec_lo, exec_lo, s13
	s_delay_alu instid0(SALU_CYCLE_1)
	s_and_not1_b32 s13, s24, exec_lo
	s_and_b32 s14, s23, exec_lo
	s_and_not1_b32 s15, s16, exec_lo
	s_and_b32 s16, s20, exec_lo
	s_or_b32 s24, s13, s14
	s_and_not1_b32 s11, s11, exec_lo
	s_and_b32 s12, s12, exec_lo
	s_and_not1_b32 s13, s21, exec_lo
	s_and_b32 s10, s10, exec_lo
	s_or_b32 s16, s15, s16
	s_or_b32 s11, s11, s12
	;; [unrolled: 1-line block ×3, first 2 shown]
.LBB46_390:                             ;   in Loop: Header=BB46_6 Depth=1
	s_or_b32 exec_lo, exec_lo, s22
	s_mov_b32 s22, 0
	s_mov_b32 s23, 0
	s_and_saveexec_b32 s10, s21
.LBB46_391:                             ;   in Loop: Header=BB46_6 Depth=1
	v_mov_b32_e32 v22, 0
	s_or_b32 s11, s11, exec_lo
.LBB46_392:                             ;   in Loop: Header=BB46_6 Depth=1
	s_or_b32 exec_lo, exec_lo, s10
	s_delay_alu instid0(SALU_CYCLE_1)
	s_and_not1_b32 s10, s92, exec_lo
	s_and_b32 s13, s24, exec_lo
	s_and_not1_b32 s14, s90, exec_lo
	s_and_b32 s15, s16, exec_lo
	v_mov_b32_e32 v42, v43
	s_or_b32 s92, s10, s13
	s_or_b32 s90, s14, s15
	s_and_not1_b32 s10, s94, exec_lo
	s_and_b32 s13, s23, exec_lo
	s_and_not1_b32 s14, s93, exec_lo
	s_and_b32 s15, s22, exec_lo
	s_mov_b32 s12, -1
	s_and_not1_b32 s91, s91, exec_lo
	s_or_b32 s94, s10, s13
	s_or_b32 s93, s14, s15
	s_and_saveexec_b32 s10, s11
	s_delay_alu instid0(SALU_CYCLE_1)
	s_xor_b32 s10, exec_lo, s10
	s_cbranch_execz .LBB46_5
; %bb.393:                              ;   in Loop: Header=BB46_6 Depth=1
	s_mov_b32 s11, -1
	s_mov_b32 s13, exec_lo
	v_cmpx_eq_u32_e32 0, v22
	s_cbranch_execz .LBB46_4
; %bb.394:                              ;   in Loop: Header=BB46_6 Depth=1
	s_xor_b32 s85, s85, 1
	s_add_co_i32 s14, s82, -2
	s_cmp_eq_u32 s82, 0
	s_mov_b32 s82, s14
	s_cselect_b32 s11, -1, 0
	s_xor_b32 s12, exec_lo, -1
	s_or_not1_b32 s11, s11, exec_lo
	s_branch .LBB46_4
.LBB46_395:
	s_or_b32 exec_lo, exec_lo, s83
	s_xor_b32 s7, s89, -1
	s_xor_b32 s9, s87, -1
	;; [unrolled: 1-line block ×5, first 2 shown]
	s_mov_b32 s8, 0
	s_and_saveexec_b32 s12, s11
	s_delay_alu instid0(SALU_CYCLE_1)
	s_xor_b32 s12, exec_lo, s12
	s_cbranch_execnz .LBB46_400
; %bb.396:
	s_wait_xcnt 0x0
	s_and_not1_saveexec_b32 s0, s12
	s_cbranch_execnz .LBB46_419
.LBB46_397:
	s_or_b32 exec_lo, exec_lo, s0
	s_and_saveexec_b32 s0, s8
.LBB46_398:
	; divergent unreachable
.LBB46_399:
	s_endpgm
.LBB46_400:
	s_and_saveexec_b32 s11, s10
	s_delay_alu instid0(SALU_CYCLE_1)
	s_xor_b32 s13, exec_lo, s11
	s_cbranch_execz .LBB46_417
; %bb.401:
	s_and_saveexec_b32 s10, s9
	s_delay_alu instid0(SALU_CYCLE_1)
	s_xor_b32 s14, exec_lo, s10
	s_cbranch_execz .LBB46_415
; %bb.402:
	;; [unrolled: 5-line block ×3, first 2 shown]
	s_and_saveexec_b32 s7, s6
	s_delay_alu instid0(SALU_CYCLE_1)
	s_xor_b32 s6, exec_lo, s7
; %bb.404:
	v_xor_b32_e32 v27, 0x80000000, v27
	s_delay_alu instid0(VALU_DEP_1)
	v_mov_b64_e32 v[6:7], v[26:27]
; %bb.405:
	s_or_b32 exec_lo, exec_lo, s6
	s_and_saveexec_b32 s6, s5
; %bb.406:
	v_mov_b32_e32 v1, 0
	ds_store_b32 v1, v1 offset:4108
; %bb.407:
	s_or_b32 exec_lo, exec_lo, s6
	v_mov_b64_e32 v[2:3], 0
	s_wait_dscnt 0x0
	s_barrier_signal -1
	s_barrier_wait -1
	s_and_saveexec_b32 s5, s4
	s_cbranch_execz .LBB46_409
; %bb.408:
	global_load_b64 v[2:3], v[18:19], off
.LBB46_409:
	s_wait_xcnt 0x0
	s_or_b32 exec_lo, exec_lo, s5
	s_mul_i32 s6, s49, s64
	s_add_co_i32 s5, s36, 31
	s_sub_co_i32 s6, s34, s6
	s_and_not1_b32 s5, s5, 31
	s_add_co_i32 s7, s49, 1
	s_sub_co_i32 s8, s6, s64
	s_cmp_ge_u32 s6, s64
	s_clause 0x1
	s_load_b32 s16, s[0:1], 0x1c8
	s_load_b32 s17, s[0:1], 0x2a8
	s_cselect_b32 s7, s7, s49
	s_cselect_b32 s6, s8, s6
	s_add_co_i32 s8, s7, 1
	s_cmp_ge_u32 s6, s64
	s_mul_i32 s6, s47, s63
	s_cselect_b32 s7, s8, s7
	s_sub_co_i32 s6, s34, s6
	s_mul_i32 s8, s7, s64
	s_mul_i32 s7, s7, s42
	s_sub_co_i32 s8, s34, s8
	s_add_co_i32 s9, s47, 1
	s_mul_i32 s8, s8, s43
	s_sub_co_i32 s11, s6, s63
	s_add_co_i32 s10, s7, s8
	s_cmp_ge_u32 s6, s63
	v_cmp_gt_u32_e32 vcc_lo, s5, v0
	s_cselect_b32 s7, s9, s47
	s_cselect_b32 s6, s11, s6
	s_wait_xcnt 0x0
	s_add_co_i32 s0, s7, 1
	s_cmp_ge_u32 s6, s63
	s_mov_b32 s11, 0
	s_cselect_b32 s0, s0, s7
	s_mov_b32 s1, s11
	s_mul_i32 s6, s0, s63
	s_mul_i32 s0, s0, s40
	s_sub_co_i32 s6, s34, s6
	s_delay_alu instid0(SALU_CYCLE_1) | instskip(NEXT) | instid1(SALU_CYCLE_1)
	s_mul_i32 s6, s6, s41
	s_add_co_i32 s0, s0, s6
	s_lshl_b64 s[6:7], s[10:11], 3
	s_lshl_b64 s[0:1], s[0:1], 3
	s_wait_kmcnt 0x0
	s_add_nc_u64 s[6:7], s[44:45], s[6:7]
	s_add_nc_u64 s[8:9], s[38:39], s[0:1]
	s_mov_b32 s0, -1
	s_mov_b32 s1, 0
	s_and_saveexec_b32 s10, vcc_lo
	s_cbranch_execnz .LBB46_420
; %bb.410:
	s_or_b32 exec_lo, exec_lo, s10
	s_and_saveexec_b32 s3, s0
	s_cbranch_execnz .LBB46_435
.LBB46_411:
	s_or_b32 exec_lo, exec_lo, s3
	s_and_saveexec_b32 s0, s1
	s_delay_alu instid0(SALU_CYCLE_1)
	s_xor_b32 s0, exec_lo, s0
	s_cbranch_execnz .LBB46_458
.LBB46_412:
	s_or_b32 exec_lo, exec_lo, s0
	s_delay_alu instid0(SALU_CYCLE_1)
	s_and_b32 s8, s11, exec_lo
.LBB46_413:
	s_wait_xcnt 0x0
	s_and_not1_saveexec_b32 s0, s15
	s_cbranch_execnz .LBB46_460
.LBB46_414:
	s_or_b32 exec_lo, exec_lo, s0
	s_delay_alu instid0(SALU_CYCLE_1)
	s_and_b32 s8, s8, exec_lo
.LBB46_415:
	s_wait_xcnt 0x0
	s_and_not1_saveexec_b32 s0, s14
	s_cbranch_execnz .LBB46_459
.LBB46_416:
	s_or_b32 exec_lo, exec_lo, s0
	s_delay_alu instid0(SALU_CYCLE_1)
	s_and_b32 s8, s8, exec_lo
.LBB46_417:
	s_wait_xcnt 0x0
	s_and_not1_saveexec_b32 s0, s13
	s_cbranch_execnz .LBB46_454
.LBB46_418:
	s_or_b32 exec_lo, exec_lo, s0
	s_delay_alu instid0(SALU_CYCLE_1)
	s_and_b32 s8, s8, exec_lo
	s_and_not1_saveexec_b32 s0, s12
	s_cbranch_execz .LBB46_397
.LBB46_419:
	s_or_b32 s8, s8, exec_lo
	s_trap 2
	s_or_b32 exec_lo, exec_lo, s0
	s_and_saveexec_b32 s0, s8
	s_cbranch_execnz .LBB46_398
	s_branch .LBB46_399
.LBB46_420:
	v_dual_mov_b32 v4, v6 :: v_dual_add_nc_u32 v1, s33, v0
	v_xor_b32_e32 v5, 0x80000000, v7
	v_dual_mov_b32 v9, 0 :: v_dual_mov_b32 v8, v0
	s_delay_alu instid0(VALU_DEP_3)
	v_mul_lo_u32 v1, s62, v1
	s_mov_b32 s18, 0
                                        ; implicit-def: $sgpr19
                                        ; implicit-def: $vgpr13
	s_branch .LBB46_422
.LBB46_421:                             ;   in Loop: Header=BB46_422 Depth=1
	s_or_b32 exec_lo, exec_lo, s21
	s_xor_b32 s0, s20, -1
	s_and_b32 s1, exec_lo, s1
	v_mov_b64_e32 v[2:3], v[10:11]
	s_or_b32 s18, s1, s18
	v_mov_b32_e32 v8, v12
	s_and_not1_b32 s1, s19, exec_lo
	s_and_b32 s0, s0, exec_lo
	s_delay_alu instid0(SALU_CYCLE_1)
	s_or_b32 s19, s1, s0
	s_and_not1_b32 exec_lo, exec_lo, s18
	s_cbranch_execz .LBB46_434
.LBB46_422:                             ; =>This Inner Loop Header: Depth=1
	v_mov_b64_e32 v[10:11], 0
	v_add_nc_u32_e32 v12, s33, v8
	s_mov_b32 s1, exec_lo
	s_delay_alu instid0(VALU_DEP_1)
	v_cmpx_gt_u32_e64 s36, v12
	s_cbranch_execz .LBB46_424
; %bb.423:                              ;   in Loop: Header=BB46_422 Depth=1
	global_load_b64 v[10:11], v1, s[30:31] scale_offset
.LBB46_424:                             ;   in Loop: Header=BB46_422 Depth=1
	s_wait_xcnt 0x0
	s_or_b32 exec_lo, exec_lo, s1
	s_wait_loadcnt 0x0
	v_xor_b32_e32 v15, 0x80000000, v3
	v_mov_b32_e32 v14, v2
	s_delay_alu instid0(VALU_DEP_1) | instskip(NEXT) | instid1(VALU_DEP_1)
	v_cmp_gt_u64_e64 s0, v[14:15], v[4:5]
	v_cndmask_b32_e64 v17, 0, 1, s0
	v_cmp_lt_u64_e64 s0, v[14:15], v[4:5]
	s_delay_alu instid0(VALU_DEP_1) | instskip(SKIP_1) | instid1(VALU_DEP_2)
	v_cndmask_b32_e64 v14, 0, 1, s0
	v_cmp_gt_u32_e64 s0, s36, v8
	v_cndmask_b32_e64 v14, v14, v17, s3
	s_delay_alu instid0(VALU_DEP_1) | instskip(NEXT) | instid1(VALU_DEP_1)
	v_and_b32_e32 v14, 1, v14
	v_cmp_eq_u32_e64 s1, 1, v14
	s_and_b32 s20, s0, s1
	s_delay_alu instid0(SALU_CYCLE_1) | instskip(NEXT) | instid1(VALU_DEP_1)
	v_cndmask_b32_e64 v14, 0, 1, s20
	v_cmp_ne_u32_e64 s0, 0, v14
	s_cmp_lg_u32 s0, 0
	s_cselect_b32 s1, -1, 0
	s_delay_alu instid0(SALU_CYCLE_1) | instskip(NEXT) | instid1(SALU_CYCLE_1)
	s_and_b32 s1, s2, s1
	s_and_saveexec_b32 s21, s1
	s_cbranch_execz .LBB46_428
; %bb.425:                              ;   in Loop: Header=BB46_422 Depth=1
	s_mov_b32 s24, exec_lo
	s_bcnt1_i32_b32 s22, s0
	s_wait_dscnt 0x0
	v_mbcnt_lo_u32_b32 v13, s24, 0
	s_mov_b32 s23, exec_lo
                                        ; implicit-def: $vgpr14
	s_delay_alu instid0(VALU_DEP_1)
	v_cmpx_eq_u32_e32 0, v13
; %bb.426:                              ;   in Loop: Header=BB46_422 Depth=1
	s_bcnt1_i32_b32 s1, s24
	s_delay_alu instid0(SALU_CYCLE_1) | instskip(NEXT) | instid1(SALU_CYCLE_1)
	s_mul_i32 s1, s22, s1
	v_mov_b32_e32 v14, s1
	ds_add_rtn_u32 v14, v9, v14 offset:4108
; %bb.427:                              ;   in Loop: Header=BB46_422 Depth=1
	s_or_b32 exec_lo, exec_lo, s23
	s_wait_dscnt 0x0
	v_readfirstlane_b32 s1, v14
	s_delay_alu instid0(VALU_DEP_1)
	v_mad_u32_u24 v13, s22, v13, s1
.LBB46_428:                             ;   in Loop: Header=BB46_422 Depth=1
	s_or_b32 exec_lo, exec_lo, s21
	s_wait_dscnt 0x0
	ds_bpermute_b32 v13, v9, v13
	s_mov_b32 s1, -1
	s_mov_b32 s22, -1
	s_and_saveexec_b32 s21, s20
	s_cbranch_execz .LBB46_432
; %bb.429:                              ;   in Loop: Header=BB46_422 Depth=1
	v_and_b32_e32 v14, s0, v16
	s_mov_b32 s20, 0
	s_mov_b32 s22, exec_lo
	s_wait_dscnt 0x0
	s_delay_alu instid0(VALU_DEP_1) | instskip(NEXT) | instid1(VALU_DEP_1)
	v_bcnt_u32_b32 v14, v14, v13
	v_cmpx_gt_u32_e64 s37, v14
; %bb.430:                              ;   in Loop: Header=BB46_422 Depth=1
	v_mul_lo_u32 v15, v14, s16
	v_mul_lo_u32 v14, v14, s17
	s_mov_b32 s20, exec_lo
	global_store_b64 v15, v[2:3], s[6:7] scale_offset
	global_store_b64 v14, v[8:9], s[8:9] scale_offset
; %bb.431:                              ;   in Loop: Header=BB46_422 Depth=1
	s_wait_xcnt 0x0
	s_or_b32 exec_lo, exec_lo, s22
	s_delay_alu instid0(SALU_CYCLE_1)
	s_or_not1_b32 s22, s20, exec_lo
.LBB46_432:                             ;   in Loop: Header=BB46_422 Depth=1
	s_or_b32 exec_lo, exec_lo, s21
	s_mov_b32 s20, -1
	s_and_saveexec_b32 s21, s22
	s_cbranch_execz .LBB46_421
; %bb.433:                              ;   in Loop: Header=BB46_422 Depth=1
	v_cmp_le_u32_e64 s0, s5, v12
	v_add_nc_u32_e32 v1, s35, v1
	s_xor_b32 s20, exec_lo, -1
	s_or_not1_b32 s1, s0, exec_lo
	s_branch .LBB46_421
.LBB46_434:
	s_or_b32 exec_lo, exec_lo, s18
	s_delay_alu instid0(SALU_CYCLE_1)
	s_mov_b32 s1, exec_lo
	s_or_not1_b32 s0, s19, exec_lo
	s_or_b32 exec_lo, exec_lo, s10
	s_and_saveexec_b32 s3, s0
	s_cbranch_execz .LBB46_411
.LBB46_435:
	v_mov_b64_e32 v[4:5], 0
	s_wait_storecnt 0x0
	s_wait_loadcnt_dscnt 0x0
	s_barrier_signal -1
	s_barrier_wait -1
	s_and_saveexec_b32 s0, s4
	s_cbranch_execz .LBB46_437
; %bb.436:
	global_load_b64 v[4:5], v[18:19], off
.LBB46_437:
	s_wait_xcnt 0x0
	s_or_b32 exec_lo, exec_lo, s0
	s_mov_b32 s0, 0
	s_and_saveexec_b32 s4, vcc_lo
	s_cbranch_execz .LBB46_457
; %bb.438:
	v_add_nc_u32_e32 v1, s33, v0
	s_mov_b32 s10, 0
                                        ; implicit-def: $sgpr11
                                        ; implicit-def: $vgpr10
	s_delay_alu instid0(VALU_DEP_1)
	v_mul_lo_u32 v8, s62, v1
	v_mov_b32_e32 v1, 0
	s_branch .LBB46_441
.LBB46_439:                             ;   in Loop: Header=BB46_441 Depth=1
	s_or_b32 exec_lo, exec_lo, s20
	s_delay_alu instid0(SALU_CYCLE_1)
	s_or_not1_b32 s20, s18, exec_lo
	s_or_not1_b32 s19, s19, exec_lo
.LBB46_440:                             ;   in Loop: Header=BB46_441 Depth=1
	s_or_b32 exec_lo, exec_lo, s0
	s_xor_b32 s0, s20, -1
	s_and_b32 s18, exec_lo, s19
	v_mov_b64_e32 v[4:5], v[2:3]
	v_mov_b32_e32 v0, v9
	s_or_b32 s10, s18, s10
	s_and_not1_b32 s11, s11, exec_lo
	s_and_b32 s0, s0, exec_lo
	s_delay_alu instid0(SALU_CYCLE_1)
	s_or_b32 s11, s11, s0
	s_and_not1_b32 exec_lo, exec_lo, s10
	s_cbranch_execz .LBB46_455
.LBB46_441:                             ; =>This Inner Loop Header: Depth=1
	v_mov_b64_e32 v[2:3], 0
	v_add_nc_u32_e32 v9, s33, v0
	s_mov_b32 s0, exec_lo
	s_delay_alu instid0(VALU_DEP_1)
	v_cmpx_gt_u32_e64 s36, v9
	s_cbranch_execz .LBB46_443
; %bb.442:                              ;   in Loop: Header=BB46_441 Depth=1
	global_load_b64 v[2:3], v8, s[30:31] scale_offset
.LBB46_443:                             ;   in Loop: Header=BB46_441 Depth=1
	s_wait_xcnt 0x0
	s_or_b32 exec_lo, exec_lo, s0
	s_wait_loadcnt 0x0
	v_cmp_eq_u64_e32 vcc_lo, v[4:5], v[6:7]
	v_cmp_gt_u32_e64 s0, s36, v0
	s_and_b32 s18, s0, vcc_lo
	s_delay_alu instid0(SALU_CYCLE_1) | instskip(NEXT) | instid1(VALU_DEP_1)
	v_cndmask_b32_e64 v4, 0, 1, s18
	v_cmp_ne_u32_e32 vcc_lo, 0, v4
	s_cmp_lg_u32 vcc_lo, 0
	s_cselect_b32 s0, -1, 0
	s_delay_alu instid0(SALU_CYCLE_1) | instskip(NEXT) | instid1(SALU_CYCLE_1)
	s_and_b32 s0, s2, s0
	s_and_saveexec_b32 s19, s0
	s_cbranch_execz .LBB46_447
; %bb.444:                              ;   in Loop: Header=BB46_441 Depth=1
	s_mov_b32 s22, exec_lo
	s_bcnt1_i32_b32 s20, vcc_lo
	v_mbcnt_lo_u32_b32 v4, s22, 0
	s_mov_b32 s21, exec_lo
                                        ; implicit-def: $vgpr5
	s_delay_alu instid0(VALU_DEP_1)
	v_cmpx_eq_u32_e32 0, v4
; %bb.445:                              ;   in Loop: Header=BB46_441 Depth=1
	s_bcnt1_i32_b32 s0, s22
	s_delay_alu instid0(SALU_CYCLE_1) | instskip(NEXT) | instid1(SALU_CYCLE_1)
	s_mul_i32 s0, s20, s0
	v_mov_b32_e32 v5, s0
	ds_add_rtn_u32 v5, v1, v5 offset:4108
; %bb.446:                              ;   in Loop: Header=BB46_441 Depth=1
	s_or_b32 exec_lo, exec_lo, s21
	s_wait_dscnt 0x0
	v_readfirstlane_b32 s0, v5
	s_delay_alu instid0(VALU_DEP_1)
	v_mad_u32_u24 v10, s20, v4, s0
.LBB46_447:                             ;   in Loop: Header=BB46_441 Depth=1
	s_or_b32 exec_lo, exec_lo, s19
	ds_bpermute_b32 v10, v1, v10
	s_cmp_eq_u32 vcc_lo, 0
	s_mov_b32 s19, -1
	s_cselect_b32 s20, -1, 0
	s_wait_dscnt 0x0
	v_cmp_gt_u32_e64 s0, s37, v10
	s_or_b32 s21, s20, s0
	s_mov_b32 s20, -1
	s_and_saveexec_b32 s0, s21
	s_cbranch_execz .LBB46_440
; %bb.448:                              ;   in Loop: Header=BB46_441 Depth=1
	v_dual_sub_nc_u32 v5, s37, v10 :: v_dual_bitop2_b32 v4, vcc_lo, v16 bitop3:0x40
	s_mov_b32 s21, -1
	s_delay_alu instid0(VALU_DEP_1) | instskip(NEXT) | instid1(VALU_DEP_1)
	v_bcnt_u32_b32 v4, v4, 0
	v_bcnt_u32_b32 v4, 0, v4
	s_delay_alu instid0(VALU_DEP_1)
	v_cmp_gt_u32_e32 vcc_lo, v5, v4
	s_and_b32 s22, s18, vcc_lo
	s_mov_b32 s18, -1
	s_and_saveexec_b32 s20, s22
	s_cbranch_execz .LBB46_452
; %bb.449:                              ;   in Loop: Header=BB46_441 Depth=1
	v_add_nc_u32_e32 v4, v10, v4
	s_mov_b32 s21, 0
	s_mov_b32 s18, exec_lo
	s_delay_alu instid0(VALU_DEP_1)
	v_cmpx_gt_u32_e64 s37, v4
; %bb.450:                              ;   in Loop: Header=BB46_441 Depth=1
	v_mul_lo_u32 v5, v4, s16
	v_mul_lo_u32 v4, v4, s17
	s_mov_b32 s21, exec_lo
	global_store_b64 v5, v[6:7], s[6:7] scale_offset
	global_store_b64 v4, v[0:1], s[8:9] scale_offset
; %bb.451:                              ;   in Loop: Header=BB46_441 Depth=1
	s_wait_xcnt 0x0
	s_or_b32 exec_lo, exec_lo, s18
	s_delay_alu instid0(SALU_CYCLE_1)
	s_xor_b32 s18, exec_lo, -1
	s_or_not1_b32 s21, s21, exec_lo
.LBB46_452:                             ;   in Loop: Header=BB46_441 Depth=1
	s_or_b32 exec_lo, exec_lo, s20
	s_and_saveexec_b32 s20, s21
	s_cbranch_execz .LBB46_439
; %bb.453:                              ;   in Loop: Header=BB46_441 Depth=1
	v_cmp_le_u32_e32 vcc_lo, s5, v9
	v_add_nc_u32_e32 v8, s35, v8
	s_or_b32 s18, s18, exec_lo
	s_or_not1_b32 s19, vcc_lo, exec_lo
	s_branch .LBB46_439
.LBB46_454:
	s_or_b32 s8, s8, exec_lo
	s_trap 2
	s_branch .LBB46_418
.LBB46_455:
	s_or_b32 exec_lo, exec_lo, s10
	s_mov_b32 s0, 0
	s_and_saveexec_b32 s2, s11
	s_delay_alu instid0(SALU_CYCLE_1)
	s_xor_b32 s2, exec_lo, s2
	s_cbranch_execnz .LBB46_461
.LBB46_456:
	s_or_b32 exec_lo, exec_lo, s2
	s_delay_alu instid0(SALU_CYCLE_1)
	s_and_b32 s0, s0, exec_lo
.LBB46_457:
	s_or_b32 exec_lo, exec_lo, s4
	s_delay_alu instid0(SALU_CYCLE_1) | instskip(SKIP_3) | instid1(SALU_CYCLE_1)
	s_and_b32 s11, s0, exec_lo
	s_and_not1_b32 s1, s1, exec_lo
	s_or_b32 exec_lo, exec_lo, s3
	s_and_saveexec_b32 s0, s1
	s_xor_b32 s0, exec_lo, s0
	s_cbranch_execz .LBB46_412
.LBB46_458:
	s_or_b32 s11, s11, exec_lo
	s_trap 2
	s_branch .LBB46_412
.LBB46_459:
	s_or_b32 s8, s8, exec_lo
	s_trap 2
	s_branch .LBB46_416
.LBB46_460:
	s_or_b32 s8, s8, exec_lo
	s_trap 2
	s_branch .LBB46_414
.LBB46_461:
	s_mov_b32 s0, exec_lo
	s_trap 2
	s_branch .LBB46_456
	.section	.rodata,"a",@progbits
	.p2align	6, 0x0
	.amdhsa_kernel _ZN2at6native6sbtopk10gatherTopKIljLi2ELb0EEEvNS_4cuda6detail10TensorInfoIKT_T0_EES8_S8_bS8_S8_NS5_IS6_S8_EES8_NS5_IlS8_EES8_PS6_
		.amdhsa_group_segment_fixed_size 4112
		.amdhsa_private_segment_fixed_size 0
		.amdhsa_kernarg_size 952
		.amdhsa_user_sgpr_count 2
		.amdhsa_user_sgpr_dispatch_ptr 0
		.amdhsa_user_sgpr_queue_ptr 0
		.amdhsa_user_sgpr_kernarg_segment_ptr 1
		.amdhsa_user_sgpr_dispatch_id 0
		.amdhsa_user_sgpr_kernarg_preload_length 0
		.amdhsa_user_sgpr_kernarg_preload_offset 0
		.amdhsa_user_sgpr_private_segment_size 0
		.amdhsa_wavefront_size32 1
		.amdhsa_uses_dynamic_stack 0
		.amdhsa_enable_private_segment 0
		.amdhsa_system_sgpr_workgroup_id_x 1
		.amdhsa_system_sgpr_workgroup_id_y 1
		.amdhsa_system_sgpr_workgroup_id_z 1
		.amdhsa_system_sgpr_workgroup_info 0
		.amdhsa_system_vgpr_workitem_id 0
		.amdhsa_next_free_vgpr 58
		.amdhsa_next_free_sgpr 105
		.amdhsa_named_barrier_count 0
		.amdhsa_reserve_vcc 1
		.amdhsa_float_round_mode_32 0
		.amdhsa_float_round_mode_16_64 0
		.amdhsa_float_denorm_mode_32 3
		.amdhsa_float_denorm_mode_16_64 3
		.amdhsa_fp16_overflow 0
		.amdhsa_memory_ordered 1
		.amdhsa_forward_progress 1
		.amdhsa_inst_pref_size 116
		.amdhsa_round_robin_scheduling 0
		.amdhsa_exception_fp_ieee_invalid_op 0
		.amdhsa_exception_fp_denorm_src 0
		.amdhsa_exception_fp_ieee_div_zero 0
		.amdhsa_exception_fp_ieee_overflow 0
		.amdhsa_exception_fp_ieee_underflow 0
		.amdhsa_exception_fp_ieee_inexact 0
		.amdhsa_exception_int_div_zero 0
	.end_amdhsa_kernel
	.section	.text._ZN2at6native6sbtopk10gatherTopKIljLi2ELb0EEEvNS_4cuda6detail10TensorInfoIKT_T0_EES8_S8_bS8_S8_NS5_IS6_S8_EES8_NS5_IlS8_EES8_PS6_,"axG",@progbits,_ZN2at6native6sbtopk10gatherTopKIljLi2ELb0EEEvNS_4cuda6detail10TensorInfoIKT_T0_EES8_S8_bS8_S8_NS5_IS6_S8_EES8_NS5_IlS8_EES8_PS6_,comdat
.Lfunc_end46:
	.size	_ZN2at6native6sbtopk10gatherTopKIljLi2ELb0EEEvNS_4cuda6detail10TensorInfoIKT_T0_EES8_S8_bS8_S8_NS5_IS6_S8_EES8_NS5_IlS8_EES8_PS6_, .Lfunc_end46-_ZN2at6native6sbtopk10gatherTopKIljLi2ELb0EEEvNS_4cuda6detail10TensorInfoIKT_T0_EES8_S8_bS8_S8_NS5_IS6_S8_EES8_NS5_IlS8_EES8_PS6_
                                        ; -- End function
	.set _ZN2at6native6sbtopk10gatherTopKIljLi2ELb0EEEvNS_4cuda6detail10TensorInfoIKT_T0_EES8_S8_bS8_S8_NS5_IS6_S8_EES8_NS5_IlS8_EES8_PS6_.num_vgpr, 58
	.set _ZN2at6native6sbtopk10gatherTopKIljLi2ELb0EEEvNS_4cuda6detail10TensorInfoIKT_T0_EES8_S8_bS8_S8_NS5_IS6_S8_EES8_NS5_IlS8_EES8_PS6_.num_agpr, 0
	.set _ZN2at6native6sbtopk10gatherTopKIljLi2ELb0EEEvNS_4cuda6detail10TensorInfoIKT_T0_EES8_S8_bS8_S8_NS5_IS6_S8_EES8_NS5_IlS8_EES8_PS6_.numbered_sgpr, 105
	.set _ZN2at6native6sbtopk10gatherTopKIljLi2ELb0EEEvNS_4cuda6detail10TensorInfoIKT_T0_EES8_S8_bS8_S8_NS5_IS6_S8_EES8_NS5_IlS8_EES8_PS6_.num_named_barrier, 0
	.set _ZN2at6native6sbtopk10gatherTopKIljLi2ELb0EEEvNS_4cuda6detail10TensorInfoIKT_T0_EES8_S8_bS8_S8_NS5_IS6_S8_EES8_NS5_IlS8_EES8_PS6_.private_seg_size, 0
	.set _ZN2at6native6sbtopk10gatherTopKIljLi2ELb0EEEvNS_4cuda6detail10TensorInfoIKT_T0_EES8_S8_bS8_S8_NS5_IS6_S8_EES8_NS5_IlS8_EES8_PS6_.uses_vcc, 1
	.set _ZN2at6native6sbtopk10gatherTopKIljLi2ELb0EEEvNS_4cuda6detail10TensorInfoIKT_T0_EES8_S8_bS8_S8_NS5_IS6_S8_EES8_NS5_IlS8_EES8_PS6_.uses_flat_scratch, 0
	.set _ZN2at6native6sbtopk10gatherTopKIljLi2ELb0EEEvNS_4cuda6detail10TensorInfoIKT_T0_EES8_S8_bS8_S8_NS5_IS6_S8_EES8_NS5_IlS8_EES8_PS6_.has_dyn_sized_stack, 0
	.set _ZN2at6native6sbtopk10gatherTopKIljLi2ELb0EEEvNS_4cuda6detail10TensorInfoIKT_T0_EES8_S8_bS8_S8_NS5_IS6_S8_EES8_NS5_IlS8_EES8_PS6_.has_recursion, 0
	.set _ZN2at6native6sbtopk10gatherTopKIljLi2ELb0EEEvNS_4cuda6detail10TensorInfoIKT_T0_EES8_S8_bS8_S8_NS5_IS6_S8_EES8_NS5_IlS8_EES8_PS6_.has_indirect_call, 0
	.section	.AMDGPU.csdata,"",@progbits
; Kernel info:
; codeLenInByte = 14832
; TotalNumSgprs: 107
; NumVgprs: 58
; ScratchSize: 0
; MemoryBound: 0
; FloatMode: 240
; IeeeMode: 1
; LDSByteSize: 4112 bytes/workgroup (compile time only)
; SGPRBlocks: 0
; VGPRBlocks: 3
; NumSGPRsForWavesPerEU: 107
; NumVGPRsForWavesPerEU: 58
; NamedBarCnt: 0
; Occupancy: 16
; WaveLimiterHint : 1
; COMPUTE_PGM_RSRC2:SCRATCH_EN: 0
; COMPUTE_PGM_RSRC2:USER_SGPR: 2
; COMPUTE_PGM_RSRC2:TRAP_HANDLER: 0
; COMPUTE_PGM_RSRC2:TGID_X_EN: 1
; COMPUTE_PGM_RSRC2:TGID_Y_EN: 1
; COMPUTE_PGM_RSRC2:TGID_Z_EN: 1
; COMPUTE_PGM_RSRC2:TIDIG_COMP_CNT: 0
	.section	.text._ZN2at6native6mbtopk23computeBlockDigitCountsIljmLi3EEEvNS_4cuda6detail10TensorInfoIKT_T0_EEjPjjS8_iijT1_PSB_Ps,"axG",@progbits,_ZN2at6native6mbtopk23computeBlockDigitCountsIljmLi3EEEvNS_4cuda6detail10TensorInfoIKT_T0_EEjPjjS8_iijT1_PSB_Ps,comdat
	.protected	_ZN2at6native6mbtopk23computeBlockDigitCountsIljmLi3EEEvNS_4cuda6detail10TensorInfoIKT_T0_EEjPjjS8_iijT1_PSB_Ps ; -- Begin function _ZN2at6native6mbtopk23computeBlockDigitCountsIljmLi3EEEvNS_4cuda6detail10TensorInfoIKT_T0_EEjPjjS8_iijT1_PSB_Ps
	.globl	_ZN2at6native6mbtopk23computeBlockDigitCountsIljmLi3EEEvNS_4cuda6detail10TensorInfoIKT_T0_EEjPjjS8_iijT1_PSB_Ps
	.p2align	8
	.type	_ZN2at6native6mbtopk23computeBlockDigitCountsIljmLi3EEEvNS_4cuda6detail10TensorInfoIKT_T0_EEjPjjS8_iijT1_PSB_Ps,@function
_ZN2at6native6mbtopk23computeBlockDigitCountsIljmLi3EEEvNS_4cuda6detail10TensorInfoIKT_T0_EEjPjjS8_iijT1_PSB_Ps: ; @_ZN2at6native6mbtopk23computeBlockDigitCountsIljmLi3EEEvNS_4cuda6detail10TensorInfoIKT_T0_EEjPjjS8_iijT1_PSB_Ps
; %bb.0:
	s_load_b32 s20, s[0:1], 0xf8
	s_bfe_u32 s2, ttmp6, 0x40010
	s_and_b32 s4, ttmp7, 0xffff
	s_add_co_i32 s5, s2, 1
	s_bfe_u32 s6, ttmp6, 0x40004
	s_mul_i32 s5, s4, s5
	s_load_b64 s[2:3], s[0:1], 0x118
	s_add_co_i32 s6, s6, s5
	s_bfe_u32 s7, ttmp6, 0x4000c
	s_bfe_u32 s9, ttmp6, 0x40014
	s_add_co_i32 s7, s7, 1
	s_and_b32 s8, ttmp6, 15
	s_mul_i32 s7, ttmp9, s7
	s_add_co_i32 s9, s9, 1
	s_add_co_i32 s7, s8, s7
	s_getreg_b32 s10, hwreg(HW_REG_IB_STS2, 6, 4)
	s_mov_b32 s15, 0
	s_wait_kmcnt 0x0
	s_cvt_f32_u32 s5, s20
	s_delay_alu instid0(SALU_CYCLE_3) | instskip(SKIP_1) | instid1(SALU_CYCLE_1)
	v_rcp_iflag_f32_e32 v1, s5
	s_lshr_b32 s5, ttmp7, 16
	s_mul_i32 s8, s5, s9
	s_bfe_u32 s9, ttmp6, 0x40008
	s_delay_alu instid0(SALU_CYCLE_1) | instskip(SKIP_1) | instid1(TRANS32_DEP_1)
	s_add_co_i32 s9, s9, s8
	v_nop
	v_readfirstlane_b32 s11, v1
	s_cmp_eq_u32 s10, 0
	s_cselect_b32 s5, s5, s9
	s_cselect_b32 s4, s4, s6
	s_mul_f32 s12, s11, 0x4f7ffffe
	s_load_b128 s[8:11], s[0:1], 0xe8
	s_mul_i32 s3, s3, s5
	s_cselect_b32 s5, ttmp9, s7
	s_cvt_u32_f32 s7, s12
	s_sub_co_i32 s6, 0, s20
	s_add_co_i32 s3, s3, s4
	s_delay_alu instid0(SALU_CYCLE_1) | instskip(SKIP_3) | instid1(SALU_CYCLE_1)
	s_mul_i32 s18, s3, s2
	s_mul_i32 s6, s6, s7
	s_add_co_i32 s18, s18, s5
	s_mul_hi_u32 s2, s7, s6
	s_add_co_i32 s7, s7, s2
	s_delay_alu instid0(SALU_CYCLE_1) | instskip(NEXT) | instid1(SALU_CYCLE_1)
	s_mul_hi_u32 s2, s18, s7
	s_mul_i32 s3, s2, s20
	s_add_co_i32 s4, s2, 1
	s_sub_co_i32 s3, s18, s3
	s_delay_alu instid0(SALU_CYCLE_1)
	s_sub_co_i32 s5, s3, s20
	s_cmp_ge_u32 s3, s20
	s_cselect_b32 s2, s4, s2
	s_cselect_b32 s3, s5, s3
	s_add_co_i32 s4, s2, 1
	s_cmp_ge_u32 s3, s20
	s_cselect_b32 s21, s4, s2
	s_wait_kmcnt 0x0
	s_cmp_ge_u32 s21, s8
	s_cbranch_scc1 .LBB47_27
; %bb.1:
	s_clause 0x1
	s_load_b64 s[16:17], s[0:1], 0xc
	s_load_b128 s[4:7], s[0:1], 0x100
	v_cmp_gt_u32_e32 vcc_lo, 0x100, v0
	s_wait_kmcnt 0x0
	s_cvt_f32_u32 s2, s17
	s_cvt_f32_u32 s13, s16
	s_delay_alu instid0(SALU_CYCLE_2) | instskip(SKIP_1) | instid1(TRANS32_DEP_1)
	v_rcp_iflag_f32_e32 v1, s2
	v_nop
	v_readfirstlane_b32 s2, v1
	v_rcp_iflag_f32_e32 v1, s13
	s_mul_f32 s2, s2, 0x4f7ffffe
	v_nop
	s_delay_alu instid0(TRANS32_DEP_1) | instskip(NEXT) | instid1(SALU_CYCLE_1)
	v_readfirstlane_b32 s22, v1
	s_cvt_u32_f32 s8, s2
	s_sub_co_i32 s2, 0, s17
	v_lshlrev_b32_e32 v1, 2, v0
	s_delay_alu instid0(SALU_CYCLE_1) | instskip(SKIP_2) | instid1(SALU_CYCLE_1)
	s_mul_i32 s12, s2, s8
	s_load_b64 s[2:3], s[0:1], 0x110
	s_mul_hi_u32 s12, s8, s12
	s_add_co_i32 s8, s8, s12
	s_delay_alu instid0(SALU_CYCLE_1) | instskip(NEXT) | instid1(SALU_CYCLE_1)
	s_mul_hi_u32 s8, s21, s8
	s_mul_i32 s12, s8, s17
	s_add_co_i32 s13, s8, 1
	s_sub_co_i32 s12, s21, s12
	s_delay_alu instid0(SALU_CYCLE_1)
	s_sub_co_i32 s14, s12, s17
	s_cmp_ge_u32 s12, s17
	s_cselect_b32 s8, s13, s8
	s_cselect_b32 s12, s14, s12
	s_add_co_i32 s13, s8, 1
	s_cmp_ge_u32 s12, s17
	s_cselect_b32 s14, s13, s8
	s_and_saveexec_b32 s8, vcc_lo
; %bb.2:
	v_mov_b32_e32 v2, 0
	ds_store_b32 v1, v2
; %bb.3:
	s_or_b32 exec_lo, exec_lo, s8
	s_load_b32 s8, s[0:1], 0xd8
	s_mul_i32 s12, s21, s20
	s_mov_b32 s13, 0
	s_sub_co_i32 s23, s18, s12
	s_wait_dscnt 0x0
	s_mul_i32 s12, s11, s23
	s_add_co_i32 s23, s23, 1
	s_lshl_b32 s19, s12, 8
	s_barrier_signal -1
	s_barrier_wait -1
	s_wait_kmcnt 0x0
	s_sub_co_i32 s12, s8, s19
	s_delay_alu instid0(SALU_CYCLE_1) | instskip(NEXT) | instid1(SALU_CYCLE_1)
	s_add_nc_u64 s[24:25], s[12:13], 0xff
	s_lshr_b64 s[24:25], s[24:25], 8
	s_cmp_lt_u32 s23, s20
	s_cselect_b32 s20, s11, s24
	s_delay_alu instid0(SALU_CYCLE_1)
	s_cmp_lt_i32 s20, 1
	s_cbranch_scc1 .LBB47_25
; %bb.4:
	s_mul_f32 s11, s22, 0x4f7ffffe
	s_sub_co_i32 s12, 0, s16
	s_mov_b32 s23, s15
	s_clause 0x1
	s_load_b96 s[24:26], s[0:1], 0x6c
	s_load_b64 s[28:29], s[0:1], 0x0
	s_cvt_u32_f32 s11, s11
	s_load_b64 s[6:7], s[6:7], s21 offset:0x0 scale_offset
	s_delay_alu instid0(SALU_CYCLE_2) | instskip(NEXT) | instid1(SALU_CYCLE_1)
	s_mul_i32 s12, s12, s11
	s_mul_hi_u32 s12, s11, s12
	s_delay_alu instid0(SALU_CYCLE_1)
	s_add_co_i32 s22, s11, s12
	s_mul_i32 s11, s14, s17
	s_mul_u64 s[22:23], s[14:15], s[22:23]
	s_sub_co_i32 s11, s21, s11
	s_mul_i32 s12, s23, s16
	s_add_co_i32 s15, s23, 1
	s_sub_co_i32 s12, s14, s12
	s_delay_alu instid0(SALU_CYCLE_1)
	s_sub_co_i32 s17, s12, s16
	s_cmp_ge_u32 s12, s16
	s_wait_kmcnt 0x0
	s_mul_i32 s11, s11, s26
	s_cselect_b32 s0, s15, s23
	s_cselect_b32 s1, s17, s12
	s_add_co_i32 s12, s0, 1
	s_cmp_ge_u32 s1, s16
	s_cselect_b32 s0, s12, s0
	s_delay_alu instid0(SALU_CYCLE_1) | instskip(SKIP_2) | instid1(SALU_CYCLE_1)
	s_mul_i32 s1, s0, s16
	s_mul_i32 s0, s0, s24
	s_sub_co_i32 s1, s14, s1
	s_mul_i32 s1, s1, s25
	s_delay_alu instid0(SALU_CYCLE_1) | instskip(NEXT) | instid1(SALU_CYCLE_1)
	s_add_co_i32 s1, s1, s11
	s_add_co_i32 s12, s1, s0
	s_and_b32 s1, s10, 0xff
	s_lshl_b64 s[14:15], s[12:13], 3
	s_cmp_lt_u32 s20, 4
	s_add_nc_u64 s[10:11], s[28:29], s[14:15]
	s_cbranch_scc1 .LBB47_19
; %bb.5:
	v_dual_mov_b32 v9, 1 :: v_dual_add_nc_u32 v2, s19, v0
	s_and_b32 s13, s20, 0x7ffffffc
	s_lshl_b32 s12, s9, 10
	s_mov_b32 s14, 0
	s_delay_alu instid0(VALU_DEP_1)
	v_add_nc_u32_e32 v4, 0x300, v2
	v_add_nc_u32_e32 v3, 0x200, v2
	;; [unrolled: 1-line block ×3, first 2 shown]
	v_mul_lo_u32 v8, s9, v2
	s_mov_b32 s15, 0
	v_mul_lo_u32 v5, s9, v4
	v_mul_lo_u32 v6, s9, v3
	;; [unrolled: 1-line block ×3, first 2 shown]
	s_branch .LBB47_7
.LBB47_6:                               ;   in Loop: Header=BB47_7 Depth=1
	s_or_b32 exec_lo, exec_lo, s16
	v_add_nc_u32_e32 v4, 0x400, v4
	s_add_co_i32 s15, s15, 4
	s_add_co_i32 s14, s14, s12
	s_cmp_eq_u32 s13, s15
	s_cbranch_scc1 .LBB47_19
.LBB47_7:                               ; =>This Inner Loop Header: Depth=1
	v_add_nc_u32_e32 v2, 0xfffffd00, v4
	s_mov_b32 s16, exec_lo
	s_delay_alu instid0(VALU_DEP_1)
	v_cmpx_gt_u32_e64 s8, v2
	s_cbranch_execz .LBB47_10
; %bb.8:                                ;   in Loop: Header=BB47_7 Depth=1
	v_add_nc_u32_e32 v2, s14, v8
	global_load_b64 v[2:3], v2, s[10:11] scale_offset
	s_wait_loadcnt 0x0
	v_xor_b32_e32 v3, 0x80000000, v3
	v_xor_b32_e32 v12, s6, v2
	s_delay_alu instid0(VALU_DEP_2) | instskip(NEXT) | instid1(VALU_DEP_1)
	v_xor_b32_e32 v10, s7, v3
	v_and_b32_e32 v11, s5, v10
	s_delay_alu instid0(VALU_DEP_3) | instskip(NEXT) | instid1(VALU_DEP_1)
	v_and_b32_e32 v10, s4, v12
	v_cmp_eq_u64_e64 s0, 0, v[10:11]
	s_wait_xcnt 0x0
	s_and_b32 exec_lo, exec_lo, s0
	s_cbranch_execz .LBB47_10
; %bb.9:                                ;   in Loop: Header=BB47_7 Depth=1
	v_lshrrev_b64 v[2:3], s1, v[2:3]
	s_delay_alu instid0(VALU_DEP_1) | instskip(NEXT) | instid1(VALU_DEP_1)
	v_and_b32_e32 v2, 0xff, v2
	v_lshlrev_b32_e32 v2, 2, v2
	ds_add_u32 v2, v9
.LBB47_10:                              ;   in Loop: Header=BB47_7 Depth=1
	s_or_b32 exec_lo, exec_lo, s16
	v_add_nc_u32_e32 v2, 0xfffffe00, v4
	s_mov_b32 s16, exec_lo
	s_delay_alu instid0(VALU_DEP_1)
	v_cmpx_gt_u32_e64 s8, v2
	s_cbranch_execz .LBB47_13
; %bb.11:                               ;   in Loop: Header=BB47_7 Depth=1
	v_add_nc_u32_e32 v2, s14, v7
	global_load_b64 v[2:3], v2, s[10:11] scale_offset
	s_wait_loadcnt 0x0
	v_xor_b32_e32 v3, 0x80000000, v3
	v_xor_b32_e32 v12, s6, v2
	s_delay_alu instid0(VALU_DEP_2) | instskip(NEXT) | instid1(VALU_DEP_1)
	v_xor_b32_e32 v10, s7, v3
	v_and_b32_e32 v11, s5, v10
	s_delay_alu instid0(VALU_DEP_3) | instskip(NEXT) | instid1(VALU_DEP_1)
	v_and_b32_e32 v10, s4, v12
	v_cmp_eq_u64_e64 s0, 0, v[10:11]
	s_and_b32 exec_lo, exec_lo, s0
	s_cbranch_execz .LBB47_13
; %bb.12:                               ;   in Loop: Header=BB47_7 Depth=1
	v_lshrrev_b64 v[2:3], s1, v[2:3]
	s_delay_alu instid0(VALU_DEP_1) | instskip(NEXT) | instid1(VALU_DEP_1)
	v_and_b32_e32 v2, 0xff, v2
	v_lshlrev_b32_e32 v2, 2, v2
	ds_add_u32 v2, v9
.LBB47_13:                              ;   in Loop: Header=BB47_7 Depth=1
	s_or_b32 exec_lo, exec_lo, s16
	v_add_nc_u32_e32 v2, 0xffffff00, v4
	s_mov_b32 s16, exec_lo
	s_delay_alu instid0(VALU_DEP_1)
	v_cmpx_gt_u32_e64 s8, v2
	s_cbranch_execz .LBB47_16
; %bb.14:                               ;   in Loop: Header=BB47_7 Depth=1
	v_add_nc_u32_e32 v2, s14, v6
	global_load_b64 v[2:3], v2, s[10:11] scale_offset
	s_wait_loadcnt 0x0
	v_xor_b32_e32 v3, 0x80000000, v3
	v_xor_b32_e32 v12, s6, v2
	s_delay_alu instid0(VALU_DEP_2) | instskip(NEXT) | instid1(VALU_DEP_1)
	v_xor_b32_e32 v10, s7, v3
	v_and_b32_e32 v11, s5, v10
	s_delay_alu instid0(VALU_DEP_3) | instskip(NEXT) | instid1(VALU_DEP_1)
	v_and_b32_e32 v10, s4, v12
	v_cmp_eq_u64_e64 s0, 0, v[10:11]
	s_and_b32 exec_lo, exec_lo, s0
	s_cbranch_execz .LBB47_16
; %bb.15:                               ;   in Loop: Header=BB47_7 Depth=1
	v_lshrrev_b64 v[2:3], s1, v[2:3]
	s_delay_alu instid0(VALU_DEP_1) | instskip(NEXT) | instid1(VALU_DEP_1)
	v_and_b32_e32 v2, 0xff, v2
	v_lshlrev_b32_e32 v2, 2, v2
	ds_add_u32 v2, v9
.LBB47_16:                              ;   in Loop: Header=BB47_7 Depth=1
	s_or_b32 exec_lo, exec_lo, s16
	s_delay_alu instid0(SALU_CYCLE_1)
	s_mov_b32 s16, exec_lo
	v_cmpx_gt_u32_e64 s8, v4
	s_cbranch_execz .LBB47_6
; %bb.17:                               ;   in Loop: Header=BB47_7 Depth=1
	v_add_nc_u32_e32 v2, s14, v5
	global_load_b64 v[2:3], v2, s[10:11] scale_offset
	s_wait_loadcnt 0x0
	v_xor_b32_e32 v3, 0x80000000, v3
	v_xor_b32_e32 v12, s6, v2
	s_delay_alu instid0(VALU_DEP_2) | instskip(NEXT) | instid1(VALU_DEP_1)
	v_xor_b32_e32 v10, s7, v3
	v_and_b32_e32 v11, s5, v10
	s_delay_alu instid0(VALU_DEP_3) | instskip(NEXT) | instid1(VALU_DEP_1)
	v_and_b32_e32 v10, s4, v12
	v_cmp_eq_u64_e64 s0, 0, v[10:11]
	s_and_b32 exec_lo, exec_lo, s0
	s_cbranch_execz .LBB47_6
; %bb.18:                               ;   in Loop: Header=BB47_7 Depth=1
	v_lshrrev_b64 v[2:3], s1, v[2:3]
	s_delay_alu instid0(VALU_DEP_1) | instskip(NEXT) | instid1(VALU_DEP_1)
	v_and_b32_e32 v2, 0xff, v2
	v_lshlrev_b32_e32 v2, 2, v2
	ds_add_u32 v2, v9
	s_branch .LBB47_6
.LBB47_19:
	s_and_b32 s12, s20, 3
	s_delay_alu instid0(SALU_CYCLE_1)
	s_cmp_eq_u32 s12, 0
	s_cbranch_scc1 .LBB47_25
; %bb.20:
	s_lshl_b32 s0, s13, 8
	v_mov_b32_e32 v6, 1
	v_add3_u32 v4, s0, s19, v0
	s_delay_alu instid0(VALU_DEP_1)
	v_mul_lo_u32 v5, s9, v4
	s_lshl_b32 s9, s9, 8
	s_branch .LBB47_22
.LBB47_21:                              ;   in Loop: Header=BB47_22 Depth=1
	s_or_b32 exec_lo, exec_lo, s13
	s_delay_alu instid0(VALU_DEP_2) | instskip(SKIP_2) | instid1(SALU_CYCLE_1)
	v_add_nc_u32_e32 v5, s9, v5
	v_add_nc_u32_e32 v4, 0x100, v4
	s_add_co_i32 s12, s12, -1
	s_cmp_lg_u32 s12, 0
	s_cbranch_scc0 .LBB47_25
.LBB47_22:                              ; =>This Inner Loop Header: Depth=1
	s_mov_b32 s13, exec_lo
	v_cmpx_gt_u32_e64 s8, v4
	s_cbranch_execz .LBB47_21
; %bb.23:                               ;   in Loop: Header=BB47_22 Depth=1
	global_load_b64 v[2:3], v5, s[10:11] scale_offset
	s_wait_loadcnt 0x0
	v_xor_b32_e32 v3, 0x80000000, v3
	v_xor_b32_e32 v8, s6, v2
	s_delay_alu instid0(VALU_DEP_2) | instskip(NEXT) | instid1(VALU_DEP_2)
	v_xor_b32_e32 v7, s7, v3
	v_and_b32_e32 v8, s4, v8
	s_delay_alu instid0(VALU_DEP_2) | instskip(NEXT) | instid1(VALU_DEP_1)
	v_and_b32_e32 v9, s5, v7
	v_cmp_eq_u64_e64 s0, 0, v[8:9]
	s_and_b32 exec_lo, exec_lo, s0
	s_cbranch_execz .LBB47_21
; %bb.24:                               ;   in Loop: Header=BB47_22 Depth=1
	v_lshrrev_b64 v[2:3], s1, v[2:3]
	s_delay_alu instid0(VALU_DEP_1) | instskip(NEXT) | instid1(VALU_DEP_1)
	v_and_b32_e32 v2, 0xff, v2
	v_lshlrev_b32_e32 v2, 2, v2
	ds_add_u32 v2, v6
	s_branch .LBB47_21
.LBB47_25:
	s_wait_dscnt 0x0
	s_barrier_signal -1
	s_barrier_wait -1
	s_and_saveexec_b32 s0, vcc_lo
	s_cbranch_execz .LBB47_27
; %bb.26:
	ds_load_b32 v1, v1
	v_lshl_or_b32 v0, s18, 8, v0
	s_wait_dscnt 0x0
	global_store_b16 v0, v1, s[2:3] scale_offset
.LBB47_27:
	s_endpgm
	.section	.rodata,"a",@progbits
	.p2align	6, 0x0
	.amdhsa_kernel _ZN2at6native6mbtopk23computeBlockDigitCountsIljmLi3EEEvNS_4cuda6detail10TensorInfoIKT_T0_EEjPjjS8_iijT1_PSB_Ps
		.amdhsa_group_segment_fixed_size 1024
		.amdhsa_private_segment_fixed_size 0
		.amdhsa_kernarg_size 536
		.amdhsa_user_sgpr_count 2
		.amdhsa_user_sgpr_dispatch_ptr 0
		.amdhsa_user_sgpr_queue_ptr 0
		.amdhsa_user_sgpr_kernarg_segment_ptr 1
		.amdhsa_user_sgpr_dispatch_id 0
		.amdhsa_user_sgpr_kernarg_preload_length 0
		.amdhsa_user_sgpr_kernarg_preload_offset 0
		.amdhsa_user_sgpr_private_segment_size 0
		.amdhsa_wavefront_size32 1
		.amdhsa_uses_dynamic_stack 0
		.amdhsa_enable_private_segment 0
		.amdhsa_system_sgpr_workgroup_id_x 1
		.amdhsa_system_sgpr_workgroup_id_y 1
		.amdhsa_system_sgpr_workgroup_id_z 1
		.amdhsa_system_sgpr_workgroup_info 0
		.amdhsa_system_vgpr_workitem_id 0
		.amdhsa_next_free_vgpr 13
		.amdhsa_next_free_sgpr 30
		.amdhsa_named_barrier_count 0
		.amdhsa_reserve_vcc 1
		.amdhsa_float_round_mode_32 0
		.amdhsa_float_round_mode_16_64 0
		.amdhsa_float_denorm_mode_32 3
		.amdhsa_float_denorm_mode_16_64 3
		.amdhsa_fp16_overflow 0
		.amdhsa_memory_ordered 1
		.amdhsa_forward_progress 1
		.amdhsa_inst_pref_size 13
		.amdhsa_round_robin_scheduling 0
		.amdhsa_exception_fp_ieee_invalid_op 0
		.amdhsa_exception_fp_denorm_src 0
		.amdhsa_exception_fp_ieee_div_zero 0
		.amdhsa_exception_fp_ieee_overflow 0
		.amdhsa_exception_fp_ieee_underflow 0
		.amdhsa_exception_fp_ieee_inexact 0
		.amdhsa_exception_int_div_zero 0
	.end_amdhsa_kernel
	.section	.text._ZN2at6native6mbtopk23computeBlockDigitCountsIljmLi3EEEvNS_4cuda6detail10TensorInfoIKT_T0_EEjPjjS8_iijT1_PSB_Ps,"axG",@progbits,_ZN2at6native6mbtopk23computeBlockDigitCountsIljmLi3EEEvNS_4cuda6detail10TensorInfoIKT_T0_EEjPjjS8_iijT1_PSB_Ps,comdat
.Lfunc_end47:
	.size	_ZN2at6native6mbtopk23computeBlockDigitCountsIljmLi3EEEvNS_4cuda6detail10TensorInfoIKT_T0_EEjPjjS8_iijT1_PSB_Ps, .Lfunc_end47-_ZN2at6native6mbtopk23computeBlockDigitCountsIljmLi3EEEvNS_4cuda6detail10TensorInfoIKT_T0_EEjPjjS8_iijT1_PSB_Ps
                                        ; -- End function
	.set _ZN2at6native6mbtopk23computeBlockDigitCountsIljmLi3EEEvNS_4cuda6detail10TensorInfoIKT_T0_EEjPjjS8_iijT1_PSB_Ps.num_vgpr, 13
	.set _ZN2at6native6mbtopk23computeBlockDigitCountsIljmLi3EEEvNS_4cuda6detail10TensorInfoIKT_T0_EEjPjjS8_iijT1_PSB_Ps.num_agpr, 0
	.set _ZN2at6native6mbtopk23computeBlockDigitCountsIljmLi3EEEvNS_4cuda6detail10TensorInfoIKT_T0_EEjPjjS8_iijT1_PSB_Ps.numbered_sgpr, 30
	.set _ZN2at6native6mbtopk23computeBlockDigitCountsIljmLi3EEEvNS_4cuda6detail10TensorInfoIKT_T0_EEjPjjS8_iijT1_PSB_Ps.num_named_barrier, 0
	.set _ZN2at6native6mbtopk23computeBlockDigitCountsIljmLi3EEEvNS_4cuda6detail10TensorInfoIKT_T0_EEjPjjS8_iijT1_PSB_Ps.private_seg_size, 0
	.set _ZN2at6native6mbtopk23computeBlockDigitCountsIljmLi3EEEvNS_4cuda6detail10TensorInfoIKT_T0_EEjPjjS8_iijT1_PSB_Ps.uses_vcc, 1
	.set _ZN2at6native6mbtopk23computeBlockDigitCountsIljmLi3EEEvNS_4cuda6detail10TensorInfoIKT_T0_EEjPjjS8_iijT1_PSB_Ps.uses_flat_scratch, 0
	.set _ZN2at6native6mbtopk23computeBlockDigitCountsIljmLi3EEEvNS_4cuda6detail10TensorInfoIKT_T0_EEjPjjS8_iijT1_PSB_Ps.has_dyn_sized_stack, 0
	.set _ZN2at6native6mbtopk23computeBlockDigitCountsIljmLi3EEEvNS_4cuda6detail10TensorInfoIKT_T0_EEjPjjS8_iijT1_PSB_Ps.has_recursion, 0
	.set _ZN2at6native6mbtopk23computeBlockDigitCountsIljmLi3EEEvNS_4cuda6detail10TensorInfoIKT_T0_EEjPjjS8_iijT1_PSB_Ps.has_indirect_call, 0
	.section	.AMDGPU.csdata,"",@progbits
; Kernel info:
; codeLenInByte = 1644
; TotalNumSgprs: 32
; NumVgprs: 13
; ScratchSize: 0
; MemoryBound: 0
; FloatMode: 240
; IeeeMode: 1
; LDSByteSize: 1024 bytes/workgroup (compile time only)
; SGPRBlocks: 0
; VGPRBlocks: 0
; NumSGPRsForWavesPerEU: 32
; NumVGPRsForWavesPerEU: 13
; NamedBarCnt: 0
; Occupancy: 16
; WaveLimiterHint : 1
; COMPUTE_PGM_RSRC2:SCRATCH_EN: 0
; COMPUTE_PGM_RSRC2:USER_SGPR: 2
; COMPUTE_PGM_RSRC2:TRAP_HANDLER: 0
; COMPUTE_PGM_RSRC2:TGID_X_EN: 1
; COMPUTE_PGM_RSRC2:TGID_Y_EN: 1
; COMPUTE_PGM_RSRC2:TGID_Z_EN: 1
; COMPUTE_PGM_RSRC2:TIDIG_COMP_CNT: 0
	.section	.text._ZN2at6native6mbtopk10gatherTopKIljLi3EEEvNS_4cuda6detail10TensorInfoIKT_T0_EES8_S8_bjS8_NS5_IS6_S8_EES8_NS5_IlS8_EES8_jjPS6_PjSD_j,"axG",@progbits,_ZN2at6native6mbtopk10gatherTopKIljLi3EEEvNS_4cuda6detail10TensorInfoIKT_T0_EES8_S8_bjS8_NS5_IS6_S8_EES8_NS5_IlS8_EES8_jjPS6_PjSD_j,comdat
	.protected	_ZN2at6native6mbtopk10gatherTopKIljLi3EEEvNS_4cuda6detail10TensorInfoIKT_T0_EES8_S8_bjS8_NS5_IS6_S8_EES8_NS5_IlS8_EES8_jjPS6_PjSD_j ; -- Begin function _ZN2at6native6mbtopk10gatherTopKIljLi3EEEvNS_4cuda6detail10TensorInfoIKT_T0_EES8_S8_bjS8_NS5_IS6_S8_EES8_NS5_IlS8_EES8_jjPS6_PjSD_j
	.globl	_ZN2at6native6mbtopk10gatherTopKIljLi3EEEvNS_4cuda6detail10TensorInfoIKT_T0_EES8_S8_bjS8_NS5_IS6_S8_EES8_NS5_IlS8_EES8_jjPS6_PjSD_j
	.p2align	8
	.type	_ZN2at6native6mbtopk10gatherTopKIljLi3EEEvNS_4cuda6detail10TensorInfoIKT_T0_EES8_S8_bjS8_NS5_IS6_S8_EES8_NS5_IlS8_EES8_jjPS6_PjSD_j,@function
_ZN2at6native6mbtopk10gatherTopKIljLi3EEEvNS_4cuda6detail10TensorInfoIKT_T0_EES8_S8_bjS8_NS5_IS6_S8_EES8_NS5_IlS8_EES8_jjPS6_PjSD_j: ; @_ZN2at6native6mbtopk10gatherTopKIljLi3EEEvNS_4cuda6detail10TensorInfoIKT_T0_EES8_S8_bjS8_NS5_IS6_S8_EES8_NS5_IlS8_EES8_jjPS6_PjSD_j
; %bb.0:
	s_bfe_u32 s2, ttmp6, 0x40010
	s_and_b32 s4, ttmp7, 0xffff
	s_add_co_i32 s5, s2, 1
	s_clause 0x1
	s_load_b32 s6, s[0:1], 0x2d0
	s_load_b64 s[2:3], s[0:1], 0x2d8
	s_bfe_u32 s8, ttmp6, 0x4000c
	s_mul_i32 s5, s4, s5
	s_bfe_u32 s7, ttmp6, 0x40004
	s_add_co_i32 s8, s8, 1
	s_bfe_u32 s9, ttmp6, 0x40014
	s_add_co_i32 s7, s7, s5
	s_and_b32 s5, ttmp6, 15
	s_mul_i32 s8, ttmp9, s8
	s_lshr_b32 s10, ttmp7, 16
	s_add_co_i32 s9, s9, 1
	s_add_co_i32 s5, s5, s8
	s_mul_i32 s8, s10, s9
	s_bfe_u32 s9, ttmp6, 0x40008
	s_getreg_b32 s11, hwreg(HW_REG_IB_STS2, 6, 4)
	s_add_co_i32 s9, s9, s8
	s_cmp_eq_u32 s11, 0
	s_mov_b32 s31, 0
	s_cselect_b32 s8, s10, s9
	s_cselect_b32 s4, s4, s7
	s_wait_kmcnt 0x0
	s_mul_i32 s3, s3, s8
	s_cselect_b32 s5, ttmp9, s5
	s_add_co_i32 s3, s3, s4
	s_delay_alu instid0(SALU_CYCLE_1) | instskip(NEXT) | instid1(SALU_CYCLE_1)
	s_mul_i32 s2, s3, s2
	s_add_co_i32 s2, s2, s5
	s_delay_alu instid0(SALU_CYCLE_1)
	s_cmp_ge_u32 s2, s6
	s_cbranch_scc1 .LBB48_40
; %bb.1:
	s_clause 0x4
	s_load_b96 s[12:14], s[0:1], 0x2a8
	s_load_b64 s[34:35], s[0:1], 0xc
	s_load_b64 s[28:29], s[0:1], 0xfc
	;; [unrolled: 1-line block ×3, first 2 shown]
	s_load_b128 s[4:7], s[0:1], 0x2b8
	s_mov_b32 s39, s31
	s_mov_b32 s37, s31
	s_mov_b32 s41, s31
	s_mov_b32 s43, s31
	s_wait_kmcnt 0x0
	s_cvt_f32_u32 s3, s14
	s_cvt_f32_u32 s9, s35
	s_cvt_f32_u32 s10, s34
	s_cvt_f32_u32 s15, s28
	v_rcp_iflag_f32_e32 v1, s3
	s_sub_co_i32 s3, 0, s14
	s_cvt_f32_u32 s16, s27
	v_rcp_iflag_f32_e32 v2, s10
	v_rcp_iflag_f32_e32 v4, s15
	s_cvt_f32_u32 s11, s29
	v_rcp_iflag_f32_e32 v5, s16
	v_readfirstlane_b32 s8, v1
	v_rcp_iflag_f32_e32 v1, s9
	v_rcp_iflag_f32_e32 v3, s11
	v_readfirstlane_b32 s9, v2
	s_cvt_f32_u32 s17, s26
	s_mul_f32 s8, s8, 0x4f7ffffe
	s_delay_alu instid0(SALU_CYCLE_2) | instskip(NEXT) | instid1(SALU_CYCLE_2)
	v_rcp_iflag_f32_e32 v6, s17
	s_cvt_u32_f32 s8, s8
	s_delay_alu instid0(TRANS32_DEP_2) | instskip(SKIP_1) | instid1(SALU_CYCLE_1)
	v_readfirstlane_b32 s11, v3
	v_readfirstlane_b32 s17, v5
	s_mul_i32 s3, s3, s8
	s_mul_f32 s11, s11, 0x4f7ffffe
	s_mul_hi_u32 s3, s8, s3
	v_readfirstlane_b32 s18, v6
	s_add_co_i32 s8, s8, s3
	v_readfirstlane_b32 s3, v1
	s_mul_hi_u32 s8, s2, s8
	s_delay_alu instid0(SALU_CYCLE_1)
	s_mul_i32 s10, s8, s14
	s_add_co_i32 s15, s8, 1
	s_sub_co_i32 s10, s2, s10
	s_mul_f32 s3, s3, 0x4f7ffffe
	s_sub_co_i32 s16, s10, s14
	s_cmp_ge_u32 s10, s14
	s_cselect_b32 s8, s15, s8
	s_cselect_b32 s10, s16, s10
	s_add_co_i32 s15, s8, 1
	s_cmp_ge_u32 s10, s14
	s_cvt_u32_f32 s3, s3
	s_cselect_b32 s15, s15, s8
	s_sub_co_i32 s8, 0, s35
	s_mul_i32 s16, s15, s14
	s_mul_i32 s8, s8, s3
	s_sub_co_i32 s33, s2, s16
	s_mul_hi_u32 s8, s3, s8
	v_readfirstlane_b32 s10, v4
	s_add_co_i32 s3, s3, s8
	s_mul_f32 s8, s9, 0x4f7ffffe
	s_mul_hi_u32 s3, s15, s3
	s_load_b64 s[24:25], s[4:5], s15 offset:0x0 scale_offset
	s_mul_i32 s9, s3, s35
	s_cvt_u32_f32 s8, s8
	s_sub_co_i32 s2, s15, s9
	s_add_co_i32 s9, s3, 1
	s_sub_co_i32 s19, s2, s35
	s_cmp_ge_u32 s2, s35
	s_cselect_b32 s3, s9, s3
	s_cselect_b32 s2, s19, s2
	s_add_co_i32 s9, s3, 1
	s_cmp_ge_u32 s2, s35
	s_cvt_u32_f32 s2, s11
	s_cselect_b32 s30, s9, s3
	s_sub_co_i32 s3, 0, s29
	s_mul_f32 s9, s10, 0x4f7ffffe
	s_mul_i32 s3, s3, s2
	s_sub_co_i32 s10, 0, s34
	s_mul_hi_u32 s3, s2, s3
	s_mul_i32 s10, s10, s8
	s_add_co_i32 s2, s2, s3
	s_mul_hi_u32 s3, s8, s10
	s_mul_hi_u32 s2, s15, s2
	s_add_co_i32 s38, s8, s3
	s_mul_i32 s10, s2, s29
	s_add_co_i32 s8, s2, 1
	s_sub_co_i32 s3, s15, s10
	s_mul_f32 s11, s17, 0x4f7ffffe
	s_sub_co_i32 s10, s3, s29
	s_cmp_ge_u32 s3, s29
	s_cselect_b32 s2, s8, s2
	s_cselect_b32 s3, s10, s3
	s_add_co_i32 s8, s2, 1
	s_cmp_ge_u32 s3, s29
	s_cvt_u32_f32 s3, s11
	s_cselect_b32 s36, s8, s2
	s_sub_co_i32 s2, 0, s27
	s_cvt_u32_f32 s8, s9
	s_mul_i32 s2, s2, s3
	s_wait_xcnt 0x0
	s_sub_co_i32 s4, 0, s28
	s_mul_hi_u32 s2, s3, s2
	s_mul_i32 s4, s4, s8
	s_add_co_i32 s3, s3, s2
	s_delay_alu instid0(SALU_CYCLE_1)
	s_mul_hi_u32 s2, s15, s3
	s_mul_hi_u32 s3, s8, s4
	s_mul_i32 s4, s2, s27
	s_add_co_i32 s40, s8, s3
	s_sub_co_i32 s3, s15, s4
	s_add_co_i32 s4, s2, 1
	s_sub_co_i32 s5, s3, s27
	s_cmp_ge_u32 s3, s27
	s_mul_f32 s8, s18, 0x4f7ffffe
	s_cselect_b32 s2, s4, s2
	s_cselect_b32 s3, s5, s3
	s_add_co_i32 s4, s2, 1
	s_cmp_ge_u32 s3, s27
	s_cvt_u32_f32 s5, s8
	s_cselect_b32 s42, s4, s2
	s_sub_co_i32 s3, 0, s26
	v_cmp_ne_u32_e64 s2, 0, v0
	s_mul_i32 s4, s3, s5
	v_cmp_eq_u32_e64 s3, 0, v0
	s_mul_hi_u32 s4, s5, s4
	s_delay_alu instid0(SALU_CYCLE_1)
	s_add_co_i32 s4, s5, s4
	s_mov_b32 s5, s31
	s_and_saveexec_b32 s46, s3
	s_cbranch_execz .LBB48_17
; %bb.2:
	s_load_b64 s[20:21], s[0:1], 0x2c8
	s_mov_b32 s17, 0
	s_delay_alu instid0(SALU_CYCLE_1)
	s_lshl_b64 s[22:23], s[16:17], 2
	s_cmp_lt_u32 s14, 4
	s_cbranch_scc1 .LBB48_14
; %bb.3:
	s_mov_b64 s[18:19], 0
	s_mov_b32 s16, 0
.LBB48_4:                               ; =>This Inner Loop Header: Depth=1
	s_add_nc_u64 s[44:45], s[6:7], s[22:23]
	s_cmp_ge_u32 s16, s33
	s_load_b128 s[8:11], s[44:45], 0x0
	s_wait_kmcnt 0x0
	s_add_nc_u64 s[44:45], s[20:21], s[22:23]
	s_cbranch_scc0 .LBB48_11
; %bb.5:                                ;   in Loop: Header=BB48_4 Depth=1
	s_add_co_i32 s47, s16, 1
	s_delay_alu instid0(SALU_CYCLE_1)
	s_cmp_ge_u32 s47, s33
	s_cbranch_scc0 .LBB48_12
.LBB48_6:                               ;   in Loop: Header=BB48_4 Depth=1
	s_add_co_i32 s47, s47, 1
	s_delay_alu instid0(SALU_CYCLE_1)
	s_cmp_ge_u32 s47, s33
	s_cbranch_scc0 .LBB48_13
.LBB48_7:                               ;   in Loop: Header=BB48_4 Depth=1
	s_add_co_i32 s47, s47, 1
	s_delay_alu instid0(SALU_CYCLE_1)
	s_cmp_ge_u32 s47, s33
	s_cbranch_scc1 .LBB48_9
.LBB48_8:                               ;   in Loop: Header=BB48_4 Depth=1
	s_load_b32 s44, s[44:45], 0xc
	s_add_co_i32 s19, s11, s19
	s_wait_kmcnt 0x0
	s_add_co_i32 s18, s44, s18
.LBB48_9:                               ;   in Loop: Header=BB48_4 Depth=1
	s_add_co_i32 s8, s8, s17
	s_add_nc_u64 s[6:7], s[6:7], 16
	s_add_co_i32 s8, s8, s9
	s_add_co_i32 s9, s47, 4
	;; [unrolled: 1-line block ×3, first 2 shown]
	s_add_nc_u64 s[20:21], s[20:21], 16
	s_add_co_i32 s17, s8, s11
	s_add_co_i32 s8, s47, 1
	s_cmp_ge_u32 s9, s14
	s_cbranch_scc1 .LBB48_15
; %bb.10:                               ;   in Loop: Header=BB48_4 Depth=1
	s_mov_b32 s16, s8
	s_branch .LBB48_4
.LBB48_11:                              ;   in Loop: Header=BB48_4 Depth=1
	s_load_b32 s47, s[44:45], 0x0
	s_add_co_i32 s19, s8, s19
	s_wait_kmcnt 0x0
	s_add_co_i32 s18, s47, s18
	s_add_co_i32 s47, s16, 1
	s_delay_alu instid0(SALU_CYCLE_1)
	s_cmp_ge_u32 s47, s33
	s_cbranch_scc1 .LBB48_6
.LBB48_12:                              ;   in Loop: Header=BB48_4 Depth=1
	s_load_b32 s48, s[44:45], 0x4
	s_add_co_i32 s19, s9, s19
	s_wait_kmcnt 0x0
	s_add_co_i32 s18, s48, s18
	s_add_co_i32 s47, s47, 1
	s_delay_alu instid0(SALU_CYCLE_1)
	s_cmp_ge_u32 s47, s33
	s_cbranch_scc1 .LBB48_7
.LBB48_13:                              ;   in Loop: Header=BB48_4 Depth=1
	s_load_b32 s48, s[44:45], 0x8
	s_add_co_i32 s19, s10, s19
	s_wait_kmcnt 0x0
	s_add_co_i32 s18, s48, s18
	s_add_co_i32 s47, s47, 1
	s_delay_alu instid0(SALU_CYCLE_1)
	s_cmp_ge_u32 s47, s33
	s_cbranch_scc0 .LBB48_8
	s_branch .LBB48_9
.LBB48_14:
	s_mov_b64 s[18:19], 0
	s_add_nc_u64 s[6:7], s[6:7], s[22:23]
	s_wait_kmcnt 0x0
	s_add_nc_u64 s[8:9], s[20:21], s[22:23]
	s_mov_b32 s10, 0
	s_delay_alu instid0(SALU_CYCLE_1)
	s_cmp_ge_u32 s10, s14
	s_cbranch_scc0 .LBB48_38
	s_branch .LBB48_16
.LBB48_15:
	s_add_co_i32 s10, s16, 4
	s_add_nc_u64 s[8:9], s[20:21], s[22:23]
	s_add_nc_u64 s[6:7], s[6:7], s[22:23]
	s_cmp_ge_u32 s10, s14
	s_cbranch_scc0 .LBB48_38
.LBB48_16:
	v_dual_mov_b32 v2, s18 :: v_dual_mov_b32 v3, s17
	v_dual_mov_b32 v4, s19 :: v_dual_mov_b32 v1, 0
	ds_store_b96 v1, v[2:4] offset:1056
.LBB48_17:
	s_or_b32 exec_lo, exec_lo, s46
	s_mul_u64 s[6:7], s[42:43], s[4:5]
	s_clause 0x6
	s_load_b96 s[4:6], s[0:1], 0xd8
	s_load_b96 s[8:10], s[0:1], 0x23c
	s_load_b64 s[44:45], s[0:1], 0x1d0
	s_load_b96 s[16:18], s[0:1], 0x15c
	s_load_b64 s[46:47], s[0:1], 0xf0
	;; [unrolled: 2-line block ×3, first 2 shown]
	s_mul_i32 s11, s13, s33
	s_mul_u64 s[50:51], s[30:31], s[38:39]
	s_lshl_b32 s19, s11, 8
	s_mov_b32 s39, 0
	s_add_co_i32 s33, s33, 1
	s_mul_u64 s[40:41], s[36:37], s[40:41]
	s_wait_dscnt 0x0
	s_barrier_signal -1
	s_barrier_wait -1
	s_wait_kmcnt 0x0
	s_sub_co_i32 s38, s4, s19
	s_delay_alu instid0(SALU_CYCLE_1) | instskip(NEXT) | instid1(SALU_CYCLE_1)
	s_add_nc_u64 s[52:53], s[38:39], 0xff
	s_lshr_b64 s[52:53], s[52:53], 8
	s_cmp_lt_u32 s33, s14
	s_cselect_b32 s13, s13, s52
	s_delay_alu instid0(SALU_CYCLE_1)
	s_cmp_eq_u32 s13, 0
	s_cbranch_scc1 .LBB48_40
; %bb.18:
	s_mul_i32 s14, s51, s34
	s_mul_i32 s11, s30, s35
	s_sub_co_i32 s14, s30, s14
	s_sub_co_i32 s11, s15, s11
	s_add_co_i32 s23, s51, 1
	s_sub_co_i32 s31, s14, s34
	s_cmp_ge_u32 s14, s34
	s_mul_i32 s11, s11, s22
	s_cselect_b32 s23, s23, s51
	s_cselect_b32 s14, s31, s14
	s_add_co_i32 s31, s23, 1
	s_cmp_ge_u32 s14, s34
	s_mul_i32 s14, s36, s29
	s_cselect_b32 s23, s31, s23
	s_mul_i32 s29, s41, s28
	s_mul_i32 s31, s23, s34
	s_mul_i32 s23, s23, s20
	s_sub_co_i32 s22, s30, s31
	s_sub_co_i32 s20, s36, s29
	s_mul_i32 s21, s22, s21
	s_sub_co_i32 s14, s15, s14
	s_add_co_i32 s11, s21, s11
	s_sub_co_i32 s21, s20, s28
	s_add_co_i32 s38, s11, s23
	s_add_co_i32 s11, s41, 1
	s_cmp_ge_u32 s20, s28
	s_mul_i32 s14, s14, s18
	s_cselect_b32 s11, s11, s41
	s_cselect_b32 s20, s21, s20
	s_add_co_i32 s21, s11, 1
	s_cmp_ge_u32 s20, s28
	s_mul_i32 s22, s7, s26
	s_cselect_b32 s11, s21, s11
	s_mul_i32 s20, s42, s27
	s_mul_i32 s21, s11, s28
	s_mul_i32 s11, s11, s16
	s_sub_co_i32 s21, s36, s21
	s_sub_co_i32 s15, s15, s20
	s_mul_i32 s17, s21, s17
	s_add_co_i32 s16, s7, 1
	s_add_co_i32 s14, s17, s14
	v_dual_mov_b32 v7, 0 :: v_dual_lshrrev_b32 v1, 3, v0
	s_add_co_i32 s14, s14, s11
	s_sub_co_i32 s11, s42, s22
	s_load_b32 s18, s[0:1], 0xe8
	s_sub_co_i32 s17, s11, s26
	s_cmp_ge_u32 s11, s26
	ds_load_b96 v[2:4], v7 offset:1056
	s_cselect_b32 s7, s16, s7
	s_cselect_b32 s11, s17, s11
	s_add_co_i32 s16, s7, 1
	s_cmp_ge_u32 s11, s26
	s_mul_i32 s15, s15, s10
	s_cselect_b32 s7, s16, s7
	s_mov_b32 s17, s39
	s_mul_i32 s11, s7, s26
	s_mul_i32 s7, s7, s8
	s_sub_co_i32 s11, s42, s11
	v_dual_add_nc_u32 v9, -1, v0 :: v_dual_bitop2_b32 v1, 28, v1 bitop3:0x40
	s_mul_i32 s9, s11, s9
	v_dual_add_nc_u32 v6, s19, v0 :: v_dual_lshlrev_b32 v11, 5, v0
	s_add_co_i32 s8, s9, s15
	s_delay_alu instid0(VALU_DEP_2)
	v_lshrrev_b32_e32 v5, 3, v9
	s_add_co_i32 s16, s8, s7
	s_mov_b32 s15, s39
	s_lshl_b64 s[20:21], s[16:17], 3
	s_load_b32 s16, s[0:1], 0x1c8
	s_wait_kmcnt 0x0
	v_mul_lo_u32 v8, s18, v6
	s_wait_dscnt 0x0
	v_add_nc_u32_e32 v2, v2, v3
	v_lshl_add_u32 v3, v0, 2, v1
	v_and_b32_e32 v1, 0xfc, v0
	v_and_b32_e32 v10, 0x1ffffffc, v5
	v_mbcnt_lo_u32_b32 v5, -1, 0
	s_lshl_b64 s[8:9], s[38:39], 3
	s_lshl_b64 s[10:11], s[14:15], 3
	s_xor_b64 s[14:15], s[24:25], 0x8000000000000000
	v_cmp_gt_u32_e64 s0, 32, v0
	v_lshl_add_u32 v9, v9, 2, v10
	v_dual_add_nc_u32 v10, v1, v11 :: v_dual_bitop2_b32 v11, 15, v5 bitop3:0x40
	v_bfe_i32 v12, v5, 4, 1
	v_add_nc_u32_e32 v13, -1, v5
	s_bitcmp1_b32 s6, 0
	s_add_nc_u64 s[8:9], s[48:49], s[8:9]
	s_add_nc_u64 s[10:11], s[46:47], s[10:11]
	;; [unrolled: 1-line block ×3, first 2 shown]
	s_cselect_b32 s1, -1, 0
	s_lshl_b32 s17, s18, 8
                                        ; implicit-def: $vgpr0_vgpr1
	s_branch .LBB48_21
.LBB48_19:                              ;   in Loop: Header=BB48_21 Depth=1
	s_wait_xcnt 0x0
	s_or_b32 exec_lo, exec_lo, s18
	v_add_nc_u32_e32 v2, v16, v2
.LBB48_20:                              ;   in Loop: Header=BB48_21 Depth=1
	v_add_nc_u32_e32 v4, v15, v4
	v_add_nc_u32_e32 v8, s17, v8
	v_add_nc_u32_e32 v6, 0x100, v6
	s_add_co_i32 s13, s13, -1
	s_delay_alu instid0(SALU_CYCLE_1)
	s_cmp_lg_u32 s13, 0
	s_cbranch_scc0 .LBB48_40
.LBB48_21:                              ; =>This Inner Loop Header: Depth=1
	v_dual_mov_b32 v16, 0 :: v_dual_mov_b32 v14, 0
	s_mov_b32 s18, exec_lo
	v_cmpx_gt_u32_e64 s4, v6
	s_cbranch_execz .LBB48_23
; %bb.22:                               ;   in Loop: Header=BB48_21 Depth=1
	global_load_b64 v[0:1], v8, s[8:9] scale_offset
	s_wait_loadcnt 0x0
	v_xor_b32_e32 v15, 0x80000000, v1
	v_mov_b32_e32 v14, v0
	s_delay_alu instid0(VALU_DEP_1) | instskip(SKIP_4) | instid1(VALU_DEP_2)
	v_cmp_lt_u64_e32 vcc_lo, s[14:15], v[14:15]
	v_cndmask_b32_e64 v16, 0, 1, vcc_lo
	v_cmp_gt_u64_e32 vcc_lo, s[14:15], v[14:15]
	v_cndmask_b32_e64 v14, 0, 1, vcc_lo
	v_cmp_eq_u64_e32 vcc_lo, s[24:25], v[0:1]
	v_cndmask_b32_e64 v14, v14, v16, s1
	s_delay_alu instid0(VALU_DEP_1)
	v_and_b32_e32 v16, 1, v14
	v_cndmask_b32_e64 v14, 0, 1, vcc_lo
.LBB48_23:                              ;   in Loop: Header=BB48_21 Depth=1
	s_wait_xcnt 0x0
	s_or_b32 exec_lo, exec_lo, s18
	ds_store_b32 v3, v16
	s_wait_dscnt 0x0
	s_barrier_signal -1
	s_barrier_wait -1
	s_and_saveexec_b32 s18, s0
	s_cbranch_execz .LBB48_25
; %bb.24:                               ;   in Loop: Header=BB48_21 Depth=1
	ds_load_2addr_b32 v[18:19], v10 offset1:1
	ds_load_2addr_b32 v[20:21], v10 offset0:2 offset1:3
	ds_load_2addr_b32 v[22:23], v10 offset0:4 offset1:5
	;; [unrolled: 1-line block ×3, first 2 shown]
	v_cmp_ne_u32_e32 vcc_lo, 0, v11
	; wave barrier
	s_wait_dscnt 0x3
	v_add_nc_u32_e32 v15, v19, v18
	s_wait_dscnt 0x2
	s_delay_alu instid0(VALU_DEP_1) | instskip(SKIP_1) | instid1(VALU_DEP_1)
	v_add3_u32 v15, v15, v20, v21
	s_wait_dscnt 0x1
	v_add3_u32 v15, v15, v22, v23
	s_wait_dscnt 0x0
	s_delay_alu instid0(VALU_DEP_1) | instskip(NEXT) | instid1(VALU_DEP_1)
	v_add3_u32 v15, v15, v24, v25
	v_mov_b32_dpp v17, v15 row_shr:1 row_mask:0xf bank_mask:0xf
	s_delay_alu instid0(VALU_DEP_1) | instskip(SKIP_1) | instid1(VALU_DEP_2)
	v_cndmask_b32_e32 v17, 0, v17, vcc_lo
	v_cmp_lt_u32_e32 vcc_lo, 1, v11
	v_add_nc_u32_e32 v15, v17, v15
	s_delay_alu instid0(VALU_DEP_1) | instskip(NEXT) | instid1(VALU_DEP_1)
	v_mov_b32_dpp v17, v15 row_shr:2 row_mask:0xf bank_mask:0xf
	v_cndmask_b32_e32 v17, 0, v17, vcc_lo
	v_cmp_lt_u32_e32 vcc_lo, 3, v11
	s_delay_alu instid0(VALU_DEP_2) | instskip(NEXT) | instid1(VALU_DEP_1)
	v_add_nc_u32_e32 v15, v15, v17
	v_mov_b32_dpp v17, v15 row_shr:4 row_mask:0xf bank_mask:0xf
	s_delay_alu instid0(VALU_DEP_1) | instskip(SKIP_1) | instid1(VALU_DEP_2)
	v_cndmask_b32_e32 v17, 0, v17, vcc_lo
	v_cmp_lt_u32_e32 vcc_lo, 7, v11
	v_add_nc_u32_e32 v15, v15, v17
	s_delay_alu instid0(VALU_DEP_1) | instskip(NEXT) | instid1(VALU_DEP_1)
	v_mov_b32_dpp v17, v15 row_shr:8 row_mask:0xf bank_mask:0xf
	v_cndmask_b32_e32 v17, 0, v17, vcc_lo
	v_cmp_gt_i32_e32 vcc_lo, 0, v13
	s_delay_alu instid0(VALU_DEP_2) | instskip(SKIP_4) | instid1(VALU_DEP_1)
	v_add_nc_u32_e32 v15, v15, v17
	v_cndmask_b32_e32 v19, v13, v5, vcc_lo
	ds_swizzle_b32 v17, v15 offset:swizzle(BROADCAST,32,15)
	s_wait_dscnt 0x0
	v_dual_lshlrev_b32 v19, 2, v19 :: v_dual_bitop2_b32 v17, v12, v17 bitop3:0x40
	v_add_nc_u32_e32 v15, v15, v17
	ds_bpermute_b32 v15, v19, v15
	s_wait_dscnt 0x0
	v_add_nc_u32_e32 v15, v15, v18
	s_delay_alu instid0(VALU_DEP_1)
	v_cndmask_b32_e64 v15, v15, v16, s3
	ds_store_b32 v10, v15
	; wave barrier
	ds_load_2addr_b32 v[18:19], v10 offset0:1 offset1:2
	ds_load_2addr_b32 v[20:21], v10 offset0:3 offset1:4
	;; [unrolled: 1-line block ×3, first 2 shown]
	ds_load_b32 v17, v10 offset:28
	s_wait_dscnt 0x3
	v_add_nc_u32_e32 v15, v18, v15
	s_delay_alu instid0(VALU_DEP_1) | instskip(SKIP_1) | instid1(VALU_DEP_1)
	v_add_nc_u32_e32 v18, v19, v15
	s_wait_dscnt 0x2
	v_add_nc_u32_e32 v19, v20, v18
	s_delay_alu instid0(VALU_DEP_1) | instskip(SKIP_1) | instid1(VALU_DEP_1)
	v_add_nc_u32_e32 v20, v21, v19
	;; [unrolled: 4-line block ×3, first 2 shown]
	s_wait_dscnt 0x0
	v_add_nc_u32_e32 v17, v17, v22
	ds_store_2addr_b32 v10, v15, v18 offset0:1 offset1:2
	ds_store_2addr_b32 v10, v19, v20 offset0:3 offset1:4
	;; [unrolled: 1-line block ×3, first 2 shown]
	ds_store_b32 v10, v17 offset:28
.LBB48_25:                              ;   in Loop: Header=BB48_21 Depth=1
	s_or_b32 exec_lo, exec_lo, s18
	v_mov_b32_e32 v17, 0
	s_wait_dscnt 0x0
	s_barrier_signal -1
	s_barrier_wait -1
	s_and_saveexec_b32 s18, s2
; %bb.26:                               ;   in Loop: Header=BB48_21 Depth=1
	ds_load_b32 v17, v9
; %bb.27:                               ;   in Loop: Header=BB48_21 Depth=1
	s_or_b32 exec_lo, exec_lo, s18
	ds_load_b32 v15, v7 offset:1048
	s_mov_b32 s18, exec_lo
	s_wait_dscnt 0x0
	s_barrier_signal -1
	s_barrier_wait -1
	v_cmpx_ne_u32_e32 0, v16
	s_cbranch_execz .LBB48_29
; %bb.28:                               ;   in Loop: Header=BB48_21 Depth=1
	v_add_nc_u32_e32 v16, v17, v4
	s_delay_alu instid0(VALU_DEP_1)
	v_mul_lo_u32 v17, v16, s16
	v_mul_lo_u32 v16, v16, s12
	global_store_b64 v17, v[0:1], s[10:11] scale_offset
	global_store_b64 v16, v[6:7], s[6:7] scale_offset
.LBB48_29:                              ;   in Loop: Header=BB48_21 Depth=1
	s_wait_xcnt 0x0
	s_or_b32 exec_lo, exec_lo, s18
	v_cmp_le_u32_e32 vcc_lo, s5, v2
	s_cbranch_vccnz .LBB48_20
; %bb.30:                               ;   in Loop: Header=BB48_21 Depth=1
	ds_store_b32 v3, v14
	s_wait_storecnt_dscnt 0x0
	s_barrier_signal -1
	s_barrier_wait -1
	s_and_saveexec_b32 s18, s0
	s_cbranch_execz .LBB48_32
; %bb.31:                               ;   in Loop: Header=BB48_21 Depth=1
	ds_load_2addr_b32 v[16:17], v10 offset1:1
	ds_load_2addr_b32 v[18:19], v10 offset0:2 offset1:3
	ds_load_2addr_b32 v[20:21], v10 offset0:4 offset1:5
	;; [unrolled: 1-line block ×3, first 2 shown]
	v_cmp_ne_u32_e32 vcc_lo, 0, v11
	; wave barrier
	s_wait_dscnt 0x3
	v_add_nc_u32_e32 v17, v17, v16
	s_wait_dscnt 0x2
	s_delay_alu instid0(VALU_DEP_1) | instskip(SKIP_1) | instid1(VALU_DEP_1)
	v_add3_u32 v17, v17, v18, v19
	s_wait_dscnt 0x1
	v_add3_u32 v17, v17, v20, v21
	s_wait_dscnt 0x0
	s_delay_alu instid0(VALU_DEP_1) | instskip(NEXT) | instid1(VALU_DEP_1)
	v_add3_u32 v17, v17, v22, v23
	v_mov_b32_dpp v18, v17 row_shr:1 row_mask:0xf bank_mask:0xf
	s_delay_alu instid0(VALU_DEP_1) | instskip(SKIP_1) | instid1(VALU_DEP_2)
	v_cndmask_b32_e32 v18, 0, v18, vcc_lo
	v_cmp_lt_u32_e32 vcc_lo, 1, v11
	v_add_nc_u32_e32 v17, v18, v17
	s_delay_alu instid0(VALU_DEP_1) | instskip(NEXT) | instid1(VALU_DEP_1)
	v_mov_b32_dpp v18, v17 row_shr:2 row_mask:0xf bank_mask:0xf
	v_cndmask_b32_e32 v18, 0, v18, vcc_lo
	v_cmp_lt_u32_e32 vcc_lo, 3, v11
	s_delay_alu instid0(VALU_DEP_2) | instskip(NEXT) | instid1(VALU_DEP_1)
	v_add_nc_u32_e32 v17, v17, v18
	v_mov_b32_dpp v18, v17 row_shr:4 row_mask:0xf bank_mask:0xf
	s_delay_alu instid0(VALU_DEP_1) | instskip(SKIP_1) | instid1(VALU_DEP_2)
	v_cndmask_b32_e32 v18, 0, v18, vcc_lo
	v_cmp_lt_u32_e32 vcc_lo, 7, v11
	v_add_nc_u32_e32 v17, v17, v18
	s_delay_alu instid0(VALU_DEP_1) | instskip(NEXT) | instid1(VALU_DEP_1)
	v_mov_b32_dpp v18, v17 row_shr:8 row_mask:0xf bank_mask:0xf
	v_cndmask_b32_e32 v18, 0, v18, vcc_lo
	v_cmp_gt_i32_e32 vcc_lo, 0, v13
	s_delay_alu instid0(VALU_DEP_2) | instskip(SKIP_4) | instid1(VALU_DEP_1)
	v_add_nc_u32_e32 v17, v17, v18
	v_cndmask_b32_e32 v19, v13, v5, vcc_lo
	ds_swizzle_b32 v18, v17 offset:swizzle(BROADCAST,32,15)
	s_wait_dscnt 0x0
	v_dual_lshlrev_b32 v19, 2, v19 :: v_dual_bitop2_b32 v18, v12, v18 bitop3:0x40
	v_add_nc_u32_e32 v17, v17, v18
	ds_bpermute_b32 v17, v19, v17
	s_wait_dscnt 0x0
	v_add_nc_u32_e32 v16, v17, v16
	s_delay_alu instid0(VALU_DEP_1)
	v_cndmask_b32_e64 v22, v16, v14, s3
	ds_store_b32 v10, v22
	; wave barrier
	ds_load_2addr_b32 v[16:17], v10 offset0:1 offset1:2
	ds_load_2addr_b32 v[18:19], v10 offset0:3 offset1:4
	;; [unrolled: 1-line block ×3, first 2 shown]
	ds_load_b32 v23, v10 offset:28
	s_wait_dscnt 0x3
	v_add_nc_u32_e32 v16, v16, v22
	s_delay_alu instid0(VALU_DEP_1) | instskip(SKIP_1) | instid1(VALU_DEP_1)
	v_add_nc_u32_e32 v17, v17, v16
	s_wait_dscnt 0x2
	v_add_nc_u32_e32 v18, v18, v17
	s_delay_alu instid0(VALU_DEP_1) | instskip(SKIP_1) | instid1(VALU_DEP_1)
	v_add_nc_u32_e32 v19, v19, v18
	;; [unrolled: 4-line block ×3, first 2 shown]
	s_wait_dscnt 0x0
	v_add_nc_u32_e32 v22, v23, v21
	ds_store_2addr_b32 v10, v16, v17 offset0:1 offset1:2
	ds_store_2addr_b32 v10, v18, v19 offset0:3 offset1:4
	;; [unrolled: 1-line block ×3, first 2 shown]
	ds_store_b32 v10, v22 offset:28
.LBB48_32:                              ;   in Loop: Header=BB48_21 Depth=1
	s_or_b32 exec_lo, exec_lo, s18
	v_mov_b32_e32 v17, 0
	s_wait_dscnt 0x0
	s_barrier_signal -1
	s_barrier_wait -1
	s_and_saveexec_b32 s18, s2
; %bb.33:                               ;   in Loop: Header=BB48_21 Depth=1
	ds_load_b32 v17, v9
; %bb.34:                               ;   in Loop: Header=BB48_21 Depth=1
	s_or_b32 exec_lo, exec_lo, s18
	ds_load_b32 v16, v7 offset:1048
	s_mov_b32 s18, exec_lo
	s_wait_dscnt 0x0
	s_barrier_signal -1
	s_barrier_wait -1
	v_cmpx_ne_u32_e32 0, v14
	s_cbranch_execz .LBB48_19
; %bb.35:                               ;   in Loop: Header=BB48_21 Depth=1
	v_add_nc_u32_e32 v14, v17, v2
	s_delay_alu instid0(VALU_DEP_1)
	v_cmp_gt_u32_e32 vcc_lo, s5, v14
	s_and_b32 exec_lo, exec_lo, vcc_lo
	s_cbranch_execz .LBB48_19
; %bb.36:                               ;   in Loop: Header=BB48_21 Depth=1
	v_mul_lo_u32 v17, v14, s16
	v_mul_lo_u32 v14, v14, s12
	global_store_b64 v17, v[0:1], s[10:11] scale_offset
	global_store_b64 v14, v[6:7], s[6:7] scale_offset
	s_branch .LBB48_19
.LBB48_37:                              ;   in Loop: Header=BB48_38 Depth=1
	s_add_co_i32 s10, s10, 1
	s_wait_kmcnt 0x0
	s_add_co_i32 s17, s11, s17
	s_add_nc_u64 s[6:7], s[6:7], 4
	s_cmp_lt_u32 s10, s14
	s_add_nc_u64 s[8:9], s[8:9], 4
	s_cbranch_scc0 .LBB48_16
.LBB48_38:                              ; =>This Inner Loop Header: Depth=1
	s_load_b32 s11, s[6:7], 0x0
	s_cmp_ge_u32 s10, s33
	s_cbranch_scc1 .LBB48_37
; %bb.39:                               ;   in Loop: Header=BB48_38 Depth=1
	s_load_b32 s16, s[8:9], 0x0
	s_wait_kmcnt 0x0
	s_add_co_i32 s19, s11, s19
	s_add_co_i32 s18, s16, s18
	s_branch .LBB48_37
.LBB48_40:
	s_endpgm
	.section	.rodata,"a",@progbits
	.p2align	6, 0x0
	.amdhsa_kernel _ZN2at6native6mbtopk10gatherTopKIljLi3EEEvNS_4cuda6detail10TensorInfoIKT_T0_EES8_S8_bjS8_NS5_IS6_S8_EES8_NS5_IlS8_EES8_jjPS6_PjSD_j
		.amdhsa_group_segment_fixed_size 1068
		.amdhsa_private_segment_fixed_size 0
		.amdhsa_kernarg_size 984
		.amdhsa_user_sgpr_count 2
		.amdhsa_user_sgpr_dispatch_ptr 0
		.amdhsa_user_sgpr_queue_ptr 0
		.amdhsa_user_sgpr_kernarg_segment_ptr 1
		.amdhsa_user_sgpr_dispatch_id 0
		.amdhsa_user_sgpr_kernarg_preload_length 0
		.amdhsa_user_sgpr_kernarg_preload_offset 0
		.amdhsa_user_sgpr_private_segment_size 0
		.amdhsa_wavefront_size32 1
		.amdhsa_uses_dynamic_stack 0
		.amdhsa_enable_private_segment 0
		.amdhsa_system_sgpr_workgroup_id_x 1
		.amdhsa_system_sgpr_workgroup_id_y 1
		.amdhsa_system_sgpr_workgroup_id_z 1
		.amdhsa_system_sgpr_workgroup_info 0
		.amdhsa_system_vgpr_workitem_id 0
		.amdhsa_next_free_vgpr 26
		.amdhsa_next_free_sgpr 54
		.amdhsa_named_barrier_count 0
		.amdhsa_reserve_vcc 1
		.amdhsa_float_round_mode_32 0
		.amdhsa_float_round_mode_16_64 0
		.amdhsa_float_denorm_mode_32 3
		.amdhsa_float_denorm_mode_16_64 3
		.amdhsa_fp16_overflow 0
		.amdhsa_memory_ordered 1
		.amdhsa_forward_progress 1
		.amdhsa_inst_pref_size 24
		.amdhsa_round_robin_scheduling 0
		.amdhsa_exception_fp_ieee_invalid_op 0
		.amdhsa_exception_fp_denorm_src 0
		.amdhsa_exception_fp_ieee_div_zero 0
		.amdhsa_exception_fp_ieee_overflow 0
		.amdhsa_exception_fp_ieee_underflow 0
		.amdhsa_exception_fp_ieee_inexact 0
		.amdhsa_exception_int_div_zero 0
	.end_amdhsa_kernel
	.section	.text._ZN2at6native6mbtopk10gatherTopKIljLi3EEEvNS_4cuda6detail10TensorInfoIKT_T0_EES8_S8_bjS8_NS5_IS6_S8_EES8_NS5_IlS8_EES8_jjPS6_PjSD_j,"axG",@progbits,_ZN2at6native6mbtopk10gatherTopKIljLi3EEEvNS_4cuda6detail10TensorInfoIKT_T0_EES8_S8_bjS8_NS5_IS6_S8_EES8_NS5_IlS8_EES8_jjPS6_PjSD_j,comdat
.Lfunc_end48:
	.size	_ZN2at6native6mbtopk10gatherTopKIljLi3EEEvNS_4cuda6detail10TensorInfoIKT_T0_EES8_S8_bjS8_NS5_IS6_S8_EES8_NS5_IlS8_EES8_jjPS6_PjSD_j, .Lfunc_end48-_ZN2at6native6mbtopk10gatherTopKIljLi3EEEvNS_4cuda6detail10TensorInfoIKT_T0_EES8_S8_bjS8_NS5_IS6_S8_EES8_NS5_IlS8_EES8_jjPS6_PjSD_j
                                        ; -- End function
	.set _ZN2at6native6mbtopk10gatherTopKIljLi3EEEvNS_4cuda6detail10TensorInfoIKT_T0_EES8_S8_bjS8_NS5_IS6_S8_EES8_NS5_IlS8_EES8_jjPS6_PjSD_j.num_vgpr, 26
	.set _ZN2at6native6mbtopk10gatherTopKIljLi3EEEvNS_4cuda6detail10TensorInfoIKT_T0_EES8_S8_bjS8_NS5_IS6_S8_EES8_NS5_IlS8_EES8_jjPS6_PjSD_j.num_agpr, 0
	.set _ZN2at6native6mbtopk10gatherTopKIljLi3EEEvNS_4cuda6detail10TensorInfoIKT_T0_EES8_S8_bjS8_NS5_IS6_S8_EES8_NS5_IlS8_EES8_jjPS6_PjSD_j.numbered_sgpr, 54
	.set _ZN2at6native6mbtopk10gatherTopKIljLi3EEEvNS_4cuda6detail10TensorInfoIKT_T0_EES8_S8_bjS8_NS5_IS6_S8_EES8_NS5_IlS8_EES8_jjPS6_PjSD_j.num_named_barrier, 0
	.set _ZN2at6native6mbtopk10gatherTopKIljLi3EEEvNS_4cuda6detail10TensorInfoIKT_T0_EES8_S8_bjS8_NS5_IS6_S8_EES8_NS5_IlS8_EES8_jjPS6_PjSD_j.private_seg_size, 0
	.set _ZN2at6native6mbtopk10gatherTopKIljLi3EEEvNS_4cuda6detail10TensorInfoIKT_T0_EES8_S8_bjS8_NS5_IS6_S8_EES8_NS5_IlS8_EES8_jjPS6_PjSD_j.uses_vcc, 1
	.set _ZN2at6native6mbtopk10gatherTopKIljLi3EEEvNS_4cuda6detail10TensorInfoIKT_T0_EES8_S8_bjS8_NS5_IS6_S8_EES8_NS5_IlS8_EES8_jjPS6_PjSD_j.uses_flat_scratch, 0
	.set _ZN2at6native6mbtopk10gatherTopKIljLi3EEEvNS_4cuda6detail10TensorInfoIKT_T0_EES8_S8_bjS8_NS5_IS6_S8_EES8_NS5_IlS8_EES8_jjPS6_PjSD_j.has_dyn_sized_stack, 0
	.set _ZN2at6native6mbtopk10gatherTopKIljLi3EEEvNS_4cuda6detail10TensorInfoIKT_T0_EES8_S8_bjS8_NS5_IS6_S8_EES8_NS5_IlS8_EES8_jjPS6_PjSD_j.has_recursion, 0
	.set _ZN2at6native6mbtopk10gatherTopKIljLi3EEEvNS_4cuda6detail10TensorInfoIKT_T0_EES8_S8_bjS8_NS5_IS6_S8_EES8_NS5_IlS8_EES8_jjPS6_PjSD_j.has_indirect_call, 0
	.section	.AMDGPU.csdata,"",@progbits
; Kernel info:
; codeLenInByte = 3044
; TotalNumSgprs: 56
; NumVgprs: 26
; ScratchSize: 0
; MemoryBound: 0
; FloatMode: 240
; IeeeMode: 1
; LDSByteSize: 1068 bytes/workgroup (compile time only)
; SGPRBlocks: 0
; VGPRBlocks: 1
; NumSGPRsForWavesPerEU: 56
; NumVGPRsForWavesPerEU: 26
; NamedBarCnt: 0
; Occupancy: 16
; WaveLimiterHint : 1
; COMPUTE_PGM_RSRC2:SCRATCH_EN: 0
; COMPUTE_PGM_RSRC2:USER_SGPR: 2
; COMPUTE_PGM_RSRC2:TRAP_HANDLER: 0
; COMPUTE_PGM_RSRC2:TGID_X_EN: 1
; COMPUTE_PGM_RSRC2:TGID_Y_EN: 1
; COMPUTE_PGM_RSRC2:TGID_Z_EN: 1
; COMPUTE_PGM_RSRC2:TIDIG_COMP_CNT: 0
	.section	.text._ZN2at6native6sbtopk10gatherTopKIljLi3ELb0EEEvNS_4cuda6detail10TensorInfoIKT_T0_EES8_S8_bS8_S8_NS5_IS6_S8_EES8_NS5_IlS8_EES8_PS6_,"axG",@progbits,_ZN2at6native6sbtopk10gatherTopKIljLi3ELb0EEEvNS_4cuda6detail10TensorInfoIKT_T0_EES8_S8_bS8_S8_NS5_IS6_S8_EES8_NS5_IlS8_EES8_PS6_,comdat
	.protected	_ZN2at6native6sbtopk10gatherTopKIljLi3ELb0EEEvNS_4cuda6detail10TensorInfoIKT_T0_EES8_S8_bS8_S8_NS5_IS6_S8_EES8_NS5_IlS8_EES8_PS6_ ; -- Begin function _ZN2at6native6sbtopk10gatherTopKIljLi3ELb0EEEvNS_4cuda6detail10TensorInfoIKT_T0_EES8_S8_bS8_S8_NS5_IS6_S8_EES8_NS5_IlS8_EES8_PS6_
	.globl	_ZN2at6native6sbtopk10gatherTopKIljLi3ELb0EEEvNS_4cuda6detail10TensorInfoIKT_T0_EES8_S8_bS8_S8_NS5_IS6_S8_EES8_NS5_IlS8_EES8_PS6_
	.p2align	8
	.type	_ZN2at6native6sbtopk10gatherTopKIljLi3ELb0EEEvNS_4cuda6detail10TensorInfoIKT_T0_EES8_S8_bS8_S8_NS5_IS6_S8_EES8_NS5_IlS8_EES8_PS6_,@function
_ZN2at6native6sbtopk10gatherTopKIljLi3ELb0EEEvNS_4cuda6detail10TensorInfoIKT_T0_EES8_S8_bS8_S8_NS5_IS6_S8_EES8_NS5_IlS8_EES8_PS6_: ; @_ZN2at6native6sbtopk10gatherTopKIljLi3ELb0EEEvNS_4cuda6detail10TensorInfoIKT_T0_EES8_S8_bS8_S8_NS5_IS6_S8_EES8_NS5_IlS8_EES8_PS6_
; %bb.0:
	s_clause 0x1
	s_load_b128 s[36:39], s[0:1], 0xd8
	s_load_b64 s[4:5], s[0:1], 0x2b8
	s_bfe_u32 s2, ttmp6, 0x40010
	s_and_b32 s3, ttmp7, 0xffff
	s_add_co_i32 s2, s2, 1
	s_bfe_u32 s7, ttmp6, 0x4000c
	s_mul_i32 s2, s3, s2
	s_bfe_u32 s6, ttmp6, 0x40004
	s_add_co_i32 s7, s7, 1
	s_bfe_u32 s8, ttmp6, 0x40014
	s_add_co_i32 s6, s6, s2
	s_and_b32 s2, ttmp6, 15
	s_mul_i32 s7, ttmp9, s7
	s_lshr_b32 s9, ttmp7, 16
	s_add_co_i32 s8, s8, 1
	s_add_co_i32 s2, s2, s7
	s_mul_i32 s7, s9, s8
	s_bfe_u32 s8, ttmp6, 0x40008
	s_getreg_b32 s10, hwreg(HW_REG_IB_STS2, 6, 4)
	s_add_co_i32 s8, s8, s7
	s_cmp_eq_u32 s10, 0
	s_mov_b32 s49, 0
	s_cselect_b32 s7, s9, s8
	s_cselect_b32 s3, s3, s6
	s_wait_kmcnt 0x0
	s_mul_i32 s5, s5, s7
	s_cselect_b32 s11, ttmp9, s2
	s_add_co_i32 s2, s5, s3
	s_delay_alu instid0(SALU_CYCLE_1) | instskip(NEXT) | instid1(SALU_CYCLE_1)
	s_mul_i32 s72, s2, s4
	s_add_co_i32 s72, s72, s11
	s_delay_alu instid0(SALU_CYCLE_1)
	s_cmp_ge_u32 s72, s39
	s_cbranch_scc1 .LBB49_399
; %bb.1:
	s_clause 0x2
	s_load_b64 s[2:3], s[0:1], 0xc
	s_load_b64 s[50:51], s[0:1], 0xfc
	;; [unrolled: 1-line block ×3, first 2 shown]
	s_mov_b32 s15, s49
	s_clause 0x2
	s_load_b64 s[6:7], s[0:1], 0x0
	s_load_b32 s33, s[0:1], 0xe8
	s_load_b96 s[8:10], s[0:1], 0x6c
	s_add_nc_u64 s[12:13], s[0:1], 0x2b8
	s_mov_b32 s53, s49
	s_wait_kmcnt 0x0
	s_cvt_f32_u32 s5, s3
	s_cvt_f32_u32 s14, s2
	;; [unrolled: 1-line block ×4, first 2 shown]
	v_rcp_iflag_f32_e32 v1, s5
	s_sub_co_i32 s5, 0, s3
	v_rcp_iflag_f32_e32 v2, s17
	v_rcp_iflag_f32_e32 v4, s19
	s_cvt_f32_u32 s18, s50
	s_delay_alu instid0(TRANS32_DEP_3) | instskip(SKIP_1) | instid1(TRANS32_DEP_3)
	v_readfirstlane_b32 s16, v1
	v_rcp_iflag_f32_e32 v1, s14
	v_readfirstlane_b32 s17, v2
	v_rcp_iflag_f32_e32 v3, s18
	s_mul_f32 s14, s16, 0x4f7ffffe
	s_cvt_f32_u32 s16, s34
	s_mul_f32 s17, s17, 0x4f7ffffe
	s_delay_alu instid0(SALU_CYCLE_1) | instskip(NEXT) | instid1(SALU_CYCLE_1)
	s_cvt_u32_f32 s14, s14
	v_rcp_iflag_f32_e32 v5, s16
	v_nop
	v_readfirstlane_b32 s16, v1
	s_cvt_u32_f32 s17, s17
	s_mul_i32 s5, s5, s14
	v_readfirstlane_b32 s18, v3
	s_mul_hi_u32 s5, s14, s5
	s_mul_f32 s16, s16, 0x4f7ffffe
	s_add_co_i32 s14, s14, s5
	v_readfirstlane_b32 s5, v4
	s_mul_hi_u32 s14, s72, s14
	s_cvt_u32_f32 s16, s16
	s_mul_i32 s19, s14, s3
	s_add_co_i32 s20, s14, 1
	s_sub_co_i32 s19, s72, s19
	s_mul_f32 s5, s5, 0x4f7ffffe
	s_sub_co_i32 s21, s19, s3
	s_cmp_ge_u32 s19, s3
	s_mul_f32 s18, s18, 0x4f7ffffe
	s_cselect_b32 s14, s20, s14
	s_cselect_b32 s19, s21, s19
	s_add_co_i32 s20, s14, 1
	s_cmp_ge_u32 s19, s3
	s_cvt_u32_f32 s5, s5
	s_cselect_b32 s14, s20, s14
	s_sub_co_i32 s19, 0, s51
	s_sub_co_i32 s20, 0, s2
	s_mul_i32 s19, s19, s17
	s_mul_i32 s20, s20, s16
	s_mul_hi_u32 s19, s17, s19
	s_delay_alu instid0(SALU_CYCLE_1)
	s_add_co_i32 s17, s17, s19
	s_mul_hi_u32 s19, s16, s20
	s_mul_hi_u32 s17, s72, s17
	s_add_co_i32 s48, s16, s19
	s_mul_i32 s20, s17, s51
	s_add_co_i32 s19, s17, 1
	s_sub_co_i32 s16, s72, s20
	s_delay_alu instid0(SALU_CYCLE_1)
	s_sub_co_i32 s20, s16, s51
	s_cmp_ge_u32 s16, s51
	s_cselect_b32 s17, s19, s17
	s_cselect_b32 s16, s20, s16
	s_add_co_i32 s19, s17, 1
	s_cmp_ge_u32 s16, s51
	s_mul_u64 s[20:21], s[14:15], s[48:49]
	s_cselect_b32 s48, s19, s17
	s_sub_co_i32 s15, 0, s35
	s_cvt_u32_f32 s16, s18
	s_mul_i32 s15, s15, s5
	s_sub_co_i32 s18, 0, s50
	s_mul_hi_u32 s15, s5, s15
	s_mul_i32 s18, s18, s16
	s_add_co_i32 s5, s5, s15
	s_mul_hi_u32 s15, s16, s18
	s_mul_hi_u32 s5, s72, s5
	v_readfirstlane_b32 s17, v5
	s_mul_i32 s18, s5, s35
	s_add_co_i32 s16, s16, s15
	s_sub_co_i32 s15, s72, s18
	s_add_co_i32 s18, s5, 1
	s_sub_co_i32 s19, s15, s35
	s_cmp_ge_u32 s15, s35
	s_mul_f32 s17, s17, 0x4f7ffffe
	s_cselect_b32 s5, s18, s5
	s_cselect_b32 s15, s19, s15
	s_add_co_i32 s18, s5, 1
	s_cmp_ge_u32 s15, s35
	s_cvt_u32_f32 s15, s17
	s_cselect_b32 s52, s18, s5
	s_sub_co_i32 s5, 0, s34
	s_mov_b32 s17, s49
	s_mul_i32 s18, s5, s15
	v_cmp_eq_u32_e64 s5, 0, v0
	s_mul_hi_u32 s18, s15, s18
	s_mov_b32 s19, s49
	s_add_co_i32 s18, s15, s18
	s_and_saveexec_b32 s15, s5
; %bb.2:
	v_dual_mov_b32 v2, 0 :: v_dual_mov_b32 v3, s36
	s_delay_alu instid0(VALU_DEP_1)
	v_mov_b32_e32 v4, v2
	ds_store_b96 v2, v[2:4] offset:4096
; %bb.3:
	s_or_b32 exec_lo, exec_lo, s15
	s_mul_i32 s15, s21, s2
	s_mul_i32 s3, s14, s3
	s_sub_co_i32 s15, s14, s15
	s_sub_co_i32 s3, s72, s3
	s_add_co_i32 s20, s21, 1
	s_sub_co_i32 s22, s15, s2
	s_cmp_ge_u32 s15, s2
	s_wait_dscnt 0x0
	s_cselect_b32 s20, s20, s21
	s_cselect_b32 s15, s22, s15
	s_add_co_i32 s21, s20, 1
	s_cmp_ge_u32 s15, s2
	s_barrier_signal -1
	s_cselect_b32 s15, s21, s20
	s_barrier_wait -1
	s_load_b32 s20, s[12:13], 0xc
	s_mul_i32 s2, s15, s2
	s_mul_i32 s3, s3, s10
	s_sub_co_i32 s2, s14, s2
	v_mbcnt_lo_u32_b32 v1, -1, 0
	s_mul_i32 s2, s2, s9
	s_mul_i32 s15, s15, s8
	s_add_co_i32 s2, s2, s3
	s_mov_b32 s61, 0
	s_add_co_i32 s60, s2, s15
	v_cmp_gt_u32_e32 vcc_lo, 32, v0
	s_lshl_b64 s[8:9], s[60:61], 3
	v_cmp_gt_i32_e64 s2, 4, v1
	s_bitcmp1_b32 s38, 0
	s_mul_u64 s[58:59], s[48:49], s[16:17]
	s_cselect_b32 s3, -1, 0
	s_add_nc_u64 s[30:31], s[6:7], s[8:9]
	s_xor_b32 s73, s3, -1
	s_and_b32 s75, vcc_lo, s2
	s_mul_u64 s[56:57], s[52:53], s[18:19]
	s_wait_kmcnt 0x0
	s_and_b32 s43, s20, 0xffff
	s_clause 0x1
	s_load_b96 s[40:42], s[0:1], 0x23c
	s_load_b64 s[14:15], s[0:1], 0x1d0
	s_lshl_b32 s74, s43, 2
	s_cmp_gt_u32 s36, 0x180
	s_cvt_f32_u32 s2, s74
	s_cselect_b32 s76, -1, 0
	s_cmp_gt_u32 s43, 31
	s_cvt_f32_u32 s7, s43
	s_cselect_b32 s77, -1, 0
	s_add_co_i32 s78, s43, -1
	v_rcp_iflag_f32_e32 v2, s2
	s_add_co_i32 s10, s78, s36
	s_cmp_lt_u32 s11, s4
	v_mul_lo_u32 v20, s33, v0
	s_cselect_b32 s60, 12, 18
	s_bfe_u32 s49, s20, 0xb0005
	v_dual_lshlrev_b32 v17, 2, v0 :: v_dual_mov_b32 v23, 0
	s_add_co_i32 s4, s49, -2
	s_load_b64 s[54:55], s[0:1], 0xf0
	s_lshr_b32 s6, s4, 1
                                        ; implicit-def: $vgpr58 : SGPR spill to VGPR lane
	s_delay_alu instid0(VALU_DEP_1)
	v_dual_lshlrev_b32 v40, 5, v0 :: v_dual_bitop2_b32 v4, 3, v17 bitop3:0x54
	s_add_co_i32 s6, s6, 1
	s_cmp_gt_u32 s43, 63
	s_wait_kmcnt 0x0
	v_writelane_b32 v58, s14, 0
	s_cselect_b32 s53, -1, 0
	s_and_b32 s56, s49, 0x7fe
	s_and_b32 s58, s6, 7
	s_cmp_gt_u32 s4, 13
	v_readfirstlane_b32 s4, v2
	s_cselect_b32 s79, -1, 0
	s_and_b32 s80, s6, -8
	s_cmp_lg_u32 s58, 0
	v_rcp_iflag_f32_e32 v2, s7
	s_mul_f32 s4, s4, 0x4f7ffffe
	s_cselect_b32 s81, -1, 0
	s_cmp_lg_u32 s56, s49
	v_writelane_b32 v58, s15, 1
	s_cvt_u32_f32 s6, s4
	s_cselect_b32 s82, -1, 0
	s_sub_co_i32 s4, 0, s74
	v_mad_u32 v35, s33, v17, s33
	s_mul_i32 s4, s4, s6
	v_mul_lo_u32 v37, s33, v4
	s_mul_hi_u32 s8, s6, s4
	v_lshlrev_b32_e32 v38, 2, v20
	s_add_co_i32 s62, s6, s8
	v_readfirstlane_b32 s8, v2
	s_mul_hi_u32 s7, s36, s62
	v_lshlrev_b64_e64 v[2:3], v1, -1
	s_mul_i32 s7, s7, s74
	v_or_b32_e32 v3, 2, v17
	s_sub_co_i32 s7, s36, s7
	s_mul_f32 s8, s8, 0x4f7ffffe
	s_sub_co_i32 s9, s7, s74
	s_cmp_ge_u32 s7, s74
	v_not_b32_e32 v16, v2
	s_cselect_b32 s7, s9, s7
	s_cvt_u32_f32 s8, s8
	s_sub_co_i32 s9, s7, s74
	s_cmp_ge_u32 s7, s74
	v_lshrrev_b32_e32 v2, 1, v0
	s_cselect_b32 s11, s9, s7
	s_sub_co_i32 s7, 0, s43
	s_sub_co_i32 s83, s36, s11
	s_delay_alu instid0(SALU_CYCLE_1) | instskip(SKIP_3) | instid1(VALU_DEP_2)
	v_dual_mov_b32 v21, v23 :: v_dual_add_nc_u32 v33, s83, v0
	s_mul_i32 s7, s7, s8
	v_mul_lo_u32 v36, s33, v3
	s_mul_hi_u32 s7, s8, s7
	v_lshl_add_u64 v[18:19], v[20:21], 3, s[30:31]
	v_lshlrev_b32_e32 v21, 3, v0
	s_add_co_i32 s64, s8, s7
	s_movk_i32 s8, 0x1f0
	s_mul_hi_u32 s7, s10, s64
	v_and_or_b32 v34, v2, s8, 0xc00
	s_mul_i32 s7, s7, s43
	v_add3_u32 v2, s43, s36, v0
	s_sub_co_i32 s7, s10, s7
	v_mul_lo_u32 v22, v33, s33
	s_sub_co_i32 s8, s7, s43
	s_cmp_ge_u32 s7, s43
	v_subrev_nc_u32_e32 v2, s11, v2
	s_cselect_b32 s9, s8, s7
	v_mov_b64_e32 v[28:29], 0
	s_sub_co_i32 s14, s9, s43
	s_cmp_ge_u32 s9, s43
	v_mul_lo_u32 v39, s33, v2
	s_cselect_b32 s9, s14, s9
	v_mov_b64_e32 v[4:5], 0
	s_sub_co_i32 s84, s10, s9
	v_mov_b64_e32 v[26:27], 0
	v_mov_b64_e32 v[30:31], 0
	v_cmp_eq_u32_e64 s2, 0, v1
	v_cmp_gt_u32_e64 s4, s36, v0
	v_cmp_gt_u32_e64 s6, 2, v0
	v_add_nc_u32_e32 v32, 0xc00, v21
	v_cmp_gt_u32_e64 s7, s83, v17
	v_cmp_gt_u32_e64 s8, s36, v33
	v_lshl_add_u64 v[24:25], v[22:23], 3, s[30:31]
	v_cmp_gt_u32_e64 s9, s84, v0
	v_lshl_or_b32 v41, v1, 2, 0xc00
	v_dual_mov_b32 v42, s37 :: v_dual_mov_b32 v6, 1
	s_mul_i32 s47, s33, s43
	s_mov_b32 s63, s61
	s_mov_b32 s65, s61
	s_lshl_b32 s85, s47, 2
	s_lshl_b32 s86, s43, 5
	;; [unrolled: 1-line block ×3, first 2 shown]
	s_mov_b32 s88, 62
	s_add_nc_u64 s[66:67], s[12:13], s[60:61]
	s_mov_b32 s89, 0
	s_mov_b32 s91, 0
                                        ; implicit-def: $sgpr90
                                        ; implicit-def: $sgpr94
                                        ; implicit-def: $sgpr93
                                        ; implicit-def: $sgpr95
                                        ; implicit-def: $sgpr92
                                        ; implicit-def: $sgpr99
                                        ; implicit-def: $sgpr100
                                        ; implicit-def: $sgpr96
                                        ; implicit-def: $sgpr98
                                        ; implicit-def: $sgpr97
	s_branch .LBB49_6
.LBB49_4:                               ;   in Loop: Header=BB49_6 Depth=1
	s_or_b32 exec_lo, exec_lo, s13
	v_mov_b32_e32 v42, v15
	s_and_not1_b32 s13, s97, exec_lo
	s_and_b32 s12, s12, exec_lo
	s_and_not1_b32 s98, s98, exec_lo
	s_or_b32 s97, s13, s12
	s_and_not1_b32 s96, s96, exec_lo
	s_and_not1_b32 s100, s100, exec_lo
	;; [unrolled: 1-line block ×3, first 2 shown]
	s_or_not1_b32 s12, s11, exec_lo
.LBB49_5:                               ;   in Loop: Header=BB49_6 Depth=1
	s_or_b32 exec_lo, exec_lo, s10
	s_delay_alu instid0(SALU_CYCLE_1) | instskip(NEXT) | instid1(SALU_CYCLE_1)
	s_and_b32 s10, exec_lo, s12
	s_or_b32 s89, s10, s89
	s_and_not1_b32 s10, s92, exec_lo
	s_and_b32 s11, s97, exec_lo
	s_and_not1_b32 s12, s95, exec_lo
	s_or_b32 s92, s10, s11
	s_and_b32 s10, s98, exec_lo
	s_and_not1_b32 s11, s93, exec_lo
	s_and_b32 s13, s96, exec_lo
	s_or_b32 s95, s12, s10
	s_or_b32 s93, s11, s13
	s_and_not1_b32 s10, s94, exec_lo
	s_and_b32 s11, s100, exec_lo
	s_and_not1_b32 s12, s90, exec_lo
	s_and_b32 s13, s99, exec_lo
	s_or_b32 s94, s10, s11
	s_or_b32 s90, s12, s13
	s_and_not1_b32 exec_lo, exec_lo, s89
	s_cbranch_execz .LBB49_395
.LBB49_6:                               ; =>This Loop Header: Depth=1
                                        ;     Child Loop BB49_12 Depth 2
                                        ;     Child Loop BB49_25 Depth 2
	;; [unrolled: 1-line block ×25, first 2 shown]
	ds_load_b64 v[2:3], v23 offset:4096
	s_wait_dscnt 0x0
	v_readfirstlane_b32 s60, v2
	s_cmp_lg_u32 s60, 0
	s_cbranch_scc1 .LBB49_33
; %bb.7:                                ;   in Loop: Header=BB49_6 Depth=1
	s_and_b32 vcc_lo, exec_lo, s76
	s_cbranch_vccz .LBB49_20
; %bb.8:                                ;   in Loop: Header=BB49_6 Depth=1
	v_cmp_gt_u32_e32 vcc_lo, 0x181, v3
	s_mov_b32 s12, 0
	s_mov_b32 s10, 0
	s_cbranch_vccz .LBB49_21
; %bb.9:                                ;   in Loop: Header=BB49_6 Depth=1
	s_and_saveexec_b32 s13, s4
	s_cbranch_execz .LBB49_83
; %bb.10:                               ;   in Loop: Header=BB49_6 Depth=1
	global_load_b64 v[2:3], v[18:19], off
	s_load_u16 s14, s[66:67], 0x0
	s_mov_b32 s16, 0
	s_wait_kmcnt 0x0
	v_dual_mov_b32 v10, v0 :: v_dual_add_nc_u32 v7, s14, v0
	s_mul_i32 s15, s33, s14
	s_delay_alu instid0(VALU_DEP_1)
	v_mul_lo_u32 v7, s33, v7
	s_branch .LBB49_12
.LBB49_11:                              ;   in Loop: Header=BB49_12 Depth=2
	s_or_b32 exec_lo, exec_lo, s11
	v_mov_b64_e32 v[2:3], v[8:9]
	v_add_nc_u32_e32 v7, s15, v7
	s_and_not1_b32 exec_lo, exec_lo, s16
	s_cbranch_execz .LBB49_83
.LBB49_12:                              ;   Parent Loop BB49_6 Depth=1
                                        ; =>  This Inner Loop Header: Depth=2
	v_mov_b64_e32 v[8:9], 0
	v_add_nc_u32_e32 v10, s14, v10
	s_mov_b32 s11, exec_lo
	s_delay_alu instid0(VALU_DEP_1)
	v_cmp_le_u32_e32 vcc_lo, s36, v10
	v_cmpx_gt_u32_e64 s36, v10
	s_cbranch_execz .LBB49_14
; %bb.13:                               ;   in Loop: Header=BB49_12 Depth=2
	global_load_b64 v[8:9], v7, s[30:31] scale_offset
.LBB49_14:                              ;   in Loop: Header=BB49_12 Depth=2
	s_wait_xcnt 0x0
	s_or_b32 exec_lo, exec_lo, s11
	s_wait_loadcnt_dscnt 0x0
	v_xor_b32_e32 v11, 0x80000000, v3
	v_and_b32_e32 v12, v2, v30
	s_delay_alu instid0(VALU_DEP_2) | instskip(NEXT) | instid1(VALU_DEP_1)
	v_dual_mov_b32 v11, 0 :: v_dual_bitop2_b32 v13, v11, v31 bitop3:0x40
	v_cmp_eq_u64_e64 s10, v[12:13], v[26:27]
	s_cmp_lg_u32 s10, 0
	s_cselect_b32 s11, -1, 0
	s_delay_alu instid0(SALU_CYCLE_1) | instskip(NEXT) | instid1(SALU_CYCLE_1)
	s_and_b32 s11, s2, s11
	s_and_saveexec_b32 s17, s11
	s_cbranch_execz .LBB49_18
; %bb.15:                               ;   in Loop: Header=BB49_12 Depth=2
	s_mov_b32 s20, exec_lo
	s_bcnt1_i32_b32 s18, s10
	v_mbcnt_lo_u32_b32 v11, s20, 0
	s_mov_b32 s19, exec_lo
                                        ; implicit-def: $vgpr12
	s_delay_alu instid0(VALU_DEP_1)
	v_cmpx_eq_u32_e32 0, v11
; %bb.16:                               ;   in Loop: Header=BB49_12 Depth=2
	s_bcnt1_i32_b32 s11, s20
	s_delay_alu instid0(SALU_CYCLE_1) | instskip(NEXT) | instid1(SALU_CYCLE_1)
	s_mul_i32 s11, s18, s11
	v_mov_b32_e32 v12, s11
	ds_add_rtn_u32 v12, v23, v12 offset:4104
; %bb.17:                               ;   in Loop: Header=BB49_12 Depth=2
	s_or_b32 exec_lo, exec_lo, s19
	s_wait_dscnt 0x0
	v_readfirstlane_b32 s11, v12
	s_delay_alu instid0(VALU_DEP_1)
	v_mad_u32_u24 v11, s18, v11, s11
.LBB49_18:                              ;   in Loop: Header=BB49_12 Depth=2
	s_or_b32 exec_lo, exec_lo, s17
	ds_bpermute_b32 v11, v23, v11
	s_and_b32 s11, exec_lo, vcc_lo
	s_delay_alu instid0(SALU_CYCLE_1)
	s_or_b32 s16, s11, s16
	s_and_saveexec_b32 s11, s10
	s_cbranch_execz .LBB49_11
; %bb.19:                               ;   in Loop: Header=BB49_12 Depth=2
	v_and_b32_e32 v12, s10, v16
	s_delay_alu instid0(VALU_DEP_1) | instskip(NEXT) | instid1(VALU_DEP_1)
	v_bcnt_u32_b32 v12, v12, 0
	v_lshlrev_b32_e32 v12, 3, v12
	s_wait_dscnt 0x0
	s_delay_alu instid0(VALU_DEP_1)
	v_lshl_add_u32 v11, v11, 3, v12
	ds_store_b64 v11, v[2:3]
	s_branch .LBB49_11
.LBB49_20:                              ;   in Loop: Header=BB49_6 Depth=1
	s_mov_b32 s12, -1
	s_mov_b32 s10, 0
.LBB49_21:                              ;   in Loop: Header=BB49_6 Depth=1
	s_and_b32 vcc_lo, exec_lo, s12
	s_cbranch_vccz .LBB49_31
.LBB49_22:                              ;   in Loop: Header=BB49_6 Depth=1
	s_and_saveexec_b32 s10, s4
	s_cbranch_execz .LBB49_28
; %bb.23:                               ;   in Loop: Header=BB49_6 Depth=1
	global_load_b64 v[2:3], v[18:19], off
	s_load_u16 s12, s[66:67], 0x0
	s_mov_b32 s11, exec_lo
	s_wait_kmcnt 0x0
	v_dual_mov_b32 v7, v0 :: v_dual_add_nc_u32 v8, s12, v0
	s_delay_alu instid0(VALU_DEP_1)
	v_cmpx_gt_u32_e64 s36, v8
	s_cbranch_execz .LBB49_27
; %bb.24:                               ;   in Loop: Header=BB49_6 Depth=1
	v_mul_lo_u32 v10, s33, v8
	v_dual_mov_b32 v11, v21 :: v_dual_mov_b32 v7, v0
	s_lshl_b32 s13, s12, 3
	s_mul_i32 s15, s33, s12
	s_mov_b32 s14, 0
.LBB49_25:                              ;   Parent Loop BB49_6 Depth=1
                                        ; =>  This Inner Loop Header: Depth=2
	global_load_b64 v[8:9], v10, s[30:31] scale_offset
	s_wait_xcnt 0x0
	v_dual_add_nc_u32 v7, s12, v7 :: v_dual_add_nc_u32 v10, s15, v10
	s_wait_loadcnt 0x1
	ds_store_b64 v11, v[2:3]
	v_add_nc_u32_e32 v11, s13, v11
	v_add_nc_u32_e32 v12, s12, v7
	s_delay_alu instid0(VALU_DEP_1)
	v_cmp_le_u32_e32 vcc_lo, s36, v12
	s_or_b32 s14, vcc_lo, s14
	s_wait_loadcnt 0x0
	v_mov_b64_e32 v[2:3], v[8:9]
	s_and_not1_b32 exec_lo, exec_lo, s14
	s_cbranch_execnz .LBB49_25
; %bb.26:                               ;   in Loop: Header=BB49_6 Depth=1
	s_or_b32 exec_lo, exec_lo, s14
	v_mov_b64_e32 v[2:3], v[8:9]
.LBB49_27:                              ;   in Loop: Header=BB49_6 Depth=1
	s_or_b32 exec_lo, exec_lo, s11
	s_delay_alu instid0(VALU_DEP_2)
	v_lshlrev_b32_e32 v7, 3, v7
	s_wait_loadcnt 0x0
	ds_store_b64 v7, v[2:3]
.LBB49_28:                              ;   in Loop: Header=BB49_6 Depth=1
	s_or_b32 exec_lo, exec_lo, s10
	s_wait_dscnt 0x0
	s_barrier_signal -1
	s_barrier_wait -1
	s_and_saveexec_b32 s10, s5
; %bb.29:                               ;   in Loop: Header=BB49_6 Depth=1
	v_mov_b32_e32 v2, s36
	ds_store_b32 v23, v2 offset:4096
; %bb.30:                               ;   in Loop: Header=BB49_6 Depth=1
	s_or_b32 exec_lo, exec_lo, s10
	s_mov_b32 s10, -1
	s_wait_dscnt 0x0
	s_barrier_signal -1
	s_barrier_wait -1
.LBB49_31:                              ;   in Loop: Header=BB49_6 Depth=1
	s_and_b32 vcc_lo, exec_lo, s10
	s_mov_b32 s60, 0
	s_cbranch_vccz .LBB49_33
; %bb.32:                               ;   in Loop: Header=BB49_6 Depth=1
	ds_load_b32 v2, v23 offset:4096
	s_wait_dscnt 0x0
	v_readfirstlane_b32 s60, v2
.LBB49_33:                              ;   in Loop: Header=BB49_6 Depth=1
	s_delay_alu instid0(VALU_DEP_1)
	s_cmp_lt_i32 s60, 1
	s_mov_b32 s10, -1
                                        ; implicit-def: $vgpr10_vgpr11
	s_cbranch_scc1 .LBB49_46
; %bb.34:                               ;   in Loop: Header=BB49_6 Depth=1
	s_and_b32 vcc_lo, exec_lo, s10
	s_cbranch_vccnz .LBB49_57
.LBB49_35:                              ;   in Loop: Header=BB49_6 Depth=1
	s_lshl_b32 s12, s91, 7
	s_and_saveexec_b32 s10, s2
.LBB49_36:                              ;   in Loop: Header=BB49_6 Depth=1
	v_lshl_add_u32 v2, s12, 2, v34
	ds_store_b128 v2, v[8:11]
.LBB49_37:                              ;   in Loop: Header=BB49_6 Depth=1
	s_or_b32 exec_lo, exec_lo, s10
	s_wait_dscnt 0x0
	s_barrier_signal -1
	s_barrier_wait -1
	s_and_saveexec_b32 s13, s75
	s_cbranch_execz .LBB49_70
; %bb.38:                               ;   in Loop: Header=BB49_6 Depth=1
	v_dual_mov_b32 v2, 0 :: v_dual_add_nc_u32 v7, s12, v1
	s_and_not1_b32 vcc_lo, exec_lo, s77
	s_cbranch_vccnz .LBB49_69
; %bb.39:                               ;   in Loop: Header=BB49_6 Depth=1
	s_and_not1_b32 vcc_lo, exec_lo, s53
	s_cbranch_vccnz .LBB49_66
; %bb.40:                               ;   in Loop: Header=BB49_6 Depth=1
	v_lshl_add_u32 v8, v7, 2, 0xc00
	s_and_not1_b32 vcc_lo, exec_lo, s79
	s_cbranch_vccnz .LBB49_97
; %bb.41:                               ;   in Loop: Header=BB49_6 Depth=1
	v_dual_mov_b32 v2, 0 :: v_dual_mov_b32 v3, 0
	s_mov_b32 s11, 1
	s_mov_b32 s10, 0
	;; [unrolled: 1-line block ×3, first 2 shown]
.LBB49_42:                              ;   Parent Loop BB49_6 Depth=1
                                        ; =>  This Inner Loop Header: Depth=2
	v_lshl_add_u32 v9, s11, 4, v8
	v_lshl_add_u32 v22, s10, 4, v8
	s_add_co_i32 s14, s14, -8
	s_add_co_i32 s11, s11, 16
	s_add_co_i32 s10, s10, 16
	ds_load_2addr_b32 v[10:11], v9 offset1:8
	ds_load_2addr_b32 v[12:13], v22 offset1:8
	ds_load_2addr_b32 v[14:15], v9 offset0:16 offset1:24
	ds_load_2addr_b32 v[44:45], v22 offset0:16 offset1:24
	ds_load_2addr_b32 v[46:47], v9 offset0:32 offset1:40
	ds_load_2addr_b32 v[48:49], v22 offset0:32 offset1:40
	ds_load_2addr_b32 v[50:51], v9 offset0:48 offset1:56
	ds_load_2addr_b32 v[52:53], v22 offset0:48 offset1:56
	s_cmp_lg_u32 s14, 0
	s_wait_dscnt 0x7
	v_add3_u32 v3, v10, v3, v11
	s_wait_dscnt 0x6
	v_add3_u32 v2, v12, v2, v13
	s_wait_dscnt 0x5
	s_delay_alu instid0(VALU_DEP_2) | instskip(SKIP_1) | instid1(VALU_DEP_2)
	v_add3_u32 v3, v14, v3, v15
	s_wait_dscnt 0x4
	v_add3_u32 v2, v44, v2, v45
	s_wait_dscnt 0x3
	s_delay_alu instid0(VALU_DEP_2) | instskip(SKIP_1) | instid1(VALU_DEP_2)
	;; [unrolled: 5-line block ×3, first 2 shown]
	v_add3_u32 v3, v50, v3, v51
	s_wait_dscnt 0x0
	v_add3_u32 v2, v52, v2, v53
	s_cbranch_scc1 .LBB49_42
; %bb.43:                               ;   in Loop: Header=BB49_6 Depth=1
	s_and_not1_b32 vcc_lo, exec_lo, s81
	s_mov_b32 s14, s58
	s_cbranch_vccnz .LBB49_45
.LBB49_44:                              ;   Parent Loop BB49_6 Depth=1
                                        ; =>  This Inner Loop Header: Depth=2
	v_lshl_add_u32 v9, s11, 4, v8
	v_lshl_add_u32 v10, s10, 4, v8
	s_add_co_i32 s14, s14, -1
	s_add_co_i32 s11, s11, 2
	s_add_co_i32 s10, s10, 2
	ds_load_b32 v9, v9
	ds_load_b32 v10, v10
	s_cmp_lg_u32 s14, 0
	s_wait_dscnt 0x0
	v_dual_add_nc_u32 v3, v9, v3 :: v_dual_add_nc_u32 v2, v10, v2
	s_cbranch_scc1 .LBB49_44
.LBB49_45:                              ;   in Loop: Header=BB49_6 Depth=1
	s_delay_alu instid0(VALU_DEP_1) | instskip(SKIP_2) | instid1(SALU_CYCLE_1)
	v_add_nc_u32_e32 v2, v2, v3
	s_mov_b32 s10, s56
	s_mov_b32 s11, s82
	s_and_b32 vcc_lo, exec_lo, s11
	s_cbranch_vccnz .LBB49_67
	s_branch .LBB49_69
.LBB49_46:                              ;   in Loop: Header=BB49_6 Depth=1
	v_mov_b64_e32 v[10:11], 0
	v_mov_b64_e32 v[8:9], 0
	s_and_saveexec_b32 s101, s7
	s_cbranch_execz .LBB49_50
; %bb.47:                               ;   in Loop: Header=BB49_6 Depth=1
	v_mov_b32_e32 v7, v17
	s_mov_b32 s102, 0
	s_mov_b32 s103, 0
	;; [unrolled: 1-line block ×6, first 2 shown]
.LBB49_48:                              ;   Parent Loop BB49_6 Depth=1
                                        ; =>  This Inner Loop Header: Depth=2
	v_dual_add_nc_u32 v2, s103, v38 :: v_dual_add_nc_u32 v3, s103, v35
	v_dual_add_nc_u32 v8, s103, v36 :: v_dual_add_nc_u32 v14, s103, v37
	v_dual_add_nc_u32 v7, s74, v7 :: v_dual_mov_b32 v15, v23
	s_clause 0x3
	global_load_b64 v[12:13], v2, s[30:31] scale_offset
	global_load_b64 v[10:11], v3, s[30:31] scale_offset
	;; [unrolled: 1-line block ×4, first 2 shown]
	v_dual_mov_b32 v45, v23 :: v_dual_mov_b32 v47, v23
	v_cmp_le_u32_e32 vcc_lo, s83, v7
	s_add_co_i32 s103, s103, s85
	s_wait_loadcnt 0x3
	v_xor_b32_e32 v13, 0x80000000, v13
	s_wait_loadcnt 0x2
	v_xor_b32_e32 v11, 0x80000000, v11
	;; [unrolled: 2-line block ×3, first 2 shown]
	v_and_b32_e32 v48, v12, v30
	s_wait_loadcnt 0x0
	v_xor_b32_e32 v3, 0x80000000, v3
	v_and_b32_e32 v49, v13, v31
	v_lshrrev_b64 v[12:13], s88, v[12:13]
	v_and_b32_e32 v50, v10, v30
	v_and_b32_e32 v51, v11, v31
	v_lshrrev_b64 v[10:11], s88, v[10:11]
	v_and_b32_e32 v52, v8, v30
	;; [unrolled: 3-line block ×4, first 2 shown]
	v_and_b32_e32 v14, 3, v10
	v_cmp_eq_u64_e64 s10, v[48:49], v[26:27]
	v_and_b32_e32 v44, 3, v8
	v_cmp_eq_u64_e64 s11, v[50:51], v[26:27]
	v_cmp_eq_u64_e64 s14, 0, v[22:23]
	v_and_b32_e32 v46, 3, v2
	v_cmp_eq_u64_e64 s15, 0, v[14:15]
	v_cmp_eq_u64_e64 s12, v[52:53], v[26:27]
	;; [unrolled: 1-line block ×5, first 2 shown]
	s_and_b32 s14, s10, s14
	v_cmp_eq_u64_e64 s18, 1, v[22:23]
	v_cndmask_b32_e64 v2, 0, 1, s14
	s_and_b32 s14, s11, s15
	v_cmp_eq_u64_e64 s19, 1, v[14:15]
	v_cndmask_b32_e64 v3, 0, 1, s14
	;; [unrolled: 3-line block ×4, first 2 shown]
	s_and_b32 s14, s10, s18
	v_cmp_eq_u64_e64 s22, 2, v[22:23]
	v_cmp_eq_u64_e64 s26, 3, v[22:23]
	v_cndmask_b32_e64 v10, 0, 1, s14
	s_and_b32 s14, s11, s19
	v_cmp_eq_u64_e64 s23, 2, v[14:15]
	v_cmp_eq_u64_e64 s27, 3, v[14:15]
	v_cndmask_b32_e64 v11, 0, 1, s14
	;; [unrolled: 4-line block ×4, first 2 shown]
	s_and_b32 s14, s10, s22
	s_and_b32 s10, s10, s26
	v_cndmask_b32_e64 v14, 0, 1, s14
	s_and_b32 s14, s11, s23
	v_cndmask_b32_e64 v44, 0, 1, s10
	;; [unrolled: 2-line block ×7, first 2 shown]
	v_cndmask_b32_e64 v47, 0, 1, s10
	v_cmp_ne_u32_e64 s10, 0, v2
	v_cmp_ne_u32_e64 s14, 0, v10
	v_cmp_ne_u32_e64 s18, 0, v14
	v_cmp_ne_u32_e64 s22, 0, v44
	v_cmp_ne_u32_e64 s11, 0, v3
	v_cmp_ne_u32_e64 s15, 0, v11
	v_cmp_ne_u32_e64 s19, 0, v15
	v_cmp_ne_u32_e64 s23, 0, v45
	v_cmp_ne_u32_e64 s12, 0, v8
	v_cmp_ne_u32_e64 s16, 0, v12
	v_cmp_ne_u32_e64 s20, 0, v22
	v_cmp_ne_u32_e64 s24, 0, v46
	s_bcnt1_i32_b32 s10, s10
	s_bcnt1_i32_b32 s14, s14
	;; [unrolled: 1-line block ×4, first 2 shown]
	v_cmp_ne_u32_e64 s13, 0, v9
	v_cmp_ne_u32_e64 s17, 0, v13
	;; [unrolled: 1-line block ×4, first 2 shown]
	s_bcnt1_i32_b32 s11, s11
	s_bcnt1_i32_b32 s15, s15
	s_bcnt1_i32_b32 s19, s19
	s_bcnt1_i32_b32 s23, s23
	s_add_co_i32 s10, s10, s68
	s_add_co_i32 s14, s14, s69
	s_add_co_i32 s18, s18, s70
	s_add_co_i32 s22, s22, s71
	s_bcnt1_i32_b32 s12, s12
	s_bcnt1_i32_b32 s16, s16
	s_bcnt1_i32_b32 s20, s20
	s_bcnt1_i32_b32 s24, s24
	s_add_co_i32 s14, s14, s15
	s_add_co_i32 s10, s10, s11
	s_add_co_i32 s11, s22, s23
	s_add_co_i32 s15, s18, s19
	;; [unrolled: 8-line block ×3, first 2 shown]
	s_add_co_i32 s69, s12, s17
	s_add_co_i32 s68, s10, s13
	;; [unrolled: 1-line block ×4, first 2 shown]
	v_mov_b64_e32 v[8:9], s[68:69]
	v_mov_b64_e32 v[10:11], s[70:71]
	s_or_b32 s102, vcc_lo, s102
	s_delay_alu instid0(SALU_CYCLE_1)
	s_and_not1_b32 exec_lo, exec_lo, s102
	s_cbranch_execnz .LBB49_48
; %bb.49:                               ;   in Loop: Header=BB49_6 Depth=1
	s_or_b32 exec_lo, exec_lo, s102
.LBB49_50:                              ;   in Loop: Header=BB49_6 Depth=1
	s_delay_alu instid0(SALU_CYCLE_1)
	s_or_b32 exec_lo, exec_lo, s101
	s_and_saveexec_b32 s14, s8
	s_cbranch_execz .LBB49_56
; %bb.51:                               ;   in Loop: Header=BB49_6 Depth=1
	global_load_b64 v[12:13], v[24:25], off
	v_dual_mov_b32 v7, v39 :: v_dual_mov_b32 v14, v33
	s_mov_b32 s15, 0
	s_branch .LBB49_53
.LBB49_52:                              ;   in Loop: Header=BB49_53 Depth=2
	s_wait_xcnt 0x0
	s_or_b32 exec_lo, exec_lo, s11
	s_wait_loadcnt 0x0
	v_xor_b32_e32 v13, 0x80000000, v13
	s_and_b32 s13, exec_lo, vcc_lo
	v_add_nc_u32_e32 v7, s47, v7
	s_or_b32 s15, s13, s15
	s_delay_alu instid0(VALU_DEP_2) | instskip(SKIP_2) | instid1(VALU_DEP_1)
	v_lshrrev_b64 v[44:45], s88, v[12:13]
	v_and_b32_e32 v12, v12, v30
	v_and_b32_e32 v13, v13, v31
	v_cmp_eq_u64_e64 s10, v[12:13], v[26:27]
	s_delay_alu instid0(VALU_DEP_4) | instskip(NEXT) | instid1(VALU_DEP_1)
	v_and_b32_e32 v22, 3, v44
	v_cmp_eq_u64_e64 s11, 0, v[22:23]
	v_cmp_eq_u64_e64 s12, 1, v[22:23]
	v_cmp_eq_u64_e32 vcc_lo, 2, v[22:23]
	v_cmp_eq_u64_e64 s13, 3, v[22:23]
	s_and_b32 s11, s10, s11
	s_delay_alu instid0(SALU_CYCLE_1) | instskip(SKIP_1) | instid1(SALU_CYCLE_1)
	v_cndmask_b32_e64 v12, 0, 1, s11
	s_and_b32 s11, s10, s12
	v_cndmask_b32_e64 v13, 0, 1, s11
	s_and_b32 s11, s10, vcc_lo
	s_and_b32 s10, s10, s13
	v_cndmask_b32_e64 v15, 0, 1, s11
	v_cndmask_b32_e64 v22, 0, 1, s10
	v_cmp_ne_u32_e32 vcc_lo, 0, v12
	v_cmp_ne_u32_e64 s10, 0, v13
	v_mov_b64_e32 v[12:13], v[2:3]
	v_cmp_ne_u32_e64 s11, 0, v15
	v_cmp_ne_u32_e64 s12, 0, v22
	s_bcnt1_i32_b32 s13, vcc_lo
	s_bcnt1_i32_b32 s10, s10
	s_bcnt1_i32_b32 s11, s11
	;; [unrolled: 1-line block ×3, first 2 shown]
	v_dual_add_nc_u32 v9, s10, v9 :: v_dual_add_nc_u32 v8, s13, v8
	v_dual_add_nc_u32 v10, s11, v10 :: v_dual_add_nc_u32 v11, s12, v11
	s_and_not1_b32 exec_lo, exec_lo, s15
	s_cbranch_execz .LBB49_55
.LBB49_53:                              ;   Parent Loop BB49_6 Depth=1
                                        ; =>  This Inner Loop Header: Depth=2
	v_mov_b64_e32 v[2:3], 0
	s_delay_alu instid0(VALU_DEP_2) | instskip(SKIP_1) | instid1(VALU_DEP_1)
	v_add_nc_u32_e32 v14, s43, v14
	s_mov_b32 s11, exec_lo
	v_cmp_le_u32_e32 vcc_lo, s36, v14
	s_wait_xcnt 0x0
	v_cmpx_gt_u32_e64 s36, v14
	s_cbranch_execz .LBB49_52
; %bb.54:                               ;   in Loop: Header=BB49_53 Depth=2
	global_load_b64 v[2:3], v7, s[30:31] scale_offset
	s_branch .LBB49_52
.LBB49_55:                              ;   in Loop: Header=BB49_6 Depth=1
	s_or_b32 exec_lo, exec_lo, s15
.LBB49_56:                              ;   in Loop: Header=BB49_6 Depth=1
	s_delay_alu instid0(SALU_CYCLE_1)
	s_or_b32 exec_lo, exec_lo, s14
	s_branch .LBB49_35
.LBB49_57:                              ;   in Loop: Header=BB49_6 Depth=1
	s_mul_u64 s[10:11], s[60:61], s[62:63]
	v_mov_b64_e32 v[10:11], 0
	s_mul_i32 s10, s11, s74
	v_mov_b64_e32 v[8:9], 0
	s_sub_co_i32 s10, s60, s10
	s_mov_b32 s102, exec_lo
	s_sub_co_i32 s11, s10, s74
	s_cmp_ge_u32 s10, s74
	s_cselect_b32 s10, s11, s10
	s_delay_alu instid0(SALU_CYCLE_1) | instskip(SKIP_2) | instid1(SALU_CYCLE_1)
	s_sub_co_i32 s11, s10, s74
	s_cmp_ge_u32 s10, s74
	s_cselect_b32 s10, s11, s10
	s_sub_co_i32 s101, s60, s10
	s_delay_alu instid0(SALU_CYCLE_1)
	v_cmpx_gt_u32_e64 s101, v17
	s_cbranch_execz .LBB49_61
; %bb.58:                               ;   in Loop: Header=BB49_6 Depth=1
	v_dual_mov_b32 v2, v40 :: v_dual_mov_b32 v3, v17
	s_mov_b32 s103, 0
	s_mov_b32 s68, 0
	;; [unrolled: 1-line block ×5, first 2 shown]
.LBB49_59:                              ;   Parent Loop BB49_6 Depth=1
                                        ; =>  This Inner Loop Header: Depth=2
	ds_load_b128 v[12:15], v2
	ds_load_b128 v[8:11], v2 offset:16
	v_dual_add_nc_u32 v3, s74, v3 :: v_dual_mov_b32 v45, v23
	v_dual_mov_b32 v47, v23 :: v_dual_mov_b32 v49, v23
	s_delay_alu instid0(VALU_DEP_2)
	v_cmp_le_u32_e32 vcc_lo, s101, v3
	s_wait_dscnt 0x1
	v_xor_b32_e32 v13, 0x80000000, v13
	v_xor_b32_e32 v15, 0x80000000, v15
	s_wait_dscnt 0x0
	v_xor_b32_e32 v9, 0x80000000, v9
	v_add_nc_u32_e32 v2, s86, v2
	v_and_b32_e32 v50, v12, v30
	v_and_b32_e32 v51, v13, v31
	v_lshrrev_b64 v[12:13], s88, v[12:13]
	v_xor_b32_e32 v11, 0x80000000, v11
	v_and_b32_e32 v52, v14, v30
	v_and_b32_e32 v53, v15, v31
	v_lshrrev_b64 v[14:15], s88, v[14:15]
	v_and_b32_e32 v54, v8, v30
	v_and_b32_e32 v55, v9, v31
	v_lshrrev_b64 v[8:9], s88, v[8:9]
	;; [unrolled: 3-line block ×3, first 2 shown]
	v_and_b32_e32 v22, 3, v12
	v_and_b32_e32 v44, 3, v14
	v_cmp_eq_u64_e64 s10, v[50:51], v[26:27]
	v_and_b32_e32 v46, 3, v8
	v_cmp_eq_u64_e64 s11, v[52:53], v[26:27]
	v_cmp_eq_u64_e64 s14, 0, v[22:23]
	v_and_b32_e32 v48, 3, v10
	v_cmp_eq_u64_e64 s15, 0, v[44:45]
	v_cmp_eq_u64_e64 s12, v[54:55], v[26:27]
	;; [unrolled: 1-line block ×5, first 2 shown]
	s_and_b32 s14, s10, s14
	v_cmp_eq_u64_e64 s18, 1, v[22:23]
	v_cndmask_b32_e64 v7, 0, 1, s14
	s_and_b32 s14, s11, s15
	v_cmp_eq_u64_e64 s19, 1, v[44:45]
	v_cndmask_b32_e64 v8, 0, 1, s14
	;; [unrolled: 3-line block ×4, first 2 shown]
	s_and_b32 s14, s10, s18
	v_cmp_eq_u64_e64 s22, 2, v[22:23]
	v_cmp_eq_u64_e64 s26, 3, v[22:23]
	v_cndmask_b32_e64 v11, 0, 1, s14
	s_and_b32 s14, s11, s19
	v_cmp_eq_u64_e64 s23, 2, v[44:45]
	v_cmp_eq_u64_e64 s27, 3, v[44:45]
	v_cndmask_b32_e64 v12, 0, 1, s14
	;; [unrolled: 4-line block ×4, first 2 shown]
	s_and_b32 s14, s10, s22
	s_and_b32 s10, s10, s26
	v_cndmask_b32_e64 v15, 0, 1, s14
	s_and_b32 s14, s11, s23
	v_cndmask_b32_e64 v45, 0, 1, s10
	;; [unrolled: 2-line block ×7, first 2 shown]
	v_cndmask_b32_e64 v48, 0, 1, s10
	v_cmp_ne_u32_e64 s10, 0, v7
	v_cmp_ne_u32_e64 s14, 0, v11
	;; [unrolled: 1-line block ×12, first 2 shown]
	s_bcnt1_i32_b32 s10, s10
	s_bcnt1_i32_b32 s14, s14
	;; [unrolled: 1-line block ×4, first 2 shown]
	v_cmp_ne_u32_e64 s13, 0, v10
	v_cmp_ne_u32_e64 s17, 0, v14
	v_cmp_ne_u32_e64 s21, 0, v44
	v_cmp_ne_u32_e64 s25, 0, v48
	s_bcnt1_i32_b32 s11, s11
	s_bcnt1_i32_b32 s15, s15
	s_bcnt1_i32_b32 s19, s19
	s_bcnt1_i32_b32 s23, s23
	s_add_co_i32 s10, s10, s68
	s_add_co_i32 s14, s14, s69
	s_add_co_i32 s18, s18, s70
	s_add_co_i32 s22, s22, s71
	s_bcnt1_i32_b32 s12, s12
	s_bcnt1_i32_b32 s16, s16
	s_bcnt1_i32_b32 s20, s20
	s_bcnt1_i32_b32 s24, s24
	s_add_co_i32 s14, s14, s15
	s_add_co_i32 s10, s10, s11
	s_add_co_i32 s11, s22, s23
	s_add_co_i32 s15, s18, s19
	;; [unrolled: 8-line block ×3, first 2 shown]
	s_add_co_i32 s69, s12, s17
	s_add_co_i32 s68, s10, s13
	;; [unrolled: 1-line block ×4, first 2 shown]
	v_mov_b64_e32 v[8:9], s[68:69]
	v_mov_b64_e32 v[10:11], s[70:71]
	s_or_b32 s103, vcc_lo, s103
	s_delay_alu instid0(SALU_CYCLE_1)
	s_and_not1_b32 exec_lo, exec_lo, s103
	s_cbranch_execnz .LBB49_59
; %bb.60:                               ;   in Loop: Header=BB49_6 Depth=1
	s_or_b32 exec_lo, exec_lo, s103
.LBB49_61:                              ;   in Loop: Header=BB49_6 Depth=1
	s_delay_alu instid0(SALU_CYCLE_1) | instskip(SKIP_2) | instid1(VALU_DEP_1)
	s_or_b32 exec_lo, exec_lo, s102
	v_add_nc_u32_e32 v2, s101, v0
	s_mov_b32 s15, exec_lo
	v_cmpx_gt_u32_e64 s60, v2
	s_cbranch_execz .LBB49_65
; %bb.62:                               ;   in Loop: Header=BB49_6 Depth=1
	v_lshlrev_b32_e32 v3, 3, v2
	s_mov_b32 s16, 0
.LBB49_63:                              ;   Parent Loop BB49_6 Depth=1
                                        ; =>  This Inner Loop Header: Depth=2
	ds_load_b64 v[12:13], v3
	v_dual_add_nc_u32 v2, s43, v2 :: v_dual_add_nc_u32 v3, s87, v3
	s_delay_alu instid0(VALU_DEP_1) | instskip(SKIP_3) | instid1(VALU_DEP_2)
	v_cmp_le_u32_e32 vcc_lo, s60, v2
	s_wait_dscnt 0x0
	v_xor_b32_e32 v13, 0x80000000, v13
	v_and_b32_e32 v14, v12, v30
	v_lshrrev_b64 v[44:45], s88, v[12:13]
	v_and_b32_e32 v15, v13, v31
	s_delay_alu instid0(VALU_DEP_1) | instskip(NEXT) | instid1(VALU_DEP_3)
	v_cmp_eq_u64_e64 s10, v[14:15], v[26:27]
	v_and_b32_e32 v22, 3, v44
	s_delay_alu instid0(VALU_DEP_1) | instskip(SKIP_4) | instid1(SALU_CYCLE_1)
	v_cmp_eq_u64_e64 s11, 0, v[22:23]
	v_cmp_eq_u64_e64 s12, 1, v[22:23]
	;; [unrolled: 1-line block ×4, first 2 shown]
	s_and_b32 s11, s10, s11
	v_cndmask_b32_e64 v7, 0, 1, s11
	s_and_b32 s11, s10, s12
	s_delay_alu instid0(SALU_CYCLE_1)
	v_cndmask_b32_e64 v12, 0, 1, s11
	s_and_b32 s11, s10, s13
	s_and_b32 s10, s10, s14
	v_cndmask_b32_e64 v13, 0, 1, s11
	v_cndmask_b32_e64 v14, 0, 1, s10
	v_cmp_ne_u32_e64 s10, 0, v7
	v_cmp_ne_u32_e64 s11, 0, v12
	s_delay_alu instid0(VALU_DEP_4) | instskip(NEXT) | instid1(VALU_DEP_4)
	v_cmp_ne_u32_e64 s12, 0, v13
	v_cmp_ne_u32_e64 s13, 0, v14
	s_bcnt1_i32_b32 s10, s10
	s_bcnt1_i32_b32 s11, s11
	v_add_nc_u32_e32 v8, s10, v8
	s_bcnt1_i32_b32 s12, s12
	s_bcnt1_i32_b32 s13, s13
	s_delay_alu instid0(SALU_CYCLE_1) | instskip(SKIP_2) | instid1(SALU_CYCLE_1)
	v_dual_add_nc_u32 v9, s11, v9 :: v_dual_add_nc_u32 v11, s13, v11
	v_add_nc_u32_e32 v10, s12, v10
	s_or_b32 s16, vcc_lo, s16
	s_and_not1_b32 exec_lo, exec_lo, s16
	s_cbranch_execnz .LBB49_63
; %bb.64:                               ;   in Loop: Header=BB49_6 Depth=1
	s_or_b32 exec_lo, exec_lo, s16
.LBB49_65:                              ;   in Loop: Header=BB49_6 Depth=1
	s_delay_alu instid0(SALU_CYCLE_1)
	s_or_b32 exec_lo, exec_lo, s15
	s_lshl_b32 s12, s91, 7
	s_and_saveexec_b32 s10, s2
	s_cbranch_execnz .LBB49_36
	s_branch .LBB49_37
.LBB49_66:                              ;   in Loop: Header=BB49_6 Depth=1
	v_mov_b32_e32 v2, 0
	s_mov_b32 s10, 0
	s_cbranch_execz .LBB49_69
.LBB49_67:                              ;   in Loop: Header=BB49_6 Depth=1
	s_lshl_b32 s11, s91, 9
	s_lshl_b32 s14, s10, 4
	s_sub_co_i32 s10, s49, s10
	v_add3_u32 v3, s11, s14, v41
.LBB49_68:                              ;   Parent Loop BB49_6 Depth=1
                                        ; =>  This Inner Loop Header: Depth=2
	ds_load_b32 v8, v3
	v_add_nc_u32_e32 v3, 16, v3
	s_add_co_i32 s10, s10, -1
	s_delay_alu instid0(SALU_CYCLE_1)
	s_cmp_eq_u32 s10, 0
	s_wait_dscnt 0x0
	v_add_nc_u32_e32 v2, v8, v2
	s_cbranch_scc0 .LBB49_68
.LBB49_69:                              ;   in Loop: Header=BB49_6 Depth=1
	s_delay_alu instid0(VALU_DEP_1)
	v_lshlrev_b32_e32 v3, 2, v7
	ds_store_b32 v3, v2 offset:3072
.LBB49_70:                              ;   in Loop: Header=BB49_6 Depth=1
	s_or_b32 exec_lo, exec_lo, s13
	s_lshl_b32 s10, s12, 2
	s_wait_dscnt 0x0
	v_mov_b32_e32 v2, s10
	s_barrier_signal -1
	s_barrier_wait -1
	v_cmp_eq_u32_e64 s10, 1, v42
	ds_load_b128 v[8:11], v2 offset:3072
	s_lshl_b64 s[12:13], 3, s88
	s_mov_b32 s24, -1
	s_not_b64 s[14:15], s[12:13]
	s_mov_b32 s16, 0
	s_and_not1_b32 vcc_lo, exec_lo, s73
	s_mov_b32 s21, 0
	s_mov_b32 s11, 0
                                        ; implicit-def: $sgpr22
                                        ; implicit-def: $sgpr23
                                        ; implicit-def: $vgpr15
                                        ; implicit-def: $vgpr14
                                        ; implicit-def: $vgpr12_vgpr13
                                        ; implicit-def: $vgpr2_vgpr3
	s_wait_dscnt 0x0
	v_readfirstlane_b32 s17, v8
	v_readfirstlane_b32 s18, v9
	;; [unrolled: 1-line block ×4, first 2 shown]
                                        ; implicit-def: $vgpr10_vgpr11
	s_cbranch_vccnz .LBB49_232
; %bb.71:                               ;   in Loop: Header=BB49_6 Depth=1
	v_mov_b64_e32 v[12:13], v[26:27]
	v_mov_b64_e32 v[2:3], v[30:31]
	;; [unrolled: 1-line block ×3, first 2 shown]
	s_cmp_eq_u32 s17, 1
	s_mov_b32 s27, -1
	s_cselect_b32 s11, -1, 0
                                        ; implicit-def: $sgpr23
                                        ; implicit-def: $sgpr22
	s_delay_alu instid0(SALU_CYCLE_1) | instskip(NEXT) | instid1(SALU_CYCLE_1)
	s_and_b32 s26, s11, s10
	s_and_saveexec_b32 s11, s26
	s_cbranch_execz .LBB49_101
; %bb.72:                               ;   in Loop: Header=BB49_6 Depth=1
	ds_load_b32 v2, v23 offset:4096
	s_wait_dscnt 0x0
	s_barrier_signal -1
	s_barrier_wait -1
	v_readfirstlane_b32 s24, v2
	s_and_saveexec_b32 s21, s6
; %bb.73:                               ;   in Loop: Header=BB49_6 Depth=1
	ds_store_b64 v32, v[28:29]
; %bb.74:                               ;   in Loop: Header=BB49_6 Depth=1
	s_or_b32 exec_lo, exec_lo, s21
	v_and_b32_e32 v13, s15, v27
	v_and_b32_e32 v12, s14, v26
	v_or_b32_e32 v3, s13, v31
	v_or_b32_e32 v2, s12, v30
	s_mov_b32 s22, -1
	s_mov_b32 s23, 0
	s_cmp_eq_u32 s24, 0
	s_mov_b32 s21, 0
	s_mov_b32 s25, -1
	s_wait_dscnt 0x0
	s_barrier_signal -1
	s_barrier_wait -1
                                        ; implicit-def: $vgpr10_vgpr11
	s_cbranch_scc1 .LBB49_88
; %bb.75:                               ;   in Loop: Header=BB49_6 Depth=1
	s_add_co_i32 s60, s24, s78
	s_mov_b32 s27, exec_lo
	s_mul_u64 s[28:29], s[60:61], s[64:65]
                                        ; implicit-def: $vgpr10_vgpr11
	s_delay_alu instid0(SALU_CYCLE_1) | instskip(NEXT) | instid1(SALU_CYCLE_1)
	s_mul_i32 s21, s29, s43
	s_sub_co_i32 s21, s60, s21
	s_delay_alu instid0(SALU_CYCLE_1) | instskip(SKIP_2) | instid1(SALU_CYCLE_1)
	s_sub_co_i32 s25, s21, s43
	s_cmp_ge_u32 s21, s43
	s_cselect_b32 s21, s25, s21
	s_sub_co_i32 s25, s21, s43
	s_cmp_ge_u32 s21, s43
	s_cselect_b32 s21, s25, s21
	s_mov_b32 s25, 0
	s_sub_co_i32 s28, s60, s21
	s_mov_b32 s21, 0
	v_cmpx_gt_u32_e64 s28, v0
	s_cbranch_execz .LBB49_87
; %bb.76:                               ;   in Loop: Header=BB49_6 Depth=1
	v_dual_mov_b32 v14, v21 :: v_dual_mov_b32 v15, v0
                                        ; implicit-def: $sgpr29
	s_branch .LBB49_79
.LBB49_77:                              ;   in Loop: Header=BB49_79 Depth=2
	s_or_b32 exec_lo, exec_lo, s38
	s_wait_dscnt 0x0
	s_barrier_signal -1
	s_barrier_wait -1
	ds_load_b128 v[8:11], v23 offset:3072
	s_mov_b32 s38, -1
	s_mov_b32 s39, -1
	s_wait_dscnt 0x0
	s_barrier_signal -1
	s_barrier_wait -1
	v_cmp_ne_u64_e32 vcc_lo, 0, v[8:9]
	s_cbranch_vccz .LBB49_82
.LBB49_78:                              ;   in Loop: Header=BB49_79 Depth=2
	s_and_b32 s38, exec_lo, s38
	s_delay_alu instid0(SALU_CYCLE_1) | instskip(SKIP_2) | instid1(SALU_CYCLE_1)
	s_or_b32 s21, s38, s21
	s_and_not1_b32 s29, s29, exec_lo
	s_and_b32 s38, s39, exec_lo
	s_or_b32 s29, s29, s38
	s_and_not1_b32 exec_lo, exec_lo, s21
	s_cbranch_execz .LBB49_86
.LBB49_79:                              ;   Parent Loop BB49_6 Depth=1
                                        ; =>  This Inner Loop Header: Depth=2
	s_mov_b32 s38, exec_lo
	s_delay_alu instid0(VALU_DEP_1)
	v_cmpx_gt_u32_e64 s24, v15
	s_cbranch_execz .LBB49_77
; %bb.80:                               ;   in Loop: Header=BB49_79 Depth=2
	ds_load_b64 v[8:9], v14
	s_wait_dscnt 0x0
	v_xor_b32_e32 v7, 0x80000000, v9
	v_and_b32_e32 v10, v8, v2
	s_delay_alu instid0(VALU_DEP_2) | instskip(NEXT) | instid1(VALU_DEP_1)
	v_and_b32_e32 v11, v7, v3
	v_cmp_eq_u64_e32 vcc_lo, v[10:11], v[12:13]
	s_and_b32 exec_lo, exec_lo, vcc_lo
	s_cbranch_execz .LBB49_77
; %bb.81:                               ;   in Loop: Header=BB49_79 Depth=2
	v_mov_b32_e32 v7, v23
	ds_store_b128 v23, v[6:9] offset:3072
	s_branch .LBB49_77
.LBB49_82:                              ;   in Loop: Header=BB49_79 Depth=2
	v_dual_add_nc_u32 v15, s43, v15 :: v_dual_add_nc_u32 v14, s87, v14
	s_mov_b32 s39, 0
	s_delay_alu instid0(VALU_DEP_1)
	v_cmp_le_u32_e32 vcc_lo, s28, v15
	s_or_not1_b32 s38, vcc_lo, exec_lo
	s_branch .LBB49_78
.LBB49_83:                              ;   in Loop: Header=BB49_6 Depth=1
	s_or_b32 exec_lo, exec_lo, s13
	s_wait_dscnt 0x0
	s_barrier_signal -1
	s_barrier_wait -1
	s_and_saveexec_b32 s10, s5
	s_cbranch_execz .LBB49_85
; %bb.84:                               ;   in Loop: Header=BB49_6 Depth=1
	ds_load_b32 v2, v23 offset:4104
	s_wait_dscnt 0x0
	ds_store_b32 v23, v2 offset:4096
.LBB49_85:                              ;   in Loop: Header=BB49_6 Depth=1
	s_or_b32 exec_lo, exec_lo, s10
	s_wait_dscnt 0x0
	s_barrier_signal -1
	s_mov_b32 s10, -1
	s_barrier_wait -1
	s_and_b32 vcc_lo, exec_lo, s12
	s_cbranch_vccnz .LBB49_22
	s_branch .LBB49_31
.LBB49_86:                              ;   in Loop: Header=BB49_6 Depth=1
	s_or_b32 exec_lo, exec_lo, s21
	s_delay_alu instid0(SALU_CYCLE_1)
	s_and_b32 s21, s29, exec_lo
.LBB49_87:                              ;   in Loop: Header=BB49_6 Depth=1
	s_or_b32 exec_lo, exec_lo, s27
.LBB49_88:                              ;   in Loop: Header=BB49_6 Depth=1
	s_delay_alu instid0(SALU_CYCLE_1)
	s_and_b32 vcc_lo, exec_lo, s25
	s_cbranch_vccz .LBB49_100
; %bb.89:                               ;   in Loop: Header=BB49_6 Depth=1
                                        ; implicit-def: $vgpr10_vgpr11
	s_and_saveexec_b32 s22, s9
	s_cbranch_execz .LBB49_99
; %bb.90:                               ;   in Loop: Header=BB49_6 Depth=1
	v_dual_mov_b32 v14, v20 :: v_dual_mov_b32 v15, v0
	s_mov_b32 s24, 0
                                        ; implicit-def: $sgpr23
	s_branch .LBB49_93
.LBB49_91:                              ;   in Loop: Header=BB49_93 Depth=2
	s_or_b32 exec_lo, exec_lo, s25
	s_wait_dscnt 0x0
	s_barrier_signal -1
	s_barrier_wait -1
	ds_load_b128 v[8:11], v23 offset:3072
	s_mov_b32 s25, -1
	s_mov_b32 s27, -1
	s_wait_dscnt 0x0
	s_barrier_signal -1
	s_barrier_wait -1
	v_cmp_ne_u64_e32 vcc_lo, 0, v[8:9]
	s_cbranch_vccz .LBB49_96
.LBB49_92:                              ;   in Loop: Header=BB49_93 Depth=2
	s_and_b32 s25, exec_lo, s25
	s_delay_alu instid0(SALU_CYCLE_1) | instskip(SKIP_2) | instid1(SALU_CYCLE_1)
	s_or_b32 s24, s25, s24
	s_and_not1_b32 s23, s23, exec_lo
	s_and_b32 s25, s27, exec_lo
	s_or_b32 s23, s23, s25
	s_and_not1_b32 exec_lo, exec_lo, s24
	s_cbranch_execz .LBB49_98
.LBB49_93:                              ;   Parent Loop BB49_6 Depth=1
                                        ; =>  This Inner Loop Header: Depth=2
	s_mov_b32 s25, exec_lo
	s_delay_alu instid0(VALU_DEP_1)
	v_cmpx_gt_u32_e64 s36, v15
	s_cbranch_execz .LBB49_91
; %bb.94:                               ;   in Loop: Header=BB49_93 Depth=2
	global_load_b64 v[8:9], v14, s[30:31] scale_offset
	s_wait_loadcnt 0x0
	v_xor_b32_e32 v7, 0x80000000, v9
	v_and_b32_e32 v10, v8, v2
	s_delay_alu instid0(VALU_DEP_2) | instskip(NEXT) | instid1(VALU_DEP_1)
	v_and_b32_e32 v11, v7, v3
	v_cmp_eq_u64_e32 vcc_lo, v[10:11], v[12:13]
	s_and_b32 exec_lo, exec_lo, vcc_lo
	s_cbranch_execz .LBB49_91
; %bb.95:                               ;   in Loop: Header=BB49_93 Depth=2
	v_mov_b32_e32 v7, v23
	ds_store_b128 v23, v[6:9] offset:3072
	s_branch .LBB49_91
.LBB49_96:                              ;   in Loop: Header=BB49_93 Depth=2
	v_dual_add_nc_u32 v15, s43, v15 :: v_dual_add_nc_u32 v14, s47, v14
	s_mov_b32 s27, 0
	s_delay_alu instid0(VALU_DEP_1)
	v_cmp_le_u32_e32 vcc_lo, s84, v15
	s_or_not1_b32 s25, vcc_lo, exec_lo
	s_branch .LBB49_92
.LBB49_97:                              ;   in Loop: Header=BB49_6 Depth=1
	s_mov_b64 s[10:11], 0x100000000
	v_mov_b64_e32 v[2:3], 0
	s_and_not1_b32 vcc_lo, exec_lo, s81
	s_mov_b32 s14, s58
	s_cbranch_vccz .LBB49_44
	s_branch .LBB49_45
.LBB49_98:                              ;   in Loop: Header=BB49_6 Depth=1
	s_or_b32 exec_lo, exec_lo, s24
	s_delay_alu instid0(SALU_CYCLE_1) | instskip(SKIP_1) | instid1(SALU_CYCLE_1)
	s_and_not1_b32 s21, s21, exec_lo
	s_and_b32 s23, s23, exec_lo
	s_or_b32 s21, s21, s23
.LBB49_99:                              ;   in Loop: Header=BB49_6 Depth=1
	s_or_b32 exec_lo, exec_lo, s22
	s_mov_b32 s22, 0
	s_mov_b32 s23, -1
.LBB49_100:                             ;   in Loop: Header=BB49_6 Depth=1
	s_or_not1_b32 s27, s21, exec_lo
.LBB49_101:                             ;   in Loop: Header=BB49_6 Depth=1
	s_or_b32 exec_lo, exec_lo, s11
	s_mov_b32 s24, 0
	s_mov_b32 s21, 0
	s_mov_b32 s11, 0
                                        ; implicit-def: $vgpr15
                                        ; implicit-def: $vgpr14
	s_and_saveexec_b32 s25, s27
	s_cbranch_execz .LBB49_231
; %bb.102:                              ;   in Loop: Header=BB49_6 Depth=1
	v_dual_mov_b32 v15, 1 :: v_dual_mov_b32 v14, 1
	s_xor_b32 s21, s26, -1
	s_mov_b32 s28, 0
	s_and_saveexec_b32 s11, s21
	s_cbranch_execz .LBB49_111
; %bb.103:                              ;   in Loop: Header=BB49_6 Depth=1
	s_mov_b32 s21, exec_lo
	v_cmpx_ge_u32_e64 s17, v42
	s_xor_b32 s21, exec_lo, s21
	s_cbranch_execz .LBB49_108
; %bb.104:                              ;   in Loop: Header=BB49_6 Depth=1
	ds_load_b32 v7, v23 offset:4096
	v_and_b32_e32 v13, s15, v13
	v_and_b32_e32 v12, s14, v12
	v_or_b32_e32 v3, s13, v3
	v_or_b32_e32 v2, s12, v2
	s_wait_dscnt 0x0
	v_cmp_ne_u32_e32 vcc_lo, 0, v7
	s_cbranch_vccnz .LBB49_108
; %bb.105:                              ;   in Loop: Header=BB49_6 Depth=1
	s_and_saveexec_b32 s26, s5
; %bb.106:                              ;   in Loop: Header=BB49_6 Depth=1
	v_mov_b32_e32 v7, s17
	ds_store_b32 v23, v7 offset:4100
; %bb.107:                              ;   in Loop: Header=BB49_6 Depth=1
	s_or_b32 exec_lo, exec_lo, s26
	s_wait_dscnt 0x0
	s_barrier_signal -1
	s_barrier_wait -1
.LBB49_108:                             ;   in Loop: Header=BB49_6 Depth=1
	s_or_saveexec_b32 s21, s21
	v_dual_mov_b32 v14, 8 :: v_dual_mov_b32 v15, v42
	s_mov_b32 s26, 0
	s_xor_b32 exec_lo, exec_lo, s21
; %bb.109:                              ;   in Loop: Header=BB49_6 Depth=1
	v_subrev_nc_u32_e32 v15, s17, v42
	v_mov_b32_e32 v14, 0
	s_mov_b32 s26, exec_lo
; %bb.110:                              ;   in Loop: Header=BB49_6 Depth=1
	s_or_b32 exec_lo, exec_lo, s21
	s_delay_alu instid0(SALU_CYCLE_1)
	s_and_b32 s28, s26, exec_lo
.LBB49_111:                             ;   in Loop: Header=BB49_6 Depth=1
	s_or_b32 exec_lo, exec_lo, s11
	s_mov_b32 s27, -1
                                        ; implicit-def: $sgpr21
                                        ; implicit-def: $sgpr26
	s_and_saveexec_b32 s11, s28
	s_delay_alu instid0(SALU_CYCLE_1)
	s_xor_b32 s11, exec_lo, s11
	s_cbranch_execz .LBB49_228
; %bb.112:                              ;   in Loop: Header=BB49_6 Depth=1
	v_cmp_eq_u32_e32 vcc_lo, 1, v15
	s_cmp_eq_u32 s18, 1
	s_mov_b32 s29, -1
	s_cselect_b32 s21, -1, 0
                                        ; implicit-def: $sgpr26
	s_delay_alu instid0(SALU_CYCLE_1) | instskip(NEXT) | instid1(SALU_CYCLE_1)
	s_and_b32 s28, s21, vcc_lo
                                        ; implicit-def: $sgpr21
	s_and_saveexec_b32 s27, s28
	s_cbranch_execz .LBB49_138
; %bb.113:                              ;   in Loop: Header=BB49_6 Depth=1
	ds_load_b32 v7, v23 offset:4096
	s_wait_dscnt 0x0
	s_barrier_signal -1
	s_barrier_wait -1
	v_readfirstlane_b32 s68, v7
	s_and_saveexec_b32 s21, s6
; %bb.114:                              ;   in Loop: Header=BB49_6 Depth=1
	ds_store_b64 v32, v[28:29]
; %bb.115:                              ;   in Loop: Header=BB49_6 Depth=1
	s_or_b32 exec_lo, exec_lo, s21
	v_and_b32_e32 v7, s15, v13
	v_and_b32_e32 v8, s14, v12
	s_lshl_b64 s[38:39], 1, s88
	v_or_b32_e32 v3, s13, v3
	v_or_b32_e32 v2, s12, v2
	;; [unrolled: 1-line block ×4, first 2 shown]
	s_mov_b32 s21, -1
	s_mov_b32 s26, 0
	s_cmp_eq_u32 s68, 0
	s_mov_b32 s29, 0
	s_mov_b32 s60, -1
	s_wait_dscnt 0x0
	s_barrier_signal -1
	s_barrier_wait -1
                                        ; implicit-def: $vgpr10_vgpr11
	s_cbranch_scc1 .LBB49_126
; %bb.116:                              ;   in Loop: Header=BB49_6 Depth=1
	s_add_co_i32 s60, s68, s78
	s_mov_b32 s69, exec_lo
	s_mul_u64 s[38:39], s[60:61], s[64:65]
                                        ; implicit-def: $vgpr10_vgpr11
	s_delay_alu instid0(SALU_CYCLE_1) | instskip(NEXT) | instid1(SALU_CYCLE_1)
	s_mul_i32 s29, s39, s43
	s_sub_co_i32 s29, s60, s29
	s_delay_alu instid0(SALU_CYCLE_1) | instskip(SKIP_2) | instid1(SALU_CYCLE_1)
	s_sub_co_i32 s38, s29, s43
	s_cmp_ge_u32 s29, s43
	s_cselect_b32 s29, s38, s29
	s_sub_co_i32 s38, s29, s43
	s_cmp_ge_u32 s29, s43
	s_cselect_b32 s29, s38, s29
	s_delay_alu instid0(SALU_CYCLE_1)
	s_sub_co_i32 s44, s60, s29
	s_mov_b32 s60, 0
	s_mov_b32 s29, 0
	v_cmpx_gt_u32_e64 s44, v0
	s_cbranch_execz .LBB49_125
; %bb.117:                              ;   in Loop: Header=BB49_6 Depth=1
	v_dual_mov_b32 v22, v21 :: v_dual_mov_b32 v43, v0
                                        ; implicit-def: $sgpr45
	s_branch .LBB49_120
.LBB49_118:                             ;   in Loop: Header=BB49_120 Depth=2
	s_or_b32 exec_lo, exec_lo, s46
	s_wait_dscnt 0x0
	s_barrier_signal -1
	s_barrier_wait -1
	ds_load_b128 v[8:11], v23 offset:3072
	s_mov_b32 s38, -1
	s_mov_b32 s39, -1
	s_wait_dscnt 0x0
	s_barrier_signal -1
	s_barrier_wait -1
	v_cmp_ne_u64_e32 vcc_lo, 0, v[8:9]
	s_cbranch_vccz .LBB49_123
.LBB49_119:                             ;   in Loop: Header=BB49_120 Depth=2
	s_and_b32 s38, exec_lo, s38
	s_delay_alu instid0(SALU_CYCLE_1) | instskip(SKIP_2) | instid1(SALU_CYCLE_1)
	s_or_b32 s29, s38, s29
	s_and_not1_b32 s38, s45, exec_lo
	s_and_b32 s39, s39, exec_lo
	s_or_b32 s45, s38, s39
	s_and_not1_b32 exec_lo, exec_lo, s29
	s_cbranch_execz .LBB49_124
.LBB49_120:                             ;   Parent Loop BB49_6 Depth=1
                                        ; =>  This Inner Loop Header: Depth=2
	s_mov_b32 s46, exec_lo
	s_delay_alu instid0(VALU_DEP_1)
	v_cmpx_gt_u32_e64 s68, v43
	s_cbranch_execz .LBB49_118
; %bb.121:                              ;   in Loop: Header=BB49_120 Depth=2
	ds_load_b64 v[8:9], v22
	s_wait_dscnt 0x0
	v_xor_b32_e32 v7, 0x80000000, v9
	v_and_b32_e32 v10, v8, v2
	s_delay_alu instid0(VALU_DEP_2) | instskip(NEXT) | instid1(VALU_DEP_1)
	v_and_b32_e32 v11, v7, v3
	v_cmp_eq_u64_e32 vcc_lo, v[10:11], v[12:13]
	s_and_b32 exec_lo, exec_lo, vcc_lo
	s_cbranch_execz .LBB49_118
; %bb.122:                              ;   in Loop: Header=BB49_120 Depth=2
	v_mov_b32_e32 v7, v23
	ds_store_b128 v23, v[6:9] offset:3072
	s_branch .LBB49_118
.LBB49_123:                             ;   in Loop: Header=BB49_120 Depth=2
	v_dual_add_nc_u32 v43, s43, v43 :: v_dual_add_nc_u32 v22, s87, v22
	s_mov_b32 s39, 0
	s_delay_alu instid0(VALU_DEP_1)
	v_cmp_le_u32_e32 vcc_lo, s44, v43
	s_or_not1_b32 s38, vcc_lo, exec_lo
	s_branch .LBB49_119
.LBB49_124:                             ;   in Loop: Header=BB49_6 Depth=1
	s_or_b32 exec_lo, exec_lo, s29
	s_delay_alu instid0(SALU_CYCLE_1)
	s_and_b32 s29, s45, exec_lo
.LBB49_125:                             ;   in Loop: Header=BB49_6 Depth=1
	s_or_b32 exec_lo, exec_lo, s69
.LBB49_126:                             ;   in Loop: Header=BB49_6 Depth=1
	s_delay_alu instid0(SALU_CYCLE_1)
	s_and_b32 vcc_lo, exec_lo, s60
	s_cbranch_vccz .LBB49_137
; %bb.127:                              ;   in Loop: Header=BB49_6 Depth=1
                                        ; implicit-def: $vgpr10_vgpr11
	s_and_saveexec_b32 s21, s9
	s_cbranch_execz .LBB49_136
; %bb.128:                              ;   in Loop: Header=BB49_6 Depth=1
	v_dual_mov_b32 v22, v20 :: v_dual_mov_b32 v43, v0
	s_mov_b32 s26, 0
                                        ; implicit-def: $sgpr44
	s_branch .LBB49_131
.LBB49_129:                             ;   in Loop: Header=BB49_131 Depth=2
	s_or_b32 exec_lo, exec_lo, s45
	s_wait_dscnt 0x0
	s_barrier_signal -1
	s_barrier_wait -1
	ds_load_b128 v[8:11], v23 offset:3072
	s_mov_b32 s38, -1
	s_mov_b32 s39, -1
	s_wait_dscnt 0x0
	s_barrier_signal -1
	s_barrier_wait -1
	v_cmp_eq_u64_e32 vcc_lo, 0, v[8:9]
	s_cbranch_vccnz .LBB49_134
.LBB49_130:                             ;   in Loop: Header=BB49_131 Depth=2
	s_and_b32 s38, exec_lo, s38
	s_delay_alu instid0(SALU_CYCLE_1) | instskip(SKIP_2) | instid1(SALU_CYCLE_1)
	s_or_b32 s26, s38, s26
	s_and_not1_b32 s38, s44, exec_lo
	s_and_b32 s39, s39, exec_lo
	s_or_b32 s44, s38, s39
	s_and_not1_b32 exec_lo, exec_lo, s26
	s_cbranch_execz .LBB49_135
.LBB49_131:                             ;   Parent Loop BB49_6 Depth=1
                                        ; =>  This Inner Loop Header: Depth=2
	s_mov_b32 s45, exec_lo
	s_delay_alu instid0(VALU_DEP_1)
	v_cmpx_gt_u32_e64 s36, v43
	s_cbranch_execz .LBB49_129
; %bb.132:                              ;   in Loop: Header=BB49_131 Depth=2
	global_load_b64 v[8:9], v22, s[30:31] scale_offset
	s_wait_loadcnt 0x0
	v_xor_b32_e32 v7, 0x80000000, v9
	v_and_b32_e32 v10, v8, v2
	s_delay_alu instid0(VALU_DEP_2) | instskip(NEXT) | instid1(VALU_DEP_1)
	v_and_b32_e32 v11, v7, v3
	v_cmp_eq_u64_e32 vcc_lo, v[10:11], v[12:13]
	s_and_b32 exec_lo, exec_lo, vcc_lo
	s_cbranch_execz .LBB49_129
; %bb.133:                              ;   in Loop: Header=BB49_131 Depth=2
	v_mov_b32_e32 v7, v23
	ds_store_b128 v23, v[6:9] offset:3072
	s_branch .LBB49_129
.LBB49_134:                             ;   in Loop: Header=BB49_131 Depth=2
	v_dual_add_nc_u32 v43, s43, v43 :: v_dual_add_nc_u32 v22, s47, v22
	s_mov_b32 s39, 0
	s_delay_alu instid0(VALU_DEP_1)
	v_cmp_le_u32_e32 vcc_lo, s84, v43
	s_or_not1_b32 s38, vcc_lo, exec_lo
	s_branch .LBB49_130
.LBB49_135:                             ;   in Loop: Header=BB49_6 Depth=1
	s_or_b32 exec_lo, exec_lo, s26
	s_delay_alu instid0(SALU_CYCLE_1) | instskip(SKIP_1) | instid1(SALU_CYCLE_1)
	s_and_not1_b32 s26, s29, exec_lo
	s_and_b32 s29, s44, exec_lo
	s_or_b32 s29, s26, s29
.LBB49_136:                             ;   in Loop: Header=BB49_6 Depth=1
	s_or_b32 exec_lo, exec_lo, s21
	s_mov_b32 s21, 0
	s_mov_b32 s26, -1
.LBB49_137:                             ;   in Loop: Header=BB49_6 Depth=1
	s_or_not1_b32 s29, s29, exec_lo
.LBB49_138:                             ;   in Loop: Header=BB49_6 Depth=1
	s_or_b32 exec_lo, exec_lo, s27
	s_mov_b32 s44, 0
	s_and_saveexec_b32 s27, s29
	s_cbranch_execz .LBB49_227
; %bb.139:                              ;   in Loop: Header=BB49_6 Depth=1
	v_dual_mov_b32 v22, 1 :: v_dual_mov_b32 v14, 1
	s_xor_b32 s29, s28, -1
	s_mov_b32 s45, 0
	s_and_saveexec_b32 s28, s29
	s_cbranch_execz .LBB49_148
; %bb.140:                              ;   in Loop: Header=BB49_6 Depth=1
	s_mov_b32 s29, exec_lo
	v_cmpx_ge_u32_e64 s18, v15
	s_xor_b32 s29, exec_lo, s29
	s_cbranch_execz .LBB49_145
; %bb.141:                              ;   in Loop: Header=BB49_6 Depth=1
	ds_load_b32 v7, v23 offset:4096
	v_and_b32_e32 v8, s15, v13
	v_and_b32_e32 v9, s14, v12
	s_lshl_b64 s[38:39], 1, s88
	v_or_b32_e32 v3, s13, v3
	v_or_b32_e32 v2, s12, v2
	;; [unrolled: 1-line block ×4, first 2 shown]
	s_wait_dscnt 0x0
	v_cmp_ne_u32_e32 vcc_lo, 0, v7
	s_cbranch_vccnz .LBB49_145
; %bb.142:                              ;   in Loop: Header=BB49_6 Depth=1
	s_and_saveexec_b32 s38, s5
; %bb.143:                              ;   in Loop: Header=BB49_6 Depth=1
	v_mov_b32_e32 v7, s18
	ds_store_b32 v23, v7 offset:4100
; %bb.144:                              ;   in Loop: Header=BB49_6 Depth=1
	s_or_b32 exec_lo, exec_lo, s38
	s_wait_dscnt 0x0
	s_barrier_signal -1
	s_barrier_wait -1
.LBB49_145:                             ;   in Loop: Header=BB49_6 Depth=1
	s_or_saveexec_b32 s29, s29
	v_mov_b32_e32 v14, 8
	s_xor_b32 exec_lo, exec_lo, s29
; %bb.146:                              ;   in Loop: Header=BB49_6 Depth=1
	v_subrev_nc_u32_e32 v15, s18, v15
	v_mov_b32_e32 v14, 0
	s_mov_b32 s44, exec_lo
; %bb.147:                              ;   in Loop: Header=BB49_6 Depth=1
	s_or_b32 exec_lo, exec_lo, s29
	s_delay_alu instid0(VALU_DEP_2)
	v_mov_b32_e32 v22, v15
	s_and_b32 s45, s44, exec_lo
.LBB49_148:                             ;   in Loop: Header=BB49_6 Depth=1
	s_or_b32 exec_lo, exec_lo, s28
	s_mov_b32 s44, -1
                                        ; implicit-def: $sgpr29
                                        ; implicit-def: $sgpr68
	s_and_saveexec_b32 s28, s45
	s_cbranch_execz .LBB49_226
; %bb.149:                              ;   in Loop: Header=BB49_6 Depth=1
	v_cmp_eq_u32_e32 vcc_lo, 1, v22
	s_cmp_eq_u32 s19, 1
                                        ; implicit-def: $sgpr68
	s_cselect_b32 s29, -1, 0
	s_delay_alu instid0(SALU_CYCLE_1) | instskip(NEXT) | instid1(SALU_CYCLE_1)
	s_and_b32 s70, s29, vcc_lo
                                        ; implicit-def: $sgpr29
	s_and_saveexec_b32 s69, s70
	s_cbranch_execz .LBB49_175
; %bb.150:                              ;   in Loop: Header=BB49_6 Depth=1
	ds_load_b32 v7, v23 offset:4096
	s_wait_dscnt 0x0
	s_barrier_signal -1
	s_barrier_wait -1
	v_readfirstlane_b32 s71, v7
	s_and_saveexec_b32 s29, s6
; %bb.151:                              ;   in Loop: Header=BB49_6 Depth=1
	ds_store_b64 v32, v[28:29]
; %bb.152:                              ;   in Loop: Header=BB49_6 Depth=1
	s_or_b32 exec_lo, exec_lo, s29
	v_and_b32_e32 v7, s15, v13
	v_and_b32_e32 v8, s14, v12
	s_lshl_b64 s[38:39], 2, s88
	v_or_b32_e32 v3, s13, v3
	v_or_b32_e32 v2, s12, v2
	;; [unrolled: 1-line block ×4, first 2 shown]
	s_mov_b32 s29, -1
	s_mov_b32 s68, 0
	s_cmp_eq_u32 s71, 0
	s_mov_b32 s60, 0
	s_mov_b32 s101, -1
	s_wait_dscnt 0x0
	s_barrier_signal -1
	s_barrier_wait -1
                                        ; implicit-def: $vgpr10_vgpr11
	s_cbranch_scc1 .LBB49_163
; %bb.153:                              ;   in Loop: Header=BB49_6 Depth=1
	s_add_co_i32 s60, s71, s78
	s_mov_b32 s101, 0
	s_mul_u64 s[38:39], s[60:61], s[64:65]
	s_mov_b32 s102, exec_lo
	s_mul_i32 s38, s39, s43
                                        ; implicit-def: $vgpr10_vgpr11
	s_delay_alu instid0(SALU_CYCLE_1) | instskip(NEXT) | instid1(SALU_CYCLE_1)
	s_sub_co_i32 s38, s60, s38
	s_sub_co_i32 s39, s38, s43
	s_cmp_ge_u32 s38, s43
	s_cselect_b32 s38, s39, s38
	s_delay_alu instid0(SALU_CYCLE_1) | instskip(SKIP_2) | instid1(SALU_CYCLE_1)
	s_sub_co_i32 s39, s38, s43
	s_cmp_ge_u32 s38, s43
	s_cselect_b32 s38, s39, s38
	s_sub_co_i32 s44, s60, s38
	s_mov_b32 s60, 0
	v_cmpx_gt_u32_e64 s44, v0
	s_cbranch_execz .LBB49_162
; %bb.154:                              ;   in Loop: Header=BB49_6 Depth=1
	v_dual_mov_b32 v15, v21 :: v_dual_mov_b32 v43, v0
	s_mov_b32 s45, 0
                                        ; implicit-def: $sgpr46
	s_branch .LBB49_157
.LBB49_155:                             ;   in Loop: Header=BB49_157 Depth=2
	s_or_b32 exec_lo, exec_lo, s60
	s_wait_dscnt 0x0
	s_barrier_signal -1
	s_barrier_wait -1
	ds_load_b128 v[8:11], v23 offset:3072
	s_mov_b32 s38, -1
	s_mov_b32 s39, -1
	s_wait_dscnt 0x0
	s_barrier_signal -1
	s_barrier_wait -1
	v_cmp_ne_u64_e32 vcc_lo, 0, v[8:9]
	s_cbranch_vccz .LBB49_160
.LBB49_156:                             ;   in Loop: Header=BB49_157 Depth=2
	s_and_b32 s38, exec_lo, s38
	s_delay_alu instid0(SALU_CYCLE_1) | instskip(SKIP_2) | instid1(SALU_CYCLE_1)
	s_or_b32 s45, s38, s45
	s_and_not1_b32 s38, s46, exec_lo
	s_and_b32 s39, s39, exec_lo
	s_or_b32 s46, s38, s39
	s_and_not1_b32 exec_lo, exec_lo, s45
	s_cbranch_execz .LBB49_161
.LBB49_157:                             ;   Parent Loop BB49_6 Depth=1
                                        ; =>  This Inner Loop Header: Depth=2
	s_mov_b32 s60, exec_lo
	s_delay_alu instid0(VALU_DEP_1)
	v_cmpx_gt_u32_e64 s71, v43
	s_cbranch_execz .LBB49_155
; %bb.158:                              ;   in Loop: Header=BB49_157 Depth=2
	ds_load_b64 v[8:9], v15
	s_wait_dscnt 0x0
	v_xor_b32_e32 v7, 0x80000000, v9
	v_and_b32_e32 v10, v8, v2
	s_delay_alu instid0(VALU_DEP_2) | instskip(NEXT) | instid1(VALU_DEP_1)
	v_and_b32_e32 v11, v7, v3
	v_cmp_eq_u64_e32 vcc_lo, v[10:11], v[12:13]
	s_and_b32 exec_lo, exec_lo, vcc_lo
	s_cbranch_execz .LBB49_155
; %bb.159:                              ;   in Loop: Header=BB49_157 Depth=2
	v_mov_b32_e32 v7, v23
	ds_store_b128 v23, v[6:9] offset:3072
	s_branch .LBB49_155
.LBB49_160:                             ;   in Loop: Header=BB49_157 Depth=2
	v_add_nc_u32_e32 v43, s43, v43
	v_add_nc_u32_e32 v15, s87, v15
	s_mov_b32 s39, 0
	s_delay_alu instid0(VALU_DEP_2)
	v_cmp_le_u32_e32 vcc_lo, s44, v43
	s_or_not1_b32 s38, vcc_lo, exec_lo
	s_branch .LBB49_156
.LBB49_161:                             ;   in Loop: Header=BB49_6 Depth=1
	s_or_b32 exec_lo, exec_lo, s45
	s_delay_alu instid0(SALU_CYCLE_1)
	s_and_b32 s60, s46, exec_lo
.LBB49_162:                             ;   in Loop: Header=BB49_6 Depth=1
	s_or_b32 exec_lo, exec_lo, s102
.LBB49_163:                             ;   in Loop: Header=BB49_6 Depth=1
	s_delay_alu instid0(SALU_CYCLE_1)
	s_and_b32 vcc_lo, exec_lo, s101
	s_cbranch_vccz .LBB49_174
; %bb.164:                              ;   in Loop: Header=BB49_6 Depth=1
                                        ; implicit-def: $vgpr10_vgpr11
	s_and_saveexec_b32 s29, s9
	s_cbranch_execz .LBB49_173
; %bb.165:                              ;   in Loop: Header=BB49_6 Depth=1
	v_dual_mov_b32 v15, v20 :: v_dual_mov_b32 v43, v0
	s_mov_b32 s44, 0
                                        ; implicit-def: $sgpr45
	s_branch .LBB49_168
.LBB49_166:                             ;   in Loop: Header=BB49_168 Depth=2
	s_or_b32 exec_lo, exec_lo, s46
	s_wait_dscnt 0x0
	s_barrier_signal -1
	s_barrier_wait -1
	ds_load_b128 v[8:11], v23 offset:3072
	s_mov_b32 s38, -1
	s_mov_b32 s39, -1
	s_wait_dscnt 0x0
	s_barrier_signal -1
	s_barrier_wait -1
	v_cmp_eq_u64_e32 vcc_lo, 0, v[8:9]
	s_cbranch_vccnz .LBB49_171
.LBB49_167:                             ;   in Loop: Header=BB49_168 Depth=2
	s_and_b32 s38, exec_lo, s38
	s_delay_alu instid0(SALU_CYCLE_1) | instskip(SKIP_2) | instid1(SALU_CYCLE_1)
	s_or_b32 s44, s38, s44
	s_and_not1_b32 s38, s45, exec_lo
	s_and_b32 s39, s39, exec_lo
	s_or_b32 s45, s38, s39
	s_and_not1_b32 exec_lo, exec_lo, s44
	s_cbranch_execz .LBB49_172
.LBB49_168:                             ;   Parent Loop BB49_6 Depth=1
                                        ; =>  This Inner Loop Header: Depth=2
	s_mov_b32 s46, exec_lo
	s_delay_alu instid0(VALU_DEP_1)
	v_cmpx_gt_u32_e64 s36, v43
	s_cbranch_execz .LBB49_166
; %bb.169:                              ;   in Loop: Header=BB49_168 Depth=2
	global_load_b64 v[8:9], v15, s[30:31] scale_offset
	s_wait_loadcnt 0x0
	v_xor_b32_e32 v7, 0x80000000, v9
	v_and_b32_e32 v10, v8, v2
	s_delay_alu instid0(VALU_DEP_2) | instskip(NEXT) | instid1(VALU_DEP_1)
	v_and_b32_e32 v11, v7, v3
	v_cmp_eq_u64_e32 vcc_lo, v[10:11], v[12:13]
	s_and_b32 exec_lo, exec_lo, vcc_lo
	s_cbranch_execz .LBB49_166
; %bb.170:                              ;   in Loop: Header=BB49_168 Depth=2
	v_mov_b32_e32 v7, v23
	ds_store_b128 v23, v[6:9] offset:3072
	s_branch .LBB49_166
.LBB49_171:                             ;   in Loop: Header=BB49_168 Depth=2
	v_add_nc_u32_e32 v43, s43, v43
	v_add_nc_u32_e32 v15, s47, v15
	s_mov_b32 s39, 0
	s_delay_alu instid0(VALU_DEP_2)
	v_cmp_le_u32_e32 vcc_lo, s84, v43
	s_or_not1_b32 s38, vcc_lo, exec_lo
	s_branch .LBB49_167
.LBB49_172:                             ;   in Loop: Header=BB49_6 Depth=1
	s_or_b32 exec_lo, exec_lo, s44
	s_delay_alu instid0(SALU_CYCLE_1) | instskip(SKIP_1) | instid1(SALU_CYCLE_1)
	s_and_not1_b32 s38, s60, exec_lo
	s_and_b32 s39, s45, exec_lo
	s_or_b32 s60, s38, s39
.LBB49_173:                             ;   in Loop: Header=BB49_6 Depth=1
	s_or_b32 exec_lo, exec_lo, s29
	s_mov_b32 s29, 0
	s_mov_b32 s68, -1
.LBB49_174:                             ;   in Loop: Header=BB49_6 Depth=1
	s_or_not1_b32 s44, s60, exec_lo
.LBB49_175:                             ;   in Loop: Header=BB49_6 Depth=1
	s_or_b32 exec_lo, exec_lo, s69
	s_mov_b32 s45, 0
	s_and_saveexec_b32 s69, s44
	s_cbranch_execz .LBB49_225
; %bb.176:                              ;   in Loop: Header=BB49_6 Depth=1
	v_dual_mov_b32 v15, 1 :: v_dual_mov_b32 v14, 1
	s_xor_b32 s38, s70, -1
	s_delay_alu instid0(SALU_CYCLE_1)
	s_and_saveexec_b32 s60, s38
	s_cbranch_execz .LBB49_185
; %bb.177:                              ;   in Loop: Header=BB49_6 Depth=1
	s_mov_b32 s38, exec_lo
	v_cmpx_ge_u32_e64 s19, v22
	s_xor_b32 s44, exec_lo, s38
	s_cbranch_execz .LBB49_182
; %bb.178:                              ;   in Loop: Header=BB49_6 Depth=1
	ds_load_b32 v7, v23 offset:4096
	v_and_b32_e32 v8, s15, v13
	v_and_b32_e32 v9, s14, v12
	s_lshl_b64 s[38:39], 2, s88
	v_or_b32_e32 v3, s13, v3
	v_or_b32_e32 v2, s12, v2
	v_or_b32_e32 v13, s39, v8
	v_or_b32_e32 v12, s38, v9
	s_wait_dscnt 0x0
	v_cmp_ne_u32_e32 vcc_lo, 0, v7
	s_cbranch_vccnz .LBB49_182
; %bb.179:                              ;   in Loop: Header=BB49_6 Depth=1
	s_and_saveexec_b32 s38, s5
; %bb.180:                              ;   in Loop: Header=BB49_6 Depth=1
	v_mov_b32_e32 v7, s19
	ds_store_b32 v23, v7 offset:4100
; %bb.181:                              ;   in Loop: Header=BB49_6 Depth=1
	s_or_b32 exec_lo, exec_lo, s38
	s_wait_dscnt 0x0
	s_barrier_signal -1
	s_barrier_wait -1
.LBB49_182:                             ;   in Loop: Header=BB49_6 Depth=1
	s_or_saveexec_b32 s44, s44
	v_mov_b32_e32 v14, 8
	s_xor_b32 exec_lo, exec_lo, s44
; %bb.183:                              ;   in Loop: Header=BB49_6 Depth=1
	v_subrev_nc_u32_e32 v22, s19, v22
	v_mov_b32_e32 v14, 0
	s_mov_b32 s45, exec_lo
; %bb.184:                              ;   in Loop: Header=BB49_6 Depth=1
	s_or_b32 exec_lo, exec_lo, s44
	s_delay_alu instid0(VALU_DEP_2)
	v_mov_b32_e32 v15, v22
	s_and_b32 s45, s45, exec_lo
.LBB49_185:                             ;   in Loop: Header=BB49_6 Depth=1
	s_or_b32 exec_lo, exec_lo, s60
	s_mov_b32 s44, -1
                                        ; implicit-def: $sgpr102
                                        ; implicit-def: $sgpr101
	s_and_saveexec_b32 s70, s45
	s_cbranch_execz .LBB49_224
; %bb.186:                              ;   in Loop: Header=BB49_6 Depth=1
	v_cmp_eq_u32_e32 vcc_lo, 1, v15
	s_cmp_eq_u32 s20, 1
                                        ; implicit-def: $sgpr102
                                        ; implicit-def: $sgpr101
	s_cselect_b32 s38, -1, 0
	s_delay_alu instid0(SALU_CYCLE_1) | instskip(NEXT) | instid1(SALU_CYCLE_1)
	s_and_b32 s71, s38, vcc_lo
	s_and_saveexec_b32 s103, s71
	s_cbranch_execz .LBB49_212
; %bb.187:                              ;   in Loop: Header=BB49_6 Depth=1
	ds_load_b32 v7, v23 offset:4096
	s_wait_dscnt 0x0
	s_barrier_signal -1
	s_barrier_wait -1
	v_readfirstlane_b32 s104, v7
	s_and_saveexec_b32 s38, s6
; %bb.188:                              ;   in Loop: Header=BB49_6 Depth=1
	ds_store_b64 v32, v[28:29]
; %bb.189:                              ;   in Loop: Header=BB49_6 Depth=1
	s_or_b32 exec_lo, exec_lo, s38
	v_or_b32_e32 v13, s13, v13
	v_or_b32_e32 v12, s12, v12
	;; [unrolled: 1-line block ×4, first 2 shown]
	s_mov_b32 s101, -1
	s_mov_b32 s102, 0
	s_cmp_eq_u32 s104, 0
	s_mov_b32 s60, 0
	s_mov_b32 vcc_hi, -1
	s_wait_dscnt 0x0
	s_barrier_signal -1
	s_barrier_wait -1
                                        ; implicit-def: $vgpr10_vgpr11
	s_cbranch_scc1 .LBB49_200
; %bb.190:                              ;   in Loop: Header=BB49_6 Depth=1
	s_add_co_i32 s60, s104, s78
	s_mov_b32 vcc_hi, 0
	s_mul_u64 s[38:39], s[60:61], s[64:65]
	s_mov_b32 s44, exec_lo
	s_mul_i32 s38, s39, s43
                                        ; implicit-def: $vgpr10_vgpr11
	s_delay_alu instid0(SALU_CYCLE_1) | instskip(NEXT) | instid1(SALU_CYCLE_1)
	s_sub_co_i32 s38, s60, s38
	s_sub_co_i32 s39, s38, s43
	s_cmp_ge_u32 s38, s43
	s_cselect_b32 s38, s39, s38
	s_delay_alu instid0(SALU_CYCLE_1) | instskip(SKIP_2) | instid1(SALU_CYCLE_1)
	s_sub_co_i32 s39, s38, s43
	s_cmp_ge_u32 s38, s43
	s_cselect_b32 s38, s39, s38
	s_sub_co_i32 s45, s60, s38
	s_mov_b32 s60, 0
	v_cmpx_gt_u32_e64 s45, v0
	s_cbranch_execz .LBB49_199
; %bb.191:                              ;   in Loop: Header=BB49_6 Depth=1
	v_dual_mov_b32 v22, v21 :: v_dual_mov_b32 v43, v0
	s_mov_b32 s46, 0
                                        ; implicit-def: $sgpr60
	s_branch .LBB49_194
.LBB49_192:                             ;   in Loop: Header=BB49_194 Depth=2
	s_or_b32 exec_lo, exec_lo, s38
	s_wait_dscnt 0x0
	s_barrier_signal -1
	s_barrier_wait -1
	ds_load_b128 v[8:11], v23 offset:3072
	s_mov_b32 s38, -1
	s_mov_b32 s39, -1
	s_wait_dscnt 0x0
	s_barrier_signal -1
	s_barrier_wait -1
	v_cmp_ne_u64_e32 vcc_lo, 0, v[8:9]
	s_cbranch_vccz .LBB49_197
.LBB49_193:                             ;   in Loop: Header=BB49_194 Depth=2
	s_and_b32 s38, exec_lo, s38
	s_delay_alu instid0(SALU_CYCLE_1) | instskip(SKIP_2) | instid1(SALU_CYCLE_1)
	s_or_b32 s46, s38, s46
	s_and_not1_b32 s38, s60, exec_lo
	s_and_b32 s39, s39, exec_lo
	s_or_b32 s60, s38, s39
	s_and_not1_b32 exec_lo, exec_lo, s46
	s_cbranch_execz .LBB49_198
.LBB49_194:                             ;   Parent Loop BB49_6 Depth=1
                                        ; =>  This Inner Loop Header: Depth=2
	s_mov_b32 s38, exec_lo
	s_delay_alu instid0(VALU_DEP_1)
	v_cmpx_gt_u32_e64 s104, v43
	s_cbranch_execz .LBB49_192
; %bb.195:                              ;   in Loop: Header=BB49_194 Depth=2
	ds_load_b64 v[8:9], v22
	s_wait_dscnt 0x0
	v_xor_b32_e32 v7, 0x80000000, v9
	v_and_b32_e32 v10, v8, v2
	s_delay_alu instid0(VALU_DEP_2) | instskip(NEXT) | instid1(VALU_DEP_1)
	v_and_b32_e32 v11, v7, v3
	v_cmp_eq_u64_e32 vcc_lo, v[10:11], v[12:13]
	s_and_b32 exec_lo, exec_lo, vcc_lo
	s_cbranch_execz .LBB49_192
; %bb.196:                              ;   in Loop: Header=BB49_194 Depth=2
	v_mov_b32_e32 v7, v23
	ds_store_b128 v23, v[6:9] offset:3072
	s_branch .LBB49_192
.LBB49_197:                             ;   in Loop: Header=BB49_194 Depth=2
	v_dual_add_nc_u32 v43, s43, v43 :: v_dual_add_nc_u32 v22, s87, v22
	s_mov_b32 s39, 0
	s_delay_alu instid0(VALU_DEP_1)
	v_cmp_le_u32_e32 vcc_lo, s45, v43
	s_or_not1_b32 s38, vcc_lo, exec_lo
	s_branch .LBB49_193
.LBB49_198:                             ;   in Loop: Header=BB49_6 Depth=1
	s_or_b32 exec_lo, exec_lo, s46
	s_delay_alu instid0(SALU_CYCLE_1)
	s_and_b32 s60, s60, exec_lo
.LBB49_199:                             ;   in Loop: Header=BB49_6 Depth=1
	s_or_b32 exec_lo, exec_lo, s44
.LBB49_200:                             ;   in Loop: Header=BB49_6 Depth=1
	s_delay_alu instid0(SALU_CYCLE_1)
	s_and_b32 vcc_lo, exec_lo, vcc_hi
	s_cbranch_vccz .LBB49_211
; %bb.201:                              ;   in Loop: Header=BB49_6 Depth=1
                                        ; implicit-def: $vgpr10_vgpr11
	s_and_saveexec_b32 s101, s9
	s_cbranch_execz .LBB49_210
; %bb.202:                              ;   in Loop: Header=BB49_6 Depth=1
	v_dual_mov_b32 v22, v20 :: v_dual_mov_b32 v43, v0
	s_mov_b32 s44, 0
                                        ; implicit-def: $sgpr45
	s_branch .LBB49_205
.LBB49_203:                             ;   in Loop: Header=BB49_205 Depth=2
	s_or_b32 exec_lo, exec_lo, s38
	s_wait_dscnt 0x0
	s_barrier_signal -1
	s_barrier_wait -1
	ds_load_b128 v[8:11], v23 offset:3072
	s_mov_b32 s38, -1
	s_mov_b32 s39, -1
	s_wait_dscnt 0x0
	s_barrier_signal -1
	s_barrier_wait -1
	v_cmp_eq_u64_e32 vcc_lo, 0, v[8:9]
	s_cbranch_vccnz .LBB49_208
.LBB49_204:                             ;   in Loop: Header=BB49_205 Depth=2
	s_and_b32 s38, exec_lo, s38
	s_delay_alu instid0(SALU_CYCLE_1) | instskip(SKIP_2) | instid1(SALU_CYCLE_1)
	s_or_b32 s44, s38, s44
	s_and_not1_b32 s38, s45, exec_lo
	s_and_b32 s39, s39, exec_lo
	s_or_b32 s45, s38, s39
	s_and_not1_b32 exec_lo, exec_lo, s44
	s_cbranch_execz .LBB49_209
.LBB49_205:                             ;   Parent Loop BB49_6 Depth=1
                                        ; =>  This Inner Loop Header: Depth=2
	s_mov_b32 s38, exec_lo
	s_delay_alu instid0(VALU_DEP_1)
	v_cmpx_gt_u32_e64 s36, v43
	s_cbranch_execz .LBB49_203
; %bb.206:                              ;   in Loop: Header=BB49_205 Depth=2
	global_load_b64 v[8:9], v22, s[30:31] scale_offset
	s_wait_loadcnt 0x0
	v_xor_b32_e32 v7, 0x80000000, v9
	v_and_b32_e32 v10, v8, v2
	s_delay_alu instid0(VALU_DEP_2) | instskip(NEXT) | instid1(VALU_DEP_1)
	v_and_b32_e32 v11, v7, v3
	v_cmp_eq_u64_e32 vcc_lo, v[10:11], v[12:13]
	s_and_b32 exec_lo, exec_lo, vcc_lo
	s_cbranch_execz .LBB49_203
; %bb.207:                              ;   in Loop: Header=BB49_205 Depth=2
	v_mov_b32_e32 v7, v23
	ds_store_b128 v23, v[6:9] offset:3072
	s_branch .LBB49_203
.LBB49_208:                             ;   in Loop: Header=BB49_205 Depth=2
	v_dual_add_nc_u32 v43, s43, v43 :: v_dual_add_nc_u32 v22, s47, v22
	s_mov_b32 s39, 0
	s_delay_alu instid0(VALU_DEP_1)
	v_cmp_le_u32_e32 vcc_lo, s84, v43
	s_or_not1_b32 s38, vcc_lo, exec_lo
	s_branch .LBB49_204
.LBB49_209:                             ;   in Loop: Header=BB49_6 Depth=1
	s_or_b32 exec_lo, exec_lo, s44
	s_delay_alu instid0(SALU_CYCLE_1) | instskip(SKIP_1) | instid1(SALU_CYCLE_1)
	s_and_not1_b32 s38, s60, exec_lo
	s_and_b32 s39, s45, exec_lo
	s_or_b32 s60, s38, s39
.LBB49_210:                             ;   in Loop: Header=BB49_6 Depth=1
	s_or_b32 exec_lo, exec_lo, s101
	s_mov_b32 s101, 0
	s_mov_b32 s102, -1
.LBB49_211:                             ;   in Loop: Header=BB49_6 Depth=1
	s_or_not1_b32 s44, s60, exec_lo
.LBB49_212:                             ;   in Loop: Header=BB49_6 Depth=1
	s_or_b32 exec_lo, exec_lo, s103
	s_mov_b32 s38, 0
	s_and_saveexec_b32 s60, s44
	s_cbranch_execz .LBB49_223
; %bb.213:                              ;   in Loop: Header=BB49_6 Depth=1
	v_dual_mov_b32 v14, 1 :: v_dual_mov_b32 v7, 1
	s_xor_b32 s38, s71, -1
	s_delay_alu instid0(SALU_CYCLE_1)
	s_and_saveexec_b32 s44, s38
	s_cbranch_execz .LBB49_222
; %bb.214:                              ;   in Loop: Header=BB49_6 Depth=1
	s_mov_b32 s38, exec_lo
	v_cmpx_ge_u32_e64 s20, v15
	s_xor_b32 s45, exec_lo, s38
	s_cbranch_execz .LBB49_219
; %bb.215:                              ;   in Loop: Header=BB49_6 Depth=1
	ds_load_b32 v7, v23 offset:4096
	v_or_b32_e32 v13, s13, v13
	v_or_b32_e32 v12, s12, v12
	;; [unrolled: 1-line block ×4, first 2 shown]
	s_wait_dscnt 0x0
	v_cmp_ne_u32_e32 vcc_lo, 0, v7
	s_cbranch_vccnz .LBB49_219
; %bb.216:                              ;   in Loop: Header=BB49_6 Depth=1
	s_and_saveexec_b32 s38, s5
; %bb.217:                              ;   in Loop: Header=BB49_6 Depth=1
	v_mov_b32_e32 v7, s20
	ds_store_b32 v23, v7 offset:4100
; %bb.218:                              ;   in Loop: Header=BB49_6 Depth=1
	s_or_b32 exec_lo, exec_lo, s38
	s_wait_dscnt 0x0
	s_barrier_signal -1
	s_barrier_wait -1
.LBB49_219:                             ;   in Loop: Header=BB49_6 Depth=1
	s_and_not1_saveexec_b32 s38, s45
; %bb.220:                              ;   in Loop: Header=BB49_6 Depth=1
	v_subrev_nc_u32_e32 v15, s20, v15
; %bb.221:                              ;   in Loop: Header=BB49_6 Depth=1
	s_or_b32 exec_lo, exec_lo, s38
	s_delay_alu instid0(VALU_DEP_1)
	v_dual_mov_b32 v14, 8 :: v_dual_mov_b32 v7, v15
.LBB49_222:                             ;   in Loop: Header=BB49_6 Depth=1
	s_or_b32 exec_lo, exec_lo, s44
	s_delay_alu instid0(VALU_DEP_1)
	v_mov_b32_e32 v15, v7
	s_mov_b32 s38, exec_lo
.LBB49_223:                             ;   in Loop: Header=BB49_6 Depth=1
	s_or_b32 exec_lo, exec_lo, s60
	s_delay_alu instid0(SALU_CYCLE_1)
	s_or_not1_b32 s44, s38, exec_lo
.LBB49_224:                             ;   in Loop: Header=BB49_6 Depth=1
	s_or_b32 exec_lo, exec_lo, s70
	v_mov_b32_e32 v22, v15
	s_and_not1_b32 s38, s68, exec_lo
	s_and_b32 s39, s102, exec_lo
	s_and_not1_b32 s29, s29, exec_lo
	s_and_b32 s45, s101, exec_lo
	s_or_b32 s68, s38, s39
	s_or_b32 s29, s29, s45
	s_and_b32 s45, s44, exec_lo
.LBB49_225:                             ;   in Loop: Header=BB49_6 Depth=1
	s_or_b32 exec_lo, exec_lo, s69
	s_delay_alu instid0(SALU_CYCLE_1)
	s_or_not1_b32 s44, s45, exec_lo
.LBB49_226:                             ;   in Loop: Header=BB49_6 Depth=1
	s_or_b32 exec_lo, exec_lo, s28
	v_mov_b32_e32 v15, v22
	s_and_not1_b32 s26, s26, exec_lo
	s_and_b32 s28, s68, exec_lo
	s_and_not1_b32 s21, s21, exec_lo
	s_and_b32 s29, s29, exec_lo
	s_or_b32 s26, s26, s28
	s_or_b32 s21, s21, s29
	s_and_b32 s44, s44, exec_lo
.LBB49_227:                             ;   in Loop: Header=BB49_6 Depth=1
	s_or_b32 exec_lo, exec_lo, s27
	s_delay_alu instid0(SALU_CYCLE_1)
	s_or_not1_b32 s27, s44, exec_lo
.LBB49_228:                             ;   in Loop: Header=BB49_6 Depth=1
	s_or_b32 exec_lo, exec_lo, s11
	s_mov_b32 s28, 0
	s_mov_b32 s29, 0
	s_and_saveexec_b32 s11, s27
	s_delay_alu instid0(SALU_CYCLE_1)
	s_xor_b32 s27, exec_lo, s11
; %bb.229:                              ;   in Loop: Header=BB49_6 Depth=1
	v_cmp_ne_u32_e32 vcc_lo, 8, v14
	v_cmp_eq_u32_e64 s11, 8, v14
	s_and_b32 s29, vcc_lo, exec_lo
	s_and_b32 s28, s11, exec_lo
; %bb.230:                              ;   in Loop: Header=BB49_6 Depth=1
	s_or_b32 exec_lo, exec_lo, s27
	s_delay_alu instid0(SALU_CYCLE_1)
	s_and_not1_b32 s11, s23, exec_lo
	s_and_b32 s23, s26, exec_lo
	s_and_not1_b32 s22, s22, exec_lo
	s_and_b32 s21, s21, exec_lo
	s_or_b32 s23, s11, s23
	s_or_b32 s22, s22, s21
	s_and_b32 s11, s29, exec_lo
	s_and_b32 s21, s28, exec_lo
.LBB49_231:                             ;   in Loop: Header=BB49_6 Depth=1
	s_or_b32 exec_lo, exec_lo, s25
.LBB49_232:                             ;   in Loop: Header=BB49_6 Depth=1
	s_delay_alu instid0(SALU_CYCLE_1)
	s_and_b32 vcc_lo, exec_lo, s24
	s_cbranch_vccz .LBB49_245
; %bb.233:                              ;   in Loop: Header=BB49_6 Depth=1
	s_cmp_eq_u32 s20, 1
	s_mov_b32 s23, -1
	s_cselect_b32 s16, -1, 0
                                        ; implicit-def: $sgpr24
	s_delay_alu instid0(SALU_CYCLE_1) | instskip(NEXT) | instid1(SALU_CYCLE_1)
	s_and_b32 s10, s16, s10
                                        ; implicit-def: $sgpr16
	s_and_saveexec_b32 s22, s10
	s_cbranch_execz .LBB49_260
; %bb.234:                              ;   in Loop: Header=BB49_6 Depth=1
	ds_load_b32 v2, v23 offset:4096
	s_wait_dscnt 0x0
	s_barrier_signal -1
	s_barrier_wait -1
	v_readfirstlane_b32 s25, v2
	s_and_saveexec_b32 s16, s6
; %bb.235:                              ;   in Loop: Header=BB49_6 Depth=1
	ds_store_b64 v32, v[28:29]
; %bb.236:                              ;   in Loop: Header=BB49_6 Depth=1
	s_or_b32 exec_lo, exec_lo, s16
	v_or_b32_e32 v27, s13, v27
	v_or_b32_e32 v26, s12, v26
	;; [unrolled: 1-line block ×4, first 2 shown]
	s_mov_b32 s16, -1
	s_mov_b32 s24, 0
	s_cmp_eq_u32 s25, 0
	s_mov_b32 s23, 0
	s_mov_b32 s26, -1
	s_wait_dscnt 0x0
	s_barrier_signal -1
	s_barrier_wait -1
                                        ; implicit-def: $vgpr4_vgpr5
	s_cbranch_scc1 .LBB49_248
; %bb.237:                              ;   in Loop: Header=BB49_6 Depth=1
	s_add_co_i32 s60, s25, s78
                                        ; implicit-def: $vgpr4_vgpr5
	s_delay_alu instid0(SALU_CYCLE_1) | instskip(NEXT) | instid1(SALU_CYCLE_1)
	s_mul_u64 s[26:27], s[60:61], s[64:65]
	s_mul_i32 s23, s27, s43
	s_mov_b32 s27, exec_lo
	s_sub_co_i32 s23, s60, s23
	s_delay_alu instid0(SALU_CYCLE_1) | instskip(SKIP_2) | instid1(SALU_CYCLE_1)
	s_sub_co_i32 s26, s23, s43
	s_cmp_ge_u32 s23, s43
	s_cselect_b32 s23, s26, s23
	s_sub_co_i32 s26, s23, s43
	s_cmp_ge_u32 s23, s43
	s_cselect_b32 s23, s26, s23
	s_mov_b32 s26, 0
	s_sub_co_i32 s28, s60, s23
	s_mov_b32 s23, 0
	v_cmpx_gt_u32_e64 s28, v0
	s_cbranch_execz .LBB49_247
; %bb.238:                              ;   in Loop: Header=BB49_6 Depth=1
	v_dual_mov_b32 v10, v21 :: v_dual_mov_b32 v11, v0
                                        ; implicit-def: $sgpr29
	s_branch .LBB49_241
.LBB49_239:                             ;   in Loop: Header=BB49_241 Depth=2
	s_or_b32 exec_lo, exec_lo, s44
	s_wait_dscnt 0x0
	s_barrier_signal -1
	s_barrier_wait -1
	ds_load_b128 v[2:5], v23 offset:3072
	s_mov_b32 s38, -1
	s_mov_b32 s39, -1
	s_wait_dscnt 0x0
	s_barrier_signal -1
	s_barrier_wait -1
	v_cmp_ne_u64_e32 vcc_lo, 0, v[2:3]
	s_cbranch_vccz .LBB49_244
.LBB49_240:                             ;   in Loop: Header=BB49_241 Depth=2
	s_and_b32 s38, exec_lo, s38
	s_delay_alu instid0(SALU_CYCLE_1) | instskip(SKIP_2) | instid1(SALU_CYCLE_1)
	s_or_b32 s23, s38, s23
	s_and_not1_b32 s29, s29, exec_lo
	s_and_b32 s38, s39, exec_lo
	s_or_b32 s29, s29, s38
	s_and_not1_b32 exec_lo, exec_lo, s23
	s_cbranch_execz .LBB49_246
.LBB49_241:                             ;   Parent Loop BB49_6 Depth=1
                                        ; =>  This Inner Loop Header: Depth=2
	s_mov_b32 s44, exec_lo
	s_delay_alu instid0(VALU_DEP_1)
	v_cmpx_gt_u32_e64 s25, v11
	s_cbranch_execz .LBB49_239
; %bb.242:                              ;   in Loop: Header=BB49_241 Depth=2
	ds_load_b64 v[8:9], v10
	s_wait_dscnt 0x0
	v_xor_b32_e32 v2, 0x80000000, v9
	s_delay_alu instid0(VALU_DEP_1) | instskip(SKIP_1) | instid1(VALU_DEP_1)
	v_and_b32_e32 v3, v2, v31
	v_and_b32_e32 v2, v8, v30
	v_cmp_eq_u64_e32 vcc_lo, v[2:3], v[26:27]
	s_and_b32 exec_lo, exec_lo, vcc_lo
	s_cbranch_execz .LBB49_239
; %bb.243:                              ;   in Loop: Header=BB49_241 Depth=2
	v_mov_b32_e32 v7, v23
	ds_store_b128 v23, v[6:9] offset:3072
	s_branch .LBB49_239
.LBB49_244:                             ;   in Loop: Header=BB49_241 Depth=2
	v_dual_add_nc_u32 v11, s43, v11 :: v_dual_add_nc_u32 v10, s87, v10
	s_mov_b32 s39, 0
	s_delay_alu instid0(VALU_DEP_1)
	v_cmp_le_u32_e32 vcc_lo, s28, v11
	s_or_not1_b32 s38, vcc_lo, exec_lo
	s_branch .LBB49_240
.LBB49_245:                             ;   in Loop: Header=BB49_6 Depth=1
	v_mov_b64_e32 v[26:27], v[12:13]
	v_mov_b64_e32 v[30:31], v[2:3]
	;; [unrolled: 1-line block ×3, first 2 shown]
	s_mov_b32 s24, 0
	s_and_saveexec_b32 s10, s21
	s_cbranch_execnz .LBB49_391
	s_branch .LBB49_392
.LBB49_246:                             ;   in Loop: Header=BB49_6 Depth=1
	s_or_b32 exec_lo, exec_lo, s23
	s_delay_alu instid0(SALU_CYCLE_1)
	s_and_b32 s23, s29, exec_lo
.LBB49_247:                             ;   in Loop: Header=BB49_6 Depth=1
	s_or_b32 exec_lo, exec_lo, s27
.LBB49_248:                             ;   in Loop: Header=BB49_6 Depth=1
	s_delay_alu instid0(SALU_CYCLE_1)
	s_and_b32 vcc_lo, exec_lo, s26
	s_cbranch_vccz .LBB49_259
; %bb.249:                              ;   in Loop: Header=BB49_6 Depth=1
                                        ; implicit-def: $vgpr4_vgpr5
	s_and_saveexec_b32 s16, s9
	s_cbranch_execz .LBB49_258
; %bb.250:                              ;   in Loop: Header=BB49_6 Depth=1
	v_dual_mov_b32 v10, v20 :: v_dual_mov_b32 v11, v0
	s_mov_b32 s25, 0
                                        ; implicit-def: $sgpr24
	s_branch .LBB49_253
.LBB49_251:                             ;   in Loop: Header=BB49_253 Depth=2
	s_or_b32 exec_lo, exec_lo, s26
	s_wait_dscnt 0x0
	s_barrier_signal -1
	s_barrier_wait -1
	ds_load_b128 v[2:5], v23 offset:3072
	s_mov_b32 s26, -1
	s_mov_b32 s27, -1
	s_wait_dscnt 0x0
	s_barrier_signal -1
	s_barrier_wait -1
	v_cmp_ne_u64_e32 vcc_lo, 0, v[2:3]
	s_cbranch_vccz .LBB49_256
.LBB49_252:                             ;   in Loop: Header=BB49_253 Depth=2
	s_and_b32 s26, exec_lo, s26
	s_delay_alu instid0(SALU_CYCLE_1) | instskip(SKIP_2) | instid1(SALU_CYCLE_1)
	s_or_b32 s25, s26, s25
	s_and_not1_b32 s24, s24, exec_lo
	s_and_b32 s26, s27, exec_lo
	s_or_b32 s24, s24, s26
	s_and_not1_b32 exec_lo, exec_lo, s25
	s_cbranch_execz .LBB49_257
.LBB49_253:                             ;   Parent Loop BB49_6 Depth=1
                                        ; =>  This Inner Loop Header: Depth=2
	s_mov_b32 s26, exec_lo
	s_delay_alu instid0(VALU_DEP_1)
	v_cmpx_gt_u32_e64 s36, v11
	s_cbranch_execz .LBB49_251
; %bb.254:                              ;   in Loop: Header=BB49_253 Depth=2
	global_load_b64 v[8:9], v10, s[30:31] scale_offset
	s_wait_loadcnt 0x0
	v_xor_b32_e32 v2, 0x80000000, v9
	s_delay_alu instid0(VALU_DEP_1) | instskip(SKIP_1) | instid1(VALU_DEP_1)
	v_and_b32_e32 v3, v2, v31
	v_and_b32_e32 v2, v8, v30
	v_cmp_eq_u64_e32 vcc_lo, v[2:3], v[26:27]
	s_and_b32 exec_lo, exec_lo, vcc_lo
	s_cbranch_execz .LBB49_251
; %bb.255:                              ;   in Loop: Header=BB49_253 Depth=2
	v_mov_b32_e32 v7, v23
	ds_store_b128 v23, v[6:9] offset:3072
	s_branch .LBB49_251
.LBB49_256:                             ;   in Loop: Header=BB49_253 Depth=2
	v_dual_add_nc_u32 v11, s43, v11 :: v_dual_add_nc_u32 v10, s47, v10
	s_mov_b32 s27, 0
	s_delay_alu instid0(VALU_DEP_1)
	v_cmp_le_u32_e32 vcc_lo, s84, v11
	s_or_not1_b32 s26, vcc_lo, exec_lo
	s_branch .LBB49_252
.LBB49_257:                             ;   in Loop: Header=BB49_6 Depth=1
	s_or_b32 exec_lo, exec_lo, s25
	s_delay_alu instid0(SALU_CYCLE_1) | instskip(SKIP_1) | instid1(SALU_CYCLE_1)
	s_and_not1_b32 s23, s23, exec_lo
	s_and_b32 s24, s24, exec_lo
	s_or_b32 s23, s23, s24
.LBB49_258:                             ;   in Loop: Header=BB49_6 Depth=1
	s_or_b32 exec_lo, exec_lo, s16
	s_mov_b32 s16, 0
	s_mov_b32 s24, -1
.LBB49_259:                             ;   in Loop: Header=BB49_6 Depth=1
	s_or_not1_b32 s23, s23, exec_lo
.LBB49_260:                             ;   in Loop: Header=BB49_6 Depth=1
	s_or_b32 exec_lo, exec_lo, s22
                                        ; implicit-def: $vgpr15
                                        ; implicit-def: $vgpr14
	s_and_saveexec_b32 s22, s23
	s_cbranch_execz .LBB49_390
; %bb.261:                              ;   in Loop: Header=BB49_6 Depth=1
	v_dual_mov_b32 v15, 1 :: v_dual_mov_b32 v14, 1
	s_xor_b32 s23, s10, -1
	s_mov_b32 s26, 0
	s_and_saveexec_b32 s10, s23
	s_cbranch_execz .LBB49_270
; %bb.262:                              ;   in Loop: Header=BB49_6 Depth=1
	s_mov_b32 s23, exec_lo
	v_cmpx_ge_u32_e64 s20, v42
	s_xor_b32 s23, exec_lo, s23
	s_cbranch_execz .LBB49_267
; %bb.263:                              ;   in Loop: Header=BB49_6 Depth=1
	ds_load_b32 v2, v23 offset:4096
	v_or_b32_e32 v27, s13, v27
	v_or_b32_e32 v26, s12, v26
	;; [unrolled: 1-line block ×4, first 2 shown]
	s_wait_dscnt 0x0
	v_cmp_ne_u32_e32 vcc_lo, 0, v2
	s_cbranch_vccnz .LBB49_267
; %bb.264:                              ;   in Loop: Header=BB49_6 Depth=1
	s_and_saveexec_b32 s25, s5
; %bb.265:                              ;   in Loop: Header=BB49_6 Depth=1
	v_mov_b32_e32 v2, s20
	ds_store_b32 v23, v2 offset:4100
; %bb.266:                              ;   in Loop: Header=BB49_6 Depth=1
	s_or_b32 exec_lo, exec_lo, s25
	s_wait_dscnt 0x0
	s_barrier_signal -1
	s_barrier_wait -1
.LBB49_267:                             ;   in Loop: Header=BB49_6 Depth=1
	s_or_saveexec_b32 s23, s23
	v_mov_b32_e32 v14, 5
	s_mov_b32 s25, 0
	s_xor_b32 exec_lo, exec_lo, s23
; %bb.268:                              ;   in Loop: Header=BB49_6 Depth=1
	v_subrev_nc_u32_e32 v42, s20, v42
	v_mov_b32_e32 v14, 0
	s_mov_b32 s25, exec_lo
; %bb.269:                              ;   in Loop: Header=BB49_6 Depth=1
	s_or_b32 exec_lo, exec_lo, s23
	s_delay_alu instid0(VALU_DEP_2)
	v_mov_b32_e32 v15, v42
	s_and_b32 s26, s25, exec_lo
.LBB49_270:                             ;   in Loop: Header=BB49_6 Depth=1
	s_or_b32 exec_lo, exec_lo, s10
	s_mov_b32 s25, -1
                                        ; implicit-def: $sgpr20
                                        ; implicit-def: $sgpr23
	s_and_saveexec_b32 s10, s26
	s_delay_alu instid0(SALU_CYCLE_1)
	s_xor_b32 s10, exec_lo, s10
	s_cbranch_execz .LBB49_387
; %bb.271:                              ;   in Loop: Header=BB49_6 Depth=1
	v_cmp_eq_u32_e32 vcc_lo, 1, v15
	s_cmp_eq_u32 s19, 1
	s_mov_b32 s27, -1
	s_cselect_b32 s20, -1, 0
                                        ; implicit-def: $sgpr23
	s_delay_alu instid0(SALU_CYCLE_1) | instskip(NEXT) | instid1(SALU_CYCLE_1)
	s_and_b32 s26, s20, vcc_lo
                                        ; implicit-def: $sgpr20
	s_and_saveexec_b32 s25, s26
	s_cbranch_execz .LBB49_297
; %bb.272:                              ;   in Loop: Header=BB49_6 Depth=1
	ds_load_b32 v2, v23 offset:4096
	s_wait_dscnt 0x0
	s_barrier_signal -1
	s_barrier_wait -1
	v_readfirstlane_b32 s28, v2
	s_and_saveexec_b32 s20, s6
; %bb.273:                              ;   in Loop: Header=BB49_6 Depth=1
	ds_store_b64 v32, v[28:29]
; %bb.274:                              ;   in Loop: Header=BB49_6 Depth=1
	s_or_b32 exec_lo, exec_lo, s20
	v_and_b32_e32 v2, s15, v27
	v_and_b32_e32 v3, s14, v26
	s_lshl_b64 s[38:39], 2, s88
	v_or_b32_e32 v31, s13, v31
	v_or_b32_e32 v30, s12, v30
	;; [unrolled: 1-line block ×4, first 2 shown]
	s_mov_b32 s20, -1
	s_mov_b32 s23, 0
	s_cmp_eq_u32 s28, 0
	s_mov_b32 s27, 0
	s_mov_b32 s29, -1
	s_wait_dscnt 0x0
	s_barrier_signal -1
	s_barrier_wait -1
                                        ; implicit-def: $vgpr4_vgpr5
	s_cbranch_scc1 .LBB49_285
; %bb.275:                              ;   in Loop: Header=BB49_6 Depth=1
	s_add_co_i32 s60, s28, s78
                                        ; implicit-def: $vgpr4_vgpr5
	s_delay_alu instid0(SALU_CYCLE_1) | instskip(NEXT) | instid1(SALU_CYCLE_1)
	s_mul_u64 s[38:39], s[60:61], s[64:65]
	s_mul_i32 s27, s39, s43
	s_delay_alu instid0(SALU_CYCLE_1) | instskip(NEXT) | instid1(SALU_CYCLE_1)
	s_sub_co_i32 s27, s60, s27
	s_sub_co_i32 s29, s27, s43
	s_cmp_ge_u32 s27, s43
	s_cselect_b32 s27, s29, s27
	s_delay_alu instid0(SALU_CYCLE_1)
	s_sub_co_i32 s29, s27, s43
	s_cmp_ge_u32 s27, s43
	s_cselect_b32 s27, s29, s27
	s_mov_b32 s29, 0
	s_sub_co_i32 s44, s60, s27
	s_mov_b32 s27, 0
	s_mov_b32 s60, exec_lo
	v_cmpx_gt_u32_e64 s44, v0
	s_cbranch_execz .LBB49_284
; %bb.276:                              ;   in Loop: Header=BB49_6 Depth=1
	v_dual_mov_b32 v10, v21 :: v_dual_mov_b32 v11, v0
                                        ; implicit-def: $sgpr45
	s_branch .LBB49_279
.LBB49_277:                             ;   in Loop: Header=BB49_279 Depth=2
	s_or_b32 exec_lo, exec_lo, s46
	s_wait_dscnt 0x0
	s_barrier_signal -1
	s_barrier_wait -1
	ds_load_b128 v[2:5], v23 offset:3072
	s_mov_b32 s38, -1
	s_mov_b32 s39, -1
	s_wait_dscnt 0x0
	s_barrier_signal -1
	s_barrier_wait -1
	v_cmp_ne_u64_e32 vcc_lo, 0, v[2:3]
	s_cbranch_vccz .LBB49_282
.LBB49_278:                             ;   in Loop: Header=BB49_279 Depth=2
	s_and_b32 s38, exec_lo, s38
	s_delay_alu instid0(SALU_CYCLE_1) | instskip(SKIP_2) | instid1(SALU_CYCLE_1)
	s_or_b32 s27, s38, s27
	s_and_not1_b32 s38, s45, exec_lo
	s_and_b32 s39, s39, exec_lo
	s_or_b32 s45, s38, s39
	s_and_not1_b32 exec_lo, exec_lo, s27
	s_cbranch_execz .LBB49_283
.LBB49_279:                             ;   Parent Loop BB49_6 Depth=1
                                        ; =>  This Inner Loop Header: Depth=2
	s_mov_b32 s46, exec_lo
	s_delay_alu instid0(VALU_DEP_1)
	v_cmpx_gt_u32_e64 s28, v11
	s_cbranch_execz .LBB49_277
; %bb.280:                              ;   in Loop: Header=BB49_279 Depth=2
	ds_load_b64 v[8:9], v10
	s_wait_dscnt 0x0
	v_xor_b32_e32 v2, 0x80000000, v9
	s_delay_alu instid0(VALU_DEP_1) | instskip(SKIP_1) | instid1(VALU_DEP_1)
	v_and_b32_e32 v3, v2, v31
	v_and_b32_e32 v2, v8, v30
	v_cmp_eq_u64_e32 vcc_lo, v[2:3], v[26:27]
	s_and_b32 exec_lo, exec_lo, vcc_lo
	s_cbranch_execz .LBB49_277
; %bb.281:                              ;   in Loop: Header=BB49_279 Depth=2
	v_mov_b32_e32 v7, v23
	ds_store_b128 v23, v[6:9] offset:3072
	s_branch .LBB49_277
.LBB49_282:                             ;   in Loop: Header=BB49_279 Depth=2
	v_dual_add_nc_u32 v11, s43, v11 :: v_dual_add_nc_u32 v10, s87, v10
	s_mov_b32 s39, 0
	s_delay_alu instid0(VALU_DEP_1)
	v_cmp_le_u32_e32 vcc_lo, s44, v11
	s_or_not1_b32 s38, vcc_lo, exec_lo
	s_branch .LBB49_278
.LBB49_283:                             ;   in Loop: Header=BB49_6 Depth=1
	s_or_b32 exec_lo, exec_lo, s27
	s_delay_alu instid0(SALU_CYCLE_1)
	s_and_b32 s27, s45, exec_lo
.LBB49_284:                             ;   in Loop: Header=BB49_6 Depth=1
	s_or_b32 exec_lo, exec_lo, s60
.LBB49_285:                             ;   in Loop: Header=BB49_6 Depth=1
	s_delay_alu instid0(SALU_CYCLE_1)
	s_and_b32 vcc_lo, exec_lo, s29
	s_cbranch_vccz .LBB49_296
; %bb.286:                              ;   in Loop: Header=BB49_6 Depth=1
                                        ; implicit-def: $vgpr4_vgpr5
	s_and_saveexec_b32 s20, s9
	s_cbranch_execz .LBB49_295
; %bb.287:                              ;   in Loop: Header=BB49_6 Depth=1
	v_dual_mov_b32 v10, v20 :: v_dual_mov_b32 v11, v0
	s_mov_b32 s23, 0
                                        ; implicit-def: $sgpr28
	s_branch .LBB49_290
.LBB49_288:                             ;   in Loop: Header=BB49_290 Depth=2
	s_or_b32 exec_lo, exec_lo, s29
	s_wait_dscnt 0x0
	s_barrier_signal -1
	s_barrier_wait -1
	ds_load_b128 v[2:5], v23 offset:3072
	s_mov_b32 s29, -1
	s_mov_b32 s38, -1
	s_wait_dscnt 0x0
	s_barrier_signal -1
	s_barrier_wait -1
	v_cmp_eq_u64_e32 vcc_lo, 0, v[2:3]
	s_cbranch_vccnz .LBB49_293
.LBB49_289:                             ;   in Loop: Header=BB49_290 Depth=2
	s_and_b32 s29, exec_lo, s29
	s_delay_alu instid0(SALU_CYCLE_1) | instskip(SKIP_2) | instid1(SALU_CYCLE_1)
	s_or_b32 s23, s29, s23
	s_and_not1_b32 s28, s28, exec_lo
	s_and_b32 s29, s38, exec_lo
	s_or_b32 s28, s28, s29
	s_and_not1_b32 exec_lo, exec_lo, s23
	s_cbranch_execz .LBB49_294
.LBB49_290:                             ;   Parent Loop BB49_6 Depth=1
                                        ; =>  This Inner Loop Header: Depth=2
	s_mov_b32 s29, exec_lo
	s_delay_alu instid0(VALU_DEP_1)
	v_cmpx_gt_u32_e64 s36, v11
	s_cbranch_execz .LBB49_288
; %bb.291:                              ;   in Loop: Header=BB49_290 Depth=2
	global_load_b64 v[8:9], v10, s[30:31] scale_offset
	s_wait_loadcnt 0x0
	v_xor_b32_e32 v2, 0x80000000, v9
	s_delay_alu instid0(VALU_DEP_1) | instskip(SKIP_1) | instid1(VALU_DEP_1)
	v_and_b32_e32 v3, v2, v31
	v_and_b32_e32 v2, v8, v30
	v_cmp_eq_u64_e32 vcc_lo, v[2:3], v[26:27]
	s_and_b32 exec_lo, exec_lo, vcc_lo
	s_cbranch_execz .LBB49_288
; %bb.292:                              ;   in Loop: Header=BB49_290 Depth=2
	v_mov_b32_e32 v7, v23
	ds_store_b128 v23, v[6:9] offset:3072
	s_branch .LBB49_288
.LBB49_293:                             ;   in Loop: Header=BB49_290 Depth=2
	v_dual_add_nc_u32 v11, s43, v11 :: v_dual_add_nc_u32 v10, s47, v10
	s_mov_b32 s38, 0
	s_delay_alu instid0(VALU_DEP_1)
	v_cmp_le_u32_e32 vcc_lo, s84, v11
	s_or_not1_b32 s29, vcc_lo, exec_lo
	s_branch .LBB49_289
.LBB49_294:                             ;   in Loop: Header=BB49_6 Depth=1
	s_or_b32 exec_lo, exec_lo, s23
	s_delay_alu instid0(SALU_CYCLE_1) | instskip(SKIP_1) | instid1(SALU_CYCLE_1)
	s_and_not1_b32 s23, s27, exec_lo
	s_and_b32 s27, s28, exec_lo
	s_or_b32 s27, s23, s27
.LBB49_295:                             ;   in Loop: Header=BB49_6 Depth=1
	s_or_b32 exec_lo, exec_lo, s20
	s_mov_b32 s20, 0
	s_mov_b32 s23, -1
.LBB49_296:                             ;   in Loop: Header=BB49_6 Depth=1
	s_or_not1_b32 s27, s27, exec_lo
.LBB49_297:                             ;   in Loop: Header=BB49_6 Depth=1
	s_or_b32 exec_lo, exec_lo, s25
	s_mov_b32 s28, 0
	s_and_saveexec_b32 s25, s27
	s_cbranch_execz .LBB49_386
; %bb.298:                              ;   in Loop: Header=BB49_6 Depth=1
	v_dual_mov_b32 v10, 1 :: v_dual_mov_b32 v14, 1
	s_xor_b32 s27, s26, -1
	s_mov_b32 s29, 0
	s_and_saveexec_b32 s26, s27
	s_cbranch_execz .LBB49_307
; %bb.299:                              ;   in Loop: Header=BB49_6 Depth=1
	s_mov_b32 s27, exec_lo
	v_cmpx_ge_u32_e64 s19, v15
	s_xor_b32 s27, exec_lo, s27
	s_cbranch_execz .LBB49_304
; %bb.300:                              ;   in Loop: Header=BB49_6 Depth=1
	ds_load_b32 v2, v23 offset:4096
	v_and_b32_e32 v3, s15, v27
	v_and_b32_e32 v7, s14, v26
	s_lshl_b64 s[28:29], 2, s88
	v_or_b32_e32 v31, s13, v31
	v_or_b32_e32 v30, s12, v30
	;; [unrolled: 1-line block ×4, first 2 shown]
	s_wait_dscnt 0x0
	v_cmp_ne_u32_e32 vcc_lo, 0, v2
	s_cbranch_vccnz .LBB49_304
; %bb.301:                              ;   in Loop: Header=BB49_6 Depth=1
	s_and_saveexec_b32 s28, s5
; %bb.302:                              ;   in Loop: Header=BB49_6 Depth=1
	v_mov_b32_e32 v2, s19
	ds_store_b32 v23, v2 offset:4100
; %bb.303:                              ;   in Loop: Header=BB49_6 Depth=1
	s_or_b32 exec_lo, exec_lo, s28
	s_wait_dscnt 0x0
	s_barrier_signal -1
	s_barrier_wait -1
.LBB49_304:                             ;   in Loop: Header=BB49_6 Depth=1
	s_or_saveexec_b32 s27, s27
	v_mov_b32_e32 v14, 5
	s_mov_b32 s28, 0
	s_xor_b32 exec_lo, exec_lo, s27
; %bb.305:                              ;   in Loop: Header=BB49_6 Depth=1
	v_subrev_nc_u32_e32 v15, s19, v15
	v_mov_b32_e32 v14, 0
	s_mov_b32 s28, exec_lo
; %bb.306:                              ;   in Loop: Header=BB49_6 Depth=1
	s_or_b32 exec_lo, exec_lo, s27
	s_delay_alu instid0(VALU_DEP_2)
	v_mov_b32_e32 v10, v15
	s_and_b32 s29, s28, exec_lo
.LBB49_307:                             ;   in Loop: Header=BB49_6 Depth=1
	s_or_b32 exec_lo, exec_lo, s26
	s_mov_b32 s28, -1
                                        ; implicit-def: $sgpr26
                                        ; implicit-def: $sgpr27
	s_and_saveexec_b32 s19, s29
	s_cbranch_execz .LBB49_385
; %bb.308:                              ;   in Loop: Header=BB49_6 Depth=1
	v_cmp_eq_u32_e32 vcc_lo, 1, v10
	s_cmp_eq_u32 s18, 1
	s_mov_b32 s44, -1
	s_cselect_b32 s26, -1, 0
                                        ; implicit-def: $sgpr27
	s_delay_alu instid0(SALU_CYCLE_1) | instskip(NEXT) | instid1(SALU_CYCLE_1)
	s_and_b32 s29, s26, vcc_lo
                                        ; implicit-def: $sgpr26
	s_and_saveexec_b32 s28, s29
	s_cbranch_execz .LBB49_334
; %bb.309:                              ;   in Loop: Header=BB49_6 Depth=1
	ds_load_b32 v2, v23 offset:4096
	s_wait_dscnt 0x0
	s_barrier_signal -1
	s_barrier_wait -1
	v_readfirstlane_b32 s68, v2
	s_and_saveexec_b32 s26, s6
; %bb.310:                              ;   in Loop: Header=BB49_6 Depth=1
	ds_store_b64 v32, v[28:29]
; %bb.311:                              ;   in Loop: Header=BB49_6 Depth=1
	s_or_b32 exec_lo, exec_lo, s26
	v_and_b32_e32 v2, s15, v27
	v_and_b32_e32 v3, s14, v26
	s_lshl_b64 s[26:27], 1, s88
	v_or_b32_e32 v31, s13, v31
	v_or_b32_e32 v30, s12, v30
	;; [unrolled: 1-line block ×4, first 2 shown]
	s_mov_b32 s26, -1
	s_mov_b32 s27, 0
	s_cmp_eq_u32 s68, 0
	s_mov_b32 s60, 0
	s_mov_b32 s69, -1
	s_wait_dscnt 0x0
	s_barrier_signal -1
	s_barrier_wait -1
                                        ; implicit-def: $vgpr4_vgpr5
	s_cbranch_scc1 .LBB49_322
; %bb.312:                              ;   in Loop: Header=BB49_6 Depth=1
	s_add_co_i32 s60, s68, s78
	s_mov_b32 s69, 0
	s_mul_u64 s[38:39], s[60:61], s[64:65]
	s_mov_b32 s70, exec_lo
	s_mul_i32 s38, s39, s43
                                        ; implicit-def: $vgpr4_vgpr5
	s_delay_alu instid0(SALU_CYCLE_1) | instskip(NEXT) | instid1(SALU_CYCLE_1)
	s_sub_co_i32 s38, s60, s38
	s_sub_co_i32 s39, s38, s43
	s_cmp_ge_u32 s38, s43
	s_cselect_b32 s38, s39, s38
	s_delay_alu instid0(SALU_CYCLE_1) | instskip(SKIP_2) | instid1(SALU_CYCLE_1)
	s_sub_co_i32 s39, s38, s43
	s_cmp_ge_u32 s38, s43
	s_cselect_b32 s38, s39, s38
	s_sub_co_i32 s44, s60, s38
	s_mov_b32 s60, 0
	v_cmpx_gt_u32_e64 s44, v0
	s_cbranch_execz .LBB49_321
; %bb.313:                              ;   in Loop: Header=BB49_6 Depth=1
	v_dual_mov_b32 v11, v21 :: v_dual_mov_b32 v12, v0
	s_mov_b32 s45, 0
                                        ; implicit-def: $sgpr46
	s_branch .LBB49_316
.LBB49_314:                             ;   in Loop: Header=BB49_316 Depth=2
	s_or_b32 exec_lo, exec_lo, s60
	s_wait_dscnt 0x0
	s_barrier_signal -1
	s_barrier_wait -1
	ds_load_b128 v[2:5], v23 offset:3072
	s_mov_b32 s38, -1
	s_mov_b32 s39, -1
	s_wait_dscnt 0x0
	s_barrier_signal -1
	s_barrier_wait -1
	v_cmp_ne_u64_e32 vcc_lo, 0, v[2:3]
	s_cbranch_vccz .LBB49_319
.LBB49_315:                             ;   in Loop: Header=BB49_316 Depth=2
	s_and_b32 s38, exec_lo, s38
	s_delay_alu instid0(SALU_CYCLE_1) | instskip(SKIP_2) | instid1(SALU_CYCLE_1)
	s_or_b32 s45, s38, s45
	s_and_not1_b32 s38, s46, exec_lo
	s_and_b32 s39, s39, exec_lo
	s_or_b32 s46, s38, s39
	s_and_not1_b32 exec_lo, exec_lo, s45
	s_cbranch_execz .LBB49_320
.LBB49_316:                             ;   Parent Loop BB49_6 Depth=1
                                        ; =>  This Inner Loop Header: Depth=2
	s_mov_b32 s60, exec_lo
	s_delay_alu instid0(VALU_DEP_1)
	v_cmpx_gt_u32_e64 s68, v12
	s_cbranch_execz .LBB49_314
; %bb.317:                              ;   in Loop: Header=BB49_316 Depth=2
	ds_load_b64 v[8:9], v11
	s_wait_dscnt 0x0
	v_xor_b32_e32 v2, 0x80000000, v9
	s_delay_alu instid0(VALU_DEP_1) | instskip(SKIP_1) | instid1(VALU_DEP_1)
	v_and_b32_e32 v3, v2, v31
	v_and_b32_e32 v2, v8, v30
	v_cmp_eq_u64_e32 vcc_lo, v[2:3], v[26:27]
	s_and_b32 exec_lo, exec_lo, vcc_lo
	s_cbranch_execz .LBB49_314
; %bb.318:                              ;   in Loop: Header=BB49_316 Depth=2
	v_mov_b32_e32 v7, v23
	ds_store_b128 v23, v[6:9] offset:3072
	s_branch .LBB49_314
.LBB49_319:                             ;   in Loop: Header=BB49_316 Depth=2
	v_dual_add_nc_u32 v12, s43, v12 :: v_dual_add_nc_u32 v11, s87, v11
	s_mov_b32 s39, 0
	s_delay_alu instid0(VALU_DEP_1)
	v_cmp_le_u32_e32 vcc_lo, s44, v12
	s_or_not1_b32 s38, vcc_lo, exec_lo
	s_branch .LBB49_315
.LBB49_320:                             ;   in Loop: Header=BB49_6 Depth=1
	s_or_b32 exec_lo, exec_lo, s45
	s_delay_alu instid0(SALU_CYCLE_1)
	s_and_b32 s60, s46, exec_lo
.LBB49_321:                             ;   in Loop: Header=BB49_6 Depth=1
	s_or_b32 exec_lo, exec_lo, s70
.LBB49_322:                             ;   in Loop: Header=BB49_6 Depth=1
	s_delay_alu instid0(SALU_CYCLE_1)
	s_and_b32 vcc_lo, exec_lo, s69
	s_cbranch_vccz .LBB49_333
; %bb.323:                              ;   in Loop: Header=BB49_6 Depth=1
                                        ; implicit-def: $vgpr4_vgpr5
	s_and_saveexec_b32 s26, s9
	s_cbranch_execz .LBB49_332
; %bb.324:                              ;   in Loop: Header=BB49_6 Depth=1
	v_dual_mov_b32 v11, v20 :: v_dual_mov_b32 v12, v0
	s_mov_b32 s27, 0
                                        ; implicit-def: $sgpr44
	s_branch .LBB49_327
.LBB49_325:                             ;   in Loop: Header=BB49_327 Depth=2
	s_or_b32 exec_lo, exec_lo, s45
	s_wait_dscnt 0x0
	s_barrier_signal -1
	s_barrier_wait -1
	ds_load_b128 v[2:5], v23 offset:3072
	s_mov_b32 s38, -1
	s_mov_b32 s39, -1
	s_wait_dscnt 0x0
	s_barrier_signal -1
	s_barrier_wait -1
	v_cmp_eq_u64_e32 vcc_lo, 0, v[2:3]
	s_cbranch_vccnz .LBB49_330
.LBB49_326:                             ;   in Loop: Header=BB49_327 Depth=2
	s_and_b32 s38, exec_lo, s38
	s_delay_alu instid0(SALU_CYCLE_1) | instskip(SKIP_2) | instid1(SALU_CYCLE_1)
	s_or_b32 s27, s38, s27
	s_and_not1_b32 s38, s44, exec_lo
	s_and_b32 s39, s39, exec_lo
	s_or_b32 s44, s38, s39
	s_and_not1_b32 exec_lo, exec_lo, s27
	s_cbranch_execz .LBB49_331
.LBB49_327:                             ;   Parent Loop BB49_6 Depth=1
                                        ; =>  This Inner Loop Header: Depth=2
	s_mov_b32 s45, exec_lo
	s_delay_alu instid0(VALU_DEP_1)
	v_cmpx_gt_u32_e64 s36, v12
	s_cbranch_execz .LBB49_325
; %bb.328:                              ;   in Loop: Header=BB49_327 Depth=2
	global_load_b64 v[8:9], v11, s[30:31] scale_offset
	s_wait_loadcnt 0x0
	v_xor_b32_e32 v2, 0x80000000, v9
	s_delay_alu instid0(VALU_DEP_1) | instskip(SKIP_1) | instid1(VALU_DEP_1)
	v_and_b32_e32 v3, v2, v31
	v_and_b32_e32 v2, v8, v30
	v_cmp_eq_u64_e32 vcc_lo, v[2:3], v[26:27]
	s_and_b32 exec_lo, exec_lo, vcc_lo
	s_cbranch_execz .LBB49_325
; %bb.329:                              ;   in Loop: Header=BB49_327 Depth=2
	v_mov_b32_e32 v7, v23
	ds_store_b128 v23, v[6:9] offset:3072
	s_branch .LBB49_325
.LBB49_330:                             ;   in Loop: Header=BB49_327 Depth=2
	v_dual_add_nc_u32 v12, s43, v12 :: v_dual_add_nc_u32 v11, s47, v11
	s_mov_b32 s39, 0
	s_delay_alu instid0(VALU_DEP_1)
	v_cmp_le_u32_e32 vcc_lo, s84, v12
	s_or_not1_b32 s38, vcc_lo, exec_lo
	s_branch .LBB49_326
.LBB49_331:                             ;   in Loop: Header=BB49_6 Depth=1
	s_or_b32 exec_lo, exec_lo, s27
	s_delay_alu instid0(SALU_CYCLE_1) | instskip(SKIP_1) | instid1(SALU_CYCLE_1)
	s_and_not1_b32 s27, s60, exec_lo
	s_and_b32 s38, s44, exec_lo
	s_or_b32 s60, s27, s38
.LBB49_332:                             ;   in Loop: Header=BB49_6 Depth=1
	s_or_b32 exec_lo, exec_lo, s26
	s_mov_b32 s26, 0
	s_mov_b32 s27, -1
.LBB49_333:                             ;   in Loop: Header=BB49_6 Depth=1
	s_or_not1_b32 s44, s60, exec_lo
.LBB49_334:                             ;   in Loop: Header=BB49_6 Depth=1
	s_or_b32 exec_lo, exec_lo, s28
	s_mov_b32 s45, 0
	s_and_saveexec_b32 s28, s44
	s_cbranch_execz .LBB49_384
; %bb.335:                              ;   in Loop: Header=BB49_6 Depth=1
	v_dual_mov_b32 v11, 1 :: v_dual_mov_b32 v14, 1
	s_xor_b32 s38, s29, -1
	s_mov_b32 s44, 0
	s_and_saveexec_b32 s29, s38
	s_cbranch_execz .LBB49_344
; %bb.336:                              ;   in Loop: Header=BB49_6 Depth=1
	s_mov_b32 s38, exec_lo
	v_cmpx_ge_u32_e64 s18, v10
	s_xor_b32 s44, exec_lo, s38
	s_cbranch_execz .LBB49_341
; %bb.337:                              ;   in Loop: Header=BB49_6 Depth=1
	ds_load_b32 v2, v23 offset:4096
	v_and_b32_e32 v3, s15, v27
	v_and_b32_e32 v7, s14, v26
	s_lshl_b64 s[38:39], 1, s88
	v_or_b32_e32 v31, s13, v31
	v_or_b32_e32 v30, s12, v30
	;; [unrolled: 1-line block ×4, first 2 shown]
	s_wait_dscnt 0x0
	v_cmp_ne_u32_e32 vcc_lo, 0, v2
	s_cbranch_vccnz .LBB49_341
; %bb.338:                              ;   in Loop: Header=BB49_6 Depth=1
	s_and_saveexec_b32 s38, s5
; %bb.339:                              ;   in Loop: Header=BB49_6 Depth=1
	v_mov_b32_e32 v2, s18
	ds_store_b32 v23, v2 offset:4100
; %bb.340:                              ;   in Loop: Header=BB49_6 Depth=1
	s_or_b32 exec_lo, exec_lo, s38
	s_wait_dscnt 0x0
	s_barrier_signal -1
	s_barrier_wait -1
.LBB49_341:                             ;   in Loop: Header=BB49_6 Depth=1
	s_or_saveexec_b32 s44, s44
	v_mov_b32_e32 v14, 5
	s_xor_b32 exec_lo, exec_lo, s44
; %bb.342:                              ;   in Loop: Header=BB49_6 Depth=1
	v_subrev_nc_u32_e32 v10, s18, v10
	v_mov_b32_e32 v14, 0
	s_mov_b32 s45, exec_lo
; %bb.343:                              ;   in Loop: Header=BB49_6 Depth=1
	s_or_b32 exec_lo, exec_lo, s44
	s_delay_alu instid0(VALU_DEP_2)
	v_mov_b32_e32 v11, v10
	s_and_b32 s44, s45, exec_lo
.LBB49_344:                             ;   in Loop: Header=BB49_6 Depth=1
	s_or_b32 exec_lo, exec_lo, s29
	s_mov_b32 s29, -1
                                        ; implicit-def: $sgpr69
                                        ; implicit-def: $sgpr68
	s_and_saveexec_b32 s18, s44
	s_cbranch_execz .LBB49_383
; %bb.345:                              ;   in Loop: Header=BB49_6 Depth=1
	v_cmp_eq_u32_e32 vcc_lo, 1, v11
	s_cmp_eq_u32 s17, 1
	s_mov_b32 s44, -1
	s_cselect_b32 s29, -1, 0
                                        ; implicit-def: $sgpr69
                                        ; implicit-def: $sgpr68
	s_delay_alu instid0(SALU_CYCLE_1) | instskip(NEXT) | instid1(SALU_CYCLE_1)
	s_and_b32 s29, s29, vcc_lo
	s_and_saveexec_b32 s70, s29
	s_cbranch_execz .LBB49_371
; %bb.346:                              ;   in Loop: Header=BB49_6 Depth=1
	ds_load_b32 v2, v23 offset:4096
	s_wait_dscnt 0x0
	s_barrier_signal -1
	s_barrier_wait -1
	v_readfirstlane_b32 s71, v2
	s_and_saveexec_b32 s38, s6
; %bb.347:                              ;   in Loop: Header=BB49_6 Depth=1
	ds_store_b64 v32, v[28:29]
; %bb.348:                              ;   in Loop: Header=BB49_6 Depth=1
	s_or_b32 exec_lo, exec_lo, s38
	v_and_b32_e32 v27, s15, v27
	v_and_b32_e32 v26, s14, v26
	v_or_b32_e32 v31, s13, v31
	v_or_b32_e32 v30, s12, v30
	s_mov_b32 s68, -1
	s_mov_b32 s69, 0
	s_cmp_eq_u32 s71, 0
	s_mov_b32 s60, 0
	s_mov_b32 s101, -1
	s_wait_dscnt 0x0
	s_barrier_signal -1
	s_barrier_wait -1
                                        ; implicit-def: $vgpr4_vgpr5
	s_cbranch_scc1 .LBB49_359
; %bb.349:                              ;   in Loop: Header=BB49_6 Depth=1
	s_add_co_i32 s60, s71, s78
	s_mov_b32 s101, 0
	s_mul_u64 s[38:39], s[60:61], s[64:65]
	s_mov_b32 s102, exec_lo
	s_mul_i32 s38, s39, s43
                                        ; implicit-def: $vgpr4_vgpr5
	s_delay_alu instid0(SALU_CYCLE_1) | instskip(NEXT) | instid1(SALU_CYCLE_1)
	s_sub_co_i32 s38, s60, s38
	s_sub_co_i32 s39, s38, s43
	s_cmp_ge_u32 s38, s43
	s_cselect_b32 s38, s39, s38
	s_delay_alu instid0(SALU_CYCLE_1) | instskip(SKIP_2) | instid1(SALU_CYCLE_1)
	s_sub_co_i32 s39, s38, s43
	s_cmp_ge_u32 s38, s43
	s_cselect_b32 s38, s39, s38
	s_sub_co_i32 s44, s60, s38
	s_mov_b32 s60, 0
	v_cmpx_gt_u32_e64 s44, v0
	s_cbranch_execz .LBB49_358
; %bb.350:                              ;   in Loop: Header=BB49_6 Depth=1
	v_dual_mov_b32 v10, v21 :: v_dual_mov_b32 v12, v0
	s_mov_b32 s45, 0
                                        ; implicit-def: $sgpr46
	s_branch .LBB49_353
.LBB49_351:                             ;   in Loop: Header=BB49_353 Depth=2
	s_or_b32 exec_lo, exec_lo, s60
	s_wait_dscnt 0x0
	s_barrier_signal -1
	s_barrier_wait -1
	ds_load_b128 v[2:5], v23 offset:3072
	s_mov_b32 s38, -1
	s_mov_b32 s39, -1
	s_wait_dscnt 0x0
	s_barrier_signal -1
	s_barrier_wait -1
	v_cmp_ne_u64_e32 vcc_lo, 0, v[2:3]
	s_cbranch_vccz .LBB49_356
.LBB49_352:                             ;   in Loop: Header=BB49_353 Depth=2
	s_and_b32 s38, exec_lo, s38
	s_delay_alu instid0(SALU_CYCLE_1) | instskip(SKIP_2) | instid1(SALU_CYCLE_1)
	s_or_b32 s45, s38, s45
	s_and_not1_b32 s38, s46, exec_lo
	s_and_b32 s39, s39, exec_lo
	s_or_b32 s46, s38, s39
	s_and_not1_b32 exec_lo, exec_lo, s45
	s_cbranch_execz .LBB49_357
.LBB49_353:                             ;   Parent Loop BB49_6 Depth=1
                                        ; =>  This Inner Loop Header: Depth=2
	s_mov_b32 s60, exec_lo
	s_delay_alu instid0(VALU_DEP_1)
	v_cmpx_gt_u32_e64 s71, v12
	s_cbranch_execz .LBB49_351
; %bb.354:                              ;   in Loop: Header=BB49_353 Depth=2
	ds_load_b64 v[8:9], v10
	s_wait_dscnt 0x0
	v_xor_b32_e32 v2, 0x80000000, v9
	s_delay_alu instid0(VALU_DEP_1) | instskip(SKIP_1) | instid1(VALU_DEP_1)
	v_and_b32_e32 v3, v2, v31
	v_and_b32_e32 v2, v8, v30
	v_cmp_eq_u64_e32 vcc_lo, v[2:3], v[26:27]
	s_and_b32 exec_lo, exec_lo, vcc_lo
	s_cbranch_execz .LBB49_351
; %bb.355:                              ;   in Loop: Header=BB49_353 Depth=2
	v_mov_b32_e32 v7, v23
	ds_store_b128 v23, v[6:9] offset:3072
	s_branch .LBB49_351
.LBB49_356:                             ;   in Loop: Header=BB49_353 Depth=2
	v_dual_add_nc_u32 v12, s43, v12 :: v_dual_add_nc_u32 v10, s87, v10
	s_mov_b32 s39, 0
	s_delay_alu instid0(VALU_DEP_1)
	v_cmp_le_u32_e32 vcc_lo, s44, v12
	s_or_not1_b32 s38, vcc_lo, exec_lo
	s_branch .LBB49_352
.LBB49_357:                             ;   in Loop: Header=BB49_6 Depth=1
	s_or_b32 exec_lo, exec_lo, s45
	s_delay_alu instid0(SALU_CYCLE_1)
	s_and_b32 s60, s46, exec_lo
.LBB49_358:                             ;   in Loop: Header=BB49_6 Depth=1
	s_or_b32 exec_lo, exec_lo, s102
.LBB49_359:                             ;   in Loop: Header=BB49_6 Depth=1
	s_delay_alu instid0(SALU_CYCLE_1)
	s_and_b32 vcc_lo, exec_lo, s101
	s_cbranch_vccz .LBB49_370
; %bb.360:                              ;   in Loop: Header=BB49_6 Depth=1
                                        ; implicit-def: $vgpr4_vgpr5
	s_and_saveexec_b32 s68, s9
	s_cbranch_execz .LBB49_369
; %bb.361:                              ;   in Loop: Header=BB49_6 Depth=1
	v_dual_mov_b32 v10, v20 :: v_dual_mov_b32 v12, v0
	s_mov_b32 s44, 0
                                        ; implicit-def: $sgpr45
	s_branch .LBB49_364
.LBB49_362:                             ;   in Loop: Header=BB49_364 Depth=2
	s_or_b32 exec_lo, exec_lo, s46
	s_wait_dscnt 0x0
	s_barrier_signal -1
	s_barrier_wait -1
	ds_load_b128 v[2:5], v23 offset:3072
	s_mov_b32 s38, -1
	s_mov_b32 s39, -1
	s_wait_dscnt 0x0
	s_barrier_signal -1
	s_barrier_wait -1
	v_cmp_eq_u64_e32 vcc_lo, 0, v[2:3]
	s_cbranch_vccnz .LBB49_367
.LBB49_363:                             ;   in Loop: Header=BB49_364 Depth=2
	s_and_b32 s38, exec_lo, s38
	s_delay_alu instid0(SALU_CYCLE_1) | instskip(SKIP_2) | instid1(SALU_CYCLE_1)
	s_or_b32 s44, s38, s44
	s_and_not1_b32 s38, s45, exec_lo
	s_and_b32 s39, s39, exec_lo
	s_or_b32 s45, s38, s39
	s_and_not1_b32 exec_lo, exec_lo, s44
	s_cbranch_execz .LBB49_368
.LBB49_364:                             ;   Parent Loop BB49_6 Depth=1
                                        ; =>  This Inner Loop Header: Depth=2
	s_mov_b32 s46, exec_lo
	s_delay_alu instid0(VALU_DEP_1)
	v_cmpx_gt_u32_e64 s36, v12
	s_cbranch_execz .LBB49_362
; %bb.365:                              ;   in Loop: Header=BB49_364 Depth=2
	global_load_b64 v[8:9], v10, s[30:31] scale_offset
	s_wait_loadcnt 0x0
	v_xor_b32_e32 v2, 0x80000000, v9
	s_delay_alu instid0(VALU_DEP_1) | instskip(SKIP_1) | instid1(VALU_DEP_1)
	v_and_b32_e32 v3, v2, v31
	v_and_b32_e32 v2, v8, v30
	v_cmp_eq_u64_e32 vcc_lo, v[2:3], v[26:27]
	s_and_b32 exec_lo, exec_lo, vcc_lo
	s_cbranch_execz .LBB49_362
; %bb.366:                              ;   in Loop: Header=BB49_364 Depth=2
	v_mov_b32_e32 v7, v23
	ds_store_b128 v23, v[6:9] offset:3072
	s_branch .LBB49_362
.LBB49_367:                             ;   in Loop: Header=BB49_364 Depth=2
	v_dual_add_nc_u32 v12, s43, v12 :: v_dual_add_nc_u32 v10, s47, v10
	s_mov_b32 s39, 0
	s_delay_alu instid0(VALU_DEP_1)
	v_cmp_le_u32_e32 vcc_lo, s84, v12
	s_or_not1_b32 s38, vcc_lo, exec_lo
	s_branch .LBB49_363
.LBB49_368:                             ;   in Loop: Header=BB49_6 Depth=1
	s_or_b32 exec_lo, exec_lo, s44
	s_delay_alu instid0(SALU_CYCLE_1) | instskip(SKIP_1) | instid1(SALU_CYCLE_1)
	s_and_not1_b32 s38, s60, exec_lo
	s_and_b32 s39, s45, exec_lo
	s_or_b32 s60, s38, s39
.LBB49_369:                             ;   in Loop: Header=BB49_6 Depth=1
	s_or_b32 exec_lo, exec_lo, s68
	s_mov_b32 s68, 0
	s_mov_b32 s69, -1
.LBB49_370:                             ;   in Loop: Header=BB49_6 Depth=1
	s_or_not1_b32 s44, s60, exec_lo
.LBB49_371:                             ;   in Loop: Header=BB49_6 Depth=1
	s_or_b32 exec_lo, exec_lo, s70
	s_mov_b32 s38, 0
	s_and_saveexec_b32 s60, s44
	s_cbranch_execz .LBB49_382
; %bb.372:                              ;   in Loop: Header=BB49_6 Depth=1
	v_dual_mov_b32 v14, 1 :: v_dual_mov_b32 v2, 1
	s_xor_b32 s38, s29, -1
	s_delay_alu instid0(SALU_CYCLE_1)
	s_and_saveexec_b32 s29, s38
	s_cbranch_execz .LBB49_381
; %bb.373:                              ;   in Loop: Header=BB49_6 Depth=1
	s_mov_b32 s38, exec_lo
	v_cmpx_ge_u32_e64 s17, v11
	s_xor_b32 s44, exec_lo, s38
	s_cbranch_execz .LBB49_378
; %bb.374:                              ;   in Loop: Header=BB49_6 Depth=1
	ds_load_b32 v2, v23 offset:4096
	v_and_b32_e32 v27, s15, v27
	v_and_b32_e32 v26, s14, v26
	v_or_b32_e32 v31, s13, v31
	v_or_b32_e32 v30, s12, v30
	s_wait_dscnt 0x0
	v_cmp_ne_u32_e32 vcc_lo, 0, v2
	s_cbranch_vccnz .LBB49_378
; %bb.375:                              ;   in Loop: Header=BB49_6 Depth=1
	s_and_saveexec_b32 s12, s5
; %bb.376:                              ;   in Loop: Header=BB49_6 Depth=1
	v_mov_b32_e32 v2, s17
	ds_store_b32 v23, v2 offset:4100
; %bb.377:                              ;   in Loop: Header=BB49_6 Depth=1
	s_or_b32 exec_lo, exec_lo, s12
	s_wait_dscnt 0x0
	s_barrier_signal -1
	s_barrier_wait -1
.LBB49_378:                             ;   in Loop: Header=BB49_6 Depth=1
	s_and_not1_saveexec_b32 s12, s44
; %bb.379:                              ;   in Loop: Header=BB49_6 Depth=1
	v_subrev_nc_u32_e32 v11, s17, v11
; %bb.380:                              ;   in Loop: Header=BB49_6 Depth=1
	s_or_b32 exec_lo, exec_lo, s12
	s_delay_alu instid0(VALU_DEP_1)
	v_dual_mov_b32 v14, 5 :: v_dual_mov_b32 v2, v11
.LBB49_381:                             ;   in Loop: Header=BB49_6 Depth=1
	s_or_b32 exec_lo, exec_lo, s29
	s_delay_alu instid0(VALU_DEP_1)
	v_mov_b32_e32 v11, v2
	s_mov_b32 s38, exec_lo
.LBB49_382:                             ;   in Loop: Header=BB49_6 Depth=1
	s_or_b32 exec_lo, exec_lo, s60
	s_delay_alu instid0(SALU_CYCLE_1)
	s_or_not1_b32 s29, s38, exec_lo
.LBB49_383:                             ;   in Loop: Header=BB49_6 Depth=1
	s_or_b32 exec_lo, exec_lo, s18
	v_mov_b32_e32 v10, v11
	s_and_not1_b32 s12, s27, exec_lo
	s_and_b32 s13, s69, exec_lo
	s_and_not1_b32 s14, s26, exec_lo
	s_and_b32 s15, s68, exec_lo
	s_or_b32 s27, s12, s13
	s_or_b32 s26, s14, s15
	s_and_b32 s45, s29, exec_lo
.LBB49_384:                             ;   in Loop: Header=BB49_6 Depth=1
	s_or_b32 exec_lo, exec_lo, s28
	s_delay_alu instid0(SALU_CYCLE_1)
	s_or_not1_b32 s28, s45, exec_lo
.LBB49_385:                             ;   in Loop: Header=BB49_6 Depth=1
	s_or_b32 exec_lo, exec_lo, s19
	v_mov_b32_e32 v15, v10
	s_and_not1_b32 s12, s23, exec_lo
	s_and_b32 s13, s27, exec_lo
	s_and_not1_b32 s14, s20, exec_lo
	s_and_b32 s15, s26, exec_lo
	s_or_b32 s23, s12, s13
	s_or_b32 s20, s14, s15
	s_and_b32 s28, s28, exec_lo
.LBB49_386:                             ;   in Loop: Header=BB49_6 Depth=1
	s_or_b32 exec_lo, exec_lo, s25
	s_delay_alu instid0(SALU_CYCLE_1)
	s_or_not1_b32 s25, s28, exec_lo
.LBB49_387:                             ;   in Loop: Header=BB49_6 Depth=1
	s_or_b32 exec_lo, exec_lo, s10
	s_mov_b32 s10, s21
	s_mov_b32 s12, s11
	s_and_saveexec_b32 s13, s25
; %bb.388:                              ;   in Loop: Header=BB49_6 Depth=1
	v_cmp_ne_u32_e32 vcc_lo, 5, v14
	v_cmp_eq_u32_e64 s10, 5, v14
	s_and_not1_b32 s12, s11, exec_lo
	s_and_not1_b32 s14, s21, exec_lo
	s_and_b32 s15, vcc_lo, exec_lo
	s_and_b32 s10, s10, exec_lo
	s_or_b32 s12, s12, s15
	s_or_b32 s10, s14, s10
; %bb.389:                              ;   in Loop: Header=BB49_6 Depth=1
	s_or_b32 exec_lo, exec_lo, s13
	s_delay_alu instid0(SALU_CYCLE_1)
	s_and_not1_b32 s13, s24, exec_lo
	s_and_b32 s14, s23, exec_lo
	s_and_not1_b32 s15, s16, exec_lo
	s_and_b32 s16, s20, exec_lo
	s_or_b32 s24, s13, s14
	s_and_not1_b32 s11, s11, exec_lo
	s_and_b32 s12, s12, exec_lo
	s_and_not1_b32 s13, s21, exec_lo
	s_and_b32 s10, s10, exec_lo
	s_or_b32 s16, s15, s16
	s_or_b32 s11, s11, s12
	;; [unrolled: 1-line block ×3, first 2 shown]
.LBB49_390:                             ;   in Loop: Header=BB49_6 Depth=1
	s_or_b32 exec_lo, exec_lo, s22
	s_mov_b32 s22, 0
	s_mov_b32 s23, 0
	s_and_saveexec_b32 s10, s21
.LBB49_391:                             ;   in Loop: Header=BB49_6 Depth=1
	v_mov_b32_e32 v14, 0
	s_or_b32 s11, s11, exec_lo
.LBB49_392:                             ;   in Loop: Header=BB49_6 Depth=1
	s_or_b32 exec_lo, exec_lo, s10
	s_delay_alu instid0(SALU_CYCLE_1)
	s_and_not1_b32 s10, s98, exec_lo
	s_and_b32 s13, s24, exec_lo
	s_and_not1_b32 s14, s96, exec_lo
	s_and_b32 s15, s16, exec_lo
	v_mov_b32_e32 v42, v15
	s_or_b32 s98, s10, s13
	s_or_b32 s96, s14, s15
	s_and_not1_b32 s10, s100, exec_lo
	s_and_b32 s13, s23, exec_lo
	s_and_not1_b32 s14, s99, exec_lo
	s_and_b32 s15, s22, exec_lo
	s_mov_b32 s12, -1
	s_and_not1_b32 s97, s97, exec_lo
	s_or_b32 s100, s10, s13
	s_or_b32 s99, s14, s15
	s_and_saveexec_b32 s10, s11
	s_delay_alu instid0(SALU_CYCLE_1)
	s_xor_b32 s10, exec_lo, s10
	s_cbranch_execz .LBB49_5
; %bb.393:                              ;   in Loop: Header=BB49_6 Depth=1
	s_mov_b32 s11, -1
	s_mov_b32 s13, exec_lo
	v_cmpx_eq_u32_e32 0, v14
	s_cbranch_execz .LBB49_4
; %bb.394:                              ;   in Loop: Header=BB49_6 Depth=1
	s_xor_b32 s91, s91, 1
	s_add_co_i32 s14, s88, -2
	s_cmp_eq_u32 s88, 0
	s_mov_b32 s88, s14
	s_cselect_b32 s11, -1, 0
	s_xor_b32 s12, exec_lo, -1
	s_or_not1_b32 s11, s11, exec_lo
	s_branch .LBB49_4
.LBB49_395:
	s_or_b32 exec_lo, exec_lo, s89
	s_xor_b32 s7, s95, -1
	s_xor_b32 s9, s93, -1
	;; [unrolled: 1-line block ×5, first 2 shown]
	s_mov_b32 s8, 0
	s_and_saveexec_b32 s12, s11
	s_delay_alu instid0(SALU_CYCLE_1)
	s_xor_b32 s12, exec_lo, s12
	s_cbranch_execnz .LBB49_400
; %bb.396:
	s_and_not1_saveexec_b32 s0, s12
	s_cbranch_execnz .LBB49_419
.LBB49_397:
	s_or_b32 exec_lo, exec_lo, s0
	s_and_saveexec_b32 s0, s8
.LBB49_398:
	; divergent unreachable
.LBB49_399:
	s_endpgm
.LBB49_400:
	s_and_saveexec_b32 s11, s10
	s_delay_alu instid0(SALU_CYCLE_1)
	s_xor_b32 s13, exec_lo, s11
	s_cbranch_execz .LBB49_417
; %bb.401:
	s_and_saveexec_b32 s10, s9
	s_delay_alu instid0(SALU_CYCLE_1)
	s_xor_b32 s14, exec_lo, s10
	s_cbranch_execz .LBB49_415
; %bb.402:
	;; [unrolled: 5-line block ×3, first 2 shown]
	s_and_saveexec_b32 s7, s6
	s_delay_alu instid0(SALU_CYCLE_1)
	s_xor_b32 s6, exec_lo, s7
; %bb.404:
	v_xor_b32_e32 v27, 0x80000000, v27
	s_delay_alu instid0(VALU_DEP_1)
	v_mov_b64_e32 v[4:5], v[26:27]
; %bb.405:
	s_or_b32 exec_lo, exec_lo, s6
	s_and_saveexec_b32 s6, s5
; %bb.406:
	v_mov_b32_e32 v1, 0
	ds_store_b32 v1, v1 offset:4108
; %bb.407:
	s_or_b32 exec_lo, exec_lo, s6
	v_mov_b64_e32 v[2:3], 0
	s_wait_dscnt 0x0
	s_barrier_signal -1
	s_barrier_wait -1
	s_and_saveexec_b32 s5, s4
	s_cbranch_execz .LBB49_409
; %bb.408:
	global_load_b64 v[2:3], v[18:19], off
.LBB49_409:
	s_wait_xcnt 0x0
	s_or_b32 exec_lo, exec_lo, s5
	s_load_b96 s[16:18], s[0:1], 0x15c
	s_mul_i32 s7, s59, s50
	s_add_co_i32 s5, s36, 31
	s_mul_i32 s6, s48, s51
	s_sub_co_i32 s7, s48, s7
	s_and_not1_b32 s5, s5, 31
	s_sub_co_i32 s6, s72, s6
	s_add_co_i32 s8, s59, 1
	s_sub_co_i32 s9, s7, s50
	s_cmp_ge_u32 s7, s50
	s_mov_b32 s11, 0
	s_cselect_b32 s8, s8, s59
	s_cselect_b32 s7, s9, s7
	s_add_co_i32 s9, s8, 1
	s_cmp_ge_u32 s7, s50
	v_cmp_gt_u32_e32 vcc_lo, s5, v0
	s_cselect_b32 s7, s9, s8
	s_mul_i32 s9, s52, s35
	s_mul_i32 s8, s7, s50
	s_delay_alu instid0(SALU_CYCLE_1)
	s_sub_co_i32 s8, s48, s8
	s_wait_kmcnt 0x0
	s_mul_i32 s6, s6, s18
	s_mul_i32 s8, s8, s17
	;; [unrolled: 1-line block ×3, first 2 shown]
	s_add_co_i32 s6, s8, s6
	s_mul_i32 s8, s57, s34
	s_add_co_i32 s10, s6, s7
	s_sub_co_i32 s7, s52, s8
	s_sub_co_i32 s6, s72, s9
	s_add_co_i32 s8, s57, 1
	s_sub_co_i32 s9, s7, s34
	s_cmp_ge_u32 s7, s34
	s_clause 0x1
	s_load_b32 s16, s[0:1], 0x1c8
	s_load_b32 s17, s[0:1], 0x2a8
	s_cselect_b32 s8, s8, s57
	s_cselect_b32 s7, s9, s7
	s_add_co_i32 s9, s8, 1
	s_cmp_ge_u32 s7, s34
	s_mul_i32 s6, s6, s42
	s_cselect_b32 s7, s9, s8
	v_readlane_b32 s8, v58, 0
	s_wait_xcnt 0x0
	s_mul_i32 s0, s7, s34
	s_mul_i32 s7, s7, s40
	s_sub_co_i32 s0, s52, s0
	v_readlane_b32 s9, v58, 1
	s_mul_i32 s0, s0, s41
	s_mov_b32 s1, s11
	s_add_co_i32 s0, s0, s6
	s_delay_alu instid0(SALU_CYCLE_1)
	s_add_co_i32 s0, s0, s7
	s_lshl_b64 s[6:7], s[10:11], 3
	s_lshl_b64 s[0:1], s[0:1], 3
	s_add_nc_u64 s[6:7], s[54:55], s[6:7]
	s_add_nc_u64 s[8:9], s[8:9], s[0:1]
	s_mov_b32 s0, -1
	s_mov_b32 s1, 0
	s_and_saveexec_b32 s10, vcc_lo
	s_cbranch_execnz .LBB49_420
; %bb.410:
	s_or_b32 exec_lo, exec_lo, s10
	s_and_saveexec_b32 s3, s0
	s_cbranch_execnz .LBB49_435
.LBB49_411:
	s_or_b32 exec_lo, exec_lo, s3
	s_and_saveexec_b32 s0, s1
	s_delay_alu instid0(SALU_CYCLE_1)
	s_xor_b32 s0, exec_lo, s0
	s_cbranch_execnz .LBB49_458
.LBB49_412:
	s_or_b32 exec_lo, exec_lo, s0
	s_delay_alu instid0(SALU_CYCLE_1)
	s_and_b32 s8, s11, exec_lo
.LBB49_413:
	s_and_not1_saveexec_b32 s0, s15
	s_cbranch_execnz .LBB49_460
.LBB49_414:
	s_or_b32 exec_lo, exec_lo, s0
	s_delay_alu instid0(SALU_CYCLE_1)
	s_and_b32 s8, s8, exec_lo
.LBB49_415:
	s_and_not1_saveexec_b32 s0, s14
	s_cbranch_execnz .LBB49_459
.LBB49_416:
	s_or_b32 exec_lo, exec_lo, s0
	s_delay_alu instid0(SALU_CYCLE_1)
	s_and_b32 s8, s8, exec_lo
.LBB49_417:
	s_and_not1_saveexec_b32 s0, s13
	s_cbranch_execnz .LBB49_454
.LBB49_418:
	s_or_b32 exec_lo, exec_lo, s0
	s_delay_alu instid0(SALU_CYCLE_1)
	s_and_b32 s8, s8, exec_lo
	s_and_not1_saveexec_b32 s0, s12
	s_cbranch_execz .LBB49_397
.LBB49_419:
	s_or_b32 s8, s8, exec_lo
	s_trap 2
	s_or_b32 exec_lo, exec_lo, s0
	s_and_saveexec_b32 s0, s8
	s_cbranch_execnz .LBB49_398
	s_branch .LBB49_399
.LBB49_420:
	v_dual_mov_b32 v6, v4 :: v_dual_add_nc_u32 v1, s43, v0
	v_xor_b32_e32 v7, 0x80000000, v5
	v_dual_mov_b32 v9, 0 :: v_dual_mov_b32 v8, v0
	s_delay_alu instid0(VALU_DEP_3)
	v_mul_lo_u32 v1, s33, v1
	s_mov_b32 s18, 0
                                        ; implicit-def: $sgpr19
                                        ; implicit-def: $vgpr13
	s_branch .LBB49_422
.LBB49_421:                             ;   in Loop: Header=BB49_422 Depth=1
	s_or_b32 exec_lo, exec_lo, s21
	s_xor_b32 s0, s20, -1
	s_and_b32 s1, exec_lo, s1
	v_mov_b64_e32 v[2:3], v[10:11]
	s_or_b32 s18, s1, s18
	v_mov_b32_e32 v8, v12
	s_and_not1_b32 s1, s19, exec_lo
	s_and_b32 s0, s0, exec_lo
	s_delay_alu instid0(SALU_CYCLE_1)
	s_or_b32 s19, s1, s0
	s_and_not1_b32 exec_lo, exec_lo, s18
	s_cbranch_execz .LBB49_434
.LBB49_422:                             ; =>This Inner Loop Header: Depth=1
	v_mov_b64_e32 v[10:11], 0
	v_add_nc_u32_e32 v12, s43, v8
	s_mov_b32 s1, exec_lo
	s_delay_alu instid0(VALU_DEP_1)
	v_cmpx_gt_u32_e64 s36, v12
	s_cbranch_execz .LBB49_424
; %bb.423:                              ;   in Loop: Header=BB49_422 Depth=1
	global_load_b64 v[10:11], v1, s[30:31] scale_offset
.LBB49_424:                             ;   in Loop: Header=BB49_422 Depth=1
	s_wait_xcnt 0x0
	s_or_b32 exec_lo, exec_lo, s1
	s_wait_loadcnt 0x0
	v_xor_b32_e32 v15, 0x80000000, v3
	v_mov_b32_e32 v14, v2
	s_delay_alu instid0(VALU_DEP_1) | instskip(NEXT) | instid1(VALU_DEP_1)
	v_cmp_gt_u64_e64 s0, v[14:15], v[6:7]
	v_cndmask_b32_e64 v17, 0, 1, s0
	v_cmp_lt_u64_e64 s0, v[14:15], v[6:7]
	s_delay_alu instid0(VALU_DEP_1) | instskip(SKIP_1) | instid1(VALU_DEP_2)
	v_cndmask_b32_e64 v14, 0, 1, s0
	v_cmp_gt_u32_e64 s0, s36, v8
	v_cndmask_b32_e64 v14, v14, v17, s3
	s_delay_alu instid0(VALU_DEP_1) | instskip(NEXT) | instid1(VALU_DEP_1)
	v_and_b32_e32 v14, 1, v14
	v_cmp_eq_u32_e64 s1, 1, v14
	s_and_b32 s20, s0, s1
	s_delay_alu instid0(SALU_CYCLE_1) | instskip(NEXT) | instid1(VALU_DEP_1)
	v_cndmask_b32_e64 v14, 0, 1, s20
	v_cmp_ne_u32_e64 s0, 0, v14
	s_cmp_lg_u32 s0, 0
	s_cselect_b32 s1, -1, 0
	s_delay_alu instid0(SALU_CYCLE_1) | instskip(NEXT) | instid1(SALU_CYCLE_1)
	s_and_b32 s1, s2, s1
	s_and_saveexec_b32 s21, s1
	s_cbranch_execz .LBB49_428
; %bb.425:                              ;   in Loop: Header=BB49_422 Depth=1
	s_mov_b32 s24, exec_lo
	s_bcnt1_i32_b32 s22, s0
	s_wait_dscnt 0x0
	v_mbcnt_lo_u32_b32 v13, s24, 0
	s_mov_b32 s23, exec_lo
                                        ; implicit-def: $vgpr14
	s_delay_alu instid0(VALU_DEP_1)
	v_cmpx_eq_u32_e32 0, v13
; %bb.426:                              ;   in Loop: Header=BB49_422 Depth=1
	s_bcnt1_i32_b32 s1, s24
	s_delay_alu instid0(SALU_CYCLE_1) | instskip(NEXT) | instid1(SALU_CYCLE_1)
	s_mul_i32 s1, s22, s1
	v_mov_b32_e32 v14, s1
	ds_add_rtn_u32 v14, v9, v14 offset:4108
; %bb.427:                              ;   in Loop: Header=BB49_422 Depth=1
	s_or_b32 exec_lo, exec_lo, s23
	s_wait_dscnt 0x0
	v_readfirstlane_b32 s1, v14
	s_delay_alu instid0(VALU_DEP_1)
	v_mad_u32_u24 v13, s22, v13, s1
.LBB49_428:                             ;   in Loop: Header=BB49_422 Depth=1
	s_or_b32 exec_lo, exec_lo, s21
	s_wait_dscnt 0x0
	ds_bpermute_b32 v13, v9, v13
	s_mov_b32 s1, -1
	s_mov_b32 s22, -1
	s_and_saveexec_b32 s21, s20
	s_cbranch_execz .LBB49_432
; %bb.429:                              ;   in Loop: Header=BB49_422 Depth=1
	v_and_b32_e32 v14, s0, v16
	s_mov_b32 s20, 0
	s_mov_b32 s22, exec_lo
	s_wait_dscnt 0x0
	s_delay_alu instid0(VALU_DEP_1) | instskip(NEXT) | instid1(VALU_DEP_1)
	v_bcnt_u32_b32 v14, v14, v13
	v_cmpx_gt_u32_e64 s37, v14
	s_cbranch_execz .LBB49_431
; %bb.430:                              ;   in Loop: Header=BB49_422 Depth=1
	s_wait_kmcnt 0x0
	v_mul_lo_u32 v15, v14, s16
	v_mul_lo_u32 v14, v14, s17
	s_mov_b32 s20, exec_lo
	global_store_b64 v15, v[2:3], s[6:7] scale_offset
	global_store_b64 v14, v[8:9], s[8:9] scale_offset
.LBB49_431:                             ;   in Loop: Header=BB49_422 Depth=1
	s_wait_xcnt 0x0
	s_or_b32 exec_lo, exec_lo, s22
	s_delay_alu instid0(SALU_CYCLE_1)
	s_or_not1_b32 s22, s20, exec_lo
.LBB49_432:                             ;   in Loop: Header=BB49_422 Depth=1
	s_or_b32 exec_lo, exec_lo, s21
	s_mov_b32 s20, -1
	s_and_saveexec_b32 s21, s22
	s_cbranch_execz .LBB49_421
; %bb.433:                              ;   in Loop: Header=BB49_422 Depth=1
	v_cmp_le_u32_e64 s0, s5, v12
	v_add_nc_u32_e32 v1, s47, v1
	s_xor_b32 s20, exec_lo, -1
	s_or_not1_b32 s1, s0, exec_lo
	s_branch .LBB49_421
.LBB49_434:
	s_or_b32 exec_lo, exec_lo, s18
	s_delay_alu instid0(SALU_CYCLE_1)
	s_mov_b32 s1, exec_lo
	s_or_not1_b32 s0, s19, exec_lo
	s_or_b32 exec_lo, exec_lo, s10
	s_and_saveexec_b32 s3, s0
	s_cbranch_execz .LBB49_411
.LBB49_435:
	v_mov_b64_e32 v[6:7], 0
	s_wait_storecnt 0x0
	s_wait_loadcnt_dscnt 0x0
	s_barrier_signal -1
	s_barrier_wait -1
	s_and_saveexec_b32 s0, s4
	s_cbranch_execz .LBB49_437
; %bb.436:
	global_load_b64 v[6:7], v[18:19], off
.LBB49_437:
	s_wait_xcnt 0x0
	s_or_b32 exec_lo, exec_lo, s0
	s_mov_b32 s0, 0
	s_and_saveexec_b32 s4, vcc_lo
	s_cbranch_execz .LBB49_457
; %bb.438:
	v_add_nc_u32_e32 v1, s43, v0
	s_mov_b32 s10, 0
                                        ; implicit-def: $sgpr11
                                        ; implicit-def: $vgpr10
	s_delay_alu instid0(VALU_DEP_1)
	v_mul_lo_u32 v8, s33, v1
	v_mov_b32_e32 v1, 0
	s_branch .LBB49_441
.LBB49_439:                             ;   in Loop: Header=BB49_441 Depth=1
	s_or_b32 exec_lo, exec_lo, s20
	s_delay_alu instid0(SALU_CYCLE_1)
	s_or_not1_b32 s20, s18, exec_lo
	s_or_not1_b32 s19, s19, exec_lo
.LBB49_440:                             ;   in Loop: Header=BB49_441 Depth=1
	s_or_b32 exec_lo, exec_lo, s0
	s_xor_b32 s0, s20, -1
	s_and_b32 s18, exec_lo, s19
	v_mov_b64_e32 v[6:7], v[2:3]
	v_mov_b32_e32 v0, v9
	s_or_b32 s10, s18, s10
	s_and_not1_b32 s11, s11, exec_lo
	s_and_b32 s0, s0, exec_lo
	s_delay_alu instid0(SALU_CYCLE_1)
	s_or_b32 s11, s11, s0
	s_and_not1_b32 exec_lo, exec_lo, s10
	s_cbranch_execz .LBB49_455
.LBB49_441:                             ; =>This Inner Loop Header: Depth=1
	v_mov_b64_e32 v[2:3], 0
	v_add_nc_u32_e32 v9, s43, v0
	s_mov_b32 s0, exec_lo
	s_delay_alu instid0(VALU_DEP_1)
	v_cmpx_gt_u32_e64 s36, v9
	s_cbranch_execz .LBB49_443
; %bb.442:                              ;   in Loop: Header=BB49_441 Depth=1
	global_load_b64 v[2:3], v8, s[30:31] scale_offset
.LBB49_443:                             ;   in Loop: Header=BB49_441 Depth=1
	s_wait_xcnt 0x0
	s_or_b32 exec_lo, exec_lo, s0
	s_wait_loadcnt 0x0
	v_cmp_eq_u64_e32 vcc_lo, v[6:7], v[4:5]
	v_cmp_gt_u32_e64 s0, s36, v0
	s_and_b32 s18, s0, vcc_lo
	s_delay_alu instid0(SALU_CYCLE_1) | instskip(NEXT) | instid1(VALU_DEP_1)
	v_cndmask_b32_e64 v6, 0, 1, s18
	v_cmp_ne_u32_e32 vcc_lo, 0, v6
	s_cmp_lg_u32 vcc_lo, 0
	s_cselect_b32 s0, -1, 0
	s_delay_alu instid0(SALU_CYCLE_1) | instskip(NEXT) | instid1(SALU_CYCLE_1)
	s_and_b32 s0, s2, s0
	s_and_saveexec_b32 s19, s0
	s_cbranch_execz .LBB49_447
; %bb.444:                              ;   in Loop: Header=BB49_441 Depth=1
	s_mov_b32 s22, exec_lo
	s_bcnt1_i32_b32 s20, vcc_lo
	v_mbcnt_lo_u32_b32 v6, s22, 0
	s_mov_b32 s21, exec_lo
                                        ; implicit-def: $vgpr7
	s_delay_alu instid0(VALU_DEP_1)
	v_cmpx_eq_u32_e32 0, v6
; %bb.445:                              ;   in Loop: Header=BB49_441 Depth=1
	s_bcnt1_i32_b32 s0, s22
	s_delay_alu instid0(SALU_CYCLE_1) | instskip(NEXT) | instid1(SALU_CYCLE_1)
	s_mul_i32 s0, s20, s0
	v_mov_b32_e32 v7, s0
	ds_add_rtn_u32 v7, v1, v7 offset:4108
; %bb.446:                              ;   in Loop: Header=BB49_441 Depth=1
	s_or_b32 exec_lo, exec_lo, s21
	s_wait_dscnt 0x0
	v_readfirstlane_b32 s0, v7
	s_delay_alu instid0(VALU_DEP_1)
	v_mad_u32_u24 v10, s20, v6, s0
.LBB49_447:                             ;   in Loop: Header=BB49_441 Depth=1
	s_or_b32 exec_lo, exec_lo, s19
	ds_bpermute_b32 v10, v1, v10
	s_cmp_eq_u32 vcc_lo, 0
	s_mov_b32 s19, -1
	s_cselect_b32 s20, -1, 0
	s_wait_dscnt 0x0
	v_cmp_gt_u32_e64 s0, s37, v10
	s_or_b32 s21, s20, s0
	s_mov_b32 s20, -1
	s_and_saveexec_b32 s0, s21
	s_cbranch_execz .LBB49_440
; %bb.448:                              ;   in Loop: Header=BB49_441 Depth=1
	v_dual_sub_nc_u32 v7, s37, v10 :: v_dual_bitop2_b32 v6, vcc_lo, v16 bitop3:0x40
	s_mov_b32 s21, -1
	s_delay_alu instid0(VALU_DEP_1) | instskip(NEXT) | instid1(VALU_DEP_1)
	v_bcnt_u32_b32 v6, v6, 0
	v_bcnt_u32_b32 v6, 0, v6
	s_delay_alu instid0(VALU_DEP_1)
	v_cmp_gt_u32_e32 vcc_lo, v7, v6
	s_and_b32 s22, s18, vcc_lo
	s_mov_b32 s18, -1
	s_and_saveexec_b32 s20, s22
	s_cbranch_execz .LBB49_452
; %bb.449:                              ;   in Loop: Header=BB49_441 Depth=1
	v_add_nc_u32_e32 v6, v10, v6
	s_mov_b32 s21, 0
	s_mov_b32 s18, exec_lo
	s_delay_alu instid0(VALU_DEP_1)
	v_cmpx_gt_u32_e64 s37, v6
	s_cbranch_execz .LBB49_451
; %bb.450:                              ;   in Loop: Header=BB49_441 Depth=1
	s_wait_kmcnt 0x0
	v_mul_lo_u32 v7, v6, s16
	v_mul_lo_u32 v6, v6, s17
	s_mov_b32 s21, exec_lo
	global_store_b64 v7, v[4:5], s[6:7] scale_offset
	global_store_b64 v6, v[0:1], s[8:9] scale_offset
.LBB49_451:                             ;   in Loop: Header=BB49_441 Depth=1
	s_wait_xcnt 0x0
	s_or_b32 exec_lo, exec_lo, s18
	s_delay_alu instid0(SALU_CYCLE_1)
	s_xor_b32 s18, exec_lo, -1
	s_or_not1_b32 s21, s21, exec_lo
.LBB49_452:                             ;   in Loop: Header=BB49_441 Depth=1
	s_or_b32 exec_lo, exec_lo, s20
	s_and_saveexec_b32 s20, s21
	s_cbranch_execz .LBB49_439
; %bb.453:                              ;   in Loop: Header=BB49_441 Depth=1
	v_cmp_le_u32_e32 vcc_lo, s5, v9
	v_add_nc_u32_e32 v8, s47, v8
	s_or_b32 s18, s18, exec_lo
	s_or_not1_b32 s19, vcc_lo, exec_lo
	s_branch .LBB49_439
.LBB49_454:
	s_or_b32 s8, s8, exec_lo
	s_trap 2
	s_branch .LBB49_418
.LBB49_455:
	s_or_b32 exec_lo, exec_lo, s10
	s_mov_b32 s0, 0
	s_and_saveexec_b32 s2, s11
	s_delay_alu instid0(SALU_CYCLE_1)
	s_xor_b32 s2, exec_lo, s2
	s_cbranch_execnz .LBB49_461
.LBB49_456:
	s_or_b32 exec_lo, exec_lo, s2
	s_delay_alu instid0(SALU_CYCLE_1)
	s_and_b32 s0, s0, exec_lo
.LBB49_457:
	s_or_b32 exec_lo, exec_lo, s4
	s_delay_alu instid0(SALU_CYCLE_1) | instskip(SKIP_3) | instid1(SALU_CYCLE_1)
	s_and_b32 s11, s0, exec_lo
	s_and_not1_b32 s1, s1, exec_lo
	s_or_b32 exec_lo, exec_lo, s3
	s_and_saveexec_b32 s0, s1
	s_xor_b32 s0, exec_lo, s0
	s_cbranch_execz .LBB49_412
.LBB49_458:
	s_or_b32 s11, s11, exec_lo
	s_trap 2
	s_branch .LBB49_412
.LBB49_459:
	s_or_b32 s8, s8, exec_lo
	s_trap 2
	s_branch .LBB49_416
.LBB49_460:
	s_or_b32 s8, s8, exec_lo
	s_trap 2
	s_branch .LBB49_414
.LBB49_461:
	s_mov_b32 s0, exec_lo
	s_trap 2
	s_branch .LBB49_456
	.section	.rodata,"a",@progbits
	.p2align	6, 0x0
	.amdhsa_kernel _ZN2at6native6sbtopk10gatherTopKIljLi3ELb0EEEvNS_4cuda6detail10TensorInfoIKT_T0_EES8_S8_bS8_S8_NS5_IS6_S8_EES8_NS5_IlS8_EES8_PS6_
		.amdhsa_group_segment_fixed_size 4112
		.amdhsa_private_segment_fixed_size 0
		.amdhsa_kernarg_size 952
		.amdhsa_user_sgpr_count 2
		.amdhsa_user_sgpr_dispatch_ptr 0
		.amdhsa_user_sgpr_queue_ptr 0
		.amdhsa_user_sgpr_kernarg_segment_ptr 1
		.amdhsa_user_sgpr_dispatch_id 0
		.amdhsa_user_sgpr_kernarg_preload_length 0
		.amdhsa_user_sgpr_kernarg_preload_offset 0
		.amdhsa_user_sgpr_private_segment_size 0
		.amdhsa_wavefront_size32 1
		.amdhsa_uses_dynamic_stack 0
		.amdhsa_enable_private_segment 0
		.amdhsa_system_sgpr_workgroup_id_x 1
		.amdhsa_system_sgpr_workgroup_id_y 1
		.amdhsa_system_sgpr_workgroup_id_z 1
		.amdhsa_system_sgpr_workgroup_info 0
		.amdhsa_system_vgpr_workitem_id 0
		.amdhsa_next_free_vgpr 59
		.amdhsa_next_free_sgpr 105
		.amdhsa_named_barrier_count 0
		.amdhsa_reserve_vcc 1
		.amdhsa_float_round_mode_32 0
		.amdhsa_float_round_mode_16_64 0
		.amdhsa_float_denorm_mode_32 3
		.amdhsa_float_denorm_mode_16_64 3
		.amdhsa_fp16_overflow 0
		.amdhsa_memory_ordered 1
		.amdhsa_forward_progress 1
		.amdhsa_inst_pref_size 119
		.amdhsa_round_robin_scheduling 0
		.amdhsa_exception_fp_ieee_invalid_op 0
		.amdhsa_exception_fp_denorm_src 0
		.amdhsa_exception_fp_ieee_div_zero 0
		.amdhsa_exception_fp_ieee_overflow 0
		.amdhsa_exception_fp_ieee_underflow 0
		.amdhsa_exception_fp_ieee_inexact 0
		.amdhsa_exception_int_div_zero 0
	.end_amdhsa_kernel
	.section	.text._ZN2at6native6sbtopk10gatherTopKIljLi3ELb0EEEvNS_4cuda6detail10TensorInfoIKT_T0_EES8_S8_bS8_S8_NS5_IS6_S8_EES8_NS5_IlS8_EES8_PS6_,"axG",@progbits,_ZN2at6native6sbtopk10gatherTopKIljLi3ELb0EEEvNS_4cuda6detail10TensorInfoIKT_T0_EES8_S8_bS8_S8_NS5_IS6_S8_EES8_NS5_IlS8_EES8_PS6_,comdat
.Lfunc_end49:
	.size	_ZN2at6native6sbtopk10gatherTopKIljLi3ELb0EEEvNS_4cuda6detail10TensorInfoIKT_T0_EES8_S8_bS8_S8_NS5_IS6_S8_EES8_NS5_IlS8_EES8_PS6_, .Lfunc_end49-_ZN2at6native6sbtopk10gatherTopKIljLi3ELb0EEEvNS_4cuda6detail10TensorInfoIKT_T0_EES8_S8_bS8_S8_NS5_IS6_S8_EES8_NS5_IlS8_EES8_PS6_
                                        ; -- End function
	.set _ZN2at6native6sbtopk10gatherTopKIljLi3ELb0EEEvNS_4cuda6detail10TensorInfoIKT_T0_EES8_S8_bS8_S8_NS5_IS6_S8_EES8_NS5_IlS8_EES8_PS6_.num_vgpr, 59
	.set _ZN2at6native6sbtopk10gatherTopKIljLi3ELb0EEEvNS_4cuda6detail10TensorInfoIKT_T0_EES8_S8_bS8_S8_NS5_IS6_S8_EES8_NS5_IlS8_EES8_PS6_.num_agpr, 0
	.set _ZN2at6native6sbtopk10gatherTopKIljLi3ELb0EEEvNS_4cuda6detail10TensorInfoIKT_T0_EES8_S8_bS8_S8_NS5_IS6_S8_EES8_NS5_IlS8_EES8_PS6_.numbered_sgpr, 105
	.set _ZN2at6native6sbtopk10gatherTopKIljLi3ELb0EEEvNS_4cuda6detail10TensorInfoIKT_T0_EES8_S8_bS8_S8_NS5_IS6_S8_EES8_NS5_IlS8_EES8_PS6_.num_named_barrier, 0
	.set _ZN2at6native6sbtopk10gatherTopKIljLi3ELb0EEEvNS_4cuda6detail10TensorInfoIKT_T0_EES8_S8_bS8_S8_NS5_IS6_S8_EES8_NS5_IlS8_EES8_PS6_.private_seg_size, 0
	.set _ZN2at6native6sbtopk10gatherTopKIljLi3ELb0EEEvNS_4cuda6detail10TensorInfoIKT_T0_EES8_S8_bS8_S8_NS5_IS6_S8_EES8_NS5_IlS8_EES8_PS6_.uses_vcc, 1
	.set _ZN2at6native6sbtopk10gatherTopKIljLi3ELb0EEEvNS_4cuda6detail10TensorInfoIKT_T0_EES8_S8_bS8_S8_NS5_IS6_S8_EES8_NS5_IlS8_EES8_PS6_.uses_flat_scratch, 0
	.set _ZN2at6native6sbtopk10gatherTopKIljLi3ELb0EEEvNS_4cuda6detail10TensorInfoIKT_T0_EES8_S8_bS8_S8_NS5_IS6_S8_EES8_NS5_IlS8_EES8_PS6_.has_dyn_sized_stack, 0
	.set _ZN2at6native6sbtopk10gatherTopKIljLi3ELb0EEEvNS_4cuda6detail10TensorInfoIKT_T0_EES8_S8_bS8_S8_NS5_IS6_S8_EES8_NS5_IlS8_EES8_PS6_.has_recursion, 0
	.set _ZN2at6native6sbtopk10gatherTopKIljLi3ELb0EEEvNS_4cuda6detail10TensorInfoIKT_T0_EES8_S8_bS8_S8_NS5_IS6_S8_EES8_NS5_IlS8_EES8_PS6_.has_indirect_call, 0
	.section	.AMDGPU.csdata,"",@progbits
; Kernel info:
; codeLenInByte = 15176
; TotalNumSgprs: 107
; NumVgprs: 59
; ScratchSize: 0
; MemoryBound: 0
; FloatMode: 240
; IeeeMode: 1
; LDSByteSize: 4112 bytes/workgroup (compile time only)
; SGPRBlocks: 0
; VGPRBlocks: 3
; NumSGPRsForWavesPerEU: 107
; NumVGPRsForWavesPerEU: 59
; NamedBarCnt: 0
; Occupancy: 16
; WaveLimiterHint : 1
; COMPUTE_PGM_RSRC2:SCRATCH_EN: 0
; COMPUTE_PGM_RSRC2:USER_SGPR: 2
; COMPUTE_PGM_RSRC2:TRAP_HANDLER: 0
; COMPUTE_PGM_RSRC2:TGID_X_EN: 1
; COMPUTE_PGM_RSRC2:TGID_Y_EN: 1
; COMPUTE_PGM_RSRC2:TGID_Z_EN: 1
; COMPUTE_PGM_RSRC2:TIDIG_COMP_CNT: 0
	.section	.text._ZN2at6native6mbtopk23computeBlockDigitCountsIljmLin1EEEvNS_4cuda6detail10TensorInfoIKT_T0_EEjPjjS8_iijT1_PSB_Ps,"axG",@progbits,_ZN2at6native6mbtopk23computeBlockDigitCountsIljmLin1EEEvNS_4cuda6detail10TensorInfoIKT_T0_EEjPjjS8_iijT1_PSB_Ps,comdat
	.protected	_ZN2at6native6mbtopk23computeBlockDigitCountsIljmLin1EEEvNS_4cuda6detail10TensorInfoIKT_T0_EEjPjjS8_iijT1_PSB_Ps ; -- Begin function _ZN2at6native6mbtopk23computeBlockDigitCountsIljmLin1EEEvNS_4cuda6detail10TensorInfoIKT_T0_EEjPjjS8_iijT1_PSB_Ps
	.globl	_ZN2at6native6mbtopk23computeBlockDigitCountsIljmLin1EEEvNS_4cuda6detail10TensorInfoIKT_T0_EEjPjjS8_iijT1_PSB_Ps
	.p2align	8
	.type	_ZN2at6native6mbtopk23computeBlockDigitCountsIljmLin1EEEvNS_4cuda6detail10TensorInfoIKT_T0_EEjPjjS8_iijT1_PSB_Ps,@function
_ZN2at6native6mbtopk23computeBlockDigitCountsIljmLin1EEEvNS_4cuda6detail10TensorInfoIKT_T0_EEjPjjS8_iijT1_PSB_Ps: ; @_ZN2at6native6mbtopk23computeBlockDigitCountsIljmLin1EEEvNS_4cuda6detail10TensorInfoIKT_T0_EEjPjjS8_iijT1_PSB_Ps
; %bb.0:
	s_load_b32 s17, s[0:1], 0xf8
	s_bfe_u32 s2, ttmp6, 0x40010
	s_and_b32 s4, ttmp7, 0xffff
	s_add_co_i32 s5, s2, 1
	s_bfe_u32 s6, ttmp6, 0x40004
	s_mul_i32 s5, s4, s5
	s_load_b64 s[2:3], s[0:1], 0x118
	s_add_co_i32 s6, s6, s5
	s_bfe_u32 s7, ttmp6, 0x4000c
	s_bfe_u32 s9, ttmp6, 0x40014
	s_add_co_i32 s7, s7, 1
	s_and_b32 s8, ttmp6, 15
	s_mul_i32 s7, ttmp9, s7
	s_add_co_i32 s9, s9, 1
	s_add_co_i32 s7, s8, s7
	s_getreg_b32 s10, hwreg(HW_REG_IB_STS2, 6, 4)
	s_mov_b32 s15, 0
	s_wait_kmcnt 0x0
	s_cvt_f32_u32 s5, s17
	s_delay_alu instid0(SALU_CYCLE_3) | instskip(SKIP_1) | instid1(SALU_CYCLE_1)
	v_rcp_iflag_f32_e32 v1, s5
	s_lshr_b32 s5, ttmp7, 16
	s_mul_i32 s8, s5, s9
	s_bfe_u32 s9, ttmp6, 0x40008
	s_delay_alu instid0(SALU_CYCLE_1) | instskip(SKIP_1) | instid1(TRANS32_DEP_1)
	s_add_co_i32 s9, s9, s8
	v_nop
	v_readfirstlane_b32 s11, v1
	s_cmp_eq_u32 s10, 0
	s_cselect_b32 s5, s5, s9
	s_cselect_b32 s4, s4, s6
	s_mul_f32 s12, s11, 0x4f7ffffe
	s_load_b128 s[8:11], s[0:1], 0xe8
	s_mul_i32 s3, s3, s5
	s_cselect_b32 s5, ttmp9, s7
	s_cvt_u32_f32 s7, s12
	s_sub_co_i32 s6, 0, s17
	s_add_co_i32 s3, s3, s4
	s_delay_alu instid0(SALU_CYCLE_1) | instskip(SKIP_3) | instid1(SALU_CYCLE_1)
	s_mul_i32 s16, s3, s2
	s_mul_i32 s6, s6, s7
	s_add_co_i32 s16, s16, s5
	s_mul_hi_u32 s2, s7, s6
	s_add_co_i32 s7, s7, s2
	s_delay_alu instid0(SALU_CYCLE_1) | instskip(NEXT) | instid1(SALU_CYCLE_1)
	s_mul_hi_u32 s2, s16, s7
	s_mul_i32 s3, s2, s17
	s_add_co_i32 s4, s2, 1
	s_sub_co_i32 s3, s16, s3
	s_delay_alu instid0(SALU_CYCLE_1)
	s_sub_co_i32 s5, s3, s17
	s_cmp_ge_u32 s3, s17
	s_cselect_b32 s2, s4, s2
	s_cselect_b32 s3, s5, s3
	s_add_co_i32 s4, s2, 1
	s_cmp_ge_u32 s3, s17
	s_cselect_b32 s18, s4, s2
	s_wait_kmcnt 0x0
	s_cmp_ge_u32 s18, s8
	s_cbranch_scc1 .LBB50_30
; %bb.1:
	s_clause 0x2
	s_load_b128 s[4:7], s[0:1], 0x100
	s_load_b32 s8, s[0:1], 0xd0
	s_load_b64 s[2:3], s[0:1], 0x110
	s_mov_b32 s19, s18
	s_wait_kmcnt 0x0
	s_load_b64 s[6:7], s[6:7], s18 offset:0x0 scale_offset
	s_cmp_lt_i32 s8, 2
	s_cbranch_scc1 .LBB50_4
; %bb.2:
	s_add_co_i32 s14, s8, -1
	s_add_co_i32 s8, s8, 1
	s_lshl_b64 s[12:13], s[14:15], 2
	s_mov_b32 s19, s18
	s_add_nc_u64 s[12:13], s[0:1], s[12:13]
	s_delay_alu instid0(SALU_CYCLE_1)
	s_add_nc_u64 s[12:13], s[12:13], 8
.LBB50_3:                               ; =>This Inner Loop Header: Depth=1
	s_clause 0x1
	s_load_b32 s14, s[12:13], 0x0
	s_load_b32 s20, s[12:13], 0x64
	s_mov_b32 s23, s19
	s_wait_xcnt 0x0
	s_add_nc_u64 s[12:13], s[12:13], -4
	s_wait_kmcnt 0x0
	s_cvt_f32_u32 s21, s14
	s_sub_co_i32 s22, 0, s14
	s_delay_alu instid0(SALU_CYCLE_2) | instskip(SKIP_1) | instid1(TRANS32_DEP_1)
	v_rcp_iflag_f32_e32 v1, s21
	v_nop
	v_readfirstlane_b32 s21, v1
	s_mul_f32 s21, s21, 0x4f7ffffe
	s_delay_alu instid0(SALU_CYCLE_3) | instskip(NEXT) | instid1(SALU_CYCLE_3)
	s_cvt_u32_f32 s21, s21
	s_mul_i32 s22, s22, s21
	s_delay_alu instid0(SALU_CYCLE_1) | instskip(NEXT) | instid1(SALU_CYCLE_1)
	s_mul_hi_u32 s22, s21, s22
	s_add_co_i32 s21, s21, s22
	s_delay_alu instid0(SALU_CYCLE_1) | instskip(NEXT) | instid1(SALU_CYCLE_1)
	s_mul_hi_u32 s19, s19, s21
	s_mul_i32 s21, s19, s14
	s_add_co_i32 s22, s19, 1
	s_sub_co_i32 s21, s23, s21
	s_delay_alu instid0(SALU_CYCLE_1)
	s_sub_co_i32 s24, s21, s14
	s_cmp_ge_u32 s21, s14
	s_cselect_b32 s19, s22, s19
	s_cselect_b32 s21, s24, s21
	s_add_co_i32 s22, s19, 1
	s_cmp_ge_u32 s21, s14
	s_cselect_b32 s19, s22, s19
	s_add_co_i32 s8, s8, -1
	s_mul_i32 s14, s19, s14
	s_delay_alu instid0(SALU_CYCLE_1) | instskip(NEXT) | instid1(SALU_CYCLE_1)
	s_sub_co_i32 s14, s23, s14
	s_mul_i32 s14, s20, s14
	s_delay_alu instid0(SALU_CYCLE_1)
	s_add_co_i32 s15, s14, s15
	s_cmp_gt_u32 s8, 2
	s_cbranch_scc1 .LBB50_3
.LBB50_4:
	v_cmp_gt_u32_e32 vcc_lo, 0x100, v0
	v_lshlrev_b32_e32 v1, 2, v0
	s_and_saveexec_b32 s8, vcc_lo
; %bb.5:
	v_mov_b32_e32 v2, 0
	ds_store_b32 v1, v2
; %bb.6:
	s_or_b32 exec_lo, exec_lo, s8
	s_load_b32 s8, s[0:1], 0xd8
	s_wait_xcnt 0x0
	s_mul_i32 s18, s18, s17
	s_mov_b32 s13, 0
	s_sub_co_i32 s18, s16, s18
	s_wait_dscnt 0x0
	s_mul_i32 s12, s11, s18
	s_add_co_i32 s18, s18, 1
	s_lshl_b32 s14, s12, 8
	s_barrier_signal -1
	s_barrier_wait -1
	s_wait_kmcnt 0x0
	s_sub_co_i32 s12, s8, s14
	s_delay_alu instid0(SALU_CYCLE_1) | instskip(NEXT) | instid1(SALU_CYCLE_1)
	s_add_nc_u64 s[20:21], s[12:13], 0xff
	s_lshr_b64 s[20:21], s[20:21], 8
	s_cmp_lt_u32 s18, s17
	s_cselect_b32 s17, s11, s20
	s_delay_alu instid0(SALU_CYCLE_1)
	s_cmp_lt_i32 s17, 1
	s_cbranch_scc1 .LBB50_28
; %bb.7:
	s_clause 0x1
	s_load_b32 s11, s[0:1], 0x6c
	s_load_b64 s[20:21], s[0:1], 0x0
	s_wait_xcnt 0x0
	s_and_b32 s1, s10, 0xff
	s_wait_kmcnt 0x0
	s_mul_i32 s0, s11, s19
	s_delay_alu instid0(SALU_CYCLE_1) | instskip(NEXT) | instid1(SALU_CYCLE_1)
	s_add_co_i32 s12, s0, s15
	s_lshl_b64 s[18:19], s[12:13], 3
	s_cmp_lt_u32 s17, 4
	s_add_nc_u64 s[10:11], s[20:21], s[18:19]
	s_cbranch_scc1 .LBB50_22
; %bb.8:
	v_dual_mov_b32 v9, 1 :: v_dual_add_nc_u32 v2, s14, v0
	s_and_b32 s13, s17, 0x7ffffffc
	s_lshl_b32 s12, s9, 10
	s_mov_b32 s15, 0
	s_delay_alu instid0(VALU_DEP_1)
	v_add_nc_u32_e32 v4, 0x300, v2
	v_add_nc_u32_e32 v3, 0x200, v2
	;; [unrolled: 1-line block ×3, first 2 shown]
	v_mul_lo_u32 v8, s9, v2
	s_mov_b32 s18, 0
	v_mul_lo_u32 v5, s9, v4
	v_mul_lo_u32 v6, s9, v3
	;; [unrolled: 1-line block ×3, first 2 shown]
	s_branch .LBB50_10
.LBB50_9:                               ;   in Loop: Header=BB50_10 Depth=1
	s_or_b32 exec_lo, exec_lo, s19
	v_add_nc_u32_e32 v4, 0x400, v4
	s_add_co_i32 s18, s18, 4
	s_add_co_i32 s15, s15, s12
	s_cmp_eq_u32 s13, s18
	s_cbranch_scc1 .LBB50_22
.LBB50_10:                              ; =>This Inner Loop Header: Depth=1
	v_add_nc_u32_e32 v2, 0xfffffd00, v4
	s_mov_b32 s19, exec_lo
	s_delay_alu instid0(VALU_DEP_1)
	v_cmpx_gt_u32_e64 s8, v2
	s_cbranch_execz .LBB50_13
; %bb.11:                               ;   in Loop: Header=BB50_10 Depth=1
	v_add_nc_u32_e32 v2, s15, v8
	global_load_b64 v[2:3], v2, s[10:11] scale_offset
	s_wait_loadcnt 0x0
	v_xor_b32_e32 v3, 0x80000000, v3
	v_xor_b32_e32 v12, s6, v2
	s_delay_alu instid0(VALU_DEP_2) | instskip(NEXT) | instid1(VALU_DEP_1)
	v_xor_b32_e32 v10, s7, v3
	v_and_b32_e32 v11, s5, v10
	s_delay_alu instid0(VALU_DEP_3) | instskip(NEXT) | instid1(VALU_DEP_1)
	v_and_b32_e32 v10, s4, v12
	v_cmp_eq_u64_e64 s0, 0, v[10:11]
	s_wait_xcnt 0x0
	s_and_b32 exec_lo, exec_lo, s0
	s_cbranch_execz .LBB50_13
; %bb.12:                               ;   in Loop: Header=BB50_10 Depth=1
	v_lshrrev_b64 v[2:3], s1, v[2:3]
	s_delay_alu instid0(VALU_DEP_1) | instskip(NEXT) | instid1(VALU_DEP_1)
	v_and_b32_e32 v2, 0xff, v2
	v_lshlrev_b32_e32 v2, 2, v2
	ds_add_u32 v2, v9
.LBB50_13:                              ;   in Loop: Header=BB50_10 Depth=1
	s_or_b32 exec_lo, exec_lo, s19
	v_add_nc_u32_e32 v2, 0xfffffe00, v4
	s_mov_b32 s19, exec_lo
	s_delay_alu instid0(VALU_DEP_1)
	v_cmpx_gt_u32_e64 s8, v2
	s_cbranch_execz .LBB50_16
; %bb.14:                               ;   in Loop: Header=BB50_10 Depth=1
	v_add_nc_u32_e32 v2, s15, v7
	global_load_b64 v[2:3], v2, s[10:11] scale_offset
	s_wait_loadcnt 0x0
	v_xor_b32_e32 v3, 0x80000000, v3
	v_xor_b32_e32 v12, s6, v2
	s_delay_alu instid0(VALU_DEP_2) | instskip(NEXT) | instid1(VALU_DEP_1)
	v_xor_b32_e32 v10, s7, v3
	v_and_b32_e32 v11, s5, v10
	s_delay_alu instid0(VALU_DEP_3) | instskip(NEXT) | instid1(VALU_DEP_1)
	v_and_b32_e32 v10, s4, v12
	v_cmp_eq_u64_e64 s0, 0, v[10:11]
	s_and_b32 exec_lo, exec_lo, s0
	s_cbranch_execz .LBB50_16
; %bb.15:                               ;   in Loop: Header=BB50_10 Depth=1
	v_lshrrev_b64 v[2:3], s1, v[2:3]
	s_delay_alu instid0(VALU_DEP_1) | instskip(NEXT) | instid1(VALU_DEP_1)
	v_and_b32_e32 v2, 0xff, v2
	v_lshlrev_b32_e32 v2, 2, v2
	ds_add_u32 v2, v9
.LBB50_16:                              ;   in Loop: Header=BB50_10 Depth=1
	s_or_b32 exec_lo, exec_lo, s19
	v_add_nc_u32_e32 v2, 0xffffff00, v4
	s_mov_b32 s19, exec_lo
	s_delay_alu instid0(VALU_DEP_1)
	v_cmpx_gt_u32_e64 s8, v2
	s_cbranch_execz .LBB50_19
; %bb.17:                               ;   in Loop: Header=BB50_10 Depth=1
	v_add_nc_u32_e32 v2, s15, v6
	global_load_b64 v[2:3], v2, s[10:11] scale_offset
	s_wait_loadcnt 0x0
	v_xor_b32_e32 v3, 0x80000000, v3
	v_xor_b32_e32 v12, s6, v2
	s_delay_alu instid0(VALU_DEP_2) | instskip(NEXT) | instid1(VALU_DEP_1)
	v_xor_b32_e32 v10, s7, v3
	v_and_b32_e32 v11, s5, v10
	s_delay_alu instid0(VALU_DEP_3) | instskip(NEXT) | instid1(VALU_DEP_1)
	v_and_b32_e32 v10, s4, v12
	v_cmp_eq_u64_e64 s0, 0, v[10:11]
	s_and_b32 exec_lo, exec_lo, s0
	s_cbranch_execz .LBB50_19
; %bb.18:                               ;   in Loop: Header=BB50_10 Depth=1
	v_lshrrev_b64 v[2:3], s1, v[2:3]
	s_delay_alu instid0(VALU_DEP_1) | instskip(NEXT) | instid1(VALU_DEP_1)
	v_and_b32_e32 v2, 0xff, v2
	v_lshlrev_b32_e32 v2, 2, v2
	ds_add_u32 v2, v9
.LBB50_19:                              ;   in Loop: Header=BB50_10 Depth=1
	s_or_b32 exec_lo, exec_lo, s19
	s_delay_alu instid0(SALU_CYCLE_1)
	s_mov_b32 s19, exec_lo
	v_cmpx_gt_u32_e64 s8, v4
	s_cbranch_execz .LBB50_9
; %bb.20:                               ;   in Loop: Header=BB50_10 Depth=1
	v_add_nc_u32_e32 v2, s15, v5
	global_load_b64 v[2:3], v2, s[10:11] scale_offset
	s_wait_loadcnt 0x0
	v_xor_b32_e32 v3, 0x80000000, v3
	v_xor_b32_e32 v12, s6, v2
	s_delay_alu instid0(VALU_DEP_2) | instskip(NEXT) | instid1(VALU_DEP_1)
	v_xor_b32_e32 v10, s7, v3
	v_and_b32_e32 v11, s5, v10
	s_delay_alu instid0(VALU_DEP_3) | instskip(NEXT) | instid1(VALU_DEP_1)
	v_and_b32_e32 v10, s4, v12
	v_cmp_eq_u64_e64 s0, 0, v[10:11]
	s_and_b32 exec_lo, exec_lo, s0
	s_cbranch_execz .LBB50_9
; %bb.21:                               ;   in Loop: Header=BB50_10 Depth=1
	v_lshrrev_b64 v[2:3], s1, v[2:3]
	s_delay_alu instid0(VALU_DEP_1) | instskip(NEXT) | instid1(VALU_DEP_1)
	v_and_b32_e32 v2, 0xff, v2
	v_lshlrev_b32_e32 v2, 2, v2
	ds_add_u32 v2, v9
	s_branch .LBB50_9
.LBB50_22:
	s_and_b32 s12, s17, 3
	s_delay_alu instid0(SALU_CYCLE_1)
	s_cmp_eq_u32 s12, 0
	s_cbranch_scc1 .LBB50_28
; %bb.23:
	s_lshl_b32 s0, s13, 8
	v_mov_b32_e32 v6, 1
	v_add3_u32 v4, s0, s14, v0
	s_delay_alu instid0(VALU_DEP_1)
	v_mul_lo_u32 v5, s9, v4
	s_lshl_b32 s9, s9, 8
	s_branch .LBB50_25
.LBB50_24:                              ;   in Loop: Header=BB50_25 Depth=1
	s_or_b32 exec_lo, exec_lo, s13
	s_delay_alu instid0(VALU_DEP_2) | instskip(SKIP_2) | instid1(SALU_CYCLE_1)
	v_add_nc_u32_e32 v5, s9, v5
	v_add_nc_u32_e32 v4, 0x100, v4
	s_add_co_i32 s12, s12, -1
	s_cmp_lg_u32 s12, 0
	s_cbranch_scc0 .LBB50_28
.LBB50_25:                              ; =>This Inner Loop Header: Depth=1
	s_mov_b32 s13, exec_lo
	v_cmpx_gt_u32_e64 s8, v4
	s_cbranch_execz .LBB50_24
; %bb.26:                               ;   in Loop: Header=BB50_25 Depth=1
	global_load_b64 v[2:3], v5, s[10:11] scale_offset
	s_wait_loadcnt 0x0
	v_xor_b32_e32 v3, 0x80000000, v3
	v_xor_b32_e32 v8, s6, v2
	s_delay_alu instid0(VALU_DEP_2) | instskip(NEXT) | instid1(VALU_DEP_2)
	v_xor_b32_e32 v7, s7, v3
	v_and_b32_e32 v8, s4, v8
	s_delay_alu instid0(VALU_DEP_2) | instskip(NEXT) | instid1(VALU_DEP_1)
	v_and_b32_e32 v9, s5, v7
	v_cmp_eq_u64_e64 s0, 0, v[8:9]
	s_and_b32 exec_lo, exec_lo, s0
	s_cbranch_execz .LBB50_24
; %bb.27:                               ;   in Loop: Header=BB50_25 Depth=1
	v_lshrrev_b64 v[2:3], s1, v[2:3]
	s_delay_alu instid0(VALU_DEP_1) | instskip(NEXT) | instid1(VALU_DEP_1)
	v_and_b32_e32 v2, 0xff, v2
	v_lshlrev_b32_e32 v2, 2, v2
	ds_add_u32 v2, v6
	s_branch .LBB50_24
.LBB50_28:
	s_wait_dscnt 0x0
	s_barrier_signal -1
	s_barrier_wait -1
	s_and_saveexec_b32 s0, vcc_lo
	s_cbranch_execz .LBB50_30
; %bb.29:
	ds_load_b32 v1, v1
	v_lshl_or_b32 v0, s16, 8, v0
	s_wait_dscnt 0x0
	global_store_b16 v0, v1, s[2:3] scale_offset
.LBB50_30:
	s_endpgm
	.section	.rodata,"a",@progbits
	.p2align	6, 0x0
	.amdhsa_kernel _ZN2at6native6mbtopk23computeBlockDigitCountsIljmLin1EEEvNS_4cuda6detail10TensorInfoIKT_T0_EEjPjjS8_iijT1_PSB_Ps
		.amdhsa_group_segment_fixed_size 1024
		.amdhsa_private_segment_fixed_size 0
		.amdhsa_kernarg_size 536
		.amdhsa_user_sgpr_count 2
		.amdhsa_user_sgpr_dispatch_ptr 0
		.amdhsa_user_sgpr_queue_ptr 0
		.amdhsa_user_sgpr_kernarg_segment_ptr 1
		.amdhsa_user_sgpr_dispatch_id 0
		.amdhsa_user_sgpr_kernarg_preload_length 0
		.amdhsa_user_sgpr_kernarg_preload_offset 0
		.amdhsa_user_sgpr_private_segment_size 0
		.amdhsa_wavefront_size32 1
		.amdhsa_uses_dynamic_stack 0
		.amdhsa_enable_private_segment 0
		.amdhsa_system_sgpr_workgroup_id_x 1
		.amdhsa_system_sgpr_workgroup_id_y 1
		.amdhsa_system_sgpr_workgroup_id_z 1
		.amdhsa_system_sgpr_workgroup_info 0
		.amdhsa_system_vgpr_workitem_id 0
		.amdhsa_next_free_vgpr 13
		.amdhsa_next_free_sgpr 25
		.amdhsa_named_barrier_count 0
		.amdhsa_reserve_vcc 1
		.amdhsa_float_round_mode_32 0
		.amdhsa_float_round_mode_16_64 0
		.amdhsa_float_denorm_mode_32 3
		.amdhsa_float_denorm_mode_16_64 3
		.amdhsa_fp16_overflow 0
		.amdhsa_memory_ordered 1
		.amdhsa_forward_progress 1
		.amdhsa_inst_pref_size 13
		.amdhsa_round_robin_scheduling 0
		.amdhsa_exception_fp_ieee_invalid_op 0
		.amdhsa_exception_fp_denorm_src 0
		.amdhsa_exception_fp_ieee_div_zero 0
		.amdhsa_exception_fp_ieee_overflow 0
		.amdhsa_exception_fp_ieee_underflow 0
		.amdhsa_exception_fp_ieee_inexact 0
		.amdhsa_exception_int_div_zero 0
	.end_amdhsa_kernel
	.section	.text._ZN2at6native6mbtopk23computeBlockDigitCountsIljmLin1EEEvNS_4cuda6detail10TensorInfoIKT_T0_EEjPjjS8_iijT1_PSB_Ps,"axG",@progbits,_ZN2at6native6mbtopk23computeBlockDigitCountsIljmLin1EEEvNS_4cuda6detail10TensorInfoIKT_T0_EEjPjjS8_iijT1_PSB_Ps,comdat
.Lfunc_end50:
	.size	_ZN2at6native6mbtopk23computeBlockDigitCountsIljmLin1EEEvNS_4cuda6detail10TensorInfoIKT_T0_EEjPjjS8_iijT1_PSB_Ps, .Lfunc_end50-_ZN2at6native6mbtopk23computeBlockDigitCountsIljmLin1EEEvNS_4cuda6detail10TensorInfoIKT_T0_EEjPjjS8_iijT1_PSB_Ps
                                        ; -- End function
	.set _ZN2at6native6mbtopk23computeBlockDigitCountsIljmLin1EEEvNS_4cuda6detail10TensorInfoIKT_T0_EEjPjjS8_iijT1_PSB_Ps.num_vgpr, 13
	.set _ZN2at6native6mbtopk23computeBlockDigitCountsIljmLin1EEEvNS_4cuda6detail10TensorInfoIKT_T0_EEjPjjS8_iijT1_PSB_Ps.num_agpr, 0
	.set _ZN2at6native6mbtopk23computeBlockDigitCountsIljmLin1EEEvNS_4cuda6detail10TensorInfoIKT_T0_EEjPjjS8_iijT1_PSB_Ps.numbered_sgpr, 25
	.set _ZN2at6native6mbtopk23computeBlockDigitCountsIljmLin1EEEvNS_4cuda6detail10TensorInfoIKT_T0_EEjPjjS8_iijT1_PSB_Ps.num_named_barrier, 0
	.set _ZN2at6native6mbtopk23computeBlockDigitCountsIljmLin1EEEvNS_4cuda6detail10TensorInfoIKT_T0_EEjPjjS8_iijT1_PSB_Ps.private_seg_size, 0
	.set _ZN2at6native6mbtopk23computeBlockDigitCountsIljmLin1EEEvNS_4cuda6detail10TensorInfoIKT_T0_EEjPjjS8_iijT1_PSB_Ps.uses_vcc, 1
	.set _ZN2at6native6mbtopk23computeBlockDigitCountsIljmLin1EEEvNS_4cuda6detail10TensorInfoIKT_T0_EEjPjjS8_iijT1_PSB_Ps.uses_flat_scratch, 0
	.set _ZN2at6native6mbtopk23computeBlockDigitCountsIljmLin1EEEvNS_4cuda6detail10TensorInfoIKT_T0_EEjPjjS8_iijT1_PSB_Ps.has_dyn_sized_stack, 0
	.set _ZN2at6native6mbtopk23computeBlockDigitCountsIljmLin1EEEvNS_4cuda6detail10TensorInfoIKT_T0_EEjPjjS8_iijT1_PSB_Ps.has_recursion, 0
	.set _ZN2at6native6mbtopk23computeBlockDigitCountsIljmLin1EEEvNS_4cuda6detail10TensorInfoIKT_T0_EEjPjjS8_iijT1_PSB_Ps.has_indirect_call, 0
	.section	.AMDGPU.csdata,"",@progbits
; Kernel info:
; codeLenInByte = 1628
; TotalNumSgprs: 27
; NumVgprs: 13
; ScratchSize: 0
; MemoryBound: 0
; FloatMode: 240
; IeeeMode: 1
; LDSByteSize: 1024 bytes/workgroup (compile time only)
; SGPRBlocks: 0
; VGPRBlocks: 0
; NumSGPRsForWavesPerEU: 27
; NumVGPRsForWavesPerEU: 13
; NamedBarCnt: 0
; Occupancy: 16
; WaveLimiterHint : 1
; COMPUTE_PGM_RSRC2:SCRATCH_EN: 0
; COMPUTE_PGM_RSRC2:USER_SGPR: 2
; COMPUTE_PGM_RSRC2:TRAP_HANDLER: 0
; COMPUTE_PGM_RSRC2:TGID_X_EN: 1
; COMPUTE_PGM_RSRC2:TGID_Y_EN: 1
; COMPUTE_PGM_RSRC2:TGID_Z_EN: 1
; COMPUTE_PGM_RSRC2:TIDIG_COMP_CNT: 0
	.section	.text._ZN2at6native6mbtopk10gatherTopKIljLin1EEEvNS_4cuda6detail10TensorInfoIKT_T0_EES8_S8_bjS8_NS5_IS6_S8_EES8_NS5_IlS8_EES8_jjPS6_PjSD_j,"axG",@progbits,_ZN2at6native6mbtopk10gatherTopKIljLin1EEEvNS_4cuda6detail10TensorInfoIKT_T0_EES8_S8_bjS8_NS5_IS6_S8_EES8_NS5_IlS8_EES8_jjPS6_PjSD_j,comdat
	.protected	_ZN2at6native6mbtopk10gatherTopKIljLin1EEEvNS_4cuda6detail10TensorInfoIKT_T0_EES8_S8_bjS8_NS5_IS6_S8_EES8_NS5_IlS8_EES8_jjPS6_PjSD_j ; -- Begin function _ZN2at6native6mbtopk10gatherTopKIljLin1EEEvNS_4cuda6detail10TensorInfoIKT_T0_EES8_S8_bjS8_NS5_IS6_S8_EES8_NS5_IlS8_EES8_jjPS6_PjSD_j
	.globl	_ZN2at6native6mbtopk10gatherTopKIljLin1EEEvNS_4cuda6detail10TensorInfoIKT_T0_EES8_S8_bjS8_NS5_IS6_S8_EES8_NS5_IlS8_EES8_jjPS6_PjSD_j
	.p2align	8
	.type	_ZN2at6native6mbtopk10gatherTopKIljLin1EEEvNS_4cuda6detail10TensorInfoIKT_T0_EES8_S8_bjS8_NS5_IS6_S8_EES8_NS5_IlS8_EES8_jjPS6_PjSD_j,@function
_ZN2at6native6mbtopk10gatherTopKIljLin1EEEvNS_4cuda6detail10TensorInfoIKT_T0_EES8_S8_bjS8_NS5_IS6_S8_EES8_NS5_IlS8_EES8_jjPS6_PjSD_j: ; @_ZN2at6native6mbtopk10gatherTopKIljLin1EEEvNS_4cuda6detail10TensorInfoIKT_T0_EES8_S8_bjS8_NS5_IS6_S8_EES8_NS5_IlS8_EES8_jjPS6_PjSD_j
; %bb.0:
	s_bfe_u32 s2, ttmp6, 0x40010
	s_and_b32 s4, ttmp7, 0xffff
	s_add_co_i32 s5, s2, 1
	s_clause 0x1
	s_load_b32 s6, s[0:1], 0x2d0
	s_load_b64 s[2:3], s[0:1], 0x2d8
	s_bfe_u32 s8, ttmp6, 0x4000c
	s_mul_i32 s5, s4, s5
	s_bfe_u32 s7, ttmp6, 0x40004
	s_add_co_i32 s8, s8, 1
	s_bfe_u32 s9, ttmp6, 0x40014
	s_add_co_i32 s7, s7, s5
	s_and_b32 s5, ttmp6, 15
	s_mul_i32 s8, ttmp9, s8
	s_lshr_b32 s10, ttmp7, 16
	s_add_co_i32 s9, s9, 1
	s_add_co_i32 s5, s5, s8
	s_mul_i32 s8, s10, s9
	s_bfe_u32 s9, ttmp6, 0x40008
	s_getreg_b32 s11, hwreg(HW_REG_IB_STS2, 6, 4)
	s_add_co_i32 s9, s9, s8
	s_cmp_eq_u32 s11, 0
	s_mov_b32 s19, 0
	s_cselect_b32 s8, s10, s9
	s_cselect_b32 s4, s4, s7
	s_wait_kmcnt 0x0
	s_mul_i32 s3, s3, s8
	s_cselect_b32 s5, ttmp9, s5
	s_add_co_i32 s3, s3, s4
	s_delay_alu instid0(SALU_CYCLE_1) | instskip(NEXT) | instid1(SALU_CYCLE_1)
	s_mul_i32 s8, s3, s2
	s_add_co_i32 s8, s8, s5
	s_delay_alu instid0(SALU_CYCLE_1)
	s_cmp_ge_u32 s8, s6
	s_cbranch_scc1 .LBB51_49
; %bb.1:
	s_clause 0x1
	s_load_b96 s[12:14], s[0:1], 0x2a8
	s_load_b32 s2, s[0:1], 0xd0
	s_wait_kmcnt 0x0
	s_cvt_f32_u32 s3, s14
	s_sub_co_i32 s4, 0, s14
	s_delay_alu instid0(SALU_CYCLE_2) | instskip(SKIP_1) | instid1(TRANS32_DEP_1)
	v_rcp_iflag_f32_e32 v1, s3
	v_nop
	v_readfirstlane_b32 s3, v1
	s_mul_f32 s3, s3, 0x4f7ffffe
	s_delay_alu instid0(SALU_CYCLE_3) | instskip(NEXT) | instid1(SALU_CYCLE_3)
	s_cvt_u32_f32 s3, s3
	s_mul_i32 s4, s4, s3
	s_delay_alu instid0(SALU_CYCLE_1) | instskip(NEXT) | instid1(SALU_CYCLE_1)
	s_mul_hi_u32 s4, s3, s4
	s_add_co_i32 s3, s3, s4
	s_delay_alu instid0(SALU_CYCLE_1) | instskip(NEXT) | instid1(SALU_CYCLE_1)
	s_mul_hi_u32 s3, s8, s3
	s_mul_i32 s4, s3, s14
	s_add_co_i32 s5, s3, 1
	s_sub_co_i32 s4, s8, s4
	s_delay_alu instid0(SALU_CYCLE_1)
	s_sub_co_i32 s6, s4, s14
	s_cmp_ge_u32 s4, s14
	s_cselect_b32 s3, s5, s3
	s_cselect_b32 s4, s6, s4
	s_add_co_i32 s5, s3, 1
	s_cmp_ge_u32 s4, s14
	s_cselect_b32 s9, s5, s3
	s_cmp_lt_i32 s2, 2
	s_mov_b32 s15, s9
	s_cbranch_scc1 .LBB51_4
; %bb.2:
	s_add_co_i32 s18, s2, -1
	s_mov_b32 s15, s9
	s_lshl_b64 s[4:5], s[18:19], 2
	s_delay_alu instid0(SALU_CYCLE_1)
	s_add_nc_u64 s[6:7], s[0:1], s[4:5]
	s_add_co_i32 s4, s2, 1
	s_add_nc_u64 s[2:3], s[6:7], 8
.LBB51_3:                               ; =>This Inner Loop Header: Depth=1
	s_clause 0x1
	s_load_b32 s5, s[2:3], 0x0
	s_load_b32 s6, s[2:3], 0x64
	s_mov_b32 s11, s15
	s_wait_xcnt 0x0
	s_add_nc_u64 s[2:3], s[2:3], -4
	s_wait_kmcnt 0x0
	s_cvt_f32_u32 s7, s5
	s_sub_co_i32 s10, 0, s5
	s_delay_alu instid0(SALU_CYCLE_2) | instskip(SKIP_1) | instid1(TRANS32_DEP_1)
	v_rcp_iflag_f32_e32 v1, s7
	v_nop
	v_readfirstlane_b32 s7, v1
	s_mul_f32 s7, s7, 0x4f7ffffe
	s_delay_alu instid0(SALU_CYCLE_3) | instskip(NEXT) | instid1(SALU_CYCLE_3)
	s_cvt_u32_f32 s7, s7
	s_mul_i32 s10, s10, s7
	s_delay_alu instid0(SALU_CYCLE_1) | instskip(NEXT) | instid1(SALU_CYCLE_1)
	s_mul_hi_u32 s10, s7, s10
	s_add_co_i32 s7, s7, s10
	s_delay_alu instid0(SALU_CYCLE_1) | instskip(NEXT) | instid1(SALU_CYCLE_1)
	s_mul_hi_u32 s7, s15, s7
	s_mul_i32 s10, s7, s5
	s_delay_alu instid0(SALU_CYCLE_1)
	s_sub_co_i32 s10, s15, s10
	s_add_co_i32 s15, s7, 1
	s_sub_co_i32 s16, s10, s5
	s_cmp_ge_u32 s10, s5
	s_cselect_b32 s7, s15, s7
	s_cselect_b32 s10, s16, s10
	s_add_co_i32 s15, s7, 1
	s_cmp_ge_u32 s10, s5
	s_cselect_b32 s15, s15, s7
	s_add_co_i32 s4, s4, -1
	s_mul_i32 s5, s15, s5
	s_delay_alu instid0(SALU_CYCLE_1) | instskip(NEXT) | instid1(SALU_CYCLE_1)
	s_sub_co_i32 s5, s11, s5
	s_mul_i32 s5, s6, s5
	s_delay_alu instid0(SALU_CYCLE_1)
	s_add_co_i32 s19, s5, s19
	s_cmp_gt_u32 s4, 2
	s_cbranch_scc1 .LBB51_3
.LBB51_4:
	s_load_b32 s4, s[0:1], 0x1c0
	s_add_nc_u64 s[2:3], s[0:1], 0xf0
	s_mov_b32 s21, 0
	s_mov_b32 s18, s9
	s_wait_kmcnt 0x0
	s_cmp_lt_i32 s4, 2
	s_cbranch_scc1 .LBB51_7
; %bb.5:
	s_add_co_i32 s20, s4, -1
	s_mov_b32 s18, s9
	s_lshl_b64 s[6:7], s[20:21], 2
	s_delay_alu instid0(SALU_CYCLE_1)
	s_add_nc_u64 s[10:11], s[2:3], s[6:7]
	s_add_co_i32 s6, s4, 1
	s_add_nc_u64 s[4:5], s[10:11], 8
.LBB51_6:                               ; =>This Inner Loop Header: Depth=1
	s_clause 0x1
	s_load_b32 s7, s[4:5], 0x0
	s_load_b32 s10, s[4:5], 0x64
	s_mov_b32 s17, s18
	s_wait_xcnt 0x0
	s_add_nc_u64 s[4:5], s[4:5], -4
	s_wait_kmcnt 0x0
	s_cvt_f32_u32 s11, s7
	s_sub_co_i32 s16, 0, s7
	s_delay_alu instid0(SALU_CYCLE_2) | instskip(SKIP_1) | instid1(TRANS32_DEP_1)
	v_rcp_iflag_f32_e32 v1, s11
	v_nop
	v_readfirstlane_b32 s11, v1
	s_mul_f32 s11, s11, 0x4f7ffffe
	s_delay_alu instid0(SALU_CYCLE_3) | instskip(NEXT) | instid1(SALU_CYCLE_3)
	s_cvt_u32_f32 s11, s11
	s_mul_i32 s16, s16, s11
	s_delay_alu instid0(SALU_CYCLE_1) | instskip(NEXT) | instid1(SALU_CYCLE_1)
	s_mul_hi_u32 s16, s11, s16
	s_add_co_i32 s11, s11, s16
	s_delay_alu instid0(SALU_CYCLE_1) | instskip(NEXT) | instid1(SALU_CYCLE_1)
	s_mul_hi_u32 s11, s18, s11
	s_mul_i32 s16, s11, s7
	s_delay_alu instid0(SALU_CYCLE_1)
	s_sub_co_i32 s16, s18, s16
	s_add_co_i32 s18, s11, 1
	s_sub_co_i32 s20, s16, s7
	s_cmp_ge_u32 s16, s7
	s_cselect_b32 s11, s18, s11
	s_cselect_b32 s16, s20, s16
	s_add_co_i32 s18, s11, 1
	s_cmp_ge_u32 s16, s7
	s_cselect_b32 s18, s18, s11
	s_add_co_i32 s6, s6, -1
	s_mul_i32 s7, s18, s7
	s_delay_alu instid0(SALU_CYCLE_1) | instskip(NEXT) | instid1(SALU_CYCLE_1)
	s_sub_co_i32 s7, s17, s7
	s_mul_i32 s7, s10, s7
	s_delay_alu instid0(SALU_CYCLE_1)
	s_add_co_i32 s21, s7, s21
	s_cmp_gt_u32 s6, 2
	s_cbranch_scc1 .LBB51_6
.LBB51_7:
	s_clause 0x1
	s_load_b32 s20, s[0:1], 0x6c
	s_load_b32 s4, s[0:1], 0x2a0
	s_mov_b32 s23, 0
	s_mov_b32 s22, s9
	s_wait_kmcnt 0x0
	s_cmp_lt_i32 s4, 2
	s_cbranch_scc1 .LBB51_10
; %bb.8:
	s_add_co_i32 s22, s4, -1
	s_add_nc_u64 s[6:7], s[0:1], 0x1d0
	s_lshl_b64 s[10:11], s[22:23], 2
	s_mov_b32 s22, s9
	s_add_nc_u64 s[10:11], s[6:7], s[10:11]
	s_add_co_i32 s6, s4, 1
	s_add_nc_u64 s[4:5], s[10:11], 8
.LBB51_9:                               ; =>This Inner Loop Header: Depth=1
	s_clause 0x1
	s_load_b32 s7, s[4:5], 0x0
	s_load_b32 s10, s[4:5], 0x64
	s_mov_b32 s17, s22
	s_wait_xcnt 0x0
	s_add_nc_u64 s[4:5], s[4:5], -4
	s_wait_kmcnt 0x0
	s_cvt_f32_u32 s11, s7
	s_sub_co_i32 s16, 0, s7
	s_delay_alu instid0(SALU_CYCLE_2) | instskip(SKIP_1) | instid1(TRANS32_DEP_1)
	v_rcp_iflag_f32_e32 v1, s11
	v_nop
	v_readfirstlane_b32 s11, v1
	s_mul_f32 s11, s11, 0x4f7ffffe
	s_delay_alu instid0(SALU_CYCLE_3) | instskip(NEXT) | instid1(SALU_CYCLE_3)
	s_cvt_u32_f32 s11, s11
	s_mul_i32 s16, s16, s11
	s_delay_alu instid0(SALU_CYCLE_1) | instskip(NEXT) | instid1(SALU_CYCLE_1)
	s_mul_hi_u32 s16, s11, s16
	s_add_co_i32 s11, s11, s16
	s_delay_alu instid0(SALU_CYCLE_1) | instskip(NEXT) | instid1(SALU_CYCLE_1)
	s_mul_hi_u32 s11, s22, s11
	s_mul_i32 s16, s11, s7
	s_delay_alu instid0(SALU_CYCLE_1)
	s_sub_co_i32 s16, s22, s16
	s_add_co_i32 s22, s11, 1
	s_sub_co_i32 s24, s16, s7
	s_cmp_ge_u32 s16, s7
	s_cselect_b32 s11, s22, s11
	s_cselect_b32 s16, s24, s16
	s_add_co_i32 s22, s11, 1
	s_cmp_ge_u32 s16, s7
	s_cselect_b32 s22, s22, s11
	s_add_co_i32 s6, s6, -1
	s_mul_i32 s7, s22, s7
	s_delay_alu instid0(SALU_CYCLE_1) | instskip(NEXT) | instid1(SALU_CYCLE_1)
	s_sub_co_i32 s7, s17, s7
	s_mul_i32 s7, s10, s7
	s_delay_alu instid0(SALU_CYCLE_1)
	s_add_co_i32 s23, s7, s23
	s_cmp_gt_u32 s6, 2
	s_cbranch_scc1 .LBB51_9
.LBB51_10:
	s_clause 0x1
	s_load_b32 s33, s[2:3], 0x6c
	s_load_b128 s[4:7], s[0:1], 0x2b8
	s_wait_xcnt 0x0
	v_cmp_ne_u32_e64 s2, 0, v0
	v_cmp_eq_u32_e64 s3, 0, v0
	s_wait_kmcnt 0x0
	s_load_b64 s[16:17], s[4:5], s9 offset:0x0 scale_offset
	s_wait_xcnt 0x0
	s_mul_i32 s4, s9, s14
	s_mov_b32 s5, 0
	s_sub_co_i32 s34, s8, s4
	s_and_saveexec_b32 s35, s3
	s_cbranch_execz .LBB51_26
; %bb.11:
	s_load_b64 s[26:27], s[0:1], 0x2c8
	s_lshl_b64 s[28:29], s[4:5], 2
	s_cmp_lt_u32 s14, 4
	s_cbranch_scc1 .LBB51_23
; %bb.12:
	s_mov_b64 s[24:25], 0
	s_mov_b32 s4, 0
.LBB51_13:                              ; =>This Inner Loop Header: Depth=1
	s_add_nc_u64 s[30:31], s[6:7], s[28:29]
	s_cmp_ge_u32 s4, s34
	s_load_b128 s[8:11], s[30:31], 0x0
	s_wait_kmcnt 0x0
	s_add_nc_u64 s[30:31], s[26:27], s[28:29]
	s_cbranch_scc0 .LBB51_20
; %bb.14:                               ;   in Loop: Header=BB51_13 Depth=1
	s_add_co_i32 s36, s4, 1
	s_delay_alu instid0(SALU_CYCLE_1)
	s_cmp_ge_u32 s36, s34
	s_cbranch_scc0 .LBB51_21
.LBB51_15:                              ;   in Loop: Header=BB51_13 Depth=1
	s_add_co_i32 s36, s36, 1
	s_delay_alu instid0(SALU_CYCLE_1)
	s_cmp_ge_u32 s36, s34
	s_cbranch_scc0 .LBB51_22
.LBB51_16:                              ;   in Loop: Header=BB51_13 Depth=1
	s_add_co_i32 s36, s36, 1
	s_delay_alu instid0(SALU_CYCLE_1)
	s_cmp_ge_u32 s36, s34
	s_cbranch_scc1 .LBB51_18
.LBB51_17:                              ;   in Loop: Header=BB51_13 Depth=1
	s_load_b32 s30, s[30:31], 0xc
	s_add_co_i32 s25, s11, s25
	s_wait_kmcnt 0x0
	s_add_co_i32 s24, s30, s24
.LBB51_18:                              ;   in Loop: Header=BB51_13 Depth=1
	s_add_co_i32 s5, s8, s5
	s_add_co_i32 s8, s36, 1
	;; [unrolled: 1-line block ×5, first 2 shown]
	s_add_nc_u64 s[6:7], s[6:7], 16
	s_add_co_i32 s5, s5, s11
	s_cmp_ge_u32 s9, s14
	s_add_nc_u64 s[26:27], s[26:27], 16
	s_cbranch_scc1 .LBB51_24
; %bb.19:                               ;   in Loop: Header=BB51_13 Depth=1
	s_mov_b32 s4, s8
	s_branch .LBB51_13
.LBB51_20:                              ;   in Loop: Header=BB51_13 Depth=1
	s_load_b32 s36, s[30:31], 0x0
	s_add_co_i32 s25, s8, s25
	s_wait_kmcnt 0x0
	s_add_co_i32 s24, s36, s24
	s_add_co_i32 s36, s4, 1
	s_delay_alu instid0(SALU_CYCLE_1)
	s_cmp_ge_u32 s36, s34
	s_cbranch_scc1 .LBB51_15
.LBB51_21:                              ;   in Loop: Header=BB51_13 Depth=1
	s_load_b32 s37, s[30:31], 0x4
	s_add_co_i32 s25, s9, s25
	s_wait_kmcnt 0x0
	s_add_co_i32 s24, s37, s24
	s_add_co_i32 s36, s36, 1
	s_delay_alu instid0(SALU_CYCLE_1)
	s_cmp_ge_u32 s36, s34
	s_cbranch_scc1 .LBB51_16
.LBB51_22:                              ;   in Loop: Header=BB51_13 Depth=1
	s_load_b32 s37, s[30:31], 0x8
	s_add_co_i32 s25, s10, s25
	s_wait_kmcnt 0x0
	s_add_co_i32 s24, s37, s24
	s_add_co_i32 s36, s36, 1
	s_delay_alu instid0(SALU_CYCLE_1)
	s_cmp_ge_u32 s36, s34
	s_cbranch_scc0 .LBB51_17
	s_branch .LBB51_18
.LBB51_23:
	s_mov_b64 s[24:25], 0
	s_add_nc_u64 s[6:7], s[6:7], s[28:29]
	s_wait_kmcnt 0x0
	s_add_nc_u64 s[8:9], s[26:27], s[28:29]
	s_mov_b32 s4, 0
	s_delay_alu instid0(SALU_CYCLE_1)
	s_cmp_ge_u32 s4, s14
	s_cbranch_scc0 .LBB51_47
	s_branch .LBB51_25
.LBB51_24:
	s_add_co_i32 s4, s4, 4
	s_add_nc_u64 s[8:9], s[26:27], s[28:29]
	s_add_nc_u64 s[6:7], s[6:7], s[28:29]
	s_cmp_ge_u32 s4, s14
	s_cbranch_scc0 .LBB51_47
.LBB51_25:
	v_dual_mov_b32 v2, s24 :: v_dual_mov_b32 v3, s5
	v_dual_mov_b32 v4, s25 :: v_dual_mov_b32 v1, 0
	ds_store_b96 v1, v[2:4] offset:1056
.LBB51_26:
	s_or_b32 exec_lo, exec_lo, s35
	s_clause 0x4
	s_load_b32 s8, s[0:1], 0x23c
	s_load_b64 s[10:11], s[0:1], 0x0
	s_load_b64 s[26:27], s[0:1], 0xf0
	;; [unrolled: 1-line block ×3, first 2 shown]
	s_load_b96 s[4:6], s[0:1], 0xd8
	s_mul_i32 s7, s13, s34
	s_mov_b32 s29, 0
	s_lshl_b32 s7, s7, 8
	s_add_co_i32 s34, s34, 1
	s_wait_dscnt 0x0
	s_barrier_signal -1
	s_barrier_wait -1
	s_wait_kmcnt 0x0
	s_sub_co_i32 s28, s4, s7
	s_delay_alu instid0(SALU_CYCLE_1) | instskip(NEXT) | instid1(SALU_CYCLE_1)
	s_add_nc_u64 s[30:31], s[28:29], 0xff
	s_lshr_b64 s[30:31], s[30:31], 8
	s_cmp_lt_u32 s34, s14
	s_cselect_b32 s13, s13, s30
	s_delay_alu instid0(SALU_CYCLE_1)
	s_cmp_eq_u32 s13, 0
	s_cbranch_scc1 .LBB51_49
; %bb.27:
	v_dual_mov_b32 v7, 0 :: v_dual_lshrrev_b32 v1, 3, v0
	s_mul_i32 s14, s33, s18
	v_dual_add_nc_u32 v9, -1, v0 :: v_dual_add_nc_u32 v6, s7, v0
	ds_load_b96 v[2:4], v7 offset:1056
	s_clause 0x1
	s_load_b32 s33, s[0:1], 0xe8
	s_load_b32 s18, s[0:1], 0x1c8
	v_and_b32_e32 v1, 28, v1
	v_dual_lshrrev_b32 v8, 3, v9 :: v_dual_lshlrev_b32 v11, 5, v0
	s_mul_i32 s20, s20, s15
	s_mul_i32 s22, s8, s22
	s_add_co_i32 s28, s20, s19
	s_delay_alu instid0(VALU_DEP_1)
	v_and_b32_e32 v10, 0x1ffffffc, v8
	s_mov_b32 s15, s29
	s_mov_b32 s31, s29
	s_add_co_i32 s14, s14, s21
	s_add_co_i32 s30, s22, s23
	s_wait_xcnt 0x0
	s_lshl_b64 s[0:1], s[28:29], 3
	s_xor_b64 s[8:9], s[16:17], 0x8000000000000000
	s_lshl_b64 s[14:15], s[14:15], 3
	s_lshl_b64 s[20:21], s[30:31], 3
	s_bitcmp1_b32 s6, 0
	s_add_nc_u64 s[6:7], s[10:11], s[0:1]
	v_cmp_gt_u32_e64 s0, 32, v0
	s_wait_kmcnt 0x0
	v_mul_lo_u32 v8, s33, v6
	s_wait_dscnt 0x0
	v_add_nc_u32_e32 v2, v2, v3
	v_lshl_add_u32 v5, v0, 2, v1
	v_and_b32_e32 v1, 0xfc, v0
	v_mbcnt_lo_u32_b32 v3, -1, 0
	v_lshl_add_u32 v9, v9, 2, v10
	s_add_nc_u64 s[10:11], s[26:27], s[14:15]
	s_add_nc_u64 s[14:15], s[24:25], s[20:21]
	v_add_nc_u32_e32 v10, v1, v11
	v_dual_add_nc_u32 v13, -1, v3 :: v_dual_bitop2_b32 v11, 15, v3 bitop3:0x40
	v_bfe_i32 v12, v3, 4, 1
	s_cselect_b32 s1, -1, 0
	s_lshl_b32 s19, s33, 8
                                        ; implicit-def: $vgpr0_vgpr1
	s_branch .LBB51_30
.LBB51_28:                              ;   in Loop: Header=BB51_30 Depth=1
	s_wait_xcnt 0x0
	s_or_b32 exec_lo, exec_lo, s20
	v_add_nc_u32_e32 v2, v16, v2
.LBB51_29:                              ;   in Loop: Header=BB51_30 Depth=1
	v_add_nc_u32_e32 v4, v15, v4
	v_add_nc_u32_e32 v8, s19, v8
	;; [unrolled: 1-line block ×3, first 2 shown]
	s_add_co_i32 s13, s13, -1
	s_delay_alu instid0(SALU_CYCLE_1)
	s_cmp_lg_u32 s13, 0
	s_cbranch_scc0 .LBB51_49
.LBB51_30:                              ; =>This Inner Loop Header: Depth=1
	v_dual_mov_b32 v16, 0 :: v_dual_mov_b32 v14, 0
	s_mov_b32 s20, exec_lo
	v_cmpx_gt_u32_e64 s4, v6
	s_cbranch_execz .LBB51_32
; %bb.31:                               ;   in Loop: Header=BB51_30 Depth=1
	global_load_b64 v[0:1], v8, s[6:7] scale_offset
	s_wait_loadcnt 0x0
	v_xor_b32_e32 v15, 0x80000000, v1
	v_mov_b32_e32 v14, v0
	s_delay_alu instid0(VALU_DEP_1) | instskip(SKIP_4) | instid1(VALU_DEP_2)
	v_cmp_lt_u64_e32 vcc_lo, s[8:9], v[14:15]
	v_cndmask_b32_e64 v16, 0, 1, vcc_lo
	v_cmp_gt_u64_e32 vcc_lo, s[8:9], v[14:15]
	v_cndmask_b32_e64 v14, 0, 1, vcc_lo
	v_cmp_eq_u64_e32 vcc_lo, s[16:17], v[0:1]
	v_cndmask_b32_e64 v14, v14, v16, s1
	s_delay_alu instid0(VALU_DEP_1)
	v_and_b32_e32 v16, 1, v14
	v_cndmask_b32_e64 v14, 0, 1, vcc_lo
.LBB51_32:                              ;   in Loop: Header=BB51_30 Depth=1
	s_wait_xcnt 0x0
	s_or_b32 exec_lo, exec_lo, s20
	ds_store_b32 v5, v16
	s_wait_dscnt 0x0
	s_barrier_signal -1
	s_barrier_wait -1
	s_and_saveexec_b32 s20, s0
	s_cbranch_execz .LBB51_34
; %bb.33:                               ;   in Loop: Header=BB51_30 Depth=1
	ds_load_2addr_b32 v[18:19], v10 offset1:1
	ds_load_2addr_b32 v[20:21], v10 offset0:2 offset1:3
	ds_load_2addr_b32 v[22:23], v10 offset0:4 offset1:5
	;; [unrolled: 1-line block ×3, first 2 shown]
	v_cmp_ne_u32_e32 vcc_lo, 0, v11
	; wave barrier
	s_wait_dscnt 0x3
	v_add_nc_u32_e32 v15, v19, v18
	s_wait_dscnt 0x2
	s_delay_alu instid0(VALU_DEP_1) | instskip(SKIP_1) | instid1(VALU_DEP_1)
	v_add3_u32 v15, v15, v20, v21
	s_wait_dscnt 0x1
	v_add3_u32 v15, v15, v22, v23
	s_wait_dscnt 0x0
	s_delay_alu instid0(VALU_DEP_1) | instskip(NEXT) | instid1(VALU_DEP_1)
	v_add3_u32 v15, v15, v24, v25
	v_mov_b32_dpp v17, v15 row_shr:1 row_mask:0xf bank_mask:0xf
	s_delay_alu instid0(VALU_DEP_1) | instskip(SKIP_1) | instid1(VALU_DEP_2)
	v_cndmask_b32_e32 v17, 0, v17, vcc_lo
	v_cmp_lt_u32_e32 vcc_lo, 1, v11
	v_add_nc_u32_e32 v15, v17, v15
	s_delay_alu instid0(VALU_DEP_1) | instskip(NEXT) | instid1(VALU_DEP_1)
	v_mov_b32_dpp v17, v15 row_shr:2 row_mask:0xf bank_mask:0xf
	v_cndmask_b32_e32 v17, 0, v17, vcc_lo
	v_cmp_lt_u32_e32 vcc_lo, 3, v11
	s_delay_alu instid0(VALU_DEP_2) | instskip(NEXT) | instid1(VALU_DEP_1)
	v_add_nc_u32_e32 v15, v15, v17
	v_mov_b32_dpp v17, v15 row_shr:4 row_mask:0xf bank_mask:0xf
	s_delay_alu instid0(VALU_DEP_1) | instskip(SKIP_1) | instid1(VALU_DEP_2)
	v_cndmask_b32_e32 v17, 0, v17, vcc_lo
	v_cmp_lt_u32_e32 vcc_lo, 7, v11
	v_add_nc_u32_e32 v15, v15, v17
	s_delay_alu instid0(VALU_DEP_1) | instskip(NEXT) | instid1(VALU_DEP_1)
	v_mov_b32_dpp v17, v15 row_shr:8 row_mask:0xf bank_mask:0xf
	v_cndmask_b32_e32 v17, 0, v17, vcc_lo
	v_cmp_gt_i32_e32 vcc_lo, 0, v13
	s_delay_alu instid0(VALU_DEP_2) | instskip(SKIP_3) | instid1(VALU_DEP_1)
	v_dual_add_nc_u32 v15, v15, v17 :: v_dual_cndmask_b32 v19, v13, v3, vcc_lo
	ds_swizzle_b32 v17, v15 offset:swizzle(BROADCAST,32,15)
	s_wait_dscnt 0x0
	v_dual_lshlrev_b32 v19, 2, v19 :: v_dual_bitop2_b32 v17, v12, v17 bitop3:0x40
	v_add_nc_u32_e32 v15, v15, v17
	ds_bpermute_b32 v15, v19, v15
	s_wait_dscnt 0x0
	v_add_nc_u32_e32 v15, v15, v18
	s_delay_alu instid0(VALU_DEP_1)
	v_cndmask_b32_e64 v15, v15, v16, s3
	ds_store_b32 v10, v15
	; wave barrier
	ds_load_2addr_b32 v[18:19], v10 offset0:1 offset1:2
	ds_load_2addr_b32 v[20:21], v10 offset0:3 offset1:4
	;; [unrolled: 1-line block ×3, first 2 shown]
	ds_load_b32 v17, v10 offset:28
	s_wait_dscnt 0x3
	v_add_nc_u32_e32 v15, v18, v15
	s_delay_alu instid0(VALU_DEP_1) | instskip(SKIP_1) | instid1(VALU_DEP_1)
	v_add_nc_u32_e32 v18, v19, v15
	s_wait_dscnt 0x2
	v_add_nc_u32_e32 v19, v20, v18
	s_delay_alu instid0(VALU_DEP_1) | instskip(SKIP_1) | instid1(VALU_DEP_1)
	v_add_nc_u32_e32 v20, v21, v19
	;; [unrolled: 4-line block ×3, first 2 shown]
	s_wait_dscnt 0x0
	v_add_nc_u32_e32 v17, v17, v22
	ds_store_2addr_b32 v10, v15, v18 offset0:1 offset1:2
	ds_store_2addr_b32 v10, v19, v20 offset0:3 offset1:4
	;; [unrolled: 1-line block ×3, first 2 shown]
	ds_store_b32 v10, v17 offset:28
.LBB51_34:                              ;   in Loop: Header=BB51_30 Depth=1
	s_or_b32 exec_lo, exec_lo, s20
	v_mov_b32_e32 v17, 0
	s_wait_dscnt 0x0
	s_barrier_signal -1
	s_barrier_wait -1
	s_and_saveexec_b32 s20, s2
; %bb.35:                               ;   in Loop: Header=BB51_30 Depth=1
	ds_load_b32 v17, v9
; %bb.36:                               ;   in Loop: Header=BB51_30 Depth=1
	s_or_b32 exec_lo, exec_lo, s20
	ds_load_b32 v15, v7 offset:1048
	s_mov_b32 s20, exec_lo
	s_wait_dscnt 0x0
	s_barrier_signal -1
	s_barrier_wait -1
	v_cmpx_ne_u32_e32 0, v16
	s_cbranch_execz .LBB51_38
; %bb.37:                               ;   in Loop: Header=BB51_30 Depth=1
	v_add_nc_u32_e32 v16, v17, v4
	s_delay_alu instid0(VALU_DEP_1)
	v_mul_lo_u32 v17, v16, s18
	v_mul_lo_u32 v16, v16, s12
	global_store_b64 v17, v[0:1], s[10:11] scale_offset
	global_store_b64 v16, v[6:7], s[14:15] scale_offset
.LBB51_38:                              ;   in Loop: Header=BB51_30 Depth=1
	s_wait_xcnt 0x0
	s_or_b32 exec_lo, exec_lo, s20
	v_cmp_le_u32_e32 vcc_lo, s5, v2
	s_cbranch_vccnz .LBB51_29
; %bb.39:                               ;   in Loop: Header=BB51_30 Depth=1
	ds_store_b32 v5, v14
	s_wait_storecnt_dscnt 0x0
	s_barrier_signal -1
	s_barrier_wait -1
	s_and_saveexec_b32 s20, s0
	s_cbranch_execz .LBB51_41
; %bb.40:                               ;   in Loop: Header=BB51_30 Depth=1
	ds_load_2addr_b32 v[16:17], v10 offset1:1
	ds_load_2addr_b32 v[18:19], v10 offset0:2 offset1:3
	ds_load_2addr_b32 v[20:21], v10 offset0:4 offset1:5
	;; [unrolled: 1-line block ×3, first 2 shown]
	v_cmp_ne_u32_e32 vcc_lo, 0, v11
	; wave barrier
	s_wait_dscnt 0x3
	v_add_nc_u32_e32 v17, v17, v16
	s_wait_dscnt 0x2
	s_delay_alu instid0(VALU_DEP_1) | instskip(SKIP_1) | instid1(VALU_DEP_1)
	v_add3_u32 v17, v17, v18, v19
	s_wait_dscnt 0x1
	v_add3_u32 v17, v17, v20, v21
	s_wait_dscnt 0x0
	s_delay_alu instid0(VALU_DEP_1) | instskip(NEXT) | instid1(VALU_DEP_1)
	v_add3_u32 v17, v17, v22, v23
	v_mov_b32_dpp v18, v17 row_shr:1 row_mask:0xf bank_mask:0xf
	s_delay_alu instid0(VALU_DEP_1) | instskip(SKIP_1) | instid1(VALU_DEP_2)
	v_cndmask_b32_e32 v18, 0, v18, vcc_lo
	v_cmp_lt_u32_e32 vcc_lo, 1, v11
	v_add_nc_u32_e32 v17, v18, v17
	s_delay_alu instid0(VALU_DEP_1) | instskip(NEXT) | instid1(VALU_DEP_1)
	v_mov_b32_dpp v18, v17 row_shr:2 row_mask:0xf bank_mask:0xf
	v_cndmask_b32_e32 v18, 0, v18, vcc_lo
	v_cmp_lt_u32_e32 vcc_lo, 3, v11
	s_delay_alu instid0(VALU_DEP_2) | instskip(NEXT) | instid1(VALU_DEP_1)
	v_add_nc_u32_e32 v17, v17, v18
	v_mov_b32_dpp v18, v17 row_shr:4 row_mask:0xf bank_mask:0xf
	s_delay_alu instid0(VALU_DEP_1) | instskip(SKIP_1) | instid1(VALU_DEP_2)
	v_cndmask_b32_e32 v18, 0, v18, vcc_lo
	v_cmp_lt_u32_e32 vcc_lo, 7, v11
	v_add_nc_u32_e32 v17, v17, v18
	s_delay_alu instid0(VALU_DEP_1) | instskip(NEXT) | instid1(VALU_DEP_1)
	v_mov_b32_dpp v18, v17 row_shr:8 row_mask:0xf bank_mask:0xf
	v_cndmask_b32_e32 v18, 0, v18, vcc_lo
	v_cmp_gt_i32_e32 vcc_lo, 0, v13
	s_delay_alu instid0(VALU_DEP_2) | instskip(SKIP_4) | instid1(VALU_DEP_1)
	v_add_nc_u32_e32 v17, v17, v18
	v_cndmask_b32_e32 v19, v13, v3, vcc_lo
	ds_swizzle_b32 v18, v17 offset:swizzle(BROADCAST,32,15)
	s_wait_dscnt 0x0
	v_dual_lshlrev_b32 v19, 2, v19 :: v_dual_bitop2_b32 v18, v12, v18 bitop3:0x40
	v_add_nc_u32_e32 v17, v17, v18
	ds_bpermute_b32 v17, v19, v17
	s_wait_dscnt 0x0
	v_add_nc_u32_e32 v16, v17, v16
	s_delay_alu instid0(VALU_DEP_1)
	v_cndmask_b32_e64 v22, v16, v14, s3
	ds_store_b32 v10, v22
	; wave barrier
	ds_load_2addr_b32 v[16:17], v10 offset0:1 offset1:2
	ds_load_2addr_b32 v[18:19], v10 offset0:3 offset1:4
	;; [unrolled: 1-line block ×3, first 2 shown]
	ds_load_b32 v23, v10 offset:28
	s_wait_dscnt 0x3
	v_add_nc_u32_e32 v16, v16, v22
	s_delay_alu instid0(VALU_DEP_1) | instskip(SKIP_1) | instid1(VALU_DEP_1)
	v_add_nc_u32_e32 v17, v17, v16
	s_wait_dscnt 0x2
	v_add_nc_u32_e32 v18, v18, v17
	s_delay_alu instid0(VALU_DEP_1) | instskip(SKIP_1) | instid1(VALU_DEP_1)
	v_add_nc_u32_e32 v19, v19, v18
	;; [unrolled: 4-line block ×3, first 2 shown]
	s_wait_dscnt 0x0
	v_add_nc_u32_e32 v22, v23, v21
	ds_store_2addr_b32 v10, v16, v17 offset0:1 offset1:2
	ds_store_2addr_b32 v10, v18, v19 offset0:3 offset1:4
	;; [unrolled: 1-line block ×3, first 2 shown]
	ds_store_b32 v10, v22 offset:28
.LBB51_41:                              ;   in Loop: Header=BB51_30 Depth=1
	s_or_b32 exec_lo, exec_lo, s20
	v_mov_b32_e32 v17, 0
	s_wait_dscnt 0x0
	s_barrier_signal -1
	s_barrier_wait -1
	s_and_saveexec_b32 s20, s2
; %bb.42:                               ;   in Loop: Header=BB51_30 Depth=1
	ds_load_b32 v17, v9
; %bb.43:                               ;   in Loop: Header=BB51_30 Depth=1
	s_or_b32 exec_lo, exec_lo, s20
	ds_load_b32 v16, v7 offset:1048
	s_mov_b32 s20, exec_lo
	s_wait_dscnt 0x0
	s_barrier_signal -1
	s_barrier_wait -1
	v_cmpx_ne_u32_e32 0, v14
	s_cbranch_execz .LBB51_28
; %bb.44:                               ;   in Loop: Header=BB51_30 Depth=1
	v_add_nc_u32_e32 v14, v17, v2
	s_delay_alu instid0(VALU_DEP_1)
	v_cmp_gt_u32_e32 vcc_lo, s5, v14
	s_and_b32 exec_lo, exec_lo, vcc_lo
	s_cbranch_execz .LBB51_28
; %bb.45:                               ;   in Loop: Header=BB51_30 Depth=1
	v_mul_lo_u32 v17, v14, s18
	v_mul_lo_u32 v14, v14, s12
	global_store_b64 v17, v[0:1], s[10:11] scale_offset
	global_store_b64 v14, v[6:7], s[14:15] scale_offset
	s_branch .LBB51_28
.LBB51_46:                              ;   in Loop: Header=BB51_47 Depth=1
	s_add_co_i32 s4, s4, 1
	s_wait_kmcnt 0x0
	s_add_co_i32 s5, s10, s5
	s_add_nc_u64 s[6:7], s[6:7], 4
	s_cmp_lt_u32 s4, s14
	s_add_nc_u64 s[8:9], s[8:9], 4
	s_cbranch_scc0 .LBB51_25
.LBB51_47:                              ; =>This Inner Loop Header: Depth=1
	s_load_b32 s10, s[6:7], 0x0
	s_cmp_ge_u32 s4, s34
	s_cbranch_scc1 .LBB51_46
; %bb.48:                               ;   in Loop: Header=BB51_47 Depth=1
	s_load_b32 s11, s[8:9], 0x0
	s_wait_kmcnt 0x0
	s_add_co_i32 s25, s10, s25
	s_add_co_i32 s24, s11, s24
	s_branch .LBB51_46
.LBB51_49:
	s_endpgm
	.section	.rodata,"a",@progbits
	.p2align	6, 0x0
	.amdhsa_kernel _ZN2at6native6mbtopk10gatherTopKIljLin1EEEvNS_4cuda6detail10TensorInfoIKT_T0_EES8_S8_bjS8_NS5_IS6_S8_EES8_NS5_IlS8_EES8_jjPS6_PjSD_j
		.amdhsa_group_segment_fixed_size 1068
		.amdhsa_private_segment_fixed_size 0
		.amdhsa_kernarg_size 984
		.amdhsa_user_sgpr_count 2
		.amdhsa_user_sgpr_dispatch_ptr 0
		.amdhsa_user_sgpr_queue_ptr 0
		.amdhsa_user_sgpr_kernarg_segment_ptr 1
		.amdhsa_user_sgpr_dispatch_id 0
		.amdhsa_user_sgpr_kernarg_preload_length 0
		.amdhsa_user_sgpr_kernarg_preload_offset 0
		.amdhsa_user_sgpr_private_segment_size 0
		.amdhsa_wavefront_size32 1
		.amdhsa_uses_dynamic_stack 0
		.amdhsa_enable_private_segment 0
		.amdhsa_system_sgpr_workgroup_id_x 1
		.amdhsa_system_sgpr_workgroup_id_y 1
		.amdhsa_system_sgpr_workgroup_id_z 1
		.amdhsa_system_sgpr_workgroup_info 0
		.amdhsa_system_vgpr_workitem_id 0
		.amdhsa_next_free_vgpr 26
		.amdhsa_next_free_sgpr 38
		.amdhsa_named_barrier_count 0
		.amdhsa_reserve_vcc 1
		.amdhsa_float_round_mode_32 0
		.amdhsa_float_round_mode_16_64 0
		.amdhsa_float_denorm_mode_32 3
		.amdhsa_float_denorm_mode_16_64 3
		.amdhsa_fp16_overflow 0
		.amdhsa_memory_ordered 1
		.amdhsa_forward_progress 1
		.amdhsa_inst_pref_size 25
		.amdhsa_round_robin_scheduling 0
		.amdhsa_exception_fp_ieee_invalid_op 0
		.amdhsa_exception_fp_denorm_src 0
		.amdhsa_exception_fp_ieee_div_zero 0
		.amdhsa_exception_fp_ieee_overflow 0
		.amdhsa_exception_fp_ieee_underflow 0
		.amdhsa_exception_fp_ieee_inexact 0
		.amdhsa_exception_int_div_zero 0
	.end_amdhsa_kernel
	.section	.text._ZN2at6native6mbtopk10gatherTopKIljLin1EEEvNS_4cuda6detail10TensorInfoIKT_T0_EES8_S8_bjS8_NS5_IS6_S8_EES8_NS5_IlS8_EES8_jjPS6_PjSD_j,"axG",@progbits,_ZN2at6native6mbtopk10gatherTopKIljLin1EEEvNS_4cuda6detail10TensorInfoIKT_T0_EES8_S8_bjS8_NS5_IS6_S8_EES8_NS5_IlS8_EES8_jjPS6_PjSD_j,comdat
.Lfunc_end51:
	.size	_ZN2at6native6mbtopk10gatherTopKIljLin1EEEvNS_4cuda6detail10TensorInfoIKT_T0_EES8_S8_bjS8_NS5_IS6_S8_EES8_NS5_IlS8_EES8_jjPS6_PjSD_j, .Lfunc_end51-_ZN2at6native6mbtopk10gatherTopKIljLin1EEEvNS_4cuda6detail10TensorInfoIKT_T0_EES8_S8_bjS8_NS5_IS6_S8_EES8_NS5_IlS8_EES8_jjPS6_PjSD_j
                                        ; -- End function
	.set _ZN2at6native6mbtopk10gatherTopKIljLin1EEEvNS_4cuda6detail10TensorInfoIKT_T0_EES8_S8_bjS8_NS5_IS6_S8_EES8_NS5_IlS8_EES8_jjPS6_PjSD_j.num_vgpr, 26
	.set _ZN2at6native6mbtopk10gatherTopKIljLin1EEEvNS_4cuda6detail10TensorInfoIKT_T0_EES8_S8_bjS8_NS5_IS6_S8_EES8_NS5_IlS8_EES8_jjPS6_PjSD_j.num_agpr, 0
	.set _ZN2at6native6mbtopk10gatherTopKIljLin1EEEvNS_4cuda6detail10TensorInfoIKT_T0_EES8_S8_bjS8_NS5_IS6_S8_EES8_NS5_IlS8_EES8_jjPS6_PjSD_j.numbered_sgpr, 38
	.set _ZN2at6native6mbtopk10gatherTopKIljLin1EEEvNS_4cuda6detail10TensorInfoIKT_T0_EES8_S8_bjS8_NS5_IS6_S8_EES8_NS5_IlS8_EES8_jjPS6_PjSD_j.num_named_barrier, 0
	.set _ZN2at6native6mbtopk10gatherTopKIljLin1EEEvNS_4cuda6detail10TensorInfoIKT_T0_EES8_S8_bjS8_NS5_IS6_S8_EES8_NS5_IlS8_EES8_jjPS6_PjSD_j.private_seg_size, 0
	.set _ZN2at6native6mbtopk10gatherTopKIljLin1EEEvNS_4cuda6detail10TensorInfoIKT_T0_EES8_S8_bjS8_NS5_IS6_S8_EES8_NS5_IlS8_EES8_jjPS6_PjSD_j.uses_vcc, 1
	.set _ZN2at6native6mbtopk10gatherTopKIljLin1EEEvNS_4cuda6detail10TensorInfoIKT_T0_EES8_S8_bjS8_NS5_IS6_S8_EES8_NS5_IlS8_EES8_jjPS6_PjSD_j.uses_flat_scratch, 0
	.set _ZN2at6native6mbtopk10gatherTopKIljLin1EEEvNS_4cuda6detail10TensorInfoIKT_T0_EES8_S8_bjS8_NS5_IS6_S8_EES8_NS5_IlS8_EES8_jjPS6_PjSD_j.has_dyn_sized_stack, 0
	.set _ZN2at6native6mbtopk10gatherTopKIljLin1EEEvNS_4cuda6detail10TensorInfoIKT_T0_EES8_S8_bjS8_NS5_IS6_S8_EES8_NS5_IlS8_EES8_jjPS6_PjSD_j.has_recursion, 0
	.set _ZN2at6native6mbtopk10gatherTopKIljLin1EEEvNS_4cuda6detail10TensorInfoIKT_T0_EES8_S8_bjS8_NS5_IS6_S8_EES8_NS5_IlS8_EES8_jjPS6_PjSD_j.has_indirect_call, 0
	.section	.AMDGPU.csdata,"",@progbits
; Kernel info:
; codeLenInByte = 3152
; TotalNumSgprs: 40
; NumVgprs: 26
; ScratchSize: 0
; MemoryBound: 0
; FloatMode: 240
; IeeeMode: 1
; LDSByteSize: 1068 bytes/workgroup (compile time only)
; SGPRBlocks: 0
; VGPRBlocks: 1
; NumSGPRsForWavesPerEU: 40
; NumVGPRsForWavesPerEU: 26
; NamedBarCnt: 0
; Occupancy: 16
; WaveLimiterHint : 1
; COMPUTE_PGM_RSRC2:SCRATCH_EN: 0
; COMPUTE_PGM_RSRC2:USER_SGPR: 2
; COMPUTE_PGM_RSRC2:TRAP_HANDLER: 0
; COMPUTE_PGM_RSRC2:TGID_X_EN: 1
; COMPUTE_PGM_RSRC2:TGID_Y_EN: 1
; COMPUTE_PGM_RSRC2:TGID_Z_EN: 1
; COMPUTE_PGM_RSRC2:TIDIG_COMP_CNT: 0
	.section	.text._ZN2at6native6sbtopk10gatherTopKIljLin1ELb0EEEvNS_4cuda6detail10TensorInfoIKT_T0_EES8_S8_bS8_S8_NS5_IS6_S8_EES8_NS5_IlS8_EES8_PS6_,"axG",@progbits,_ZN2at6native6sbtopk10gatherTopKIljLin1ELb0EEEvNS_4cuda6detail10TensorInfoIKT_T0_EES8_S8_bS8_S8_NS5_IS6_S8_EES8_NS5_IlS8_EES8_PS6_,comdat
	.protected	_ZN2at6native6sbtopk10gatherTopKIljLin1ELb0EEEvNS_4cuda6detail10TensorInfoIKT_T0_EES8_S8_bS8_S8_NS5_IS6_S8_EES8_NS5_IlS8_EES8_PS6_ ; -- Begin function _ZN2at6native6sbtopk10gatherTopKIljLin1ELb0EEEvNS_4cuda6detail10TensorInfoIKT_T0_EES8_S8_bS8_S8_NS5_IS6_S8_EES8_NS5_IlS8_EES8_PS6_
	.globl	_ZN2at6native6sbtopk10gatherTopKIljLin1ELb0EEEvNS_4cuda6detail10TensorInfoIKT_T0_EES8_S8_bS8_S8_NS5_IS6_S8_EES8_NS5_IlS8_EES8_PS6_
	.p2align	8
	.type	_ZN2at6native6sbtopk10gatherTopKIljLin1ELb0EEEvNS_4cuda6detail10TensorInfoIKT_T0_EES8_S8_bS8_S8_NS5_IS6_S8_EES8_NS5_IlS8_EES8_PS6_,@function
_ZN2at6native6sbtopk10gatherTopKIljLin1ELb0EEEvNS_4cuda6detail10TensorInfoIKT_T0_EES8_S8_bS8_S8_NS5_IS6_S8_EES8_NS5_IlS8_EES8_PS6_: ; @_ZN2at6native6sbtopk10gatherTopKIljLin1ELb0EEEvNS_4cuda6detail10TensorInfoIKT_T0_EES8_S8_bS8_S8_NS5_IS6_S8_EES8_NS5_IlS8_EES8_PS6_
; %bb.0:
	s_clause 0x1
	s_load_b128 s[36:39], s[0:1], 0xd8
	s_load_b64 s[4:5], s[0:1], 0x2b8
	s_bfe_u32 s2, ttmp6, 0x40010
	s_and_b32 s3, ttmp7, 0xffff
	s_add_co_i32 s2, s2, 1
	s_bfe_u32 s7, ttmp6, 0x4000c
	s_mul_i32 s2, s3, s2
	s_bfe_u32 s6, ttmp6, 0x40004
	s_add_co_i32 s7, s7, 1
	s_bfe_u32 s8, ttmp6, 0x40014
	s_add_co_i32 s6, s6, s2
	s_and_b32 s2, ttmp6, 15
	s_mul_i32 s7, ttmp9, s7
	s_lshr_b32 s9, ttmp7, 16
	s_add_co_i32 s8, s8, 1
	s_add_co_i32 s2, s2, s7
	s_mul_i32 s7, s9, s8
	s_bfe_u32 s8, ttmp6, 0x40008
	s_getreg_b32 s10, hwreg(HW_REG_IB_STS2, 6, 4)
	s_add_co_i32 s8, s8, s7
	s_cmp_eq_u32 s10, 0
	s_cselect_b32 s7, s9, s8
	s_cselect_b32 s3, s3, s6
	s_wait_kmcnt 0x0
	s_mul_i32 s5, s5, s7
	s_cselect_b32 s12, ttmp9, s2
	s_add_co_i32 s2, s5, s3
	s_mov_b32 s3, 0
	s_mul_i32 s2, s2, s4
	s_delay_alu instid0(SALU_CYCLE_1) | instskip(NEXT) | instid1(SALU_CYCLE_1)
	s_add_co_i32 s56, s2, s12
	s_cmp_ge_u32 s56, s39
	s_cbranch_scc1 .LBB52_408
; %bb.1:
	s_clause 0x1
	s_load_b32 s5, s[0:1], 0xd0
	s_load_b32 s33, s[0:1], 0xe8
	s_mov_b32 s2, s56
	s_wait_kmcnt 0x0
	s_cmp_lt_i32 s5, 2
	s_cbranch_scc1 .LBB52_4
; %bb.2:
	s_add_co_i32 s2, s5, -1
	s_add_co_i32 s5, s5, 1
	s_lshl_b64 s[6:7], s[2:3], 2
	s_mov_b32 s2, s56
	s_add_nc_u64 s[6:7], s[0:1], s[6:7]
	s_delay_alu instid0(SALU_CYCLE_1)
	s_add_nc_u64 s[6:7], s[6:7], 8
.LBB52_3:                               ; =>This Inner Loop Header: Depth=1
	s_clause 0x1
	s_load_b32 s8, s[6:7], 0x0
	s_load_b32 s9, s[6:7], 0x64
	s_mov_b32 s13, s2
	s_wait_xcnt 0x0
	s_add_nc_u64 s[6:7], s[6:7], -4
	s_wait_kmcnt 0x0
	s_cvt_f32_u32 s10, s8
	s_sub_co_i32 s11, 0, s8
	s_delay_alu instid0(SALU_CYCLE_2) | instskip(SKIP_1) | instid1(TRANS32_DEP_1)
	v_rcp_iflag_f32_e32 v1, s10
	v_nop
	v_readfirstlane_b32 s10, v1
	s_mul_f32 s10, s10, 0x4f7ffffe
	s_delay_alu instid0(SALU_CYCLE_3) | instskip(NEXT) | instid1(SALU_CYCLE_3)
	s_cvt_u32_f32 s10, s10
	s_mul_i32 s11, s11, s10
	s_delay_alu instid0(SALU_CYCLE_1) | instskip(NEXT) | instid1(SALU_CYCLE_1)
	s_mul_hi_u32 s11, s10, s11
	s_add_co_i32 s10, s10, s11
	s_delay_alu instid0(SALU_CYCLE_1) | instskip(NEXT) | instid1(SALU_CYCLE_1)
	s_mul_hi_u32 s2, s2, s10
	s_mul_i32 s10, s2, s8
	s_add_co_i32 s11, s2, 1
	s_sub_co_i32 s10, s13, s10
	s_delay_alu instid0(SALU_CYCLE_1)
	s_sub_co_i32 s14, s10, s8
	s_cmp_ge_u32 s10, s8
	s_cselect_b32 s2, s11, s2
	s_cselect_b32 s10, s14, s10
	s_add_co_i32 s11, s2, 1
	s_cmp_ge_u32 s10, s8
	s_cselect_b32 s2, s11, s2
	s_add_co_i32 s5, s5, -1
	s_mul_i32 s8, s2, s8
	s_delay_alu instid0(SALU_CYCLE_1) | instskip(NEXT) | instid1(SALU_CYCLE_1)
	s_sub_co_i32 s8, s13, s8
	s_mul_i32 s8, s9, s8
	s_delay_alu instid0(SALU_CYCLE_1)
	s_add_co_i32 s3, s8, s3
	s_cmp_gt_u32 s5, 2
	s_cbranch_scc1 .LBB52_3
.LBB52_4:
	s_load_b32 s5, s[0:1], 0x1c0
	s_add_nc_u64 s[10:11], s[0:1], 0x2b8
	s_add_nc_u64 s[6:7], s[0:1], 0xf0
	s_mov_b32 s35, 0
	s_mov_b32 s57, s56
	s_wait_kmcnt 0x0
	s_cmp_lt_i32 s5, 2
	s_cbranch_scc1 .LBB52_7
; %bb.5:
	s_add_co_i32 s34, s5, -1
	s_add_co_i32 s5, s5, 1
	s_lshl_b64 s[8:9], s[34:35], 2
	s_mov_b32 s57, s56
	s_add_nc_u64 s[8:9], s[6:7], s[8:9]
	s_delay_alu instid0(SALU_CYCLE_1)
	s_add_nc_u64 s[8:9], s[8:9], 8
.LBB52_6:                               ; =>This Inner Loop Header: Depth=1
	s_clause 0x1
	s_load_b32 s13, s[8:9], 0x0
	s_load_b32 s14, s[8:9], 0x64
	s_mov_b32 s17, s57
	s_wait_xcnt 0x0
	s_add_nc_u64 s[8:9], s[8:9], -4
	s_wait_kmcnt 0x0
	s_cvt_f32_u32 s15, s13
	s_sub_co_i32 s16, 0, s13
	s_delay_alu instid0(SALU_CYCLE_2) | instskip(SKIP_1) | instid1(TRANS32_DEP_1)
	v_rcp_iflag_f32_e32 v1, s15
	v_nop
	v_readfirstlane_b32 s15, v1
	s_mul_f32 s15, s15, 0x4f7ffffe
	s_delay_alu instid0(SALU_CYCLE_3) | instskip(NEXT) | instid1(SALU_CYCLE_3)
	s_cvt_u32_f32 s15, s15
	s_mul_i32 s16, s16, s15
	s_delay_alu instid0(SALU_CYCLE_1) | instskip(NEXT) | instid1(SALU_CYCLE_1)
	s_mul_hi_u32 s16, s15, s16
	s_add_co_i32 s15, s15, s16
	s_delay_alu instid0(SALU_CYCLE_1) | instskip(NEXT) | instid1(SALU_CYCLE_1)
	s_mul_hi_u32 s15, s57, s15
	s_mul_i32 s16, s15, s13
	s_add_co_i32 s18, s15, 1
	s_sub_co_i32 s16, s57, s16
	s_delay_alu instid0(SALU_CYCLE_1)
	s_sub_co_i32 s19, s16, s13
	s_cmp_ge_u32 s16, s13
	s_cselect_b32 s15, s18, s15
	s_cselect_b32 s16, s19, s16
	s_add_co_i32 s18, s15, 1
	s_cmp_ge_u32 s16, s13
	s_cselect_b32 s57, s18, s15
	s_add_co_i32 s5, s5, -1
	s_mul_i32 s13, s57, s13
	s_delay_alu instid0(SALU_CYCLE_1) | instskip(NEXT) | instid1(SALU_CYCLE_1)
	s_sub_co_i32 s13, s17, s13
	s_mul_i32 s13, s14, s13
	s_delay_alu instid0(SALU_CYCLE_1)
	s_add_co_i32 s35, s13, s35
	s_cmp_gt_u32 s5, 2
	s_cbranch_scc1 .LBB52_6
.LBB52_7:
	s_clause 0x1
	s_load_b32 s13, s[0:1], 0x6c
	s_load_b32 s5, s[0:1], 0x2a0
	s_mov_b32 s41, 0
	s_wait_kmcnt 0x0
	s_cmp_lt_i32 s5, 2
	s_cbranch_scc1 .LBB52_10
; %bb.8:
	s_add_co_i32 s40, s5, -1
	s_add_nc_u64 s[8:9], s[0:1], 0x1d0
	s_lshl_b64 s[14:15], s[40:41], 2
	s_add_co_i32 s5, s5, 1
	s_add_nc_u64 s[8:9], s[8:9], s[14:15]
	s_delay_alu instid0(SALU_CYCLE_1)
	s_add_nc_u64 s[8:9], s[8:9], 8
.LBB52_9:                               ; =>This Inner Loop Header: Depth=1
	s_clause 0x1
	s_load_b32 s14, s[8:9], 0x0
	s_load_b32 s15, s[8:9], 0x64
	s_mov_b32 s18, s56
	s_wait_xcnt 0x0
	s_add_nc_u64 s[8:9], s[8:9], -4
	s_wait_kmcnt 0x0
	s_cvt_f32_u32 s16, s14
	s_sub_co_i32 s17, 0, s14
	s_delay_alu instid0(SALU_CYCLE_2) | instskip(SKIP_1) | instid1(TRANS32_DEP_1)
	v_rcp_iflag_f32_e32 v1, s16
	v_nop
	v_readfirstlane_b32 s16, v1
	s_mul_f32 s16, s16, 0x4f7ffffe
	s_delay_alu instid0(SALU_CYCLE_3) | instskip(NEXT) | instid1(SALU_CYCLE_3)
	s_cvt_u32_f32 s16, s16
	s_mul_i32 s17, s17, s16
	s_delay_alu instid0(SALU_CYCLE_1) | instskip(NEXT) | instid1(SALU_CYCLE_1)
	s_mul_hi_u32 s17, s16, s17
	s_add_co_i32 s16, s16, s17
	s_delay_alu instid0(SALU_CYCLE_1) | instskip(NEXT) | instid1(SALU_CYCLE_1)
	s_mul_hi_u32 s16, s56, s16
	s_mul_i32 s17, s16, s14
	s_add_co_i32 s19, s16, 1
	s_sub_co_i32 s17, s56, s17
	s_delay_alu instid0(SALU_CYCLE_1)
	s_sub_co_i32 s20, s17, s14
	s_cmp_ge_u32 s17, s14
	s_cselect_b32 s16, s19, s16
	s_cselect_b32 s17, s20, s17
	s_add_co_i32 s19, s16, 1
	s_cmp_ge_u32 s17, s14
	s_cselect_b32 s56, s19, s16
	s_add_co_i32 s5, s5, -1
	s_mul_i32 s14, s56, s14
	s_delay_alu instid0(SALU_CYCLE_1) | instskip(NEXT) | instid1(SALU_CYCLE_1)
	s_sub_co_i32 s14, s18, s14
	s_mul_i32 s14, s15, s14
	s_delay_alu instid0(SALU_CYCLE_1)
	s_add_co_i32 s41, s14, s41
	s_cmp_gt_u32 s5, 2
	s_cbranch_scc1 .LBB52_9
.LBB52_10:
	s_load_b32 s58, s[6:7], 0x6c
	s_wait_xcnt 0x0
	s_load_b64 s[6:7], s[0:1], 0x0
	v_cmp_eq_u32_e64 s5, 0, v0
	s_mov_b32 s45, 0
	s_and_saveexec_b32 s8, s5
; %bb.11:
	v_dual_mov_b32 v2, 0 :: v_dual_mov_b32 v3, s36
	s_delay_alu instid0(VALU_DEP_1)
	v_mov_b32_e32 v4, v2
	ds_store_b96 v2, v[2:4] offset:4096
; %bb.12:
	s_or_b32 exec_lo, exec_lo, s8
	s_wait_dscnt 0x0
	s_barrier_signal -1
	s_barrier_wait -1
	s_load_b32 s14, s[10:11], 0xc
	v_mbcnt_lo_u32_b32 v1, -1, 0
	s_mul_i32 s2, s13, s2
	v_cmp_gt_u32_e32 vcc_lo, 32, v0
	s_add_co_i32 s44, s2, s3
	v_mul_lo_u32 v20, s33, v0
	s_lshl_b64 s[8:9], s[44:45], 3
	v_cmp_gt_i32_e64 s2, 4, v1
	s_bitcmp1_b32 s38, 0
	s_wait_kmcnt 0x0
	s_add_nc_u64 s[30:31], s[6:7], s[8:9]
	s_cselect_b32 s3, -1, 0
	v_dual_lshlrev_b32 v17, 2, v0 :: v_dual_mov_b32 v23, 0
	s_xor_b32 s60, s3, -1
	s_and_b32 s61, vcc_lo, s2
	s_clause 0x2
	s_load_b32 s59, s[0:1], 0x23c
	s_load_b64 s[42:43], s[0:1], 0xf0
	s_load_b64 s[38:39], s[0:1], 0x1d0
	v_dual_lshlrev_b32 v40, 5, v0 :: v_dual_bitop2_b32 v4, 3, v17 bitop3:0x54
	v_mad_u32 v35, s33, v17, s33
	v_mov_b64_e32 v[28:29], 0
	s_and_b32 s34, s14, 0xffff
	s_delay_alu instid0(VALU_DEP_3)
	v_mul_lo_u32 v37, s33, v4
	s_lshl_b32 s62, s34, 2
	s_cmp_gt_u32 s36, 0x180
	s_cvt_f32_u32 s2, s62
	s_cselect_b32 s63, -1, 0
	s_cmp_gt_u32 s34, 31
	s_cvt_f32_u32 s7, s34
	s_cselect_b32 s64, -1, 0
	s_add_co_i32 s65, s34, -1
	v_rcp_iflag_f32_e32 v2, s2
	s_add_co_i32 s13, s65, s36
	s_cmp_lt_u32 s12, s4
	v_mov_b64_e32 v[6:7], 0
	s_cselect_b32 s44, 12, 18
	s_bfe_u32 s66, s14, 0xb0005
	v_mov_b64_e32 v[26:27], 0
	s_add_co_i32 s4, s66, -2
	v_readfirstlane_b32 s14, v2
	s_lshr_b32 s12, s4, 1
	v_rcp_iflag_f32_e32 v2, s7
	s_add_co_i32 s12, s12, 1
	s_cmp_gt_u32 s34, 63
	v_mov_b64_e32 v[30:31], 0
	s_cselect_b32 s67, -1, 0
	s_and_b32 s68, s66, 0x7fe
	s_and_b32 s69, s12, 7
	s_cmp_gt_u32 s4, 13
	s_mul_f32 s4, s14, 0x4f7ffffe
	s_cselect_b32 s70, -1, 0
	s_and_b32 s71, s12, -8
	s_cmp_lg_u32 s69, 0
	s_cvt_u32_f32 s6, s4
	s_cselect_b32 s72, -1, 0
	s_cmp_lg_u32 s68, s66
	v_lshlrev_b32_e32 v38, 2, v20
	s_cselect_b32 s73, -1, 0
	s_sub_co_i32 s4, 0, s62
	v_cmp_eq_u32_e64 s2, 0, v1
	s_mul_i32 s4, s4, s6
	v_lshl_or_b32 v41, v1, 2, 0xc00
	s_mul_hi_u32 s8, s6, s4
	v_cmp_gt_u32_e64 s4, s36, v0
	s_add_co_i32 s46, s6, s8
	v_readfirstlane_b32 s8, v2
	s_mul_hi_u32 s7, s36, s46
	v_lshlrev_b64_e64 v[2:3], v1, -1
	s_mul_i32 s7, s7, s62
	v_or_b32_e32 v3, 2, v17
	s_sub_co_i32 s7, s36, s7
	s_mul_f32 s8, s8, 0x4f7ffffe
	s_sub_co_i32 s9, s7, s62
	s_cmp_ge_u32 s7, s62
	v_not_b32_e32 v16, v2
	s_cselect_b32 s7, s9, s7
	s_cvt_u32_f32 s8, s8
	s_sub_co_i32 s9, s7, s62
	s_cmp_ge_u32 s7, s62
	v_lshrrev_b32_e32 v2, 1, v0
	s_cselect_b32 s12, s9, s7
	s_sub_co_i32 s7, 0, s34
	s_sub_co_i32 s74, s36, s12
	s_delay_alu instid0(SALU_CYCLE_1) | instskip(SKIP_3) | instid1(VALU_DEP_2)
	v_dual_mov_b32 v21, v23 :: v_dual_add_nc_u32 v33, s74, v0
	s_mul_i32 s7, s7, s8
	v_mul_lo_u32 v36, s33, v3
	s_mul_hi_u32 s7, s8, s7
	v_lshl_add_u64 v[18:19], v[20:21], 3, s[30:31]
	v_lshlrev_b32_e32 v21, 3, v0
	s_add_co_i32 s48, s8, s7
	s_movk_i32 s8, 0x1f0
	s_mul_hi_u32 s7, s13, s48
	v_and_or_b32 v34, v2, s8, 0xc00
	s_mul_i32 s7, s7, s34
	v_add3_u32 v2, s34, s36, v0
	s_sub_co_i32 s7, s13, s7
	v_mul_lo_u32 v22, v33, s33
	s_sub_co_i32 s8, s7, s34
	s_cmp_ge_u32 s7, s34
	v_subrev_nc_u32_e32 v2, s12, v2
	s_cselect_b32 s9, s8, s7
	v_cmp_gt_u32_e64 s6, 2, v0
	s_sub_co_i32 s14, s9, s34
	s_cmp_ge_u32 s9, s34
	v_mul_lo_u32 v39, s33, v2
	s_cselect_b32 s9, s14, s9
	v_add_nc_u32_e32 v32, 0xc00, v21
	s_sub_co_i32 s75, s13, s9
	v_cmp_gt_u32_e64 s7, s74, v17
	v_cmp_gt_u32_e64 s8, s36, v33
	v_lshl_add_u64 v[24:25], v[22:23], 3, s[30:31]
	v_cmp_gt_u32_e64 s9, s75, v0
	v_dual_mov_b32 v42, s37 :: v_dual_mov_b32 v2, 1
	s_mul_i32 s40, s33, s34
	s_mov_b32 s47, s45
	s_mov_b32 s49, s45
	s_lshl_b32 s76, s40, 2
	s_lshl_b32 s77, s34, 5
	;; [unrolled: 1-line block ×3, first 2 shown]
	s_mov_b32 s79, 62
	s_add_nc_u64 s[50:51], s[10:11], s[44:45]
	s_mov_b32 s80, 0
	s_mov_b32 s82, 0
                                        ; implicit-def: $sgpr81
                                        ; implicit-def: $sgpr85
                                        ; implicit-def: $sgpr84
                                        ; implicit-def: $sgpr86
                                        ; implicit-def: $sgpr83
                                        ; implicit-def: $sgpr90
                                        ; implicit-def: $sgpr91
                                        ; implicit-def: $sgpr87
                                        ; implicit-def: $sgpr89
                                        ; implicit-def: $sgpr88
	s_branch .LBB52_15
.LBB52_13:                              ;   in Loop: Header=BB52_15 Depth=1
	s_or_b32 exec_lo, exec_lo, s13
	v_mov_b32_e32 v42, v43
	s_and_not1_b32 s13, s88, exec_lo
	s_and_b32 s12, s12, exec_lo
	s_and_not1_b32 s89, s89, exec_lo
	s_or_b32 s88, s13, s12
	s_and_not1_b32 s87, s87, exec_lo
	s_and_not1_b32 s91, s91, exec_lo
	;; [unrolled: 1-line block ×3, first 2 shown]
	s_or_not1_b32 s12, s11, exec_lo
.LBB52_14:                              ;   in Loop: Header=BB52_15 Depth=1
	s_or_b32 exec_lo, exec_lo, s10
	s_delay_alu instid0(SALU_CYCLE_1) | instskip(NEXT) | instid1(SALU_CYCLE_1)
	s_and_b32 s10, exec_lo, s12
	s_or_b32 s80, s10, s80
	s_and_not1_b32 s10, s83, exec_lo
	s_and_b32 s11, s88, exec_lo
	s_and_not1_b32 s12, s86, exec_lo
	s_or_b32 s83, s10, s11
	s_and_b32 s10, s89, exec_lo
	s_and_not1_b32 s11, s84, exec_lo
	s_and_b32 s13, s87, exec_lo
	s_or_b32 s86, s12, s10
	s_or_b32 s84, s11, s13
	s_and_not1_b32 s10, s85, exec_lo
	s_and_b32 s11, s91, exec_lo
	s_and_not1_b32 s12, s81, exec_lo
	s_and_b32 s13, s90, exec_lo
	s_or_b32 s85, s10, s11
	s_or_b32 s81, s12, s13
	s_and_not1_b32 exec_lo, exec_lo, s80
	s_cbranch_execz .LBB52_404
.LBB52_15:                              ; =>This Loop Header: Depth=1
                                        ;     Child Loop BB52_21 Depth 2
                                        ;     Child Loop BB52_34 Depth 2
	;; [unrolled: 1-line block ×25, first 2 shown]
	ds_load_b64 v[4:5], v23 offset:4096
	s_wait_dscnt 0x0
	v_readfirstlane_b32 s44, v4
	s_cmp_lg_u32 s44, 0
	s_cbranch_scc1 .LBB52_42
; %bb.16:                               ;   in Loop: Header=BB52_15 Depth=1
	s_and_b32 vcc_lo, exec_lo, s63
	s_cbranch_vccz .LBB52_29
; %bb.17:                               ;   in Loop: Header=BB52_15 Depth=1
	v_cmp_gt_u32_e32 vcc_lo, 0x181, v5
	s_mov_b32 s12, 0
	s_mov_b32 s10, 0
	s_cbranch_vccz .LBB52_30
; %bb.18:                               ;   in Loop: Header=BB52_15 Depth=1
	s_and_saveexec_b32 s13, s4
	s_cbranch_execz .LBB52_92
; %bb.19:                               ;   in Loop: Header=BB52_15 Depth=1
	global_load_b64 v[4:5], v[18:19], off
	s_load_u16 s14, s[50:51], 0x0
	s_mov_b32 s16, 0
	s_wait_kmcnt 0x0
	v_dual_mov_b32 v10, v0 :: v_dual_add_nc_u32 v3, s14, v0
	s_mul_i32 s15, s33, s14
	s_delay_alu instid0(VALU_DEP_1)
	v_mul_lo_u32 v3, s33, v3
	s_branch .LBB52_21
.LBB52_20:                              ;   in Loop: Header=BB52_21 Depth=2
	s_or_b32 exec_lo, exec_lo, s11
	v_mov_b64_e32 v[4:5], v[8:9]
	v_add_nc_u32_e32 v3, s15, v3
	s_and_not1_b32 exec_lo, exec_lo, s16
	s_cbranch_execz .LBB52_92
.LBB52_21:                              ;   Parent Loop BB52_15 Depth=1
                                        ; =>  This Inner Loop Header: Depth=2
	v_mov_b64_e32 v[8:9], 0
	v_add_nc_u32_e32 v10, s14, v10
	s_mov_b32 s11, exec_lo
	s_delay_alu instid0(VALU_DEP_1)
	v_cmp_le_u32_e32 vcc_lo, s36, v10
	v_cmpx_gt_u32_e64 s36, v10
	s_cbranch_execz .LBB52_23
; %bb.22:                               ;   in Loop: Header=BB52_21 Depth=2
	global_load_b64 v[8:9], v3, s[30:31] scale_offset
.LBB52_23:                              ;   in Loop: Header=BB52_21 Depth=2
	s_wait_xcnt 0x0
	s_or_b32 exec_lo, exec_lo, s11
	s_wait_loadcnt_dscnt 0x0
	v_xor_b32_e32 v11, 0x80000000, v5
	v_and_b32_e32 v12, v4, v30
	s_delay_alu instid0(VALU_DEP_2) | instskip(NEXT) | instid1(VALU_DEP_1)
	v_dual_mov_b32 v11, 0 :: v_dual_bitop2_b32 v13, v11, v31 bitop3:0x40
	v_cmp_eq_u64_e64 s10, v[12:13], v[26:27]
	s_cmp_lg_u32 s10, 0
	s_cselect_b32 s11, -1, 0
	s_delay_alu instid0(SALU_CYCLE_1) | instskip(NEXT) | instid1(SALU_CYCLE_1)
	s_and_b32 s11, s2, s11
	s_and_saveexec_b32 s17, s11
	s_cbranch_execz .LBB52_27
; %bb.24:                               ;   in Loop: Header=BB52_21 Depth=2
	s_mov_b32 s20, exec_lo
	s_bcnt1_i32_b32 s18, s10
	v_mbcnt_lo_u32_b32 v11, s20, 0
	s_mov_b32 s19, exec_lo
                                        ; implicit-def: $vgpr12
	s_delay_alu instid0(VALU_DEP_1)
	v_cmpx_eq_u32_e32 0, v11
; %bb.25:                               ;   in Loop: Header=BB52_21 Depth=2
	s_bcnt1_i32_b32 s11, s20
	s_delay_alu instid0(SALU_CYCLE_1) | instskip(NEXT) | instid1(SALU_CYCLE_1)
	s_mul_i32 s11, s18, s11
	v_mov_b32_e32 v12, s11
	ds_add_rtn_u32 v12, v23, v12 offset:4104
; %bb.26:                               ;   in Loop: Header=BB52_21 Depth=2
	s_or_b32 exec_lo, exec_lo, s19
	s_wait_dscnt 0x0
	v_readfirstlane_b32 s11, v12
	s_delay_alu instid0(VALU_DEP_1)
	v_mad_u32_u24 v11, s18, v11, s11
.LBB52_27:                              ;   in Loop: Header=BB52_21 Depth=2
	s_or_b32 exec_lo, exec_lo, s17
	ds_bpermute_b32 v11, v23, v11
	s_and_b32 s11, exec_lo, vcc_lo
	s_delay_alu instid0(SALU_CYCLE_1)
	s_or_b32 s16, s11, s16
	s_and_saveexec_b32 s11, s10
	s_cbranch_execz .LBB52_20
; %bb.28:                               ;   in Loop: Header=BB52_21 Depth=2
	v_and_b32_e32 v12, s10, v16
	s_delay_alu instid0(VALU_DEP_1) | instskip(NEXT) | instid1(VALU_DEP_1)
	v_bcnt_u32_b32 v12, v12, 0
	v_lshlrev_b32_e32 v12, 3, v12
	s_wait_dscnt 0x0
	s_delay_alu instid0(VALU_DEP_1)
	v_lshl_add_u32 v11, v11, 3, v12
	ds_store_b64 v11, v[4:5]
	s_branch .LBB52_20
.LBB52_29:                              ;   in Loop: Header=BB52_15 Depth=1
	s_mov_b32 s12, -1
	s_mov_b32 s10, 0
.LBB52_30:                              ;   in Loop: Header=BB52_15 Depth=1
	s_and_b32 vcc_lo, exec_lo, s12
	s_cbranch_vccz .LBB52_40
.LBB52_31:                              ;   in Loop: Header=BB52_15 Depth=1
	s_and_saveexec_b32 s10, s4
	s_cbranch_execz .LBB52_37
; %bb.32:                               ;   in Loop: Header=BB52_15 Depth=1
	global_load_b64 v[4:5], v[18:19], off
	s_load_u16 s12, s[50:51], 0x0
	s_mov_b32 s11, exec_lo
	s_wait_kmcnt 0x0
	v_dual_mov_b32 v3, v0 :: v_dual_add_nc_u32 v8, s12, v0
	s_delay_alu instid0(VALU_DEP_1)
	v_cmpx_gt_u32_e64 s36, v8
	s_cbranch_execz .LBB52_36
; %bb.33:                               ;   in Loop: Header=BB52_15 Depth=1
	v_mul_lo_u32 v10, s33, v8
	v_dual_mov_b32 v11, v21 :: v_dual_mov_b32 v3, v0
	s_lshl_b32 s13, s12, 3
	s_mul_i32 s15, s33, s12
	s_mov_b32 s14, 0
.LBB52_34:                              ;   Parent Loop BB52_15 Depth=1
                                        ; =>  This Inner Loop Header: Depth=2
	global_load_b64 v[8:9], v10, s[30:31] scale_offset
	s_wait_xcnt 0x0
	v_dual_add_nc_u32 v3, s12, v3 :: v_dual_add_nc_u32 v10, s15, v10
	s_wait_loadcnt 0x1
	ds_store_b64 v11, v[4:5]
	v_add_nc_u32_e32 v11, s13, v11
	v_add_nc_u32_e32 v12, s12, v3
	s_delay_alu instid0(VALU_DEP_1)
	v_cmp_le_u32_e32 vcc_lo, s36, v12
	s_or_b32 s14, vcc_lo, s14
	s_wait_loadcnt 0x0
	v_mov_b64_e32 v[4:5], v[8:9]
	s_and_not1_b32 exec_lo, exec_lo, s14
	s_cbranch_execnz .LBB52_34
; %bb.35:                               ;   in Loop: Header=BB52_15 Depth=1
	s_or_b32 exec_lo, exec_lo, s14
	v_mov_b64_e32 v[4:5], v[8:9]
.LBB52_36:                              ;   in Loop: Header=BB52_15 Depth=1
	s_or_b32 exec_lo, exec_lo, s11
	s_delay_alu instid0(VALU_DEP_2)
	v_lshlrev_b32_e32 v3, 3, v3
	s_wait_loadcnt 0x0
	ds_store_b64 v3, v[4:5]
.LBB52_37:                              ;   in Loop: Header=BB52_15 Depth=1
	s_or_b32 exec_lo, exec_lo, s10
	s_wait_dscnt 0x0
	s_barrier_signal -1
	s_barrier_wait -1
	s_and_saveexec_b32 s10, s5
; %bb.38:                               ;   in Loop: Header=BB52_15 Depth=1
	v_mov_b32_e32 v3, s36
	ds_store_b32 v23, v3 offset:4096
; %bb.39:                               ;   in Loop: Header=BB52_15 Depth=1
	s_or_b32 exec_lo, exec_lo, s10
	s_mov_b32 s10, -1
	s_wait_dscnt 0x0
	s_barrier_signal -1
	s_barrier_wait -1
.LBB52_40:                              ;   in Loop: Header=BB52_15 Depth=1
	s_and_b32 vcc_lo, exec_lo, s10
	s_mov_b32 s44, 0
	s_cbranch_vccz .LBB52_42
; %bb.41:                               ;   in Loop: Header=BB52_15 Depth=1
	ds_load_b32 v3, v23 offset:4096
	s_wait_dscnt 0x0
	v_readfirstlane_b32 s44, v3
.LBB52_42:                              ;   in Loop: Header=BB52_15 Depth=1
	s_delay_alu instid0(VALU_DEP_1)
	s_cmp_lt_i32 s44, 1
	s_mov_b32 s10, -1
                                        ; implicit-def: $vgpr10_vgpr11
	s_cbranch_scc1 .LBB52_55
; %bb.43:                               ;   in Loop: Header=BB52_15 Depth=1
	s_and_b32 vcc_lo, exec_lo, s10
	s_cbranch_vccnz .LBB52_66
.LBB52_44:                              ;   in Loop: Header=BB52_15 Depth=1
	s_lshl_b32 s12, s82, 7
	s_and_saveexec_b32 s10, s2
.LBB52_45:                              ;   in Loop: Header=BB52_15 Depth=1
	v_lshl_add_u32 v3, s12, 2, v34
	ds_store_b128 v3, v[8:11]
.LBB52_46:                              ;   in Loop: Header=BB52_15 Depth=1
	s_or_b32 exec_lo, exec_lo, s10
	s_wait_dscnt 0x0
	s_barrier_signal -1
	s_barrier_wait -1
	s_and_saveexec_b32 s13, s61
	s_cbranch_execz .LBB52_79
; %bb.47:                               ;   in Loop: Header=BB52_15 Depth=1
	v_dual_mov_b32 v4, 0 :: v_dual_add_nc_u32 v3, s12, v1
	s_and_not1_b32 vcc_lo, exec_lo, s64
	s_cbranch_vccnz .LBB52_78
; %bb.48:                               ;   in Loop: Header=BB52_15 Depth=1
	s_and_not1_b32 vcc_lo, exec_lo, s67
	s_cbranch_vccnz .LBB52_75
; %bb.49:                               ;   in Loop: Header=BB52_15 Depth=1
	v_lshl_add_u32 v8, v3, 2, 0xc00
	s_and_not1_b32 vcc_lo, exec_lo, s70
	s_cbranch_vccnz .LBB52_106
; %bb.50:                               ;   in Loop: Header=BB52_15 Depth=1
	v_dual_mov_b32 v4, 0 :: v_dual_mov_b32 v5, 0
	s_mov_b32 s11, 1
	s_mov_b32 s10, 0
	;; [unrolled: 1-line block ×3, first 2 shown]
.LBB52_51:                              ;   Parent Loop BB52_15 Depth=1
                                        ; =>  This Inner Loop Header: Depth=2
	v_lshl_add_u32 v9, s11, 4, v8
	v_lshl_add_u32 v22, s10, 4, v8
	s_add_co_i32 s14, s14, -8
	s_add_co_i32 s11, s11, 16
	s_add_co_i32 s10, s10, 16
	ds_load_2addr_b32 v[10:11], v9 offset1:8
	ds_load_2addr_b32 v[12:13], v22 offset1:8
	ds_load_2addr_b32 v[14:15], v9 offset0:16 offset1:24
	ds_load_2addr_b32 v[44:45], v22 offset0:16 offset1:24
	;; [unrolled: 1-line block ×6, first 2 shown]
	s_cmp_lg_u32 s14, 0
	s_wait_dscnt 0x7
	v_add3_u32 v5, v10, v5, v11
	s_wait_dscnt 0x6
	v_add3_u32 v4, v12, v4, v13
	s_wait_dscnt 0x5
	s_delay_alu instid0(VALU_DEP_2) | instskip(SKIP_1) | instid1(VALU_DEP_2)
	v_add3_u32 v5, v14, v5, v15
	s_wait_dscnt 0x4
	v_add3_u32 v4, v44, v4, v45
	s_wait_dscnt 0x3
	s_delay_alu instid0(VALU_DEP_2) | instskip(SKIP_1) | instid1(VALU_DEP_2)
	;; [unrolled: 5-line block ×3, first 2 shown]
	v_add3_u32 v5, v50, v5, v51
	s_wait_dscnt 0x0
	v_add3_u32 v4, v52, v4, v53
	s_cbranch_scc1 .LBB52_51
; %bb.52:                               ;   in Loop: Header=BB52_15 Depth=1
	s_and_not1_b32 vcc_lo, exec_lo, s72
	s_mov_b32 s14, s69
	s_cbranch_vccnz .LBB52_54
.LBB52_53:                              ;   Parent Loop BB52_15 Depth=1
                                        ; =>  This Inner Loop Header: Depth=2
	v_lshl_add_u32 v9, s11, 4, v8
	v_lshl_add_u32 v10, s10, 4, v8
	s_add_co_i32 s14, s14, -1
	s_add_co_i32 s11, s11, 2
	s_add_co_i32 s10, s10, 2
	ds_load_b32 v9, v9
	ds_load_b32 v10, v10
	s_cmp_lg_u32 s14, 0
	s_wait_dscnt 0x0
	v_dual_add_nc_u32 v5, v9, v5 :: v_dual_add_nc_u32 v4, v10, v4
	s_cbranch_scc1 .LBB52_53
.LBB52_54:                              ;   in Loop: Header=BB52_15 Depth=1
	s_delay_alu instid0(VALU_DEP_1) | instskip(SKIP_2) | instid1(SALU_CYCLE_1)
	v_add_nc_u32_e32 v4, v4, v5
	s_mov_b32 s10, s68
	s_mov_b32 s11, s73
	s_and_b32 vcc_lo, exec_lo, s11
	s_cbranch_vccnz .LBB52_76
	s_branch .LBB52_78
.LBB52_55:                              ;   in Loop: Header=BB52_15 Depth=1
	v_mov_b64_e32 v[10:11], 0
	v_mov_b64_e32 v[8:9], 0
	s_and_saveexec_b32 s92, s7
	s_cbranch_execz .LBB52_59
; %bb.56:                               ;   in Loop: Header=BB52_15 Depth=1
	v_mov_b32_e32 v3, v17
	s_mov_b32 s93, 0
	s_mov_b32 s94, 0
	;; [unrolled: 1-line block ×6, first 2 shown]
.LBB52_57:                              ;   Parent Loop BB52_15 Depth=1
                                        ; =>  This Inner Loop Header: Depth=2
	v_dual_add_nc_u32 v4, s94, v38 :: v_dual_add_nc_u32 v5, s94, v35
	v_dual_add_nc_u32 v8, s94, v36 :: v_dual_add_nc_u32 v14, s94, v37
	v_dual_add_nc_u32 v3, s62, v3 :: v_dual_mov_b32 v15, v23
	s_clause 0x3
	global_load_b64 v[12:13], v4, s[30:31] scale_offset
	global_load_b64 v[10:11], v5, s[30:31] scale_offset
	;; [unrolled: 1-line block ×4, first 2 shown]
	v_dual_mov_b32 v45, v23 :: v_dual_mov_b32 v47, v23
	v_cmp_le_u32_e32 vcc_lo, s74, v3
	s_add_co_i32 s94, s94, s76
	s_wait_loadcnt 0x3
	v_xor_b32_e32 v13, 0x80000000, v13
	s_wait_loadcnt 0x2
	v_xor_b32_e32 v11, 0x80000000, v11
	;; [unrolled: 2-line block ×3, first 2 shown]
	v_and_b32_e32 v48, v12, v30
	s_wait_loadcnt 0x0
	v_xor_b32_e32 v5, 0x80000000, v5
	v_and_b32_e32 v49, v13, v31
	v_lshrrev_b64 v[12:13], s79, v[12:13]
	v_and_b32_e32 v50, v10, v30
	v_and_b32_e32 v51, v11, v31
	v_lshrrev_b64 v[10:11], s79, v[10:11]
	v_and_b32_e32 v52, v8, v30
	;; [unrolled: 3-line block ×4, first 2 shown]
	v_and_b32_e32 v14, 3, v10
	v_cmp_eq_u64_e64 s10, v[48:49], v[26:27]
	v_and_b32_e32 v44, 3, v8
	v_cmp_eq_u64_e64 s11, v[50:51], v[26:27]
	v_cmp_eq_u64_e64 s14, 0, v[22:23]
	v_and_b32_e32 v46, 3, v4
	v_cmp_eq_u64_e64 s15, 0, v[14:15]
	v_cmp_eq_u64_e64 s12, v[52:53], v[26:27]
	;; [unrolled: 1-line block ×5, first 2 shown]
	s_and_b32 s14, s10, s14
	v_cmp_eq_u64_e64 s18, 1, v[22:23]
	v_cndmask_b32_e64 v4, 0, 1, s14
	s_and_b32 s14, s11, s15
	v_cmp_eq_u64_e64 s19, 1, v[14:15]
	v_cndmask_b32_e64 v5, 0, 1, s14
	;; [unrolled: 3-line block ×4, first 2 shown]
	s_and_b32 s14, s10, s18
	v_cmp_eq_u64_e64 s22, 2, v[22:23]
	v_cmp_eq_u64_e64 s26, 3, v[22:23]
	v_cndmask_b32_e64 v10, 0, 1, s14
	s_and_b32 s14, s11, s19
	v_cmp_eq_u64_e64 s23, 2, v[14:15]
	v_cmp_eq_u64_e64 s27, 3, v[14:15]
	v_cndmask_b32_e64 v11, 0, 1, s14
	;; [unrolled: 4-line block ×4, first 2 shown]
	s_and_b32 s14, s10, s22
	s_and_b32 s10, s10, s26
	v_cndmask_b32_e64 v14, 0, 1, s14
	s_and_b32 s14, s11, s23
	v_cndmask_b32_e64 v44, 0, 1, s10
	;; [unrolled: 2-line block ×7, first 2 shown]
	v_cndmask_b32_e64 v47, 0, 1, s10
	v_cmp_ne_u32_e64 s10, 0, v4
	v_cmp_ne_u32_e64 s14, 0, v10
	;; [unrolled: 1-line block ×12, first 2 shown]
	s_bcnt1_i32_b32 s10, s10
	s_bcnt1_i32_b32 s14, s14
	;; [unrolled: 1-line block ×4, first 2 shown]
	v_cmp_ne_u32_e64 s13, 0, v9
	v_cmp_ne_u32_e64 s17, 0, v13
	;; [unrolled: 1-line block ×4, first 2 shown]
	s_bcnt1_i32_b32 s11, s11
	s_bcnt1_i32_b32 s15, s15
	s_bcnt1_i32_b32 s19, s19
	s_bcnt1_i32_b32 s23, s23
	s_add_co_i32 s10, s10, s52
	s_add_co_i32 s14, s14, s53
	s_add_co_i32 s18, s18, s54
	s_add_co_i32 s22, s22, s55
	s_bcnt1_i32_b32 s12, s12
	s_bcnt1_i32_b32 s16, s16
	s_bcnt1_i32_b32 s20, s20
	s_bcnt1_i32_b32 s24, s24
	s_add_co_i32 s14, s14, s15
	s_add_co_i32 s10, s10, s11
	s_add_co_i32 s11, s22, s23
	s_add_co_i32 s15, s18, s19
	;; [unrolled: 8-line block ×3, first 2 shown]
	s_add_co_i32 s53, s12, s17
	s_add_co_i32 s52, s10, s13
	;; [unrolled: 1-line block ×4, first 2 shown]
	v_mov_b64_e32 v[8:9], s[52:53]
	v_mov_b64_e32 v[10:11], s[54:55]
	s_or_b32 s93, vcc_lo, s93
	s_delay_alu instid0(SALU_CYCLE_1)
	s_and_not1_b32 exec_lo, exec_lo, s93
	s_cbranch_execnz .LBB52_57
; %bb.58:                               ;   in Loop: Header=BB52_15 Depth=1
	s_or_b32 exec_lo, exec_lo, s93
.LBB52_59:                              ;   in Loop: Header=BB52_15 Depth=1
	s_delay_alu instid0(SALU_CYCLE_1)
	s_or_b32 exec_lo, exec_lo, s92
	s_and_saveexec_b32 s14, s8
	s_cbranch_execz .LBB52_65
; %bb.60:                               ;   in Loop: Header=BB52_15 Depth=1
	global_load_b64 v[12:13], v[24:25], off
	v_dual_mov_b32 v3, v39 :: v_dual_mov_b32 v14, v33
	s_mov_b32 s15, 0
	s_branch .LBB52_62
.LBB52_61:                              ;   in Loop: Header=BB52_62 Depth=2
	s_wait_xcnt 0x0
	s_or_b32 exec_lo, exec_lo, s11
	s_wait_loadcnt 0x0
	v_xor_b32_e32 v13, 0x80000000, v13
	s_and_b32 s13, exec_lo, vcc_lo
	v_add_nc_u32_e32 v3, s40, v3
	s_or_b32 s15, s13, s15
	s_delay_alu instid0(VALU_DEP_2) | instskip(SKIP_2) | instid1(VALU_DEP_1)
	v_lshrrev_b64 v[44:45], s79, v[12:13]
	v_and_b32_e32 v12, v12, v30
	v_and_b32_e32 v13, v13, v31
	v_cmp_eq_u64_e64 s10, v[12:13], v[26:27]
	s_delay_alu instid0(VALU_DEP_4) | instskip(NEXT) | instid1(VALU_DEP_1)
	v_and_b32_e32 v22, 3, v44
	v_cmp_eq_u64_e64 s11, 0, v[22:23]
	v_cmp_eq_u64_e64 s12, 1, v[22:23]
	v_cmp_eq_u64_e32 vcc_lo, 2, v[22:23]
	v_cmp_eq_u64_e64 s13, 3, v[22:23]
	s_and_b32 s11, s10, s11
	s_delay_alu instid0(SALU_CYCLE_1) | instskip(SKIP_1) | instid1(SALU_CYCLE_1)
	v_cndmask_b32_e64 v12, 0, 1, s11
	s_and_b32 s11, s10, s12
	v_cndmask_b32_e64 v13, 0, 1, s11
	s_and_b32 s11, s10, vcc_lo
	s_and_b32 s10, s10, s13
	v_cndmask_b32_e64 v15, 0, 1, s11
	v_cndmask_b32_e64 v22, 0, 1, s10
	v_cmp_ne_u32_e32 vcc_lo, 0, v12
	v_cmp_ne_u32_e64 s10, 0, v13
	v_mov_b64_e32 v[12:13], v[4:5]
	v_cmp_ne_u32_e64 s11, 0, v15
	v_cmp_ne_u32_e64 s12, 0, v22
	s_bcnt1_i32_b32 s13, vcc_lo
	s_bcnt1_i32_b32 s10, s10
	s_bcnt1_i32_b32 s11, s11
	;; [unrolled: 1-line block ×3, first 2 shown]
	v_dual_add_nc_u32 v9, s10, v9 :: v_dual_add_nc_u32 v8, s13, v8
	v_dual_add_nc_u32 v10, s11, v10 :: v_dual_add_nc_u32 v11, s12, v11
	s_and_not1_b32 exec_lo, exec_lo, s15
	s_cbranch_execz .LBB52_64
.LBB52_62:                              ;   Parent Loop BB52_15 Depth=1
                                        ; =>  This Inner Loop Header: Depth=2
	v_mov_b64_e32 v[4:5], 0
	s_delay_alu instid0(VALU_DEP_2) | instskip(SKIP_1) | instid1(VALU_DEP_1)
	v_add_nc_u32_e32 v14, s34, v14
	s_mov_b32 s11, exec_lo
	v_cmp_le_u32_e32 vcc_lo, s36, v14
	s_wait_xcnt 0x0
	v_cmpx_gt_u32_e64 s36, v14
	s_cbranch_execz .LBB52_61
; %bb.63:                               ;   in Loop: Header=BB52_62 Depth=2
	global_load_b64 v[4:5], v3, s[30:31] scale_offset
	s_branch .LBB52_61
.LBB52_64:                              ;   in Loop: Header=BB52_15 Depth=1
	s_or_b32 exec_lo, exec_lo, s15
.LBB52_65:                              ;   in Loop: Header=BB52_15 Depth=1
	s_delay_alu instid0(SALU_CYCLE_1)
	s_or_b32 exec_lo, exec_lo, s14
	s_branch .LBB52_44
.LBB52_66:                              ;   in Loop: Header=BB52_15 Depth=1
	s_mul_u64 s[10:11], s[44:45], s[46:47]
	v_mov_b64_e32 v[10:11], 0
	s_mul_i32 s10, s11, s62
	v_mov_b64_e32 v[8:9], 0
	s_sub_co_i32 s10, s44, s10
	s_mov_b32 s93, exec_lo
	s_sub_co_i32 s11, s10, s62
	s_cmp_ge_u32 s10, s62
	s_cselect_b32 s10, s11, s10
	s_delay_alu instid0(SALU_CYCLE_1) | instskip(SKIP_2) | instid1(SALU_CYCLE_1)
	s_sub_co_i32 s11, s10, s62
	s_cmp_ge_u32 s10, s62
	s_cselect_b32 s10, s11, s10
	s_sub_co_i32 s92, s44, s10
	s_delay_alu instid0(SALU_CYCLE_1)
	v_cmpx_gt_u32_e64 s92, v17
	s_cbranch_execz .LBB52_70
; %bb.67:                               ;   in Loop: Header=BB52_15 Depth=1
	v_dual_mov_b32 v3, v40 :: v_dual_mov_b32 v4, v17
	s_mov_b32 s94, 0
	s_mov_b32 s52, 0
	;; [unrolled: 1-line block ×5, first 2 shown]
.LBB52_68:                              ;   Parent Loop BB52_15 Depth=1
                                        ; =>  This Inner Loop Header: Depth=2
	ds_load_b128 v[12:15], v3
	ds_load_b128 v[8:11], v3 offset:16
	v_dual_add_nc_u32 v3, s77, v3 :: v_dual_add_nc_u32 v4, s62, v4
	v_dual_mov_b32 v45, v23 :: v_dual_mov_b32 v47, v23
	v_mov_b32_e32 v49, v23
	s_delay_alu instid0(VALU_DEP_3)
	v_cmp_le_u32_e32 vcc_lo, s92, v4
	s_wait_dscnt 0x1
	v_xor_b32_e32 v13, 0x80000000, v13
	v_xor_b32_e32 v15, 0x80000000, v15
	s_wait_dscnt 0x0
	v_xor_b32_e32 v9, 0x80000000, v9
	v_and_b32_e32 v50, v12, v30
	v_xor_b32_e32 v11, 0x80000000, v11
	v_and_b32_e32 v51, v13, v31
	v_lshrrev_b64 v[12:13], s79, v[12:13]
	v_and_b32_e32 v52, v14, v30
	v_and_b32_e32 v53, v15, v31
	v_lshrrev_b64 v[14:15], s79, v[14:15]
	v_and_b32_e32 v54, v8, v30
	;; [unrolled: 3-line block ×4, first 2 shown]
	v_and_b32_e32 v44, 3, v14
	v_cmp_eq_u64_e64 s10, v[50:51], v[26:27]
	v_and_b32_e32 v46, 3, v8
	v_cmp_eq_u64_e64 s11, v[52:53], v[26:27]
	v_cmp_eq_u64_e64 s14, 0, v[22:23]
	v_and_b32_e32 v48, 3, v10
	v_cmp_eq_u64_e64 s15, 0, v[44:45]
	v_cmp_eq_u64_e64 s12, v[54:55], v[26:27]
	;; [unrolled: 1-line block ×5, first 2 shown]
	s_and_b32 s14, s10, s14
	v_cmp_eq_u64_e64 s18, 1, v[22:23]
	v_cndmask_b32_e64 v5, 0, 1, s14
	s_and_b32 s14, s11, s15
	v_cmp_eq_u64_e64 s19, 1, v[44:45]
	v_cndmask_b32_e64 v8, 0, 1, s14
	;; [unrolled: 3-line block ×4, first 2 shown]
	s_and_b32 s14, s10, s18
	v_cmp_eq_u64_e64 s22, 2, v[22:23]
	v_cmp_eq_u64_e64 s26, 3, v[22:23]
	v_cndmask_b32_e64 v11, 0, 1, s14
	s_and_b32 s14, s11, s19
	v_cmp_eq_u64_e64 s23, 2, v[44:45]
	v_cmp_eq_u64_e64 s27, 3, v[44:45]
	v_cndmask_b32_e64 v12, 0, 1, s14
	;; [unrolled: 4-line block ×4, first 2 shown]
	s_and_b32 s14, s10, s22
	s_and_b32 s10, s10, s26
	v_cndmask_b32_e64 v15, 0, 1, s14
	s_and_b32 s14, s11, s23
	v_cndmask_b32_e64 v45, 0, 1, s10
	;; [unrolled: 2-line block ×7, first 2 shown]
	v_cndmask_b32_e64 v48, 0, 1, s10
	v_cmp_ne_u32_e64 s10, 0, v5
	v_cmp_ne_u32_e64 s14, 0, v11
	v_cmp_ne_u32_e64 s18, 0, v15
	v_cmp_ne_u32_e64 s22, 0, v45
	v_cmp_ne_u32_e64 s11, 0, v8
	v_cmp_ne_u32_e64 s15, 0, v12
	v_cmp_ne_u32_e64 s19, 0, v22
	v_cmp_ne_u32_e64 s23, 0, v46
	v_cmp_ne_u32_e64 s12, 0, v9
	v_cmp_ne_u32_e64 s16, 0, v13
	v_cmp_ne_u32_e64 s20, 0, v43
	v_cmp_ne_u32_e64 s24, 0, v47
	s_bcnt1_i32_b32 s10, s10
	s_bcnt1_i32_b32 s14, s14
	;; [unrolled: 1-line block ×4, first 2 shown]
	v_cmp_ne_u32_e64 s13, 0, v10
	v_cmp_ne_u32_e64 s17, 0, v14
	;; [unrolled: 1-line block ×4, first 2 shown]
	s_bcnt1_i32_b32 s11, s11
	s_bcnt1_i32_b32 s15, s15
	s_bcnt1_i32_b32 s19, s19
	s_bcnt1_i32_b32 s23, s23
	s_add_co_i32 s10, s10, s52
	s_add_co_i32 s14, s14, s53
	s_add_co_i32 s18, s18, s54
	s_add_co_i32 s22, s22, s55
	s_bcnt1_i32_b32 s12, s12
	s_bcnt1_i32_b32 s16, s16
	s_bcnt1_i32_b32 s20, s20
	s_bcnt1_i32_b32 s24, s24
	s_add_co_i32 s14, s14, s15
	s_add_co_i32 s10, s10, s11
	s_add_co_i32 s11, s22, s23
	s_add_co_i32 s15, s18, s19
	;; [unrolled: 8-line block ×3, first 2 shown]
	s_add_co_i32 s53, s12, s17
	s_add_co_i32 s52, s10, s13
	;; [unrolled: 1-line block ×4, first 2 shown]
	v_mov_b64_e32 v[8:9], s[52:53]
	v_mov_b64_e32 v[10:11], s[54:55]
	s_or_b32 s94, vcc_lo, s94
	s_delay_alu instid0(SALU_CYCLE_1)
	s_and_not1_b32 exec_lo, exec_lo, s94
	s_cbranch_execnz .LBB52_68
; %bb.69:                               ;   in Loop: Header=BB52_15 Depth=1
	s_or_b32 exec_lo, exec_lo, s94
.LBB52_70:                              ;   in Loop: Header=BB52_15 Depth=1
	s_delay_alu instid0(SALU_CYCLE_1) | instskip(SKIP_2) | instid1(VALU_DEP_1)
	s_or_b32 exec_lo, exec_lo, s93
	v_add_nc_u32_e32 v3, s92, v0
	s_mov_b32 s15, exec_lo
	v_cmpx_gt_u32_e64 s44, v3
	s_cbranch_execz .LBB52_74
; %bb.71:                               ;   in Loop: Header=BB52_15 Depth=1
	v_lshlrev_b32_e32 v4, 3, v3
	s_mov_b32 s16, 0
.LBB52_72:                              ;   Parent Loop BB52_15 Depth=1
                                        ; =>  This Inner Loop Header: Depth=2
	ds_load_b64 v[12:13], v4
	v_dual_add_nc_u32 v3, s34, v3 :: v_dual_add_nc_u32 v4, s78, v4
	s_delay_alu instid0(VALU_DEP_1) | instskip(SKIP_3) | instid1(VALU_DEP_2)
	v_cmp_le_u32_e32 vcc_lo, s44, v3
	s_wait_dscnt 0x0
	v_xor_b32_e32 v13, 0x80000000, v13
	v_and_b32_e32 v14, v12, v30
	v_lshrrev_b64 v[44:45], s79, v[12:13]
	v_and_b32_e32 v15, v13, v31
	s_delay_alu instid0(VALU_DEP_1) | instskip(NEXT) | instid1(VALU_DEP_3)
	v_cmp_eq_u64_e64 s10, v[14:15], v[26:27]
	v_and_b32_e32 v22, 3, v44
	s_delay_alu instid0(VALU_DEP_1) | instskip(SKIP_4) | instid1(SALU_CYCLE_1)
	v_cmp_eq_u64_e64 s11, 0, v[22:23]
	v_cmp_eq_u64_e64 s12, 1, v[22:23]
	;; [unrolled: 1-line block ×4, first 2 shown]
	s_and_b32 s11, s10, s11
	v_cndmask_b32_e64 v5, 0, 1, s11
	s_and_b32 s11, s10, s12
	s_delay_alu instid0(SALU_CYCLE_1)
	v_cndmask_b32_e64 v12, 0, 1, s11
	s_and_b32 s11, s10, s13
	s_and_b32 s10, s10, s14
	v_cndmask_b32_e64 v13, 0, 1, s11
	v_cndmask_b32_e64 v14, 0, 1, s10
	v_cmp_ne_u32_e64 s10, 0, v5
	v_cmp_ne_u32_e64 s11, 0, v12
	s_delay_alu instid0(VALU_DEP_4) | instskip(NEXT) | instid1(VALU_DEP_4)
	v_cmp_ne_u32_e64 s12, 0, v13
	v_cmp_ne_u32_e64 s13, 0, v14
	s_bcnt1_i32_b32 s10, s10
	s_bcnt1_i32_b32 s11, s11
	v_add_nc_u32_e32 v8, s10, v8
	s_bcnt1_i32_b32 s12, s12
	s_bcnt1_i32_b32 s13, s13
	s_delay_alu instid0(SALU_CYCLE_1) | instskip(SKIP_2) | instid1(SALU_CYCLE_1)
	v_dual_add_nc_u32 v9, s11, v9 :: v_dual_add_nc_u32 v11, s13, v11
	v_add_nc_u32_e32 v10, s12, v10
	s_or_b32 s16, vcc_lo, s16
	s_and_not1_b32 exec_lo, exec_lo, s16
	s_cbranch_execnz .LBB52_72
; %bb.73:                               ;   in Loop: Header=BB52_15 Depth=1
	s_or_b32 exec_lo, exec_lo, s16
.LBB52_74:                              ;   in Loop: Header=BB52_15 Depth=1
	s_delay_alu instid0(SALU_CYCLE_1)
	s_or_b32 exec_lo, exec_lo, s15
	s_lshl_b32 s12, s82, 7
	s_and_saveexec_b32 s10, s2
	s_cbranch_execnz .LBB52_45
	s_branch .LBB52_46
.LBB52_75:                              ;   in Loop: Header=BB52_15 Depth=1
	v_mov_b32_e32 v4, 0
	s_mov_b32 s10, 0
	s_cbranch_execz .LBB52_78
.LBB52_76:                              ;   in Loop: Header=BB52_15 Depth=1
	s_lshl_b32 s11, s82, 9
	s_lshl_b32 s14, s10, 4
	s_sub_co_i32 s10, s66, s10
	v_add3_u32 v5, s11, s14, v41
.LBB52_77:                              ;   Parent Loop BB52_15 Depth=1
                                        ; =>  This Inner Loop Header: Depth=2
	ds_load_b32 v8, v5
	v_add_nc_u32_e32 v5, 16, v5
	s_add_co_i32 s10, s10, -1
	s_delay_alu instid0(SALU_CYCLE_1)
	s_cmp_eq_u32 s10, 0
	s_wait_dscnt 0x0
	v_add_nc_u32_e32 v4, v8, v4
	s_cbranch_scc0 .LBB52_77
.LBB52_78:                              ;   in Loop: Header=BB52_15 Depth=1
	s_delay_alu instid0(VALU_DEP_1)
	v_lshlrev_b32_e32 v3, 2, v3
	ds_store_b32 v3, v4 offset:3072
.LBB52_79:                              ;   in Loop: Header=BB52_15 Depth=1
	s_or_b32 exec_lo, exec_lo, s13
	s_lshl_b32 s10, s12, 2
	s_wait_dscnt 0x0
	v_mov_b32_e32 v3, s10
	s_barrier_signal -1
	s_barrier_wait -1
	v_cmp_eq_u32_e64 s10, 1, v42
	ds_load_b128 v[8:11], v3 offset:3072
	s_lshl_b64 s[12:13], 3, s79
	s_mov_b32 s24, -1
	s_not_b64 s[14:15], s[12:13]
	s_mov_b32 s16, 0
	s_and_not1_b32 vcc_lo, exec_lo, s60
	s_mov_b32 s21, 0
	s_mov_b32 s11, 0
                                        ; implicit-def: $sgpr22
                                        ; implicit-def: $sgpr23
                                        ; implicit-def: $vgpr43
                                        ; implicit-def: $vgpr22
                                        ; implicit-def: $vgpr14_vgpr15
                                        ; implicit-def: $vgpr12_vgpr13
	s_wait_dscnt 0x0
	v_readfirstlane_b32 s17, v8
	v_readfirstlane_b32 s18, v9
	;; [unrolled: 1-line block ×4, first 2 shown]
                                        ; implicit-def: $vgpr10_vgpr11
	s_cbranch_vccnz .LBB52_241
; %bb.80:                               ;   in Loop: Header=BB52_15 Depth=1
	v_mov_b64_e32 v[14:15], v[26:27]
	v_mov_b64_e32 v[12:13], v[30:31]
	;; [unrolled: 1-line block ×3, first 2 shown]
	s_cmp_eq_u32 s17, 1
	s_mov_b32 s27, -1
	s_cselect_b32 s11, -1, 0
                                        ; implicit-def: $sgpr23
                                        ; implicit-def: $sgpr22
	s_delay_alu instid0(SALU_CYCLE_1) | instskip(NEXT) | instid1(SALU_CYCLE_1)
	s_and_b32 s26, s11, s10
	s_and_saveexec_b32 s11, s26
	s_cbranch_execz .LBB52_110
; %bb.81:                               ;   in Loop: Header=BB52_15 Depth=1
	ds_load_b32 v3, v23 offset:4096
	s_wait_dscnt 0x0
	s_barrier_signal -1
	s_barrier_wait -1
	v_readfirstlane_b32 s24, v3
	s_and_saveexec_b32 s21, s6
; %bb.82:                               ;   in Loop: Header=BB52_15 Depth=1
	ds_store_b64 v32, v[28:29]
; %bb.83:                               ;   in Loop: Header=BB52_15 Depth=1
	s_or_b32 exec_lo, exec_lo, s21
	v_and_b32_e32 v15, s15, v27
	v_and_b32_e32 v14, s14, v26
	v_or_b32_e32 v13, s13, v31
	v_or_b32_e32 v12, s12, v30
	s_mov_b32 s22, -1
	s_mov_b32 s23, 0
	s_cmp_eq_u32 s24, 0
	s_mov_b32 s21, 0
	s_mov_b32 s25, -1
	s_wait_dscnt 0x0
	s_barrier_signal -1
	s_barrier_wait -1
                                        ; implicit-def: $vgpr10_vgpr11
	s_cbranch_scc1 .LBB52_97
; %bb.84:                               ;   in Loop: Header=BB52_15 Depth=1
	s_add_co_i32 s44, s24, s65
	s_mov_b32 s27, exec_lo
	s_mul_u64 s[28:29], s[44:45], s[48:49]
                                        ; implicit-def: $vgpr10_vgpr11
	s_delay_alu instid0(SALU_CYCLE_1) | instskip(NEXT) | instid1(SALU_CYCLE_1)
	s_mul_i32 s21, s29, s34
	s_sub_co_i32 s21, s44, s21
	s_delay_alu instid0(SALU_CYCLE_1) | instskip(SKIP_2) | instid1(SALU_CYCLE_1)
	s_sub_co_i32 s25, s21, s34
	s_cmp_ge_u32 s21, s34
	s_cselect_b32 s21, s25, s21
	s_sub_co_i32 s25, s21, s34
	s_cmp_ge_u32 s21, s34
	s_cselect_b32 s21, s25, s21
	s_mov_b32 s25, 0
	s_sub_co_i32 s28, s44, s21
	s_mov_b32 s21, 0
	v_cmpx_gt_u32_e64 s28, v0
	s_cbranch_execz .LBB52_96
; %bb.85:                               ;   in Loop: Header=BB52_15 Depth=1
	v_dual_mov_b32 v22, v21 :: v_dual_mov_b32 v43, v0
                                        ; implicit-def: $sgpr29
	s_branch .LBB52_88
.LBB52_86:                              ;   in Loop: Header=BB52_88 Depth=2
	s_or_b32 exec_lo, exec_lo, s44
	s_wait_dscnt 0x0
	s_barrier_signal -1
	s_barrier_wait -1
	ds_load_b128 v[8:11], v23 offset:3072
	s_mov_b32 s44, -1
	s_mov_b32 s52, -1
	s_wait_dscnt 0x0
	s_barrier_signal -1
	s_barrier_wait -1
	v_cmp_ne_u64_e32 vcc_lo, 0, v[8:9]
	s_cbranch_vccz .LBB52_91
.LBB52_87:                              ;   in Loop: Header=BB52_88 Depth=2
	s_and_b32 s44, exec_lo, s44
	s_delay_alu instid0(SALU_CYCLE_1) | instskip(SKIP_2) | instid1(SALU_CYCLE_1)
	s_or_b32 s21, s44, s21
	s_and_not1_b32 s29, s29, exec_lo
	s_and_b32 s44, s52, exec_lo
	s_or_b32 s29, s29, s44
	s_and_not1_b32 exec_lo, exec_lo, s21
	s_cbranch_execz .LBB52_95
.LBB52_88:                              ;   Parent Loop BB52_15 Depth=1
                                        ; =>  This Inner Loop Header: Depth=2
	s_mov_b32 s44, exec_lo
	s_delay_alu instid0(VALU_DEP_1)
	v_cmpx_gt_u32_e64 s24, v43
	s_cbranch_execz .LBB52_86
; %bb.89:                               ;   in Loop: Header=BB52_88 Depth=2
	ds_load_b64 v[4:5], v22
	s_wait_dscnt 0x0
	v_xor_b32_e32 v3, 0x80000000, v5
	v_and_b32_e32 v8, v4, v12
	s_delay_alu instid0(VALU_DEP_2) | instskip(NEXT) | instid1(VALU_DEP_1)
	v_and_b32_e32 v9, v3, v13
	v_cmp_eq_u64_e32 vcc_lo, v[8:9], v[14:15]
	s_and_b32 exec_lo, exec_lo, vcc_lo
	s_cbranch_execz .LBB52_86
; %bb.90:                               ;   in Loop: Header=BB52_88 Depth=2
	v_mov_b32_e32 v3, v23
	ds_store_b128 v23, v[2:5] offset:3072
	s_branch .LBB52_86
.LBB52_91:                              ;   in Loop: Header=BB52_88 Depth=2
	v_dual_add_nc_u32 v43, s34, v43 :: v_dual_add_nc_u32 v22, s78, v22
	s_mov_b32 s52, 0
	s_delay_alu instid0(VALU_DEP_1)
	v_cmp_le_u32_e32 vcc_lo, s28, v43
	s_or_not1_b32 s44, vcc_lo, exec_lo
	s_branch .LBB52_87
.LBB52_92:                              ;   in Loop: Header=BB52_15 Depth=1
	s_or_b32 exec_lo, exec_lo, s13
	s_wait_dscnt 0x0
	s_barrier_signal -1
	s_barrier_wait -1
	s_and_saveexec_b32 s10, s5
	s_cbranch_execz .LBB52_94
; %bb.93:                               ;   in Loop: Header=BB52_15 Depth=1
	ds_load_b32 v3, v23 offset:4104
	s_wait_dscnt 0x0
	ds_store_b32 v23, v3 offset:4096
.LBB52_94:                              ;   in Loop: Header=BB52_15 Depth=1
	s_or_b32 exec_lo, exec_lo, s10
	s_wait_dscnt 0x0
	s_barrier_signal -1
	s_mov_b32 s10, -1
	s_barrier_wait -1
	s_and_b32 vcc_lo, exec_lo, s12
	s_cbranch_vccnz .LBB52_31
	s_branch .LBB52_40
.LBB52_95:                              ;   in Loop: Header=BB52_15 Depth=1
	s_or_b32 exec_lo, exec_lo, s21
	s_delay_alu instid0(SALU_CYCLE_1)
	s_and_b32 s21, s29, exec_lo
.LBB52_96:                              ;   in Loop: Header=BB52_15 Depth=1
	s_or_b32 exec_lo, exec_lo, s27
.LBB52_97:                              ;   in Loop: Header=BB52_15 Depth=1
	s_delay_alu instid0(SALU_CYCLE_1)
	s_and_b32 vcc_lo, exec_lo, s25
	s_cbranch_vccz .LBB52_109
; %bb.98:                               ;   in Loop: Header=BB52_15 Depth=1
                                        ; implicit-def: $vgpr10_vgpr11
	s_and_saveexec_b32 s22, s9
	s_cbranch_execz .LBB52_108
; %bb.99:                               ;   in Loop: Header=BB52_15 Depth=1
	v_dual_mov_b32 v22, v20 :: v_dual_mov_b32 v43, v0
	s_mov_b32 s24, 0
                                        ; implicit-def: $sgpr23
	s_branch .LBB52_102
.LBB52_100:                             ;   in Loop: Header=BB52_102 Depth=2
	s_or_b32 exec_lo, exec_lo, s25
	s_wait_dscnt 0x0
	s_barrier_signal -1
	s_barrier_wait -1
	ds_load_b128 v[8:11], v23 offset:3072
	s_mov_b32 s25, -1
	s_mov_b32 s27, -1
	s_wait_dscnt 0x0
	s_barrier_signal -1
	s_barrier_wait -1
	v_cmp_ne_u64_e32 vcc_lo, 0, v[8:9]
	s_cbranch_vccz .LBB52_105
.LBB52_101:                             ;   in Loop: Header=BB52_102 Depth=2
	s_and_b32 s25, exec_lo, s25
	s_delay_alu instid0(SALU_CYCLE_1) | instskip(SKIP_2) | instid1(SALU_CYCLE_1)
	s_or_b32 s24, s25, s24
	s_and_not1_b32 s23, s23, exec_lo
	s_and_b32 s25, s27, exec_lo
	s_or_b32 s23, s23, s25
	s_and_not1_b32 exec_lo, exec_lo, s24
	s_cbranch_execz .LBB52_107
.LBB52_102:                             ;   Parent Loop BB52_15 Depth=1
                                        ; =>  This Inner Loop Header: Depth=2
	s_mov_b32 s25, exec_lo
	s_delay_alu instid0(VALU_DEP_1)
	v_cmpx_gt_u32_e64 s36, v43
	s_cbranch_execz .LBB52_100
; %bb.103:                              ;   in Loop: Header=BB52_102 Depth=2
	global_load_b64 v[4:5], v22, s[30:31] scale_offset
	s_wait_loadcnt 0x0
	v_xor_b32_e32 v3, 0x80000000, v5
	v_and_b32_e32 v8, v4, v12
	s_delay_alu instid0(VALU_DEP_2) | instskip(NEXT) | instid1(VALU_DEP_1)
	v_and_b32_e32 v9, v3, v13
	v_cmp_eq_u64_e32 vcc_lo, v[8:9], v[14:15]
	s_and_b32 exec_lo, exec_lo, vcc_lo
	s_cbranch_execz .LBB52_100
; %bb.104:                              ;   in Loop: Header=BB52_102 Depth=2
	v_mov_b32_e32 v3, v23
	ds_store_b128 v23, v[2:5] offset:3072
	s_branch .LBB52_100
.LBB52_105:                             ;   in Loop: Header=BB52_102 Depth=2
	v_dual_add_nc_u32 v43, s34, v43 :: v_dual_add_nc_u32 v22, s40, v22
	s_mov_b32 s27, 0
	s_delay_alu instid0(VALU_DEP_1)
	v_cmp_le_u32_e32 vcc_lo, s75, v43
	s_or_not1_b32 s25, vcc_lo, exec_lo
	s_branch .LBB52_101
.LBB52_106:                             ;   in Loop: Header=BB52_15 Depth=1
	s_mov_b64 s[10:11], 0x100000000
	v_mov_b64_e32 v[4:5], 0
	s_and_not1_b32 vcc_lo, exec_lo, s72
	s_mov_b32 s14, s69
	s_cbranch_vccz .LBB52_53
	s_branch .LBB52_54
.LBB52_107:                             ;   in Loop: Header=BB52_15 Depth=1
	s_or_b32 exec_lo, exec_lo, s24
	s_delay_alu instid0(SALU_CYCLE_1) | instskip(SKIP_1) | instid1(SALU_CYCLE_1)
	s_and_not1_b32 s21, s21, exec_lo
	s_and_b32 s23, s23, exec_lo
	s_or_b32 s21, s21, s23
.LBB52_108:                             ;   in Loop: Header=BB52_15 Depth=1
	s_or_b32 exec_lo, exec_lo, s22
	s_mov_b32 s22, 0
	s_mov_b32 s23, -1
.LBB52_109:                             ;   in Loop: Header=BB52_15 Depth=1
	s_or_not1_b32 s27, s21, exec_lo
.LBB52_110:                             ;   in Loop: Header=BB52_15 Depth=1
	s_or_b32 exec_lo, exec_lo, s11
	s_mov_b32 s24, 0
	s_mov_b32 s21, 0
	;; [unrolled: 1-line block ×3, first 2 shown]
                                        ; implicit-def: $vgpr43
                                        ; implicit-def: $vgpr22
	s_and_saveexec_b32 s25, s27
	s_cbranch_execz .LBB52_240
; %bb.111:                              ;   in Loop: Header=BB52_15 Depth=1
	v_dual_mov_b32 v43, 1 :: v_dual_mov_b32 v22, 1
	s_xor_b32 s21, s26, -1
	s_mov_b32 s28, 0
	s_and_saveexec_b32 s11, s21
	s_cbranch_execz .LBB52_120
; %bb.112:                              ;   in Loop: Header=BB52_15 Depth=1
	s_mov_b32 s21, exec_lo
	v_cmpx_ge_u32_e64 s17, v42
	s_xor_b32 s21, exec_lo, s21
	s_cbranch_execz .LBB52_117
; %bb.113:                              ;   in Loop: Header=BB52_15 Depth=1
	ds_load_b32 v3, v23 offset:4096
	v_and_b32_e32 v15, s15, v15
	v_and_b32_e32 v14, s14, v14
	v_or_b32_e32 v13, s13, v13
	v_or_b32_e32 v12, s12, v12
	s_wait_dscnt 0x0
	v_cmp_ne_u32_e32 vcc_lo, 0, v3
	s_cbranch_vccnz .LBB52_117
; %bb.114:                              ;   in Loop: Header=BB52_15 Depth=1
	s_and_saveexec_b32 s26, s5
; %bb.115:                              ;   in Loop: Header=BB52_15 Depth=1
	v_mov_b32_e32 v3, s17
	ds_store_b32 v23, v3 offset:4100
; %bb.116:                              ;   in Loop: Header=BB52_15 Depth=1
	s_or_b32 exec_lo, exec_lo, s26
	s_wait_dscnt 0x0
	s_barrier_signal -1
	s_barrier_wait -1
.LBB52_117:                             ;   in Loop: Header=BB52_15 Depth=1
	s_or_saveexec_b32 s21, s21
	v_dual_mov_b32 v22, 8 :: v_dual_mov_b32 v43, v42
	s_mov_b32 s26, 0
	s_xor_b32 exec_lo, exec_lo, s21
; %bb.118:                              ;   in Loop: Header=BB52_15 Depth=1
	v_subrev_nc_u32_e32 v43, s17, v42
	v_mov_b32_e32 v22, 0
	s_mov_b32 s26, exec_lo
; %bb.119:                              ;   in Loop: Header=BB52_15 Depth=1
	s_or_b32 exec_lo, exec_lo, s21
	s_delay_alu instid0(SALU_CYCLE_1)
	s_and_b32 s28, s26, exec_lo
.LBB52_120:                             ;   in Loop: Header=BB52_15 Depth=1
	s_or_b32 exec_lo, exec_lo, s11
	s_mov_b32 s27, -1
                                        ; implicit-def: $sgpr21
                                        ; implicit-def: $sgpr26
	s_and_saveexec_b32 s11, s28
	s_delay_alu instid0(SALU_CYCLE_1)
	s_xor_b32 s11, exec_lo, s11
	s_cbranch_execz .LBB52_237
; %bb.121:                              ;   in Loop: Header=BB52_15 Depth=1
	v_cmp_eq_u32_e32 vcc_lo, 1, v43
	s_cmp_eq_u32 s18, 1
	s_mov_b32 s29, -1
	s_cselect_b32 s21, -1, 0
                                        ; implicit-def: $sgpr26
	s_delay_alu instid0(SALU_CYCLE_1) | instskip(NEXT) | instid1(SALU_CYCLE_1)
	s_and_b32 s28, s21, vcc_lo
                                        ; implicit-def: $sgpr21
	s_and_saveexec_b32 s27, s28
	s_cbranch_execz .LBB52_147
; %bb.122:                              ;   in Loop: Header=BB52_15 Depth=1
	ds_load_b32 v3, v23 offset:4096
	s_wait_dscnt 0x0
	s_barrier_signal -1
	s_barrier_wait -1
	v_readfirstlane_b32 s52, v3
	s_and_saveexec_b32 s21, s6
; %bb.123:                              ;   in Loop: Header=BB52_15 Depth=1
	ds_store_b64 v32, v[28:29]
; %bb.124:                              ;   in Loop: Header=BB52_15 Depth=1
	s_or_b32 exec_lo, exec_lo, s21
	v_and_b32_e32 v3, s15, v15
	v_and_b32_e32 v4, s14, v14
	s_lshl_b64 s[54:55], 1, s79
	v_or_b32_e32 v13, s13, v13
	v_or_b32_e32 v12, s12, v12
	;; [unrolled: 1-line block ×4, first 2 shown]
	s_mov_b32 s21, -1
	s_mov_b32 s26, 0
	s_cmp_eq_u32 s52, 0
	s_mov_b32 s29, 0
	s_mov_b32 s44, -1
	s_wait_dscnt 0x0
	s_barrier_signal -1
	s_barrier_wait -1
                                        ; implicit-def: $vgpr10_vgpr11
	s_cbranch_scc1 .LBB52_135
; %bb.125:                              ;   in Loop: Header=BB52_15 Depth=1
	s_add_co_i32 s44, s52, s65
                                        ; implicit-def: $vgpr10_vgpr11
	s_delay_alu instid0(SALU_CYCLE_1) | instskip(NEXT) | instid1(SALU_CYCLE_1)
	s_mul_u64 s[54:55], s[44:45], s[48:49]
	s_mul_i32 s29, s55, s34
	s_delay_alu instid0(SALU_CYCLE_1) | instskip(NEXT) | instid1(SALU_CYCLE_1)
	s_sub_co_i32 s29, s44, s29
	s_sub_co_i32 s53, s29, s34
	s_cmp_ge_u32 s29, s34
	s_cselect_b32 s29, s53, s29
	s_delay_alu instid0(SALU_CYCLE_1)
	s_sub_co_i32 s53, s29, s34
	s_cmp_ge_u32 s29, s34
	s_cselect_b32 s29, s53, s29
	s_mov_b32 s53, exec_lo
	s_sub_co_i32 s54, s44, s29
	s_mov_b32 s44, 0
	s_mov_b32 s29, 0
	v_cmpx_gt_u32_e64 s54, v0
	s_cbranch_execz .LBB52_134
; %bb.126:                              ;   in Loop: Header=BB52_15 Depth=1
	v_dual_mov_b32 v44, v21 :: v_dual_mov_b32 v45, v0
                                        ; implicit-def: $sgpr55
	s_branch .LBB52_129
.LBB52_127:                             ;   in Loop: Header=BB52_129 Depth=2
	s_or_b32 exec_lo, exec_lo, s92
	s_wait_dscnt 0x0
	s_barrier_signal -1
	s_barrier_wait -1
	ds_load_b128 v[8:11], v23 offset:3072
	s_mov_b32 s92, -1
	s_mov_b32 s93, -1
	s_wait_dscnt 0x0
	s_barrier_signal -1
	s_barrier_wait -1
	v_cmp_ne_u64_e32 vcc_lo, 0, v[8:9]
	s_cbranch_vccz .LBB52_132
.LBB52_128:                             ;   in Loop: Header=BB52_129 Depth=2
	s_and_b32 s92, exec_lo, s92
	s_delay_alu instid0(SALU_CYCLE_1) | instskip(SKIP_2) | instid1(SALU_CYCLE_1)
	s_or_b32 s29, s92, s29
	s_and_not1_b32 s55, s55, exec_lo
	s_and_b32 s92, s93, exec_lo
	s_or_b32 s55, s55, s92
	s_and_not1_b32 exec_lo, exec_lo, s29
	s_cbranch_execz .LBB52_133
.LBB52_129:                             ;   Parent Loop BB52_15 Depth=1
                                        ; =>  This Inner Loop Header: Depth=2
	s_mov_b32 s92, exec_lo
	s_delay_alu instid0(VALU_DEP_1)
	v_cmpx_gt_u32_e64 s52, v45
	s_cbranch_execz .LBB52_127
; %bb.130:                              ;   in Loop: Header=BB52_129 Depth=2
	ds_load_b64 v[4:5], v44
	s_wait_dscnt 0x0
	v_xor_b32_e32 v3, 0x80000000, v5
	v_and_b32_e32 v8, v4, v12
	s_delay_alu instid0(VALU_DEP_2) | instskip(NEXT) | instid1(VALU_DEP_1)
	v_and_b32_e32 v9, v3, v13
	v_cmp_eq_u64_e32 vcc_lo, v[8:9], v[14:15]
	s_and_b32 exec_lo, exec_lo, vcc_lo
	s_cbranch_execz .LBB52_127
; %bb.131:                              ;   in Loop: Header=BB52_129 Depth=2
	v_mov_b32_e32 v3, v23
	ds_store_b128 v23, v[2:5] offset:3072
	s_branch .LBB52_127
.LBB52_132:                             ;   in Loop: Header=BB52_129 Depth=2
	v_dual_add_nc_u32 v45, s34, v45 :: v_dual_add_nc_u32 v44, s78, v44
	s_mov_b32 s93, 0
	s_delay_alu instid0(VALU_DEP_1)
	v_cmp_le_u32_e32 vcc_lo, s54, v45
	s_or_not1_b32 s92, vcc_lo, exec_lo
	s_branch .LBB52_128
.LBB52_133:                             ;   in Loop: Header=BB52_15 Depth=1
	s_or_b32 exec_lo, exec_lo, s29
	s_delay_alu instid0(SALU_CYCLE_1)
	s_and_b32 s29, s55, exec_lo
.LBB52_134:                             ;   in Loop: Header=BB52_15 Depth=1
	s_or_b32 exec_lo, exec_lo, s53
.LBB52_135:                             ;   in Loop: Header=BB52_15 Depth=1
	s_delay_alu instid0(SALU_CYCLE_1)
	s_and_b32 vcc_lo, exec_lo, s44
	s_cbranch_vccz .LBB52_146
; %bb.136:                              ;   in Loop: Header=BB52_15 Depth=1
                                        ; implicit-def: $vgpr10_vgpr11
	s_and_saveexec_b32 s21, s9
	s_cbranch_execz .LBB52_145
; %bb.137:                              ;   in Loop: Header=BB52_15 Depth=1
	v_dual_mov_b32 v44, v20 :: v_dual_mov_b32 v45, v0
	s_mov_b32 s26, 0
                                        ; implicit-def: $sgpr44
	s_branch .LBB52_140
.LBB52_138:                             ;   in Loop: Header=BB52_140 Depth=2
	s_or_b32 exec_lo, exec_lo, s52
	s_wait_dscnt 0x0
	s_barrier_signal -1
	s_barrier_wait -1
	ds_load_b128 v[8:11], v23 offset:3072
	s_mov_b32 s52, -1
	s_mov_b32 s53, -1
	s_wait_dscnt 0x0
	s_barrier_signal -1
	s_barrier_wait -1
	v_cmp_eq_u64_e32 vcc_lo, 0, v[8:9]
	s_cbranch_vccnz .LBB52_143
.LBB52_139:                             ;   in Loop: Header=BB52_140 Depth=2
	s_and_b32 s52, exec_lo, s52
	s_delay_alu instid0(SALU_CYCLE_1) | instskip(SKIP_2) | instid1(SALU_CYCLE_1)
	s_or_b32 s26, s52, s26
	s_and_not1_b32 s44, s44, exec_lo
	s_and_b32 s52, s53, exec_lo
	s_or_b32 s44, s44, s52
	s_and_not1_b32 exec_lo, exec_lo, s26
	s_cbranch_execz .LBB52_144
.LBB52_140:                             ;   Parent Loop BB52_15 Depth=1
                                        ; =>  This Inner Loop Header: Depth=2
	s_mov_b32 s52, exec_lo
	s_delay_alu instid0(VALU_DEP_1)
	v_cmpx_gt_u32_e64 s36, v45
	s_cbranch_execz .LBB52_138
; %bb.141:                              ;   in Loop: Header=BB52_140 Depth=2
	global_load_b64 v[4:5], v44, s[30:31] scale_offset
	s_wait_loadcnt 0x0
	v_xor_b32_e32 v3, 0x80000000, v5
	v_and_b32_e32 v8, v4, v12
	s_delay_alu instid0(VALU_DEP_2) | instskip(NEXT) | instid1(VALU_DEP_1)
	v_and_b32_e32 v9, v3, v13
	v_cmp_eq_u64_e32 vcc_lo, v[8:9], v[14:15]
	s_and_b32 exec_lo, exec_lo, vcc_lo
	s_cbranch_execz .LBB52_138
; %bb.142:                              ;   in Loop: Header=BB52_140 Depth=2
	v_mov_b32_e32 v3, v23
	ds_store_b128 v23, v[2:5] offset:3072
	s_branch .LBB52_138
.LBB52_143:                             ;   in Loop: Header=BB52_140 Depth=2
	v_dual_add_nc_u32 v45, s34, v45 :: v_dual_add_nc_u32 v44, s40, v44
	s_mov_b32 s53, 0
	s_delay_alu instid0(VALU_DEP_1)
	v_cmp_le_u32_e32 vcc_lo, s75, v45
	s_or_not1_b32 s52, vcc_lo, exec_lo
	s_branch .LBB52_139
.LBB52_144:                             ;   in Loop: Header=BB52_15 Depth=1
	s_or_b32 exec_lo, exec_lo, s26
	s_delay_alu instid0(SALU_CYCLE_1) | instskip(SKIP_1) | instid1(SALU_CYCLE_1)
	s_and_not1_b32 s26, s29, exec_lo
	s_and_b32 s29, s44, exec_lo
	s_or_b32 s29, s26, s29
.LBB52_145:                             ;   in Loop: Header=BB52_15 Depth=1
	s_or_b32 exec_lo, exec_lo, s21
	s_mov_b32 s21, 0
	s_mov_b32 s26, -1
.LBB52_146:                             ;   in Loop: Header=BB52_15 Depth=1
	s_or_not1_b32 s29, s29, exec_lo
.LBB52_147:                             ;   in Loop: Header=BB52_15 Depth=1
	s_or_b32 exec_lo, exec_lo, s27
	s_mov_b32 s44, 0
	s_and_saveexec_b32 s27, s29
	s_cbranch_execz .LBB52_236
; %bb.148:                              ;   in Loop: Header=BB52_15 Depth=1
	v_dual_mov_b32 v44, 1 :: v_dual_mov_b32 v22, 1
	s_xor_b32 s29, s28, -1
	s_mov_b32 s53, 0
	s_and_saveexec_b32 s28, s29
	s_cbranch_execz .LBB52_157
; %bb.149:                              ;   in Loop: Header=BB52_15 Depth=1
	s_mov_b32 s29, exec_lo
	v_cmpx_ge_u32_e64 s18, v43
	s_xor_b32 s29, exec_lo, s29
	s_cbranch_execz .LBB52_154
; %bb.150:                              ;   in Loop: Header=BB52_15 Depth=1
	ds_load_b32 v3, v23 offset:4096
	v_and_b32_e32 v4, s15, v15
	v_and_b32_e32 v5, s14, v14
	s_lshl_b64 s[52:53], 1, s79
	v_or_b32_e32 v13, s13, v13
	v_or_b32_e32 v12, s12, v12
	;; [unrolled: 1-line block ×4, first 2 shown]
	s_wait_dscnt 0x0
	v_cmp_ne_u32_e32 vcc_lo, 0, v3
	s_cbranch_vccnz .LBB52_154
; %bb.151:                              ;   in Loop: Header=BB52_15 Depth=1
	s_and_saveexec_b32 s44, s5
; %bb.152:                              ;   in Loop: Header=BB52_15 Depth=1
	v_mov_b32_e32 v3, s18
	ds_store_b32 v23, v3 offset:4100
; %bb.153:                              ;   in Loop: Header=BB52_15 Depth=1
	s_or_b32 exec_lo, exec_lo, s44
	s_wait_dscnt 0x0
	s_barrier_signal -1
	s_barrier_wait -1
.LBB52_154:                             ;   in Loop: Header=BB52_15 Depth=1
	s_or_saveexec_b32 s29, s29
	v_mov_b32_e32 v22, 8
	s_mov_b32 s44, 0
	s_xor_b32 exec_lo, exec_lo, s29
; %bb.155:                              ;   in Loop: Header=BB52_15 Depth=1
	v_subrev_nc_u32_e32 v43, s18, v43
	v_mov_b32_e32 v22, 0
	s_mov_b32 s44, exec_lo
; %bb.156:                              ;   in Loop: Header=BB52_15 Depth=1
	s_or_b32 exec_lo, exec_lo, s29
	s_delay_alu instid0(VALU_DEP_2)
	v_mov_b32_e32 v44, v43
	s_and_b32 s53, s44, exec_lo
.LBB52_157:                             ;   in Loop: Header=BB52_15 Depth=1
	s_or_b32 exec_lo, exec_lo, s28
	s_mov_b32 s44, -1
                                        ; implicit-def: $sgpr29
                                        ; implicit-def: $sgpr52
	s_and_saveexec_b32 s28, s53
	s_cbranch_execz .LBB52_235
; %bb.158:                              ;   in Loop: Header=BB52_15 Depth=1
	v_cmp_eq_u32_e32 vcc_lo, 1, v44
	s_cmp_eq_u32 s19, 1
                                        ; implicit-def: $sgpr52
	s_cselect_b32 s29, -1, 0
	s_delay_alu instid0(SALU_CYCLE_1) | instskip(NEXT) | instid1(SALU_CYCLE_1)
	s_and_b32 s54, s29, vcc_lo
                                        ; implicit-def: $sgpr29
	s_and_saveexec_b32 s53, s54
	s_cbranch_execz .LBB52_184
; %bb.159:                              ;   in Loop: Header=BB52_15 Depth=1
	ds_load_b32 v3, v23 offset:4096
	s_wait_dscnt 0x0
	s_barrier_signal -1
	s_barrier_wait -1
	v_readfirstlane_b32 s55, v3
	s_and_saveexec_b32 s29, s6
; %bb.160:                              ;   in Loop: Header=BB52_15 Depth=1
	ds_store_b64 v32, v[28:29]
; %bb.161:                              ;   in Loop: Header=BB52_15 Depth=1
	s_or_b32 exec_lo, exec_lo, s29
	v_and_b32_e32 v3, s15, v15
	v_and_b32_e32 v4, s14, v14
	s_lshl_b64 s[92:93], 2, s79
	v_or_b32_e32 v13, s13, v13
	v_or_b32_e32 v12, s12, v12
	;; [unrolled: 1-line block ×4, first 2 shown]
	s_mov_b32 s29, -1
	s_mov_b32 s52, 0
	s_cmp_eq_u32 s55, 0
	s_mov_b32 s44, 0
	s_mov_b32 s92, -1
	s_wait_dscnt 0x0
	s_barrier_signal -1
	s_barrier_wait -1
                                        ; implicit-def: $vgpr10_vgpr11
	s_cbranch_scc1 .LBB52_172
; %bb.162:                              ;   in Loop: Header=BB52_15 Depth=1
	s_add_co_i32 s44, s55, s65
                                        ; implicit-def: $vgpr10_vgpr11
	s_delay_alu instid0(SALU_CYCLE_1) | instskip(NEXT) | instid1(SALU_CYCLE_1)
	s_mul_u64 s[92:93], s[44:45], s[48:49]
	s_mul_i32 s92, s93, s34
	s_delay_alu instid0(SALU_CYCLE_1) | instskip(NEXT) | instid1(SALU_CYCLE_1)
	s_sub_co_i32 s92, s44, s92
	s_sub_co_i32 s93, s92, s34
	s_cmp_ge_u32 s92, s34
	s_cselect_b32 s92, s93, s92
	s_delay_alu instid0(SALU_CYCLE_1)
	s_sub_co_i32 s93, s92, s34
	s_cmp_ge_u32 s92, s34
	s_cselect_b32 s92, s93, s92
	s_mov_b32 s93, exec_lo
	s_sub_co_i32 s94, s44, s92
	s_mov_b32 s92, 0
	s_mov_b32 s44, 0
	v_cmpx_gt_u32_e64 s94, v0
	s_cbranch_execz .LBB52_171
; %bb.163:                              ;   in Loop: Header=BB52_15 Depth=1
	v_dual_mov_b32 v43, v21 :: v_dual_mov_b32 v45, v0
                                        ; implicit-def: $sgpr95
	s_branch .LBB52_166
.LBB52_164:                             ;   in Loop: Header=BB52_166 Depth=2
	s_or_b32 exec_lo, exec_lo, s96
	s_wait_dscnt 0x0
	s_barrier_signal -1
	s_barrier_wait -1
	ds_load_b128 v[8:11], v23 offset:3072
	s_mov_b32 s96, -1
	s_mov_b32 s97, -1
	s_wait_dscnt 0x0
	s_barrier_signal -1
	s_barrier_wait -1
	v_cmp_ne_u64_e32 vcc_lo, 0, v[8:9]
	s_cbranch_vccz .LBB52_169
.LBB52_165:                             ;   in Loop: Header=BB52_166 Depth=2
	s_and_b32 s96, exec_lo, s96
	s_delay_alu instid0(SALU_CYCLE_1) | instskip(SKIP_2) | instid1(SALU_CYCLE_1)
	s_or_b32 s44, s96, s44
	s_and_not1_b32 s95, s95, exec_lo
	s_and_b32 s96, s97, exec_lo
	s_or_b32 s95, s95, s96
	s_and_not1_b32 exec_lo, exec_lo, s44
	s_cbranch_execz .LBB52_170
.LBB52_166:                             ;   Parent Loop BB52_15 Depth=1
                                        ; =>  This Inner Loop Header: Depth=2
	s_mov_b32 s96, exec_lo
	s_delay_alu instid0(VALU_DEP_1)
	v_cmpx_gt_u32_e64 s55, v45
	s_cbranch_execz .LBB52_164
; %bb.167:                              ;   in Loop: Header=BB52_166 Depth=2
	ds_load_b64 v[4:5], v43
	s_wait_dscnt 0x0
	v_xor_b32_e32 v3, 0x80000000, v5
	v_and_b32_e32 v8, v4, v12
	s_delay_alu instid0(VALU_DEP_2) | instskip(NEXT) | instid1(VALU_DEP_1)
	v_and_b32_e32 v9, v3, v13
	v_cmp_eq_u64_e32 vcc_lo, v[8:9], v[14:15]
	s_and_b32 exec_lo, exec_lo, vcc_lo
	s_cbranch_execz .LBB52_164
; %bb.168:                              ;   in Loop: Header=BB52_166 Depth=2
	v_mov_b32_e32 v3, v23
	ds_store_b128 v23, v[2:5] offset:3072
	s_branch .LBB52_164
.LBB52_169:                             ;   in Loop: Header=BB52_166 Depth=2
	v_dual_add_nc_u32 v45, s34, v45 :: v_dual_add_nc_u32 v43, s78, v43
	s_mov_b32 s97, 0
	s_delay_alu instid0(VALU_DEP_1)
	v_cmp_le_u32_e32 vcc_lo, s94, v45
	s_or_not1_b32 s96, vcc_lo, exec_lo
	s_branch .LBB52_165
.LBB52_170:                             ;   in Loop: Header=BB52_15 Depth=1
	s_or_b32 exec_lo, exec_lo, s44
	s_delay_alu instid0(SALU_CYCLE_1)
	s_and_b32 s44, s95, exec_lo
.LBB52_171:                             ;   in Loop: Header=BB52_15 Depth=1
	s_or_b32 exec_lo, exec_lo, s93
.LBB52_172:                             ;   in Loop: Header=BB52_15 Depth=1
	s_delay_alu instid0(SALU_CYCLE_1)
	s_and_b32 vcc_lo, exec_lo, s92
	s_cbranch_vccz .LBB52_183
; %bb.173:                              ;   in Loop: Header=BB52_15 Depth=1
                                        ; implicit-def: $vgpr10_vgpr11
	s_and_saveexec_b32 s29, s9
	s_cbranch_execz .LBB52_182
; %bb.174:                              ;   in Loop: Header=BB52_15 Depth=1
	v_dual_mov_b32 v43, v20 :: v_dual_mov_b32 v45, v0
	s_mov_b32 s52, 0
                                        ; implicit-def: $sgpr55
	s_branch .LBB52_177
.LBB52_175:                             ;   in Loop: Header=BB52_177 Depth=2
	s_or_b32 exec_lo, exec_lo, s92
	s_wait_dscnt 0x0
	s_barrier_signal -1
	s_barrier_wait -1
	ds_load_b128 v[8:11], v23 offset:3072
	s_mov_b32 s92, -1
	s_mov_b32 s93, -1
	s_wait_dscnt 0x0
	s_barrier_signal -1
	s_barrier_wait -1
	v_cmp_eq_u64_e32 vcc_lo, 0, v[8:9]
	s_cbranch_vccnz .LBB52_180
.LBB52_176:                             ;   in Loop: Header=BB52_177 Depth=2
	s_and_b32 s92, exec_lo, s92
	s_delay_alu instid0(SALU_CYCLE_1) | instskip(SKIP_2) | instid1(SALU_CYCLE_1)
	s_or_b32 s52, s92, s52
	s_and_not1_b32 s55, s55, exec_lo
	s_and_b32 s92, s93, exec_lo
	s_or_b32 s55, s55, s92
	s_and_not1_b32 exec_lo, exec_lo, s52
	s_cbranch_execz .LBB52_181
.LBB52_177:                             ;   Parent Loop BB52_15 Depth=1
                                        ; =>  This Inner Loop Header: Depth=2
	s_mov_b32 s92, exec_lo
	s_delay_alu instid0(VALU_DEP_1)
	v_cmpx_gt_u32_e64 s36, v45
	s_cbranch_execz .LBB52_175
; %bb.178:                              ;   in Loop: Header=BB52_177 Depth=2
	global_load_b64 v[4:5], v43, s[30:31] scale_offset
	s_wait_loadcnt 0x0
	v_xor_b32_e32 v3, 0x80000000, v5
	v_and_b32_e32 v8, v4, v12
	s_delay_alu instid0(VALU_DEP_2) | instskip(NEXT) | instid1(VALU_DEP_1)
	v_and_b32_e32 v9, v3, v13
	v_cmp_eq_u64_e32 vcc_lo, v[8:9], v[14:15]
	s_and_b32 exec_lo, exec_lo, vcc_lo
	s_cbranch_execz .LBB52_175
; %bb.179:                              ;   in Loop: Header=BB52_177 Depth=2
	v_mov_b32_e32 v3, v23
	ds_store_b128 v23, v[2:5] offset:3072
	s_branch .LBB52_175
.LBB52_180:                             ;   in Loop: Header=BB52_177 Depth=2
	v_dual_add_nc_u32 v45, s34, v45 :: v_dual_add_nc_u32 v43, s40, v43
	s_mov_b32 s93, 0
	s_delay_alu instid0(VALU_DEP_1)
	v_cmp_le_u32_e32 vcc_lo, s75, v45
	s_or_not1_b32 s92, vcc_lo, exec_lo
	s_branch .LBB52_176
.LBB52_181:                             ;   in Loop: Header=BB52_15 Depth=1
	s_or_b32 exec_lo, exec_lo, s52
	s_delay_alu instid0(SALU_CYCLE_1) | instskip(SKIP_1) | instid1(SALU_CYCLE_1)
	s_and_not1_b32 s44, s44, exec_lo
	s_and_b32 s52, s55, exec_lo
	s_or_b32 s44, s44, s52
.LBB52_182:                             ;   in Loop: Header=BB52_15 Depth=1
	s_or_b32 exec_lo, exec_lo, s29
	s_mov_b32 s29, 0
	s_mov_b32 s52, -1
.LBB52_183:                             ;   in Loop: Header=BB52_15 Depth=1
	s_or_not1_b32 s44, s44, exec_lo
.LBB52_184:                             ;   in Loop: Header=BB52_15 Depth=1
	s_or_b32 exec_lo, exec_lo, s53
	s_mov_b32 s55, 0
	s_and_saveexec_b32 s53, s44
	s_cbranch_execz .LBB52_234
; %bb.185:                              ;   in Loop: Header=BB52_15 Depth=1
	v_dual_mov_b32 v43, 1 :: v_dual_mov_b32 v22, 1
	s_xor_b32 s54, s54, -1
	s_delay_alu instid0(SALU_CYCLE_1)
	s_and_saveexec_b32 s44, s54
	s_cbranch_execz .LBB52_194
; %bb.186:                              ;   in Loop: Header=BB52_15 Depth=1
	s_mov_b32 s54, exec_lo
	v_cmpx_ge_u32_e64 s19, v44
	s_xor_b32 s54, exec_lo, s54
	s_cbranch_execz .LBB52_191
; %bb.187:                              ;   in Loop: Header=BB52_15 Depth=1
	ds_load_b32 v3, v23 offset:4096
	v_and_b32_e32 v4, s15, v15
	v_and_b32_e32 v5, s14, v14
	s_lshl_b64 s[92:93], 2, s79
	v_or_b32_e32 v13, s13, v13
	v_or_b32_e32 v12, s12, v12
	;; [unrolled: 1-line block ×4, first 2 shown]
	s_wait_dscnt 0x0
	v_cmp_ne_u32_e32 vcc_lo, 0, v3
	s_cbranch_vccnz .LBB52_191
; %bb.188:                              ;   in Loop: Header=BB52_15 Depth=1
	s_and_saveexec_b32 s55, s5
; %bb.189:                              ;   in Loop: Header=BB52_15 Depth=1
	v_mov_b32_e32 v3, s19
	ds_store_b32 v23, v3 offset:4100
; %bb.190:                              ;   in Loop: Header=BB52_15 Depth=1
	s_or_b32 exec_lo, exec_lo, s55
	s_wait_dscnt 0x0
	s_barrier_signal -1
	s_barrier_wait -1
.LBB52_191:                             ;   in Loop: Header=BB52_15 Depth=1
	s_or_saveexec_b32 s54, s54
	v_mov_b32_e32 v22, 8
	s_mov_b32 s55, 0
	s_xor_b32 exec_lo, exec_lo, s54
; %bb.192:                              ;   in Loop: Header=BB52_15 Depth=1
	v_subrev_nc_u32_e32 v44, s19, v44
	v_mov_b32_e32 v22, 0
	s_mov_b32 s55, exec_lo
; %bb.193:                              ;   in Loop: Header=BB52_15 Depth=1
	s_or_b32 exec_lo, exec_lo, s54
	s_delay_alu instid0(VALU_DEP_2)
	v_mov_b32_e32 v43, v44
	s_and_b32 s55, s55, exec_lo
.LBB52_194:                             ;   in Loop: Header=BB52_15 Depth=1
	s_or_b32 exec_lo, exec_lo, s44
	s_mov_b32 s44, -1
                                        ; implicit-def: $sgpr93
                                        ; implicit-def: $sgpr92
	s_and_saveexec_b32 s54, s55
	s_cbranch_execz .LBB52_233
; %bb.195:                              ;   in Loop: Header=BB52_15 Depth=1
	v_cmp_eq_u32_e32 vcc_lo, 1, v43
	s_cmp_eq_u32 s20, 1
	s_mov_b32 s95, -1
	s_cselect_b32 s44, -1, 0
                                        ; implicit-def: $sgpr93
                                        ; implicit-def: $sgpr92
	s_delay_alu instid0(SALU_CYCLE_1) | instskip(NEXT) | instid1(SALU_CYCLE_1)
	s_and_b32 s55, s44, vcc_lo
	s_and_saveexec_b32 s94, s55
	s_cbranch_execz .LBB52_221
; %bb.196:                              ;   in Loop: Header=BB52_15 Depth=1
	ds_load_b32 v3, v23 offset:4096
	s_wait_dscnt 0x0
	s_barrier_signal -1
	s_barrier_wait -1
	v_readfirstlane_b32 s95, v3
	s_and_saveexec_b32 s44, s6
; %bb.197:                              ;   in Loop: Header=BB52_15 Depth=1
	ds_store_b64 v32, v[28:29]
; %bb.198:                              ;   in Loop: Header=BB52_15 Depth=1
	s_or_b32 exec_lo, exec_lo, s44
	v_or_b32_e32 v15, s13, v15
	v_or_b32_e32 v14, s12, v14
	;; [unrolled: 1-line block ×4, first 2 shown]
	s_mov_b32 s92, -1
	s_mov_b32 s93, 0
	s_cmp_eq_u32 s95, 0
	s_mov_b32 s44, 0
	s_mov_b32 s96, -1
	s_wait_dscnt 0x0
	s_barrier_signal -1
	s_barrier_wait -1
                                        ; implicit-def: $vgpr10_vgpr11
	s_cbranch_scc1 .LBB52_209
; %bb.199:                              ;   in Loop: Header=BB52_15 Depth=1
	s_add_co_i32 s44, s95, s65
                                        ; implicit-def: $vgpr10_vgpr11
	s_delay_alu instid0(SALU_CYCLE_1) | instskip(NEXT) | instid1(SALU_CYCLE_1)
	s_mul_u64 s[96:97], s[44:45], s[48:49]
	s_mul_i32 s96, s97, s34
	s_delay_alu instid0(SALU_CYCLE_1) | instskip(NEXT) | instid1(SALU_CYCLE_1)
	s_sub_co_i32 s96, s44, s96
	s_sub_co_i32 s97, s96, s34
	s_cmp_ge_u32 s96, s34
	s_cselect_b32 s96, s97, s96
	s_delay_alu instid0(SALU_CYCLE_1)
	s_sub_co_i32 s97, s96, s34
	s_cmp_ge_u32 s96, s34
	s_cselect_b32 s96, s97, s96
	s_mov_b32 s97, exec_lo
	s_sub_co_i32 s98, s44, s96
	s_mov_b32 s96, 0
	s_mov_b32 s44, 0
	v_cmpx_gt_u32_e64 s98, v0
	s_cbranch_execz .LBB52_208
; %bb.200:                              ;   in Loop: Header=BB52_15 Depth=1
	v_dual_mov_b32 v44, v21 :: v_dual_mov_b32 v45, v0
                                        ; implicit-def: $sgpr99
	s_branch .LBB52_203
.LBB52_201:                             ;   in Loop: Header=BB52_203 Depth=2
	s_or_b32 exec_lo, exec_lo, s100
	s_wait_dscnt 0x0
	s_barrier_signal -1
	s_barrier_wait -1
	ds_load_b128 v[8:11], v23 offset:3072
	s_mov_b32 s100, -1
	s_mov_b32 s101, -1
	s_wait_dscnt 0x0
	s_barrier_signal -1
	s_barrier_wait -1
	v_cmp_ne_u64_e32 vcc_lo, 0, v[8:9]
	s_cbranch_vccz .LBB52_206
.LBB52_202:                             ;   in Loop: Header=BB52_203 Depth=2
	s_and_b32 s100, exec_lo, s100
	s_delay_alu instid0(SALU_CYCLE_1) | instskip(SKIP_2) | instid1(SALU_CYCLE_1)
	s_or_b32 s44, s100, s44
	s_and_not1_b32 s99, s99, exec_lo
	s_and_b32 s100, s101, exec_lo
	s_or_b32 s99, s99, s100
	s_and_not1_b32 exec_lo, exec_lo, s44
	s_cbranch_execz .LBB52_207
.LBB52_203:                             ;   Parent Loop BB52_15 Depth=1
                                        ; =>  This Inner Loop Header: Depth=2
	s_mov_b32 s100, exec_lo
	s_delay_alu instid0(VALU_DEP_1)
	v_cmpx_gt_u32_e64 s95, v45
	s_cbranch_execz .LBB52_201
; %bb.204:                              ;   in Loop: Header=BB52_203 Depth=2
	ds_load_b64 v[4:5], v44
	s_wait_dscnt 0x0
	v_xor_b32_e32 v3, 0x80000000, v5
	v_and_b32_e32 v8, v4, v12
	s_delay_alu instid0(VALU_DEP_2) | instskip(NEXT) | instid1(VALU_DEP_1)
	v_and_b32_e32 v9, v3, v13
	v_cmp_eq_u64_e32 vcc_lo, v[8:9], v[14:15]
	s_and_b32 exec_lo, exec_lo, vcc_lo
	s_cbranch_execz .LBB52_201
; %bb.205:                              ;   in Loop: Header=BB52_203 Depth=2
	v_mov_b32_e32 v3, v23
	ds_store_b128 v23, v[2:5] offset:3072
	s_branch .LBB52_201
.LBB52_206:                             ;   in Loop: Header=BB52_203 Depth=2
	v_dual_add_nc_u32 v45, s34, v45 :: v_dual_add_nc_u32 v44, s78, v44
	s_mov_b32 s101, 0
	s_delay_alu instid0(VALU_DEP_1)
	v_cmp_le_u32_e32 vcc_lo, s98, v45
	s_or_not1_b32 s100, vcc_lo, exec_lo
	s_branch .LBB52_202
.LBB52_207:                             ;   in Loop: Header=BB52_15 Depth=1
	s_or_b32 exec_lo, exec_lo, s44
	s_delay_alu instid0(SALU_CYCLE_1)
	s_and_b32 s44, s99, exec_lo
.LBB52_208:                             ;   in Loop: Header=BB52_15 Depth=1
	s_or_b32 exec_lo, exec_lo, s97
.LBB52_209:                             ;   in Loop: Header=BB52_15 Depth=1
	s_delay_alu instid0(SALU_CYCLE_1)
	s_and_b32 vcc_lo, exec_lo, s96
	s_cbranch_vccz .LBB52_220
; %bb.210:                              ;   in Loop: Header=BB52_15 Depth=1
                                        ; implicit-def: $vgpr10_vgpr11
	s_and_saveexec_b32 s92, s9
	s_cbranch_execz .LBB52_219
; %bb.211:                              ;   in Loop: Header=BB52_15 Depth=1
	v_dual_mov_b32 v44, v20 :: v_dual_mov_b32 v45, v0
	s_mov_b32 s93, 0
                                        ; implicit-def: $sgpr95
	s_branch .LBB52_214
.LBB52_212:                             ;   in Loop: Header=BB52_214 Depth=2
	s_or_b32 exec_lo, exec_lo, s96
	s_wait_dscnt 0x0
	s_barrier_signal -1
	s_barrier_wait -1
	ds_load_b128 v[8:11], v23 offset:3072
	s_mov_b32 s96, -1
	s_mov_b32 s97, -1
	s_wait_dscnt 0x0
	s_barrier_signal -1
	s_barrier_wait -1
	v_cmp_eq_u64_e32 vcc_lo, 0, v[8:9]
	s_cbranch_vccnz .LBB52_217
.LBB52_213:                             ;   in Loop: Header=BB52_214 Depth=2
	s_and_b32 s96, exec_lo, s96
	s_delay_alu instid0(SALU_CYCLE_1) | instskip(SKIP_2) | instid1(SALU_CYCLE_1)
	s_or_b32 s93, s96, s93
	s_and_not1_b32 s95, s95, exec_lo
	s_and_b32 s96, s97, exec_lo
	s_or_b32 s95, s95, s96
	s_and_not1_b32 exec_lo, exec_lo, s93
	s_cbranch_execz .LBB52_218
.LBB52_214:                             ;   Parent Loop BB52_15 Depth=1
                                        ; =>  This Inner Loop Header: Depth=2
	s_mov_b32 s96, exec_lo
	s_delay_alu instid0(VALU_DEP_1)
	v_cmpx_gt_u32_e64 s36, v45
	s_cbranch_execz .LBB52_212
; %bb.215:                              ;   in Loop: Header=BB52_214 Depth=2
	global_load_b64 v[4:5], v44, s[30:31] scale_offset
	s_wait_loadcnt 0x0
	v_xor_b32_e32 v3, 0x80000000, v5
	v_and_b32_e32 v8, v4, v12
	s_delay_alu instid0(VALU_DEP_2) | instskip(NEXT) | instid1(VALU_DEP_1)
	v_and_b32_e32 v9, v3, v13
	v_cmp_eq_u64_e32 vcc_lo, v[8:9], v[14:15]
	s_and_b32 exec_lo, exec_lo, vcc_lo
	s_cbranch_execz .LBB52_212
; %bb.216:                              ;   in Loop: Header=BB52_214 Depth=2
	v_mov_b32_e32 v3, v23
	ds_store_b128 v23, v[2:5] offset:3072
	s_branch .LBB52_212
.LBB52_217:                             ;   in Loop: Header=BB52_214 Depth=2
	v_dual_add_nc_u32 v45, s34, v45 :: v_dual_add_nc_u32 v44, s40, v44
	s_mov_b32 s97, 0
	s_delay_alu instid0(VALU_DEP_1)
	v_cmp_le_u32_e32 vcc_lo, s75, v45
	s_or_not1_b32 s96, vcc_lo, exec_lo
	s_branch .LBB52_213
.LBB52_218:                             ;   in Loop: Header=BB52_15 Depth=1
	s_or_b32 exec_lo, exec_lo, s93
	s_delay_alu instid0(SALU_CYCLE_1) | instskip(SKIP_1) | instid1(SALU_CYCLE_1)
	s_and_not1_b32 s44, s44, exec_lo
	s_and_b32 s93, s95, exec_lo
	s_or_b32 s44, s44, s93
.LBB52_219:                             ;   in Loop: Header=BB52_15 Depth=1
	s_or_b32 exec_lo, exec_lo, s92
	s_mov_b32 s92, 0
	s_mov_b32 s93, -1
.LBB52_220:                             ;   in Loop: Header=BB52_15 Depth=1
	s_or_not1_b32 s95, s44, exec_lo
.LBB52_221:                             ;   in Loop: Header=BB52_15 Depth=1
	s_or_b32 exec_lo, exec_lo, s94
	s_mov_b32 s94, 0
	s_and_saveexec_b32 s44, s95
	s_cbranch_execz .LBB52_232
; %bb.222:                              ;   in Loop: Header=BB52_15 Depth=1
	v_dual_mov_b32 v22, 1 :: v_dual_mov_b32 v3, 1
	s_xor_b32 s94, s55, -1
	s_delay_alu instid0(SALU_CYCLE_1)
	s_and_saveexec_b32 s55, s94
	s_cbranch_execz .LBB52_231
; %bb.223:                              ;   in Loop: Header=BB52_15 Depth=1
	s_mov_b32 s94, exec_lo
	v_cmpx_ge_u32_e64 s20, v43
	s_xor_b32 s94, exec_lo, s94
	s_cbranch_execz .LBB52_228
; %bb.224:                              ;   in Loop: Header=BB52_15 Depth=1
	ds_load_b32 v3, v23 offset:4096
	v_or_b32_e32 v15, s13, v15
	v_or_b32_e32 v14, s12, v14
	;; [unrolled: 1-line block ×4, first 2 shown]
	s_wait_dscnt 0x0
	v_cmp_ne_u32_e32 vcc_lo, 0, v3
	s_cbranch_vccnz .LBB52_228
; %bb.225:                              ;   in Loop: Header=BB52_15 Depth=1
	s_and_saveexec_b32 s95, s5
; %bb.226:                              ;   in Loop: Header=BB52_15 Depth=1
	v_mov_b32_e32 v3, s20
	ds_store_b32 v23, v3 offset:4100
; %bb.227:                              ;   in Loop: Header=BB52_15 Depth=1
	s_or_b32 exec_lo, exec_lo, s95
	s_wait_dscnt 0x0
	s_barrier_signal -1
	s_barrier_wait -1
.LBB52_228:                             ;   in Loop: Header=BB52_15 Depth=1
	s_and_not1_saveexec_b32 s94, s94
; %bb.229:                              ;   in Loop: Header=BB52_15 Depth=1
	v_subrev_nc_u32_e32 v43, s20, v43
; %bb.230:                              ;   in Loop: Header=BB52_15 Depth=1
	s_or_b32 exec_lo, exec_lo, s94
	s_delay_alu instid0(VALU_DEP_1)
	v_dual_mov_b32 v22, 8 :: v_dual_mov_b32 v3, v43
.LBB52_231:                             ;   in Loop: Header=BB52_15 Depth=1
	s_or_b32 exec_lo, exec_lo, s55
	s_delay_alu instid0(VALU_DEP_1)
	v_mov_b32_e32 v43, v3
	s_mov_b32 s94, exec_lo
.LBB52_232:                             ;   in Loop: Header=BB52_15 Depth=1
	s_or_b32 exec_lo, exec_lo, s44
	s_delay_alu instid0(SALU_CYCLE_1)
	s_or_not1_b32 s44, s94, exec_lo
.LBB52_233:                             ;   in Loop: Header=BB52_15 Depth=1
	s_or_b32 exec_lo, exec_lo, s54
	v_mov_b32_e32 v44, v43
	s_and_not1_b32 s52, s52, exec_lo
	s_and_b32 s54, s93, exec_lo
	s_and_not1_b32 s29, s29, exec_lo
	s_and_b32 s55, s92, exec_lo
	s_or_b32 s52, s52, s54
	s_or_b32 s29, s29, s55
	s_and_b32 s55, s44, exec_lo
.LBB52_234:                             ;   in Loop: Header=BB52_15 Depth=1
	s_or_b32 exec_lo, exec_lo, s53
	s_delay_alu instid0(SALU_CYCLE_1)
	s_or_not1_b32 s44, s55, exec_lo
.LBB52_235:                             ;   in Loop: Header=BB52_15 Depth=1
	s_or_b32 exec_lo, exec_lo, s28
	v_mov_b32_e32 v43, v44
	s_and_not1_b32 s26, s26, exec_lo
	s_and_b32 s28, s52, exec_lo
	s_and_not1_b32 s21, s21, exec_lo
	s_and_b32 s29, s29, exec_lo
	s_or_b32 s26, s26, s28
	s_or_b32 s21, s21, s29
	s_and_b32 s44, s44, exec_lo
.LBB52_236:                             ;   in Loop: Header=BB52_15 Depth=1
	s_or_b32 exec_lo, exec_lo, s27
	s_delay_alu instid0(SALU_CYCLE_1)
	s_or_not1_b32 s27, s44, exec_lo
.LBB52_237:                             ;   in Loop: Header=BB52_15 Depth=1
	s_or_b32 exec_lo, exec_lo, s11
	s_mov_b32 s28, 0
	s_mov_b32 s29, 0
	s_and_saveexec_b32 s11, s27
	s_delay_alu instid0(SALU_CYCLE_1)
	s_xor_b32 s27, exec_lo, s11
; %bb.238:                              ;   in Loop: Header=BB52_15 Depth=1
	v_cmp_ne_u32_e32 vcc_lo, 8, v22
	v_cmp_eq_u32_e64 s11, 8, v22
	s_and_b32 s29, vcc_lo, exec_lo
	s_and_b32 s28, s11, exec_lo
; %bb.239:                              ;   in Loop: Header=BB52_15 Depth=1
	s_or_b32 exec_lo, exec_lo, s27
	s_delay_alu instid0(SALU_CYCLE_1)
	s_and_not1_b32 s11, s23, exec_lo
	s_and_b32 s23, s26, exec_lo
	s_and_not1_b32 s22, s22, exec_lo
	s_and_b32 s21, s21, exec_lo
	s_or_b32 s23, s11, s23
	s_or_b32 s22, s22, s21
	s_and_b32 s11, s29, exec_lo
	s_and_b32 s21, s28, exec_lo
.LBB52_240:                             ;   in Loop: Header=BB52_15 Depth=1
	s_or_b32 exec_lo, exec_lo, s25
.LBB52_241:                             ;   in Loop: Header=BB52_15 Depth=1
	s_delay_alu instid0(SALU_CYCLE_1)
	s_and_b32 vcc_lo, exec_lo, s24
	s_cbranch_vccz .LBB52_254
; %bb.242:                              ;   in Loop: Header=BB52_15 Depth=1
	s_cmp_eq_u32 s20, 1
	s_mov_b32 s23, -1
	s_cselect_b32 s16, -1, 0
                                        ; implicit-def: $sgpr24
	s_delay_alu instid0(SALU_CYCLE_1) | instskip(NEXT) | instid1(SALU_CYCLE_1)
	s_and_b32 s10, s16, s10
                                        ; implicit-def: $sgpr16
	s_and_saveexec_b32 s22, s10
	s_cbranch_execz .LBB52_269
; %bb.243:                              ;   in Loop: Header=BB52_15 Depth=1
	ds_load_b32 v3, v23 offset:4096
	s_wait_dscnt 0x0
	s_barrier_signal -1
	s_barrier_wait -1
	v_readfirstlane_b32 s25, v3
	s_and_saveexec_b32 s16, s6
; %bb.244:                              ;   in Loop: Header=BB52_15 Depth=1
	ds_store_b64 v32, v[28:29]
; %bb.245:                              ;   in Loop: Header=BB52_15 Depth=1
	s_or_b32 exec_lo, exec_lo, s16
	v_or_b32_e32 v27, s13, v27
	v_or_b32_e32 v26, s12, v26
	;; [unrolled: 1-line block ×4, first 2 shown]
	s_mov_b32 s16, -1
	s_mov_b32 s24, 0
	s_cmp_eq_u32 s25, 0
	s_mov_b32 s23, 0
	s_mov_b32 s26, -1
	s_wait_dscnt 0x0
	s_barrier_signal -1
	s_barrier_wait -1
                                        ; implicit-def: $vgpr6_vgpr7
	s_cbranch_scc1 .LBB52_257
; %bb.246:                              ;   in Loop: Header=BB52_15 Depth=1
	s_add_co_i32 s44, s25, s65
                                        ; implicit-def: $vgpr6_vgpr7
	s_delay_alu instid0(SALU_CYCLE_1) | instskip(NEXT) | instid1(SALU_CYCLE_1)
	s_mul_u64 s[26:27], s[44:45], s[48:49]
	s_mul_i32 s23, s27, s34
	s_mov_b32 s27, exec_lo
	s_sub_co_i32 s23, s44, s23
	s_delay_alu instid0(SALU_CYCLE_1) | instskip(SKIP_2) | instid1(SALU_CYCLE_1)
	s_sub_co_i32 s26, s23, s34
	s_cmp_ge_u32 s23, s34
	s_cselect_b32 s23, s26, s23
	s_sub_co_i32 s26, s23, s34
	s_cmp_ge_u32 s23, s34
	s_cselect_b32 s23, s26, s23
	s_mov_b32 s26, 0
	s_sub_co_i32 s28, s44, s23
	s_mov_b32 s23, 0
	v_cmpx_gt_u32_e64 s28, v0
	s_cbranch_execz .LBB52_256
; %bb.247:                              ;   in Loop: Header=BB52_15 Depth=1
	v_dual_mov_b32 v8, v21 :: v_dual_mov_b32 v9, v0
                                        ; implicit-def: $sgpr29
	s_branch .LBB52_250
.LBB52_248:                             ;   in Loop: Header=BB52_250 Depth=2
	s_or_b32 exec_lo, exec_lo, s44
	s_wait_dscnt 0x0
	s_barrier_signal -1
	s_barrier_wait -1
	ds_load_b128 v[4:7], v23 offset:3072
	s_mov_b32 s44, -1
	s_mov_b32 s52, -1
	s_wait_dscnt 0x0
	s_barrier_signal -1
	s_barrier_wait -1
	v_cmp_ne_u64_e32 vcc_lo, 0, v[4:5]
	s_cbranch_vccz .LBB52_253
.LBB52_249:                             ;   in Loop: Header=BB52_250 Depth=2
	s_and_b32 s44, exec_lo, s44
	s_delay_alu instid0(SALU_CYCLE_1) | instskip(SKIP_2) | instid1(SALU_CYCLE_1)
	s_or_b32 s23, s44, s23
	s_and_not1_b32 s29, s29, exec_lo
	s_and_b32 s44, s52, exec_lo
	s_or_b32 s29, s29, s44
	s_and_not1_b32 exec_lo, exec_lo, s23
	s_cbranch_execz .LBB52_255
.LBB52_250:                             ;   Parent Loop BB52_15 Depth=1
                                        ; =>  This Inner Loop Header: Depth=2
	s_mov_b32 s44, exec_lo
	s_delay_alu instid0(VALU_DEP_1)
	v_cmpx_gt_u32_e64 s25, v9
	s_cbranch_execz .LBB52_248
; %bb.251:                              ;   in Loop: Header=BB52_250 Depth=2
	ds_load_b64 v[4:5], v8
	s_wait_dscnt 0x0
	v_xor_b32_e32 v3, 0x80000000, v5
	v_and_b32_e32 v6, v4, v30
	s_delay_alu instid0(VALU_DEP_2) | instskip(NEXT) | instid1(VALU_DEP_1)
	v_and_b32_e32 v7, v3, v31
	v_cmp_eq_u64_e32 vcc_lo, v[6:7], v[26:27]
	s_and_b32 exec_lo, exec_lo, vcc_lo
	s_cbranch_execz .LBB52_248
; %bb.252:                              ;   in Loop: Header=BB52_250 Depth=2
	v_mov_b32_e32 v3, v23
	ds_store_b128 v23, v[2:5] offset:3072
	s_branch .LBB52_248
.LBB52_253:                             ;   in Loop: Header=BB52_250 Depth=2
	v_dual_add_nc_u32 v9, s34, v9 :: v_dual_add_nc_u32 v8, s78, v8
	s_mov_b32 s52, 0
	s_delay_alu instid0(VALU_DEP_1)
	v_cmp_le_u32_e32 vcc_lo, s28, v9
	s_or_not1_b32 s44, vcc_lo, exec_lo
	s_branch .LBB52_249
.LBB52_254:                             ;   in Loop: Header=BB52_15 Depth=1
	v_mov_b64_e32 v[26:27], v[14:15]
	v_mov_b64_e32 v[30:31], v[12:13]
	;; [unrolled: 1-line block ×3, first 2 shown]
	s_mov_b32 s24, 0
	s_and_saveexec_b32 s10, s21
	s_cbranch_execnz .LBB52_400
	s_branch .LBB52_401
.LBB52_255:                             ;   in Loop: Header=BB52_15 Depth=1
	s_or_b32 exec_lo, exec_lo, s23
	s_delay_alu instid0(SALU_CYCLE_1)
	s_and_b32 s23, s29, exec_lo
.LBB52_256:                             ;   in Loop: Header=BB52_15 Depth=1
	s_or_b32 exec_lo, exec_lo, s27
.LBB52_257:                             ;   in Loop: Header=BB52_15 Depth=1
	s_delay_alu instid0(SALU_CYCLE_1)
	s_and_b32 vcc_lo, exec_lo, s26
	s_cbranch_vccz .LBB52_268
; %bb.258:                              ;   in Loop: Header=BB52_15 Depth=1
                                        ; implicit-def: $vgpr6_vgpr7
	s_and_saveexec_b32 s16, s9
	s_cbranch_execz .LBB52_267
; %bb.259:                              ;   in Loop: Header=BB52_15 Depth=1
	v_dual_mov_b32 v8, v20 :: v_dual_mov_b32 v9, v0
	s_mov_b32 s25, 0
                                        ; implicit-def: $sgpr24
	s_branch .LBB52_262
.LBB52_260:                             ;   in Loop: Header=BB52_262 Depth=2
	s_or_b32 exec_lo, exec_lo, s26
	s_wait_dscnt 0x0
	s_barrier_signal -1
	s_barrier_wait -1
	ds_load_b128 v[4:7], v23 offset:3072
	s_mov_b32 s26, -1
	s_mov_b32 s27, -1
	s_wait_dscnt 0x0
	s_barrier_signal -1
	s_barrier_wait -1
	v_cmp_ne_u64_e32 vcc_lo, 0, v[4:5]
	s_cbranch_vccz .LBB52_265
.LBB52_261:                             ;   in Loop: Header=BB52_262 Depth=2
	s_and_b32 s26, exec_lo, s26
	s_delay_alu instid0(SALU_CYCLE_1) | instskip(SKIP_2) | instid1(SALU_CYCLE_1)
	s_or_b32 s25, s26, s25
	s_and_not1_b32 s24, s24, exec_lo
	s_and_b32 s26, s27, exec_lo
	s_or_b32 s24, s24, s26
	s_and_not1_b32 exec_lo, exec_lo, s25
	s_cbranch_execz .LBB52_266
.LBB52_262:                             ;   Parent Loop BB52_15 Depth=1
                                        ; =>  This Inner Loop Header: Depth=2
	s_mov_b32 s26, exec_lo
	s_delay_alu instid0(VALU_DEP_1)
	v_cmpx_gt_u32_e64 s36, v9
	s_cbranch_execz .LBB52_260
; %bb.263:                              ;   in Loop: Header=BB52_262 Depth=2
	global_load_b64 v[4:5], v8, s[30:31] scale_offset
	s_wait_loadcnt 0x0
	v_xor_b32_e32 v3, 0x80000000, v5
	v_and_b32_e32 v6, v4, v30
	s_delay_alu instid0(VALU_DEP_2) | instskip(NEXT) | instid1(VALU_DEP_1)
	v_and_b32_e32 v7, v3, v31
	v_cmp_eq_u64_e32 vcc_lo, v[6:7], v[26:27]
	s_and_b32 exec_lo, exec_lo, vcc_lo
	s_cbranch_execz .LBB52_260
; %bb.264:                              ;   in Loop: Header=BB52_262 Depth=2
	v_mov_b32_e32 v3, v23
	ds_store_b128 v23, v[2:5] offset:3072
	s_branch .LBB52_260
.LBB52_265:                             ;   in Loop: Header=BB52_262 Depth=2
	v_dual_add_nc_u32 v9, s34, v9 :: v_dual_add_nc_u32 v8, s40, v8
	s_mov_b32 s27, 0
	s_delay_alu instid0(VALU_DEP_1)
	v_cmp_le_u32_e32 vcc_lo, s75, v9
	s_or_not1_b32 s26, vcc_lo, exec_lo
	s_branch .LBB52_261
.LBB52_266:                             ;   in Loop: Header=BB52_15 Depth=1
	s_or_b32 exec_lo, exec_lo, s25
	s_delay_alu instid0(SALU_CYCLE_1) | instskip(SKIP_1) | instid1(SALU_CYCLE_1)
	s_and_not1_b32 s23, s23, exec_lo
	s_and_b32 s24, s24, exec_lo
	s_or_b32 s23, s23, s24
.LBB52_267:                             ;   in Loop: Header=BB52_15 Depth=1
	s_or_b32 exec_lo, exec_lo, s16
	s_mov_b32 s16, 0
	s_mov_b32 s24, -1
.LBB52_268:                             ;   in Loop: Header=BB52_15 Depth=1
	s_or_not1_b32 s23, s23, exec_lo
.LBB52_269:                             ;   in Loop: Header=BB52_15 Depth=1
	s_or_b32 exec_lo, exec_lo, s22
                                        ; implicit-def: $vgpr43
                                        ; implicit-def: $vgpr22
	s_and_saveexec_b32 s22, s23
	s_cbranch_execz .LBB52_399
; %bb.270:                              ;   in Loop: Header=BB52_15 Depth=1
	v_dual_mov_b32 v43, 1 :: v_dual_mov_b32 v22, 1
	s_xor_b32 s23, s10, -1
	s_mov_b32 s26, 0
	s_and_saveexec_b32 s10, s23
	s_cbranch_execz .LBB52_279
; %bb.271:                              ;   in Loop: Header=BB52_15 Depth=1
	s_mov_b32 s23, exec_lo
	v_cmpx_ge_u32_e64 s20, v42
	s_xor_b32 s23, exec_lo, s23
	s_cbranch_execz .LBB52_276
; %bb.272:                              ;   in Loop: Header=BB52_15 Depth=1
	ds_load_b32 v3, v23 offset:4096
	v_or_b32_e32 v27, s13, v27
	v_or_b32_e32 v26, s12, v26
	;; [unrolled: 1-line block ×4, first 2 shown]
	s_wait_dscnt 0x0
	v_cmp_ne_u32_e32 vcc_lo, 0, v3
	s_cbranch_vccnz .LBB52_276
; %bb.273:                              ;   in Loop: Header=BB52_15 Depth=1
	s_and_saveexec_b32 s25, s5
; %bb.274:                              ;   in Loop: Header=BB52_15 Depth=1
	v_mov_b32_e32 v3, s20
	ds_store_b32 v23, v3 offset:4100
; %bb.275:                              ;   in Loop: Header=BB52_15 Depth=1
	s_or_b32 exec_lo, exec_lo, s25
	s_wait_dscnt 0x0
	s_barrier_signal -1
	s_barrier_wait -1
.LBB52_276:                             ;   in Loop: Header=BB52_15 Depth=1
	s_or_saveexec_b32 s23, s23
	v_mov_b32_e32 v22, 5
	s_mov_b32 s25, 0
	s_xor_b32 exec_lo, exec_lo, s23
; %bb.277:                              ;   in Loop: Header=BB52_15 Depth=1
	v_subrev_nc_u32_e32 v42, s20, v42
	v_mov_b32_e32 v22, 0
	s_mov_b32 s25, exec_lo
; %bb.278:                              ;   in Loop: Header=BB52_15 Depth=1
	s_or_b32 exec_lo, exec_lo, s23
	s_delay_alu instid0(VALU_DEP_2)
	v_mov_b32_e32 v43, v42
	s_and_b32 s26, s25, exec_lo
.LBB52_279:                             ;   in Loop: Header=BB52_15 Depth=1
	s_or_b32 exec_lo, exec_lo, s10
	s_mov_b32 s25, -1
                                        ; implicit-def: $sgpr20
                                        ; implicit-def: $sgpr23
	s_and_saveexec_b32 s10, s26
	s_delay_alu instid0(SALU_CYCLE_1)
	s_xor_b32 s10, exec_lo, s10
	s_cbranch_execz .LBB52_396
; %bb.280:                              ;   in Loop: Header=BB52_15 Depth=1
	v_cmp_eq_u32_e32 vcc_lo, 1, v43
	s_cmp_eq_u32 s19, 1
	s_mov_b32 s27, -1
	s_cselect_b32 s20, -1, 0
                                        ; implicit-def: $sgpr23
	s_delay_alu instid0(SALU_CYCLE_1) | instskip(NEXT) | instid1(SALU_CYCLE_1)
	s_and_b32 s26, s20, vcc_lo
                                        ; implicit-def: $sgpr20
	s_and_saveexec_b32 s25, s26
	s_cbranch_execz .LBB52_306
; %bb.281:                              ;   in Loop: Header=BB52_15 Depth=1
	ds_load_b32 v3, v23 offset:4096
	s_wait_dscnt 0x0
	s_barrier_signal -1
	s_barrier_wait -1
	v_readfirstlane_b32 s28, v3
	s_and_saveexec_b32 s20, s6
; %bb.282:                              ;   in Loop: Header=BB52_15 Depth=1
	ds_store_b64 v32, v[28:29]
; %bb.283:                              ;   in Loop: Header=BB52_15 Depth=1
	s_or_b32 exec_lo, exec_lo, s20
	v_and_b32_e32 v3, s15, v27
	v_and_b32_e32 v4, s14, v26
	s_lshl_b64 s[52:53], 2, s79
	v_or_b32_e32 v31, s13, v31
	v_or_b32_e32 v30, s12, v30
	;; [unrolled: 1-line block ×4, first 2 shown]
	s_mov_b32 s20, -1
	s_mov_b32 s23, 0
	s_cmp_eq_u32 s28, 0
	s_mov_b32 s27, 0
	s_mov_b32 s29, -1
	s_wait_dscnt 0x0
	s_barrier_signal -1
	s_barrier_wait -1
                                        ; implicit-def: $vgpr6_vgpr7
	s_cbranch_scc1 .LBB52_294
; %bb.284:                              ;   in Loop: Header=BB52_15 Depth=1
	s_add_co_i32 s44, s28, s65
                                        ; implicit-def: $vgpr6_vgpr7
	s_delay_alu instid0(SALU_CYCLE_1) | instskip(NEXT) | instid1(SALU_CYCLE_1)
	s_mul_u64 s[52:53], s[44:45], s[48:49]
	s_mul_i32 s27, s53, s34
	s_delay_alu instid0(SALU_CYCLE_1) | instskip(NEXT) | instid1(SALU_CYCLE_1)
	s_sub_co_i32 s27, s44, s27
	s_sub_co_i32 s29, s27, s34
	s_cmp_ge_u32 s27, s34
	s_cselect_b32 s27, s29, s27
	s_delay_alu instid0(SALU_CYCLE_1)
	s_sub_co_i32 s29, s27, s34
	s_cmp_ge_u32 s27, s34
	s_cselect_b32 s27, s29, s27
	s_mov_b32 s29, 0
	s_sub_co_i32 s52, s44, s27
	s_mov_b32 s27, 0
	s_mov_b32 s44, exec_lo
	v_cmpx_gt_u32_e64 s52, v0
	s_cbranch_execz .LBB52_293
; %bb.285:                              ;   in Loop: Header=BB52_15 Depth=1
	v_dual_mov_b32 v8, v21 :: v_dual_mov_b32 v9, v0
                                        ; implicit-def: $sgpr53
	s_branch .LBB52_288
.LBB52_286:                             ;   in Loop: Header=BB52_288 Depth=2
	s_or_b32 exec_lo, exec_lo, s54
	s_wait_dscnt 0x0
	s_barrier_signal -1
	s_barrier_wait -1
	ds_load_b128 v[4:7], v23 offset:3072
	s_mov_b32 s54, -1
	s_mov_b32 s55, -1
	s_wait_dscnt 0x0
	s_barrier_signal -1
	s_barrier_wait -1
	v_cmp_ne_u64_e32 vcc_lo, 0, v[4:5]
	s_cbranch_vccz .LBB52_291
.LBB52_287:                             ;   in Loop: Header=BB52_288 Depth=2
	s_and_b32 s54, exec_lo, s54
	s_delay_alu instid0(SALU_CYCLE_1) | instskip(SKIP_2) | instid1(SALU_CYCLE_1)
	s_or_b32 s27, s54, s27
	s_and_not1_b32 s53, s53, exec_lo
	s_and_b32 s54, s55, exec_lo
	s_or_b32 s53, s53, s54
	s_and_not1_b32 exec_lo, exec_lo, s27
	s_cbranch_execz .LBB52_292
.LBB52_288:                             ;   Parent Loop BB52_15 Depth=1
                                        ; =>  This Inner Loop Header: Depth=2
	s_mov_b32 s54, exec_lo
	s_delay_alu instid0(VALU_DEP_1)
	v_cmpx_gt_u32_e64 s28, v9
	s_cbranch_execz .LBB52_286
; %bb.289:                              ;   in Loop: Header=BB52_288 Depth=2
	ds_load_b64 v[4:5], v8
	s_wait_dscnt 0x0
	v_xor_b32_e32 v3, 0x80000000, v5
	v_and_b32_e32 v6, v4, v30
	s_delay_alu instid0(VALU_DEP_2) | instskip(NEXT) | instid1(VALU_DEP_1)
	v_and_b32_e32 v7, v3, v31
	v_cmp_eq_u64_e32 vcc_lo, v[6:7], v[26:27]
	s_and_b32 exec_lo, exec_lo, vcc_lo
	s_cbranch_execz .LBB52_286
; %bb.290:                              ;   in Loop: Header=BB52_288 Depth=2
	v_mov_b32_e32 v3, v23
	ds_store_b128 v23, v[2:5] offset:3072
	s_branch .LBB52_286
.LBB52_291:                             ;   in Loop: Header=BB52_288 Depth=2
	v_dual_add_nc_u32 v9, s34, v9 :: v_dual_add_nc_u32 v8, s78, v8
	s_mov_b32 s55, 0
	s_delay_alu instid0(VALU_DEP_1)
	v_cmp_le_u32_e32 vcc_lo, s52, v9
	s_or_not1_b32 s54, vcc_lo, exec_lo
	s_branch .LBB52_287
.LBB52_292:                             ;   in Loop: Header=BB52_15 Depth=1
	s_or_b32 exec_lo, exec_lo, s27
	s_delay_alu instid0(SALU_CYCLE_1)
	s_and_b32 s27, s53, exec_lo
.LBB52_293:                             ;   in Loop: Header=BB52_15 Depth=1
	s_or_b32 exec_lo, exec_lo, s44
.LBB52_294:                             ;   in Loop: Header=BB52_15 Depth=1
	s_delay_alu instid0(SALU_CYCLE_1)
	s_and_b32 vcc_lo, exec_lo, s29
	s_cbranch_vccz .LBB52_305
; %bb.295:                              ;   in Loop: Header=BB52_15 Depth=1
                                        ; implicit-def: $vgpr6_vgpr7
	s_and_saveexec_b32 s20, s9
	s_cbranch_execz .LBB52_304
; %bb.296:                              ;   in Loop: Header=BB52_15 Depth=1
	v_dual_mov_b32 v8, v20 :: v_dual_mov_b32 v9, v0
	s_mov_b32 s23, 0
                                        ; implicit-def: $sgpr28
	s_branch .LBB52_299
.LBB52_297:                             ;   in Loop: Header=BB52_299 Depth=2
	s_or_b32 exec_lo, exec_lo, s29
	s_wait_dscnt 0x0
	s_barrier_signal -1
	s_barrier_wait -1
	ds_load_b128 v[4:7], v23 offset:3072
	s_mov_b32 s29, -1
	s_mov_b32 s44, -1
	s_wait_dscnt 0x0
	s_barrier_signal -1
	s_barrier_wait -1
	v_cmp_eq_u64_e32 vcc_lo, 0, v[4:5]
	s_cbranch_vccnz .LBB52_302
.LBB52_298:                             ;   in Loop: Header=BB52_299 Depth=2
	s_and_b32 s29, exec_lo, s29
	s_delay_alu instid0(SALU_CYCLE_1) | instskip(SKIP_2) | instid1(SALU_CYCLE_1)
	s_or_b32 s23, s29, s23
	s_and_not1_b32 s28, s28, exec_lo
	s_and_b32 s29, s44, exec_lo
	s_or_b32 s28, s28, s29
	s_and_not1_b32 exec_lo, exec_lo, s23
	s_cbranch_execz .LBB52_303
.LBB52_299:                             ;   Parent Loop BB52_15 Depth=1
                                        ; =>  This Inner Loop Header: Depth=2
	s_mov_b32 s29, exec_lo
	s_delay_alu instid0(VALU_DEP_1)
	v_cmpx_gt_u32_e64 s36, v9
	s_cbranch_execz .LBB52_297
; %bb.300:                              ;   in Loop: Header=BB52_299 Depth=2
	global_load_b64 v[4:5], v8, s[30:31] scale_offset
	s_wait_loadcnt 0x0
	v_xor_b32_e32 v3, 0x80000000, v5
	v_and_b32_e32 v6, v4, v30
	s_delay_alu instid0(VALU_DEP_2) | instskip(NEXT) | instid1(VALU_DEP_1)
	v_and_b32_e32 v7, v3, v31
	v_cmp_eq_u64_e32 vcc_lo, v[6:7], v[26:27]
	s_and_b32 exec_lo, exec_lo, vcc_lo
	s_cbranch_execz .LBB52_297
; %bb.301:                              ;   in Loop: Header=BB52_299 Depth=2
	v_mov_b32_e32 v3, v23
	ds_store_b128 v23, v[2:5] offset:3072
	s_branch .LBB52_297
.LBB52_302:                             ;   in Loop: Header=BB52_299 Depth=2
	v_dual_add_nc_u32 v9, s34, v9 :: v_dual_add_nc_u32 v8, s40, v8
	s_mov_b32 s44, 0
	s_delay_alu instid0(VALU_DEP_1)
	v_cmp_le_u32_e32 vcc_lo, s75, v9
	s_or_not1_b32 s29, vcc_lo, exec_lo
	s_branch .LBB52_298
.LBB52_303:                             ;   in Loop: Header=BB52_15 Depth=1
	s_or_b32 exec_lo, exec_lo, s23
	s_delay_alu instid0(SALU_CYCLE_1) | instskip(SKIP_1) | instid1(SALU_CYCLE_1)
	s_and_not1_b32 s23, s27, exec_lo
	s_and_b32 s27, s28, exec_lo
	s_or_b32 s27, s23, s27
.LBB52_304:                             ;   in Loop: Header=BB52_15 Depth=1
	s_or_b32 exec_lo, exec_lo, s20
	s_mov_b32 s20, 0
	s_mov_b32 s23, -1
.LBB52_305:                             ;   in Loop: Header=BB52_15 Depth=1
	s_or_not1_b32 s27, s27, exec_lo
.LBB52_306:                             ;   in Loop: Header=BB52_15 Depth=1
	s_or_b32 exec_lo, exec_lo, s25
	s_mov_b32 s28, 0
	s_and_saveexec_b32 s25, s27
	s_cbranch_execz .LBB52_395
; %bb.307:                              ;   in Loop: Header=BB52_15 Depth=1
	v_dual_mov_b32 v8, 1 :: v_dual_mov_b32 v22, 1
	s_xor_b32 s27, s26, -1
	s_mov_b32 s29, 0
	s_and_saveexec_b32 s26, s27
	s_cbranch_execz .LBB52_316
; %bb.308:                              ;   in Loop: Header=BB52_15 Depth=1
	s_mov_b32 s27, exec_lo
	v_cmpx_ge_u32_e64 s19, v43
	s_xor_b32 s27, exec_lo, s27
	s_cbranch_execz .LBB52_313
; %bb.309:                              ;   in Loop: Header=BB52_15 Depth=1
	ds_load_b32 v3, v23 offset:4096
	v_and_b32_e32 v4, s15, v27
	v_and_b32_e32 v5, s14, v26
	s_lshl_b64 s[28:29], 2, s79
	v_or_b32_e32 v31, s13, v31
	v_or_b32_e32 v30, s12, v30
	;; [unrolled: 1-line block ×4, first 2 shown]
	s_wait_dscnt 0x0
	v_cmp_ne_u32_e32 vcc_lo, 0, v3
	s_cbranch_vccnz .LBB52_313
; %bb.310:                              ;   in Loop: Header=BB52_15 Depth=1
	s_and_saveexec_b32 s28, s5
; %bb.311:                              ;   in Loop: Header=BB52_15 Depth=1
	v_mov_b32_e32 v3, s19
	ds_store_b32 v23, v3 offset:4100
; %bb.312:                              ;   in Loop: Header=BB52_15 Depth=1
	s_or_b32 exec_lo, exec_lo, s28
	s_wait_dscnt 0x0
	s_barrier_signal -1
	s_barrier_wait -1
.LBB52_313:                             ;   in Loop: Header=BB52_15 Depth=1
	s_or_saveexec_b32 s27, s27
	v_mov_b32_e32 v22, 5
	s_mov_b32 s28, 0
	s_xor_b32 exec_lo, exec_lo, s27
; %bb.314:                              ;   in Loop: Header=BB52_15 Depth=1
	v_subrev_nc_u32_e32 v43, s19, v43
	v_mov_b32_e32 v22, 0
	s_mov_b32 s28, exec_lo
; %bb.315:                              ;   in Loop: Header=BB52_15 Depth=1
	s_or_b32 exec_lo, exec_lo, s27
	s_delay_alu instid0(VALU_DEP_2)
	v_mov_b32_e32 v8, v43
	s_and_b32 s29, s28, exec_lo
.LBB52_316:                             ;   in Loop: Header=BB52_15 Depth=1
	s_or_b32 exec_lo, exec_lo, s26
	s_mov_b32 s28, -1
                                        ; implicit-def: $sgpr26
                                        ; implicit-def: $sgpr27
	s_and_saveexec_b32 s19, s29
	s_cbranch_execz .LBB52_394
; %bb.317:                              ;   in Loop: Header=BB52_15 Depth=1
	v_cmp_eq_u32_e32 vcc_lo, 1, v8
	s_cmp_eq_u32 s18, 1
	s_mov_b32 s44, -1
	s_cselect_b32 s26, -1, 0
                                        ; implicit-def: $sgpr27
	s_delay_alu instid0(SALU_CYCLE_1) | instskip(NEXT) | instid1(SALU_CYCLE_1)
	s_and_b32 s29, s26, vcc_lo
                                        ; implicit-def: $sgpr26
	s_and_saveexec_b32 s28, s29
	s_cbranch_execz .LBB52_343
; %bb.318:                              ;   in Loop: Header=BB52_15 Depth=1
	ds_load_b32 v3, v23 offset:4096
	s_wait_dscnt 0x0
	s_barrier_signal -1
	s_barrier_wait -1
	v_readfirstlane_b32 s52, v3
	s_and_saveexec_b32 s26, s6
; %bb.319:                              ;   in Loop: Header=BB52_15 Depth=1
	ds_store_b64 v32, v[28:29]
; %bb.320:                              ;   in Loop: Header=BB52_15 Depth=1
	s_or_b32 exec_lo, exec_lo, s26
	v_and_b32_e32 v3, s15, v27
	v_and_b32_e32 v4, s14, v26
	s_lshl_b64 s[26:27], 1, s79
	v_or_b32_e32 v31, s13, v31
	v_or_b32_e32 v30, s12, v30
	;; [unrolled: 1-line block ×4, first 2 shown]
	s_mov_b32 s26, -1
	s_mov_b32 s27, 0
	s_cmp_eq_u32 s52, 0
	s_mov_b32 s44, 0
	s_mov_b32 s53, -1
	s_wait_dscnt 0x0
	s_barrier_signal -1
	s_barrier_wait -1
                                        ; implicit-def: $vgpr6_vgpr7
	s_cbranch_scc1 .LBB52_331
; %bb.321:                              ;   in Loop: Header=BB52_15 Depth=1
	s_add_co_i32 s44, s52, s65
                                        ; implicit-def: $vgpr6_vgpr7
	s_delay_alu instid0(SALU_CYCLE_1) | instskip(NEXT) | instid1(SALU_CYCLE_1)
	s_mul_u64 s[54:55], s[44:45], s[48:49]
	s_mul_i32 s53, s55, s34
	s_delay_alu instid0(SALU_CYCLE_1) | instskip(NEXT) | instid1(SALU_CYCLE_1)
	s_sub_co_i32 s53, s44, s53
	s_sub_co_i32 s54, s53, s34
	s_cmp_ge_u32 s53, s34
	s_cselect_b32 s53, s54, s53
	s_delay_alu instid0(SALU_CYCLE_1)
	s_sub_co_i32 s54, s53, s34
	s_cmp_ge_u32 s53, s34
	s_cselect_b32 s53, s54, s53
	s_mov_b32 s54, exec_lo
	s_sub_co_i32 s55, s44, s53
	s_mov_b32 s53, 0
	s_mov_b32 s44, 0
	v_cmpx_gt_u32_e64 s55, v0
	s_cbranch_execz .LBB52_330
; %bb.322:                              ;   in Loop: Header=BB52_15 Depth=1
	v_dual_mov_b32 v9, v21 :: v_dual_mov_b32 v10, v0
                                        ; implicit-def: $sgpr92
	s_branch .LBB52_325
.LBB52_323:                             ;   in Loop: Header=BB52_325 Depth=2
	s_or_b32 exec_lo, exec_lo, s93
	s_wait_dscnt 0x0
	s_barrier_signal -1
	s_barrier_wait -1
	ds_load_b128 v[4:7], v23 offset:3072
	s_mov_b32 s93, -1
	s_mov_b32 s94, -1
	s_wait_dscnt 0x0
	s_barrier_signal -1
	s_barrier_wait -1
	v_cmp_ne_u64_e32 vcc_lo, 0, v[4:5]
	s_cbranch_vccz .LBB52_328
.LBB52_324:                             ;   in Loop: Header=BB52_325 Depth=2
	s_and_b32 s93, exec_lo, s93
	s_delay_alu instid0(SALU_CYCLE_1) | instskip(SKIP_2) | instid1(SALU_CYCLE_1)
	s_or_b32 s44, s93, s44
	s_and_not1_b32 s92, s92, exec_lo
	s_and_b32 s93, s94, exec_lo
	s_or_b32 s92, s92, s93
	s_and_not1_b32 exec_lo, exec_lo, s44
	s_cbranch_execz .LBB52_329
.LBB52_325:                             ;   Parent Loop BB52_15 Depth=1
                                        ; =>  This Inner Loop Header: Depth=2
	s_mov_b32 s93, exec_lo
	s_delay_alu instid0(VALU_DEP_1)
	v_cmpx_gt_u32_e64 s52, v10
	s_cbranch_execz .LBB52_323
; %bb.326:                              ;   in Loop: Header=BB52_325 Depth=2
	ds_load_b64 v[4:5], v9
	s_wait_dscnt 0x0
	v_xor_b32_e32 v3, 0x80000000, v5
	v_and_b32_e32 v6, v4, v30
	s_delay_alu instid0(VALU_DEP_2) | instskip(NEXT) | instid1(VALU_DEP_1)
	v_and_b32_e32 v7, v3, v31
	v_cmp_eq_u64_e32 vcc_lo, v[6:7], v[26:27]
	s_and_b32 exec_lo, exec_lo, vcc_lo
	s_cbranch_execz .LBB52_323
; %bb.327:                              ;   in Loop: Header=BB52_325 Depth=2
	v_mov_b32_e32 v3, v23
	ds_store_b128 v23, v[2:5] offset:3072
	s_branch .LBB52_323
.LBB52_328:                             ;   in Loop: Header=BB52_325 Depth=2
	v_dual_add_nc_u32 v10, s34, v10 :: v_dual_add_nc_u32 v9, s78, v9
	s_mov_b32 s94, 0
	s_delay_alu instid0(VALU_DEP_1)
	v_cmp_le_u32_e32 vcc_lo, s55, v10
	s_or_not1_b32 s93, vcc_lo, exec_lo
	s_branch .LBB52_324
.LBB52_329:                             ;   in Loop: Header=BB52_15 Depth=1
	s_or_b32 exec_lo, exec_lo, s44
	s_delay_alu instid0(SALU_CYCLE_1)
	s_and_b32 s44, s92, exec_lo
.LBB52_330:                             ;   in Loop: Header=BB52_15 Depth=1
	s_or_b32 exec_lo, exec_lo, s54
.LBB52_331:                             ;   in Loop: Header=BB52_15 Depth=1
	s_delay_alu instid0(SALU_CYCLE_1)
	s_and_b32 vcc_lo, exec_lo, s53
	s_cbranch_vccz .LBB52_342
; %bb.332:                              ;   in Loop: Header=BB52_15 Depth=1
                                        ; implicit-def: $vgpr6_vgpr7
	s_and_saveexec_b32 s26, s9
	s_cbranch_execz .LBB52_341
; %bb.333:                              ;   in Loop: Header=BB52_15 Depth=1
	v_dual_mov_b32 v9, v20 :: v_dual_mov_b32 v10, v0
	s_mov_b32 s27, 0
                                        ; implicit-def: $sgpr52
	s_branch .LBB52_336
.LBB52_334:                             ;   in Loop: Header=BB52_336 Depth=2
	s_or_b32 exec_lo, exec_lo, s53
	s_wait_dscnt 0x0
	s_barrier_signal -1
	s_barrier_wait -1
	ds_load_b128 v[4:7], v23 offset:3072
	s_mov_b32 s53, -1
	s_mov_b32 s54, -1
	s_wait_dscnt 0x0
	s_barrier_signal -1
	s_barrier_wait -1
	v_cmp_eq_u64_e32 vcc_lo, 0, v[4:5]
	s_cbranch_vccnz .LBB52_339
.LBB52_335:                             ;   in Loop: Header=BB52_336 Depth=2
	s_and_b32 s53, exec_lo, s53
	s_delay_alu instid0(SALU_CYCLE_1) | instskip(SKIP_2) | instid1(SALU_CYCLE_1)
	s_or_b32 s27, s53, s27
	s_and_not1_b32 s52, s52, exec_lo
	s_and_b32 s53, s54, exec_lo
	s_or_b32 s52, s52, s53
	s_and_not1_b32 exec_lo, exec_lo, s27
	s_cbranch_execz .LBB52_340
.LBB52_336:                             ;   Parent Loop BB52_15 Depth=1
                                        ; =>  This Inner Loop Header: Depth=2
	s_mov_b32 s53, exec_lo
	s_delay_alu instid0(VALU_DEP_1)
	v_cmpx_gt_u32_e64 s36, v10
	s_cbranch_execz .LBB52_334
; %bb.337:                              ;   in Loop: Header=BB52_336 Depth=2
	global_load_b64 v[4:5], v9, s[30:31] scale_offset
	s_wait_loadcnt 0x0
	v_xor_b32_e32 v3, 0x80000000, v5
	v_and_b32_e32 v6, v4, v30
	s_delay_alu instid0(VALU_DEP_2) | instskip(NEXT) | instid1(VALU_DEP_1)
	v_and_b32_e32 v7, v3, v31
	v_cmp_eq_u64_e32 vcc_lo, v[6:7], v[26:27]
	s_and_b32 exec_lo, exec_lo, vcc_lo
	s_cbranch_execz .LBB52_334
; %bb.338:                              ;   in Loop: Header=BB52_336 Depth=2
	v_mov_b32_e32 v3, v23
	ds_store_b128 v23, v[2:5] offset:3072
	s_branch .LBB52_334
.LBB52_339:                             ;   in Loop: Header=BB52_336 Depth=2
	v_dual_add_nc_u32 v10, s34, v10 :: v_dual_add_nc_u32 v9, s40, v9
	s_mov_b32 s54, 0
	s_delay_alu instid0(VALU_DEP_1)
	v_cmp_le_u32_e32 vcc_lo, s75, v10
	s_or_not1_b32 s53, vcc_lo, exec_lo
	s_branch .LBB52_335
.LBB52_340:                             ;   in Loop: Header=BB52_15 Depth=1
	s_or_b32 exec_lo, exec_lo, s27
	s_delay_alu instid0(SALU_CYCLE_1) | instskip(SKIP_1) | instid1(SALU_CYCLE_1)
	s_and_not1_b32 s27, s44, exec_lo
	s_and_b32 s44, s52, exec_lo
	s_or_b32 s44, s27, s44
.LBB52_341:                             ;   in Loop: Header=BB52_15 Depth=1
	s_or_b32 exec_lo, exec_lo, s26
	s_mov_b32 s26, 0
	s_mov_b32 s27, -1
.LBB52_342:                             ;   in Loop: Header=BB52_15 Depth=1
	s_or_not1_b32 s44, s44, exec_lo
.LBB52_343:                             ;   in Loop: Header=BB52_15 Depth=1
	s_or_b32 exec_lo, exec_lo, s28
	s_mov_b32 s52, 0
	s_and_saveexec_b32 s28, s44
	s_cbranch_execz .LBB52_393
; %bb.344:                              ;   in Loop: Header=BB52_15 Depth=1
	v_dual_mov_b32 v9, 1 :: v_dual_mov_b32 v22, 1
	s_xor_b32 s52, s29, -1
	s_mov_b32 s44, 0
	s_and_saveexec_b32 s29, s52
	s_cbranch_execz .LBB52_353
; %bb.345:                              ;   in Loop: Header=BB52_15 Depth=1
	s_mov_b32 s44, exec_lo
	v_cmpx_ge_u32_e64 s18, v8
	s_xor_b32 s44, exec_lo, s44
	s_cbranch_execz .LBB52_350
; %bb.346:                              ;   in Loop: Header=BB52_15 Depth=1
	ds_load_b32 v3, v23 offset:4096
	v_and_b32_e32 v4, s15, v27
	v_and_b32_e32 v5, s14, v26
	s_lshl_b64 s[52:53], 1, s79
	v_or_b32_e32 v31, s13, v31
	v_or_b32_e32 v30, s12, v30
	v_or_b32_e32 v27, s53, v4
	v_or_b32_e32 v26, s52, v5
	s_wait_dscnt 0x0
	v_cmp_ne_u32_e32 vcc_lo, 0, v3
	s_cbranch_vccnz .LBB52_350
; %bb.347:                              ;   in Loop: Header=BB52_15 Depth=1
	s_and_saveexec_b32 s52, s5
; %bb.348:                              ;   in Loop: Header=BB52_15 Depth=1
	v_mov_b32_e32 v3, s18
	ds_store_b32 v23, v3 offset:4100
; %bb.349:                              ;   in Loop: Header=BB52_15 Depth=1
	s_or_b32 exec_lo, exec_lo, s52
	s_wait_dscnt 0x0
	s_barrier_signal -1
	s_barrier_wait -1
.LBB52_350:                             ;   in Loop: Header=BB52_15 Depth=1
	s_or_saveexec_b32 s44, s44
	v_mov_b32_e32 v22, 5
	s_mov_b32 s52, 0
	s_xor_b32 exec_lo, exec_lo, s44
; %bb.351:                              ;   in Loop: Header=BB52_15 Depth=1
	v_subrev_nc_u32_e32 v8, s18, v8
	v_mov_b32_e32 v22, 0
	s_mov_b32 s52, exec_lo
; %bb.352:                              ;   in Loop: Header=BB52_15 Depth=1
	s_or_b32 exec_lo, exec_lo, s44
	s_delay_alu instid0(VALU_DEP_2)
	v_mov_b32_e32 v9, v8
	s_and_b32 s44, s52, exec_lo
.LBB52_353:                             ;   in Loop: Header=BB52_15 Depth=1
	s_or_b32 exec_lo, exec_lo, s29
	s_mov_b32 s29, -1
                                        ; implicit-def: $sgpr53
                                        ; implicit-def: $sgpr52
	s_and_saveexec_b32 s18, s44
	s_cbranch_execz .LBB52_392
; %bb.354:                              ;   in Loop: Header=BB52_15 Depth=1
	v_cmp_eq_u32_e32 vcc_lo, 1, v9
	s_cmp_eq_u32 s17, 1
	s_mov_b32 s55, -1
	s_cselect_b32 s29, -1, 0
                                        ; implicit-def: $sgpr53
                                        ; implicit-def: $sgpr52
	s_delay_alu instid0(SALU_CYCLE_1) | instskip(NEXT) | instid1(SALU_CYCLE_1)
	s_and_b32 s29, s29, vcc_lo
	s_and_saveexec_b32 s54, s29
	s_cbranch_execz .LBB52_380
; %bb.355:                              ;   in Loop: Header=BB52_15 Depth=1
	ds_load_b32 v3, v23 offset:4096
	s_wait_dscnt 0x0
	s_barrier_signal -1
	s_barrier_wait -1
	v_readfirstlane_b32 s55, v3
	s_and_saveexec_b32 s44, s6
; %bb.356:                              ;   in Loop: Header=BB52_15 Depth=1
	ds_store_b64 v32, v[28:29]
; %bb.357:                              ;   in Loop: Header=BB52_15 Depth=1
	s_or_b32 exec_lo, exec_lo, s44
	v_and_b32_e32 v27, s15, v27
	v_and_b32_e32 v26, s14, v26
	v_or_b32_e32 v31, s13, v31
	v_or_b32_e32 v30, s12, v30
	s_mov_b32 s52, -1
	s_mov_b32 s53, 0
	s_cmp_eq_u32 s55, 0
	s_mov_b32 s44, 0
	s_mov_b32 s92, -1
	s_wait_dscnt 0x0
	s_barrier_signal -1
	s_barrier_wait -1
                                        ; implicit-def: $vgpr6_vgpr7
	s_cbranch_scc1 .LBB52_368
; %bb.358:                              ;   in Loop: Header=BB52_15 Depth=1
	s_add_co_i32 s44, s55, s65
                                        ; implicit-def: $vgpr6_vgpr7
	s_delay_alu instid0(SALU_CYCLE_1) | instskip(NEXT) | instid1(SALU_CYCLE_1)
	s_mul_u64 s[92:93], s[44:45], s[48:49]
	s_mul_i32 s92, s93, s34
	s_delay_alu instid0(SALU_CYCLE_1) | instskip(NEXT) | instid1(SALU_CYCLE_1)
	s_sub_co_i32 s92, s44, s92
	s_sub_co_i32 s93, s92, s34
	s_cmp_ge_u32 s92, s34
	s_cselect_b32 s92, s93, s92
	s_delay_alu instid0(SALU_CYCLE_1)
	s_sub_co_i32 s93, s92, s34
	s_cmp_ge_u32 s92, s34
	s_cselect_b32 s92, s93, s92
	s_mov_b32 s93, exec_lo
	s_sub_co_i32 s94, s44, s92
	s_mov_b32 s92, 0
	s_mov_b32 s44, 0
	v_cmpx_gt_u32_e64 s94, v0
	s_cbranch_execz .LBB52_367
; %bb.359:                              ;   in Loop: Header=BB52_15 Depth=1
	v_dual_mov_b32 v8, v21 :: v_dual_mov_b32 v10, v0
                                        ; implicit-def: $sgpr95
	s_branch .LBB52_362
.LBB52_360:                             ;   in Loop: Header=BB52_362 Depth=2
	s_or_b32 exec_lo, exec_lo, s96
	s_wait_dscnt 0x0
	s_barrier_signal -1
	s_barrier_wait -1
	ds_load_b128 v[4:7], v23 offset:3072
	s_mov_b32 s96, -1
	s_mov_b32 s97, -1
	s_wait_dscnt 0x0
	s_barrier_signal -1
	s_barrier_wait -1
	v_cmp_ne_u64_e32 vcc_lo, 0, v[4:5]
	s_cbranch_vccz .LBB52_365
.LBB52_361:                             ;   in Loop: Header=BB52_362 Depth=2
	s_and_b32 s96, exec_lo, s96
	s_delay_alu instid0(SALU_CYCLE_1) | instskip(SKIP_2) | instid1(SALU_CYCLE_1)
	s_or_b32 s44, s96, s44
	s_and_not1_b32 s95, s95, exec_lo
	s_and_b32 s96, s97, exec_lo
	s_or_b32 s95, s95, s96
	s_and_not1_b32 exec_lo, exec_lo, s44
	s_cbranch_execz .LBB52_366
.LBB52_362:                             ;   Parent Loop BB52_15 Depth=1
                                        ; =>  This Inner Loop Header: Depth=2
	s_mov_b32 s96, exec_lo
	s_delay_alu instid0(VALU_DEP_1)
	v_cmpx_gt_u32_e64 s55, v10
	s_cbranch_execz .LBB52_360
; %bb.363:                              ;   in Loop: Header=BB52_362 Depth=2
	ds_load_b64 v[4:5], v8
	s_wait_dscnt 0x0
	v_xor_b32_e32 v3, 0x80000000, v5
	v_and_b32_e32 v6, v4, v30
	s_delay_alu instid0(VALU_DEP_2) | instskip(NEXT) | instid1(VALU_DEP_1)
	v_and_b32_e32 v7, v3, v31
	v_cmp_eq_u64_e32 vcc_lo, v[6:7], v[26:27]
	s_and_b32 exec_lo, exec_lo, vcc_lo
	s_cbranch_execz .LBB52_360
; %bb.364:                              ;   in Loop: Header=BB52_362 Depth=2
	v_mov_b32_e32 v3, v23
	ds_store_b128 v23, v[2:5] offset:3072
	s_branch .LBB52_360
.LBB52_365:                             ;   in Loop: Header=BB52_362 Depth=2
	v_dual_add_nc_u32 v10, s34, v10 :: v_dual_add_nc_u32 v8, s78, v8
	s_mov_b32 s97, 0
	s_delay_alu instid0(VALU_DEP_1)
	v_cmp_le_u32_e32 vcc_lo, s94, v10
	s_or_not1_b32 s96, vcc_lo, exec_lo
	s_branch .LBB52_361
.LBB52_366:                             ;   in Loop: Header=BB52_15 Depth=1
	s_or_b32 exec_lo, exec_lo, s44
	s_delay_alu instid0(SALU_CYCLE_1)
	s_and_b32 s44, s95, exec_lo
.LBB52_367:                             ;   in Loop: Header=BB52_15 Depth=1
	s_or_b32 exec_lo, exec_lo, s93
.LBB52_368:                             ;   in Loop: Header=BB52_15 Depth=1
	s_delay_alu instid0(SALU_CYCLE_1)
	s_and_b32 vcc_lo, exec_lo, s92
	s_cbranch_vccz .LBB52_379
; %bb.369:                              ;   in Loop: Header=BB52_15 Depth=1
                                        ; implicit-def: $vgpr6_vgpr7
	s_and_saveexec_b32 s52, s9
	s_cbranch_execz .LBB52_378
; %bb.370:                              ;   in Loop: Header=BB52_15 Depth=1
	v_dual_mov_b32 v8, v20 :: v_dual_mov_b32 v10, v0
	s_mov_b32 s53, 0
                                        ; implicit-def: $sgpr55
	s_branch .LBB52_373
.LBB52_371:                             ;   in Loop: Header=BB52_373 Depth=2
	s_or_b32 exec_lo, exec_lo, s92
	s_wait_dscnt 0x0
	s_barrier_signal -1
	s_barrier_wait -1
	ds_load_b128 v[4:7], v23 offset:3072
	s_mov_b32 s92, -1
	s_mov_b32 s93, -1
	s_wait_dscnt 0x0
	s_barrier_signal -1
	s_barrier_wait -1
	v_cmp_eq_u64_e32 vcc_lo, 0, v[4:5]
	s_cbranch_vccnz .LBB52_376
.LBB52_372:                             ;   in Loop: Header=BB52_373 Depth=2
	s_and_b32 s92, exec_lo, s92
	s_delay_alu instid0(SALU_CYCLE_1) | instskip(SKIP_2) | instid1(SALU_CYCLE_1)
	s_or_b32 s53, s92, s53
	s_and_not1_b32 s55, s55, exec_lo
	s_and_b32 s92, s93, exec_lo
	s_or_b32 s55, s55, s92
	s_and_not1_b32 exec_lo, exec_lo, s53
	s_cbranch_execz .LBB52_377
.LBB52_373:                             ;   Parent Loop BB52_15 Depth=1
                                        ; =>  This Inner Loop Header: Depth=2
	s_mov_b32 s92, exec_lo
	s_delay_alu instid0(VALU_DEP_1)
	v_cmpx_gt_u32_e64 s36, v10
	s_cbranch_execz .LBB52_371
; %bb.374:                              ;   in Loop: Header=BB52_373 Depth=2
	global_load_b64 v[4:5], v8, s[30:31] scale_offset
	s_wait_loadcnt 0x0
	v_xor_b32_e32 v3, 0x80000000, v5
	v_and_b32_e32 v6, v4, v30
	s_delay_alu instid0(VALU_DEP_2) | instskip(NEXT) | instid1(VALU_DEP_1)
	v_and_b32_e32 v7, v3, v31
	v_cmp_eq_u64_e32 vcc_lo, v[6:7], v[26:27]
	s_and_b32 exec_lo, exec_lo, vcc_lo
	s_cbranch_execz .LBB52_371
; %bb.375:                              ;   in Loop: Header=BB52_373 Depth=2
	v_mov_b32_e32 v3, v23
	ds_store_b128 v23, v[2:5] offset:3072
	s_branch .LBB52_371
.LBB52_376:                             ;   in Loop: Header=BB52_373 Depth=2
	v_dual_add_nc_u32 v10, s34, v10 :: v_dual_add_nc_u32 v8, s40, v8
	s_mov_b32 s93, 0
	s_delay_alu instid0(VALU_DEP_1)
	v_cmp_le_u32_e32 vcc_lo, s75, v10
	s_or_not1_b32 s92, vcc_lo, exec_lo
	s_branch .LBB52_372
.LBB52_377:                             ;   in Loop: Header=BB52_15 Depth=1
	s_or_b32 exec_lo, exec_lo, s53
	s_delay_alu instid0(SALU_CYCLE_1) | instskip(SKIP_1) | instid1(SALU_CYCLE_1)
	s_and_not1_b32 s44, s44, exec_lo
	s_and_b32 s53, s55, exec_lo
	s_or_b32 s44, s44, s53
.LBB52_378:                             ;   in Loop: Header=BB52_15 Depth=1
	s_or_b32 exec_lo, exec_lo, s52
	s_mov_b32 s52, 0
	s_mov_b32 s53, -1
.LBB52_379:                             ;   in Loop: Header=BB52_15 Depth=1
	s_or_not1_b32 s55, s44, exec_lo
.LBB52_380:                             ;   in Loop: Header=BB52_15 Depth=1
	s_or_b32 exec_lo, exec_lo, s54
	s_mov_b32 s54, 0
	s_and_saveexec_b32 s44, s55
	s_cbranch_execz .LBB52_391
; %bb.381:                              ;   in Loop: Header=BB52_15 Depth=1
	v_dual_mov_b32 v22, 1 :: v_dual_mov_b32 v3, 1
	s_xor_b32 s54, s29, -1
	s_delay_alu instid0(SALU_CYCLE_1)
	s_and_saveexec_b32 s29, s54
	s_cbranch_execz .LBB52_390
; %bb.382:                              ;   in Loop: Header=BB52_15 Depth=1
	s_mov_b32 s54, exec_lo
	v_cmpx_ge_u32_e64 s17, v9
	s_xor_b32 s54, exec_lo, s54
	s_cbranch_execz .LBB52_387
; %bb.383:                              ;   in Loop: Header=BB52_15 Depth=1
	ds_load_b32 v3, v23 offset:4096
	v_and_b32_e32 v27, s15, v27
	v_and_b32_e32 v26, s14, v26
	v_or_b32_e32 v31, s13, v31
	v_or_b32_e32 v30, s12, v30
	s_wait_dscnt 0x0
	v_cmp_ne_u32_e32 vcc_lo, 0, v3
	s_cbranch_vccnz .LBB52_387
; %bb.384:                              ;   in Loop: Header=BB52_15 Depth=1
	s_and_saveexec_b32 s12, s5
; %bb.385:                              ;   in Loop: Header=BB52_15 Depth=1
	v_mov_b32_e32 v3, s17
	ds_store_b32 v23, v3 offset:4100
; %bb.386:                              ;   in Loop: Header=BB52_15 Depth=1
	s_or_b32 exec_lo, exec_lo, s12
	s_wait_dscnt 0x0
	s_barrier_signal -1
	s_barrier_wait -1
.LBB52_387:                             ;   in Loop: Header=BB52_15 Depth=1
	s_and_not1_saveexec_b32 s12, s54
; %bb.388:                              ;   in Loop: Header=BB52_15 Depth=1
	v_subrev_nc_u32_e32 v9, s17, v9
; %bb.389:                              ;   in Loop: Header=BB52_15 Depth=1
	s_or_b32 exec_lo, exec_lo, s12
	s_delay_alu instid0(VALU_DEP_1)
	v_dual_mov_b32 v22, 5 :: v_dual_mov_b32 v3, v9
.LBB52_390:                             ;   in Loop: Header=BB52_15 Depth=1
	s_or_b32 exec_lo, exec_lo, s29
	s_delay_alu instid0(VALU_DEP_1)
	v_mov_b32_e32 v9, v3
	s_mov_b32 s54, exec_lo
.LBB52_391:                             ;   in Loop: Header=BB52_15 Depth=1
	s_or_b32 exec_lo, exec_lo, s44
	s_delay_alu instid0(SALU_CYCLE_1)
	s_or_not1_b32 s29, s54, exec_lo
.LBB52_392:                             ;   in Loop: Header=BB52_15 Depth=1
	s_or_b32 exec_lo, exec_lo, s18
	v_mov_b32_e32 v8, v9
	s_and_not1_b32 s12, s27, exec_lo
	s_and_b32 s13, s53, exec_lo
	s_and_not1_b32 s14, s26, exec_lo
	s_and_b32 s15, s52, exec_lo
	s_or_b32 s27, s12, s13
	s_or_b32 s26, s14, s15
	s_and_b32 s52, s29, exec_lo
.LBB52_393:                             ;   in Loop: Header=BB52_15 Depth=1
	s_or_b32 exec_lo, exec_lo, s28
	s_delay_alu instid0(SALU_CYCLE_1)
	s_or_not1_b32 s28, s52, exec_lo
.LBB52_394:                             ;   in Loop: Header=BB52_15 Depth=1
	s_or_b32 exec_lo, exec_lo, s19
	v_mov_b32_e32 v43, v8
	s_and_not1_b32 s12, s23, exec_lo
	s_and_b32 s13, s27, exec_lo
	s_and_not1_b32 s14, s20, exec_lo
	s_and_b32 s15, s26, exec_lo
	s_or_b32 s23, s12, s13
	s_or_b32 s20, s14, s15
	s_and_b32 s28, s28, exec_lo
.LBB52_395:                             ;   in Loop: Header=BB52_15 Depth=1
	s_or_b32 exec_lo, exec_lo, s25
	s_delay_alu instid0(SALU_CYCLE_1)
	s_or_not1_b32 s25, s28, exec_lo
.LBB52_396:                             ;   in Loop: Header=BB52_15 Depth=1
	s_or_b32 exec_lo, exec_lo, s10
	s_mov_b32 s10, s21
	s_mov_b32 s12, s11
	s_and_saveexec_b32 s13, s25
; %bb.397:                              ;   in Loop: Header=BB52_15 Depth=1
	v_cmp_ne_u32_e32 vcc_lo, 5, v22
	v_cmp_eq_u32_e64 s10, 5, v22
	s_and_not1_b32 s12, s11, exec_lo
	s_and_not1_b32 s14, s21, exec_lo
	s_and_b32 s15, vcc_lo, exec_lo
	s_and_b32 s10, s10, exec_lo
	s_or_b32 s12, s12, s15
	s_or_b32 s10, s14, s10
; %bb.398:                              ;   in Loop: Header=BB52_15 Depth=1
	s_or_b32 exec_lo, exec_lo, s13
	s_delay_alu instid0(SALU_CYCLE_1)
	s_and_not1_b32 s13, s24, exec_lo
	s_and_b32 s14, s23, exec_lo
	s_and_not1_b32 s15, s16, exec_lo
	s_and_b32 s16, s20, exec_lo
	s_or_b32 s24, s13, s14
	s_and_not1_b32 s11, s11, exec_lo
	s_and_b32 s12, s12, exec_lo
	s_and_not1_b32 s13, s21, exec_lo
	s_and_b32 s10, s10, exec_lo
	s_or_b32 s16, s15, s16
	s_or_b32 s11, s11, s12
	;; [unrolled: 1-line block ×3, first 2 shown]
.LBB52_399:                             ;   in Loop: Header=BB52_15 Depth=1
	s_or_b32 exec_lo, exec_lo, s22
	s_mov_b32 s22, 0
	s_mov_b32 s23, 0
	s_and_saveexec_b32 s10, s21
.LBB52_400:                             ;   in Loop: Header=BB52_15 Depth=1
	v_mov_b32_e32 v22, 0
	s_or_b32 s11, s11, exec_lo
.LBB52_401:                             ;   in Loop: Header=BB52_15 Depth=1
	s_or_b32 exec_lo, exec_lo, s10
	s_delay_alu instid0(SALU_CYCLE_1)
	s_and_not1_b32 s10, s89, exec_lo
	s_and_b32 s13, s24, exec_lo
	s_and_not1_b32 s14, s87, exec_lo
	s_and_b32 s15, s16, exec_lo
	v_mov_b32_e32 v42, v43
	s_or_b32 s89, s10, s13
	s_or_b32 s87, s14, s15
	s_and_not1_b32 s10, s91, exec_lo
	s_and_b32 s13, s23, exec_lo
	s_and_not1_b32 s14, s90, exec_lo
	s_and_b32 s15, s22, exec_lo
	s_mov_b32 s12, -1
	s_and_not1_b32 s88, s88, exec_lo
	s_or_b32 s91, s10, s13
	s_or_b32 s90, s14, s15
	s_and_saveexec_b32 s10, s11
	s_delay_alu instid0(SALU_CYCLE_1)
	s_xor_b32 s10, exec_lo, s10
	s_cbranch_execz .LBB52_14
; %bb.402:                              ;   in Loop: Header=BB52_15 Depth=1
	s_mov_b32 s11, -1
	s_mov_b32 s13, exec_lo
	v_cmpx_eq_u32_e32 0, v22
	s_cbranch_execz .LBB52_13
; %bb.403:                              ;   in Loop: Header=BB52_15 Depth=1
	s_xor_b32 s82, s82, 1
	s_add_co_i32 s14, s79, -2
	s_cmp_eq_u32 s79, 0
	s_mov_b32 s79, s14
	s_cselect_b32 s11, -1, 0
	s_xor_b32 s12, exec_lo, -1
	s_or_not1_b32 s11, s11, exec_lo
	s_branch .LBB52_13
.LBB52_404:
	s_or_b32 exec_lo, exec_lo, s80
	s_xor_b32 s7, s86, -1
	s_xor_b32 s9, s84, -1
	;; [unrolled: 1-line block ×5, first 2 shown]
	s_mov_b32 s8, 0
	s_and_saveexec_b32 s12, s11
	s_delay_alu instid0(SALU_CYCLE_1)
	s_xor_b32 s12, exec_lo, s12
	s_cbranch_execnz .LBB52_409
; %bb.405:
	s_wait_xcnt 0x0
	s_and_not1_saveexec_b32 s0, s12
	s_cbranch_execnz .LBB52_428
.LBB52_406:
	s_or_b32 exec_lo, exec_lo, s0
	s_and_saveexec_b32 s0, s8
.LBB52_407:
	; divergent unreachable
.LBB52_408:
	s_endpgm
.LBB52_409:
	s_and_saveexec_b32 s11, s10
	s_delay_alu instid0(SALU_CYCLE_1)
	s_xor_b32 s13, exec_lo, s11
	s_cbranch_execz .LBB52_426
; %bb.410:
	s_and_saveexec_b32 s10, s9
	s_delay_alu instid0(SALU_CYCLE_1)
	s_xor_b32 s14, exec_lo, s10
	s_cbranch_execz .LBB52_424
; %bb.411:
	;; [unrolled: 5-line block ×3, first 2 shown]
	s_and_saveexec_b32 s7, s6
	s_delay_alu instid0(SALU_CYCLE_1)
	s_xor_b32 s6, exec_lo, s7
; %bb.413:
	v_xor_b32_e32 v27, 0x80000000, v27
	s_delay_alu instid0(VALU_DEP_1)
	v_mov_b64_e32 v[6:7], v[26:27]
; %bb.414:
	s_or_b32 exec_lo, exec_lo, s6
	s_and_saveexec_b32 s6, s5
; %bb.415:
	v_mov_b32_e32 v1, 0
	ds_store_b32 v1, v1 offset:4108
; %bb.416:
	s_or_b32 exec_lo, exec_lo, s6
	v_mov_b64_e32 v[2:3], 0
	s_wait_dscnt 0x0
	s_barrier_signal -1
	s_barrier_wait -1
	s_and_saveexec_b32 s5, s4
	s_cbranch_execz .LBB52_418
; %bb.417:
	global_load_b64 v[2:3], v[18:19], off
.LBB52_418:
	s_wait_xcnt 0x0
	s_or_b32 exec_lo, exec_lo, s5
	s_clause 0x1
	s_load_b32 s5, s[0:1], 0x1c8
	s_load_b32 s16, s[0:1], 0x2a8
	s_wait_xcnt 0x0
	s_mul_i32 s0, s58, s57
	s_add_co_i32 s17, s36, 31
	s_add_co_i32 s10, s0, s35
	s_wait_kmcnt 0x0
	s_mul_i32 s0, s59, s56
	s_mov_b32 s11, 0
	s_and_not1_b32 s17, s17, 31
	s_add_co_i32 s0, s0, s41
	s_mov_b32 s1, s11
	v_cmp_gt_u32_e32 vcc_lo, s17, v0
	s_lshl_b64 s[6:7], s[10:11], 3
	s_lshl_b64 s[0:1], s[0:1], 3
	s_add_nc_u64 s[6:7], s[42:43], s[6:7]
	s_add_nc_u64 s[8:9], s[38:39], s[0:1]
	s_mov_b32 s0, -1
	s_mov_b32 s1, 0
	s_and_saveexec_b32 s10, vcc_lo
	s_cbranch_execnz .LBB52_429
; %bb.419:
	s_or_b32 exec_lo, exec_lo, s10
	s_and_saveexec_b32 s3, s0
	s_cbranch_execnz .LBB52_444
.LBB52_420:
	s_or_b32 exec_lo, exec_lo, s3
	s_and_saveexec_b32 s0, s1
	s_delay_alu instid0(SALU_CYCLE_1)
	s_xor_b32 s0, exec_lo, s0
	s_cbranch_execnz .LBB52_467
.LBB52_421:
	s_or_b32 exec_lo, exec_lo, s0
	s_delay_alu instid0(SALU_CYCLE_1)
	s_and_b32 s8, s11, exec_lo
.LBB52_422:
	s_wait_xcnt 0x0
	s_and_not1_saveexec_b32 s0, s15
	s_cbranch_execnz .LBB52_469
.LBB52_423:
	s_or_b32 exec_lo, exec_lo, s0
	s_delay_alu instid0(SALU_CYCLE_1)
	s_and_b32 s8, s8, exec_lo
.LBB52_424:
	s_wait_xcnt 0x0
	s_and_not1_saveexec_b32 s0, s14
	s_cbranch_execnz .LBB52_468
.LBB52_425:
	s_or_b32 exec_lo, exec_lo, s0
	s_delay_alu instid0(SALU_CYCLE_1)
	s_and_b32 s8, s8, exec_lo
.LBB52_426:
	s_wait_xcnt 0x0
	s_and_not1_saveexec_b32 s0, s13
	s_cbranch_execnz .LBB52_463
.LBB52_427:
	s_or_b32 exec_lo, exec_lo, s0
	s_delay_alu instid0(SALU_CYCLE_1)
	s_and_b32 s8, s8, exec_lo
	s_and_not1_saveexec_b32 s0, s12
	s_cbranch_execz .LBB52_406
.LBB52_428:
	s_or_b32 s8, s8, exec_lo
	s_trap 2
	s_or_b32 exec_lo, exec_lo, s0
	s_and_saveexec_b32 s0, s8
	s_cbranch_execnz .LBB52_407
	s_branch .LBB52_408
.LBB52_429:
	v_dual_mov_b32 v4, v6 :: v_dual_add_nc_u32 v1, s34, v0
	v_xor_b32_e32 v5, 0x80000000, v7
	v_dual_mov_b32 v9, 0 :: v_dual_mov_b32 v8, v0
	s_delay_alu instid0(VALU_DEP_3)
	v_mul_lo_u32 v1, s33, v1
	s_mov_b32 s18, 0
                                        ; implicit-def: $sgpr19
                                        ; implicit-def: $vgpr13
	s_branch .LBB52_431
.LBB52_430:                             ;   in Loop: Header=BB52_431 Depth=1
	s_or_b32 exec_lo, exec_lo, s21
	s_xor_b32 s0, s20, -1
	s_and_b32 s1, exec_lo, s1
	v_mov_b64_e32 v[2:3], v[10:11]
	s_or_b32 s18, s1, s18
	v_mov_b32_e32 v8, v12
	s_and_not1_b32 s1, s19, exec_lo
	s_and_b32 s0, s0, exec_lo
	s_delay_alu instid0(SALU_CYCLE_1)
	s_or_b32 s19, s1, s0
	s_and_not1_b32 exec_lo, exec_lo, s18
	s_cbranch_execz .LBB52_443
.LBB52_431:                             ; =>This Inner Loop Header: Depth=1
	v_mov_b64_e32 v[10:11], 0
	v_add_nc_u32_e32 v12, s34, v8
	s_mov_b32 s1, exec_lo
	s_delay_alu instid0(VALU_DEP_1)
	v_cmpx_gt_u32_e64 s36, v12
	s_cbranch_execz .LBB52_433
; %bb.432:                              ;   in Loop: Header=BB52_431 Depth=1
	global_load_b64 v[10:11], v1, s[30:31] scale_offset
.LBB52_433:                             ;   in Loop: Header=BB52_431 Depth=1
	s_wait_xcnt 0x0
	s_or_b32 exec_lo, exec_lo, s1
	s_wait_loadcnt 0x0
	v_xor_b32_e32 v15, 0x80000000, v3
	v_mov_b32_e32 v14, v2
	s_delay_alu instid0(VALU_DEP_1) | instskip(NEXT) | instid1(VALU_DEP_1)
	v_cmp_gt_u64_e64 s0, v[14:15], v[4:5]
	v_cndmask_b32_e64 v17, 0, 1, s0
	v_cmp_lt_u64_e64 s0, v[14:15], v[4:5]
	s_delay_alu instid0(VALU_DEP_1) | instskip(SKIP_1) | instid1(VALU_DEP_2)
	v_cndmask_b32_e64 v14, 0, 1, s0
	v_cmp_gt_u32_e64 s0, s36, v8
	v_cndmask_b32_e64 v14, v14, v17, s3
	s_delay_alu instid0(VALU_DEP_1) | instskip(NEXT) | instid1(VALU_DEP_1)
	v_and_b32_e32 v14, 1, v14
	v_cmp_eq_u32_e64 s1, 1, v14
	s_and_b32 s20, s0, s1
	s_delay_alu instid0(SALU_CYCLE_1) | instskip(NEXT) | instid1(VALU_DEP_1)
	v_cndmask_b32_e64 v14, 0, 1, s20
	v_cmp_ne_u32_e64 s0, 0, v14
	s_cmp_lg_u32 s0, 0
	s_cselect_b32 s1, -1, 0
	s_delay_alu instid0(SALU_CYCLE_1) | instskip(NEXT) | instid1(SALU_CYCLE_1)
	s_and_b32 s1, s2, s1
	s_and_saveexec_b32 s21, s1
	s_cbranch_execz .LBB52_437
; %bb.434:                              ;   in Loop: Header=BB52_431 Depth=1
	s_mov_b32 s24, exec_lo
	s_bcnt1_i32_b32 s22, s0
	s_wait_dscnt 0x0
	v_mbcnt_lo_u32_b32 v13, s24, 0
	s_mov_b32 s23, exec_lo
                                        ; implicit-def: $vgpr14
	s_delay_alu instid0(VALU_DEP_1)
	v_cmpx_eq_u32_e32 0, v13
; %bb.435:                              ;   in Loop: Header=BB52_431 Depth=1
	s_bcnt1_i32_b32 s1, s24
	s_delay_alu instid0(SALU_CYCLE_1) | instskip(NEXT) | instid1(SALU_CYCLE_1)
	s_mul_i32 s1, s22, s1
	v_mov_b32_e32 v14, s1
	ds_add_rtn_u32 v14, v9, v14 offset:4108
; %bb.436:                              ;   in Loop: Header=BB52_431 Depth=1
	s_or_b32 exec_lo, exec_lo, s23
	s_wait_dscnt 0x0
	v_readfirstlane_b32 s1, v14
	s_delay_alu instid0(VALU_DEP_1)
	v_mad_u32_u24 v13, s22, v13, s1
.LBB52_437:                             ;   in Loop: Header=BB52_431 Depth=1
	s_or_b32 exec_lo, exec_lo, s21
	s_wait_dscnt 0x0
	ds_bpermute_b32 v13, v9, v13
	s_mov_b32 s1, -1
	s_mov_b32 s22, -1
	s_and_saveexec_b32 s21, s20
	s_cbranch_execz .LBB52_441
; %bb.438:                              ;   in Loop: Header=BB52_431 Depth=1
	v_and_b32_e32 v14, s0, v16
	s_mov_b32 s20, 0
	s_mov_b32 s22, exec_lo
	s_wait_dscnt 0x0
	s_delay_alu instid0(VALU_DEP_1) | instskip(NEXT) | instid1(VALU_DEP_1)
	v_bcnt_u32_b32 v14, v14, v13
	v_cmpx_gt_u32_e64 s37, v14
; %bb.439:                              ;   in Loop: Header=BB52_431 Depth=1
	v_mul_lo_u32 v15, v14, s5
	v_mul_lo_u32 v14, v14, s16
	s_mov_b32 s20, exec_lo
	global_store_b64 v15, v[2:3], s[6:7] scale_offset
	global_store_b64 v14, v[8:9], s[8:9] scale_offset
; %bb.440:                              ;   in Loop: Header=BB52_431 Depth=1
	s_wait_xcnt 0x0
	s_or_b32 exec_lo, exec_lo, s22
	s_delay_alu instid0(SALU_CYCLE_1)
	s_or_not1_b32 s22, s20, exec_lo
.LBB52_441:                             ;   in Loop: Header=BB52_431 Depth=1
	s_or_b32 exec_lo, exec_lo, s21
	s_mov_b32 s20, -1
	s_and_saveexec_b32 s21, s22
	s_cbranch_execz .LBB52_430
; %bb.442:                              ;   in Loop: Header=BB52_431 Depth=1
	v_cmp_le_u32_e64 s0, s17, v12
	v_add_nc_u32_e32 v1, s40, v1
	s_xor_b32 s20, exec_lo, -1
	s_or_not1_b32 s1, s0, exec_lo
	s_branch .LBB52_430
.LBB52_443:
	s_or_b32 exec_lo, exec_lo, s18
	s_delay_alu instid0(SALU_CYCLE_1)
	s_mov_b32 s1, exec_lo
	s_or_not1_b32 s0, s19, exec_lo
	s_or_b32 exec_lo, exec_lo, s10
	s_and_saveexec_b32 s3, s0
	s_cbranch_execz .LBB52_420
.LBB52_444:
	v_mov_b64_e32 v[4:5], 0
	s_wait_storecnt 0x0
	s_wait_loadcnt_dscnt 0x0
	s_barrier_signal -1
	s_barrier_wait -1
	s_and_saveexec_b32 s0, s4
	s_cbranch_execz .LBB52_446
; %bb.445:
	global_load_b64 v[4:5], v[18:19], off
.LBB52_446:
	s_wait_xcnt 0x0
	s_or_b32 exec_lo, exec_lo, s0
	s_mov_b32 s0, 0
	s_and_saveexec_b32 s4, vcc_lo
	s_cbranch_execz .LBB52_466
; %bb.447:
	v_add_nc_u32_e32 v1, s34, v0
	s_mov_b32 s10, 0
                                        ; implicit-def: $sgpr11
                                        ; implicit-def: $vgpr10
	s_delay_alu instid0(VALU_DEP_1)
	v_mul_lo_u32 v8, s33, v1
	v_mov_b32_e32 v1, 0
	s_branch .LBB52_450
.LBB52_448:                             ;   in Loop: Header=BB52_450 Depth=1
	s_or_b32 exec_lo, exec_lo, s20
	s_delay_alu instid0(SALU_CYCLE_1)
	s_or_not1_b32 s20, s18, exec_lo
	s_or_not1_b32 s19, s19, exec_lo
.LBB52_449:                             ;   in Loop: Header=BB52_450 Depth=1
	s_or_b32 exec_lo, exec_lo, s0
	s_xor_b32 s0, s20, -1
	s_and_b32 s18, exec_lo, s19
	v_mov_b64_e32 v[4:5], v[2:3]
	v_mov_b32_e32 v0, v9
	s_or_b32 s10, s18, s10
	s_and_not1_b32 s11, s11, exec_lo
	s_and_b32 s0, s0, exec_lo
	s_delay_alu instid0(SALU_CYCLE_1)
	s_or_b32 s11, s11, s0
	s_and_not1_b32 exec_lo, exec_lo, s10
	s_cbranch_execz .LBB52_464
.LBB52_450:                             ; =>This Inner Loop Header: Depth=1
	v_mov_b64_e32 v[2:3], 0
	v_add_nc_u32_e32 v9, s34, v0
	s_mov_b32 s0, exec_lo
	s_delay_alu instid0(VALU_DEP_1)
	v_cmpx_gt_u32_e64 s36, v9
	s_cbranch_execz .LBB52_452
; %bb.451:                              ;   in Loop: Header=BB52_450 Depth=1
	global_load_b64 v[2:3], v8, s[30:31] scale_offset
.LBB52_452:                             ;   in Loop: Header=BB52_450 Depth=1
	s_wait_xcnt 0x0
	s_or_b32 exec_lo, exec_lo, s0
	s_wait_loadcnt 0x0
	v_cmp_eq_u64_e32 vcc_lo, v[4:5], v[6:7]
	v_cmp_gt_u32_e64 s0, s36, v0
	s_and_b32 s18, s0, vcc_lo
	s_delay_alu instid0(SALU_CYCLE_1) | instskip(NEXT) | instid1(VALU_DEP_1)
	v_cndmask_b32_e64 v4, 0, 1, s18
	v_cmp_ne_u32_e32 vcc_lo, 0, v4
	s_cmp_lg_u32 vcc_lo, 0
	s_cselect_b32 s0, -1, 0
	s_delay_alu instid0(SALU_CYCLE_1) | instskip(NEXT) | instid1(SALU_CYCLE_1)
	s_and_b32 s0, s2, s0
	s_and_saveexec_b32 s19, s0
	s_cbranch_execz .LBB52_456
; %bb.453:                              ;   in Loop: Header=BB52_450 Depth=1
	s_mov_b32 s22, exec_lo
	s_bcnt1_i32_b32 s20, vcc_lo
	v_mbcnt_lo_u32_b32 v4, s22, 0
	s_mov_b32 s21, exec_lo
                                        ; implicit-def: $vgpr5
	s_delay_alu instid0(VALU_DEP_1)
	v_cmpx_eq_u32_e32 0, v4
; %bb.454:                              ;   in Loop: Header=BB52_450 Depth=1
	s_bcnt1_i32_b32 s0, s22
	s_delay_alu instid0(SALU_CYCLE_1) | instskip(NEXT) | instid1(SALU_CYCLE_1)
	s_mul_i32 s0, s20, s0
	v_mov_b32_e32 v5, s0
	ds_add_rtn_u32 v5, v1, v5 offset:4108
; %bb.455:                              ;   in Loop: Header=BB52_450 Depth=1
	s_or_b32 exec_lo, exec_lo, s21
	s_wait_dscnt 0x0
	v_readfirstlane_b32 s0, v5
	s_delay_alu instid0(VALU_DEP_1)
	v_mad_u32_u24 v10, s20, v4, s0
.LBB52_456:                             ;   in Loop: Header=BB52_450 Depth=1
	s_or_b32 exec_lo, exec_lo, s19
	ds_bpermute_b32 v10, v1, v10
	s_cmp_eq_u32 vcc_lo, 0
	s_mov_b32 s19, -1
	s_cselect_b32 s20, -1, 0
	s_wait_dscnt 0x0
	v_cmp_gt_u32_e64 s0, s37, v10
	s_or_b32 s21, s20, s0
	s_mov_b32 s20, -1
	s_and_saveexec_b32 s0, s21
	s_cbranch_execz .LBB52_449
; %bb.457:                              ;   in Loop: Header=BB52_450 Depth=1
	v_dual_sub_nc_u32 v5, s37, v10 :: v_dual_bitop2_b32 v4, vcc_lo, v16 bitop3:0x40
	s_mov_b32 s21, -1
	s_delay_alu instid0(VALU_DEP_1) | instskip(NEXT) | instid1(VALU_DEP_1)
	v_bcnt_u32_b32 v4, v4, 0
	v_bcnt_u32_b32 v4, 0, v4
	s_delay_alu instid0(VALU_DEP_1)
	v_cmp_gt_u32_e32 vcc_lo, v5, v4
	s_and_b32 s22, s18, vcc_lo
	s_mov_b32 s18, -1
	s_and_saveexec_b32 s20, s22
	s_cbranch_execz .LBB52_461
; %bb.458:                              ;   in Loop: Header=BB52_450 Depth=1
	v_add_nc_u32_e32 v4, v10, v4
	s_mov_b32 s21, 0
	s_mov_b32 s18, exec_lo
	s_delay_alu instid0(VALU_DEP_1)
	v_cmpx_gt_u32_e64 s37, v4
; %bb.459:                              ;   in Loop: Header=BB52_450 Depth=1
	v_mul_lo_u32 v5, v4, s5
	v_mul_lo_u32 v4, v4, s16
	s_mov_b32 s21, exec_lo
	global_store_b64 v5, v[6:7], s[6:7] scale_offset
	global_store_b64 v4, v[0:1], s[8:9] scale_offset
; %bb.460:                              ;   in Loop: Header=BB52_450 Depth=1
	s_wait_xcnt 0x0
	s_or_b32 exec_lo, exec_lo, s18
	s_delay_alu instid0(SALU_CYCLE_1)
	s_xor_b32 s18, exec_lo, -1
	s_or_not1_b32 s21, s21, exec_lo
.LBB52_461:                             ;   in Loop: Header=BB52_450 Depth=1
	s_or_b32 exec_lo, exec_lo, s20
	s_and_saveexec_b32 s20, s21
	s_cbranch_execz .LBB52_448
; %bb.462:                              ;   in Loop: Header=BB52_450 Depth=1
	v_cmp_le_u32_e32 vcc_lo, s17, v9
	v_add_nc_u32_e32 v8, s40, v8
	s_or_b32 s18, s18, exec_lo
	s_or_not1_b32 s19, vcc_lo, exec_lo
	s_branch .LBB52_448
.LBB52_463:
	s_or_b32 s8, s8, exec_lo
	s_trap 2
	s_branch .LBB52_427
.LBB52_464:
	s_or_b32 exec_lo, exec_lo, s10
	s_mov_b32 s0, 0
	s_and_saveexec_b32 s2, s11
	s_delay_alu instid0(SALU_CYCLE_1)
	s_xor_b32 s2, exec_lo, s2
	s_cbranch_execnz .LBB52_470
.LBB52_465:
	s_or_b32 exec_lo, exec_lo, s2
	s_delay_alu instid0(SALU_CYCLE_1)
	s_and_b32 s0, s0, exec_lo
.LBB52_466:
	s_or_b32 exec_lo, exec_lo, s4
	s_delay_alu instid0(SALU_CYCLE_1) | instskip(SKIP_3) | instid1(SALU_CYCLE_1)
	s_and_b32 s11, s0, exec_lo
	s_and_not1_b32 s1, s1, exec_lo
	s_or_b32 exec_lo, exec_lo, s3
	s_and_saveexec_b32 s0, s1
	s_xor_b32 s0, exec_lo, s0
	s_cbranch_execz .LBB52_421
.LBB52_467:
	s_or_b32 s11, s11, exec_lo
	s_trap 2
	s_branch .LBB52_421
.LBB52_468:
	s_or_b32 s8, s8, exec_lo
	s_trap 2
	s_branch .LBB52_425
.LBB52_469:
	s_or_b32 s8, s8, exec_lo
	s_trap 2
	s_branch .LBB52_423
.LBB52_470:
	s_mov_b32 s0, exec_lo
	s_trap 2
	s_branch .LBB52_465
	.section	.rodata,"a",@progbits
	.p2align	6, 0x0
	.amdhsa_kernel _ZN2at6native6sbtopk10gatherTopKIljLin1ELb0EEEvNS_4cuda6detail10TensorInfoIKT_T0_EES8_S8_bS8_S8_NS5_IS6_S8_EES8_NS5_IlS8_EES8_PS6_
		.amdhsa_group_segment_fixed_size 4112
		.amdhsa_private_segment_fixed_size 0
		.amdhsa_kernarg_size 952
		.amdhsa_user_sgpr_count 2
		.amdhsa_user_sgpr_dispatch_ptr 0
		.amdhsa_user_sgpr_queue_ptr 0
		.amdhsa_user_sgpr_kernarg_segment_ptr 1
		.amdhsa_user_sgpr_dispatch_id 0
		.amdhsa_user_sgpr_kernarg_preload_length 0
		.amdhsa_user_sgpr_kernarg_preload_offset 0
		.amdhsa_user_sgpr_private_segment_size 0
		.amdhsa_wavefront_size32 1
		.amdhsa_uses_dynamic_stack 0
		.amdhsa_enable_private_segment 0
		.amdhsa_system_sgpr_workgroup_id_x 1
		.amdhsa_system_sgpr_workgroup_id_y 1
		.amdhsa_system_sgpr_workgroup_id_z 1
		.amdhsa_system_sgpr_workgroup_info 0
		.amdhsa_system_vgpr_workitem_id 0
		.amdhsa_next_free_vgpr 58
		.amdhsa_next_free_sgpr 102
		.amdhsa_named_barrier_count 0
		.amdhsa_reserve_vcc 1
		.amdhsa_float_round_mode_32 0
		.amdhsa_float_round_mode_16_64 0
		.amdhsa_float_denorm_mode_32 3
		.amdhsa_float_denorm_mode_16_64 3
		.amdhsa_fp16_overflow 0
		.amdhsa_memory_ordered 1
		.amdhsa_forward_progress 1
		.amdhsa_inst_pref_size 119
		.amdhsa_round_robin_scheduling 0
		.amdhsa_exception_fp_ieee_invalid_op 0
		.amdhsa_exception_fp_denorm_src 0
		.amdhsa_exception_fp_ieee_div_zero 0
		.amdhsa_exception_fp_ieee_overflow 0
		.amdhsa_exception_fp_ieee_underflow 0
		.amdhsa_exception_fp_ieee_inexact 0
		.amdhsa_exception_int_div_zero 0
	.end_amdhsa_kernel
	.section	.text._ZN2at6native6sbtopk10gatherTopKIljLin1ELb0EEEvNS_4cuda6detail10TensorInfoIKT_T0_EES8_S8_bS8_S8_NS5_IS6_S8_EES8_NS5_IlS8_EES8_PS6_,"axG",@progbits,_ZN2at6native6sbtopk10gatherTopKIljLin1ELb0EEEvNS_4cuda6detail10TensorInfoIKT_T0_EES8_S8_bS8_S8_NS5_IS6_S8_EES8_NS5_IlS8_EES8_PS6_,comdat
.Lfunc_end52:
	.size	_ZN2at6native6sbtopk10gatherTopKIljLin1ELb0EEEvNS_4cuda6detail10TensorInfoIKT_T0_EES8_S8_bS8_S8_NS5_IS6_S8_EES8_NS5_IlS8_EES8_PS6_, .Lfunc_end52-_ZN2at6native6sbtopk10gatherTopKIljLin1ELb0EEEvNS_4cuda6detail10TensorInfoIKT_T0_EES8_S8_bS8_S8_NS5_IS6_S8_EES8_NS5_IlS8_EES8_PS6_
                                        ; -- End function
	.set _ZN2at6native6sbtopk10gatherTopKIljLin1ELb0EEEvNS_4cuda6detail10TensorInfoIKT_T0_EES8_S8_bS8_S8_NS5_IS6_S8_EES8_NS5_IlS8_EES8_PS6_.num_vgpr, 58
	.set _ZN2at6native6sbtopk10gatherTopKIljLin1ELb0EEEvNS_4cuda6detail10TensorInfoIKT_T0_EES8_S8_bS8_S8_NS5_IS6_S8_EES8_NS5_IlS8_EES8_PS6_.num_agpr, 0
	.set _ZN2at6native6sbtopk10gatherTopKIljLin1ELb0EEEvNS_4cuda6detail10TensorInfoIKT_T0_EES8_S8_bS8_S8_NS5_IS6_S8_EES8_NS5_IlS8_EES8_PS6_.numbered_sgpr, 102
	.set _ZN2at6native6sbtopk10gatherTopKIljLin1ELb0EEEvNS_4cuda6detail10TensorInfoIKT_T0_EES8_S8_bS8_S8_NS5_IS6_S8_EES8_NS5_IlS8_EES8_PS6_.num_named_barrier, 0
	.set _ZN2at6native6sbtopk10gatherTopKIljLin1ELb0EEEvNS_4cuda6detail10TensorInfoIKT_T0_EES8_S8_bS8_S8_NS5_IS6_S8_EES8_NS5_IlS8_EES8_PS6_.private_seg_size, 0
	.set _ZN2at6native6sbtopk10gatherTopKIljLin1ELb0EEEvNS_4cuda6detail10TensorInfoIKT_T0_EES8_S8_bS8_S8_NS5_IS6_S8_EES8_NS5_IlS8_EES8_PS6_.uses_vcc, 1
	.set _ZN2at6native6sbtopk10gatherTopKIljLin1ELb0EEEvNS_4cuda6detail10TensorInfoIKT_T0_EES8_S8_bS8_S8_NS5_IS6_S8_EES8_NS5_IlS8_EES8_PS6_.uses_flat_scratch, 0
	.set _ZN2at6native6sbtopk10gatherTopKIljLin1ELb0EEEvNS_4cuda6detail10TensorInfoIKT_T0_EES8_S8_bS8_S8_NS5_IS6_S8_EES8_NS5_IlS8_EES8_PS6_.has_dyn_sized_stack, 0
	.set _ZN2at6native6sbtopk10gatherTopKIljLin1ELb0EEEvNS_4cuda6detail10TensorInfoIKT_T0_EES8_S8_bS8_S8_NS5_IS6_S8_EES8_NS5_IlS8_EES8_PS6_.has_recursion, 0
	.set _ZN2at6native6sbtopk10gatherTopKIljLin1ELb0EEEvNS_4cuda6detail10TensorInfoIKT_T0_EES8_S8_bS8_S8_NS5_IS6_S8_EES8_NS5_IlS8_EES8_PS6_.has_indirect_call, 0
	.section	.AMDGPU.csdata,"",@progbits
; Kernel info:
; codeLenInByte = 15208
; TotalNumSgprs: 104
; NumVgprs: 58
; ScratchSize: 0
; MemoryBound: 0
; FloatMode: 240
; IeeeMode: 1
; LDSByteSize: 4112 bytes/workgroup (compile time only)
; SGPRBlocks: 0
; VGPRBlocks: 3
; NumSGPRsForWavesPerEU: 104
; NumVGPRsForWavesPerEU: 58
; NamedBarCnt: 0
; Occupancy: 16
; WaveLimiterHint : 1
; COMPUTE_PGM_RSRC2:SCRATCH_EN: 0
; COMPUTE_PGM_RSRC2:USER_SGPR: 2
; COMPUTE_PGM_RSRC2:TRAP_HANDLER: 0
; COMPUTE_PGM_RSRC2:TGID_X_EN: 1
; COMPUTE_PGM_RSRC2:TGID_Y_EN: 1
; COMPUTE_PGM_RSRC2:TGID_Z_EN: 1
; COMPUTE_PGM_RSRC2:TIDIG_COMP_CNT: 0
	.section	.text._ZN2at6native6mbtopk23computeBlockDigitCountsIsjjLi1EEEvNS_4cuda6detail10TensorInfoIKT_T0_EEjPjjS8_iijT1_PSB_Ps,"axG",@progbits,_ZN2at6native6mbtopk23computeBlockDigitCountsIsjjLi1EEEvNS_4cuda6detail10TensorInfoIKT_T0_EEjPjjS8_iijT1_PSB_Ps,comdat
	.protected	_ZN2at6native6mbtopk23computeBlockDigitCountsIsjjLi1EEEvNS_4cuda6detail10TensorInfoIKT_T0_EEjPjjS8_iijT1_PSB_Ps ; -- Begin function _ZN2at6native6mbtopk23computeBlockDigitCountsIsjjLi1EEEvNS_4cuda6detail10TensorInfoIKT_T0_EEjPjjS8_iijT1_PSB_Ps
	.globl	_ZN2at6native6mbtopk23computeBlockDigitCountsIsjjLi1EEEvNS_4cuda6detail10TensorInfoIKT_T0_EEjPjjS8_iijT1_PSB_Ps
	.p2align	8
	.type	_ZN2at6native6mbtopk23computeBlockDigitCountsIsjjLi1EEEvNS_4cuda6detail10TensorInfoIKT_T0_EEjPjjS8_iijT1_PSB_Ps,@function
_ZN2at6native6mbtopk23computeBlockDigitCountsIsjjLi1EEEvNS_4cuda6detail10TensorInfoIKT_T0_EEjPjjS8_iijT1_PSB_Ps: ; @_ZN2at6native6mbtopk23computeBlockDigitCountsIsjjLi1EEEvNS_4cuda6detail10TensorInfoIKT_T0_EEjPjjS8_iijT1_PSB_Ps
; %bb.0:
	s_load_b64 s[2:3], s[0:1], 0xf8
	s_bfe_u32 s4, ttmp6, 0x40010
	s_and_b32 s6, ttmp7, 0xffff
	s_add_co_i32 s7, s4, 1
	s_bfe_u32 s8, ttmp6, 0x40004
	s_mul_i32 s7, s6, s7
	s_load_b64 s[4:5], s[0:1], 0x110
	s_add_co_i32 s7, s8, s7
	s_bfe_u32 s9, ttmp6, 0x4000c
	s_bfe_u32 s11, ttmp6, 0x40014
	s_add_co_i32 s9, s9, 1
	s_and_b32 s10, ttmp6, 15
	s_mul_i32 s9, ttmp9, s9
	s_add_co_i32 s11, s11, 1
	s_add_co_i32 s12, s10, s9
	s_bfe_u32 s10, ttmp6, 0x40008
	s_wait_kmcnt 0x0
	s_cvt_f32_u32 s8, s2
	s_delay_alu instid0(SALU_CYCLE_3) | instskip(SKIP_1) | instid1(SALU_CYCLE_1)
	v_rcp_iflag_f32_e32 v1, s8
	s_lshr_b32 s8, ttmp7, 16
	s_mul_i32 s9, s8, s11
	s_getreg_b32 s11, hwreg(HW_REG_IB_STS2, 6, 4)
	s_add_co_i32 s10, s10, s9
	s_cmp_eq_u32 s11, 0
	v_nop
	v_readfirstlane_b32 s13, v1
	s_cselect_b32 s14, s8, s10
	s_load_b128 s[8:11], s[0:1], 0xe8
	s_mul_i32 s5, s5, s14
	s_cselect_b32 s12, ttmp9, s12
	s_mul_f32 s13, s13, 0x4f7ffffe
	s_cselect_b32 s6, s6, s7
	s_sub_co_i32 s7, 0, s2
	s_add_co_i32 s5, s5, s6
	s_cvt_u32_f32 s13, s13
	s_mul_i32 s14, s5, s4
	s_delay_alu instid0(SALU_CYCLE_1) | instskip(NEXT) | instid1(SALU_CYCLE_1)
	s_add_co_i32 s14, s14, s12
	s_mul_i32 s7, s7, s13
	s_delay_alu instid0(SALU_CYCLE_1) | instskip(NEXT) | instid1(SALU_CYCLE_1)
	s_mul_hi_u32 s4, s13, s7
	s_add_co_i32 s13, s13, s4
	s_delay_alu instid0(SALU_CYCLE_1) | instskip(NEXT) | instid1(SALU_CYCLE_1)
	s_mul_hi_u32 s4, s14, s13
	s_mul_i32 s5, s4, s2
	s_add_co_i32 s6, s4, 1
	s_sub_co_i32 s5, s14, s5
	s_delay_alu instid0(SALU_CYCLE_1)
	s_sub_co_i32 s7, s5, s2
	s_cmp_ge_u32 s5, s2
	s_cselect_b32 s4, s6, s4
	s_cselect_b32 s5, s7, s5
	s_add_co_i32 s6, s4, 1
	s_cmp_ge_u32 s5, s2
	s_cselect_b32 s16, s6, s4
	s_wait_kmcnt 0x0
	s_cmp_ge_u32 s16, s8
	s_cbranch_scc1 .LBB53_27
; %bb.1:
	v_cmp_gt_u32_e32 vcc_lo, 0x100, v0
	v_lshlrev_b32_e32 v1, 2, v0
	s_and_saveexec_b32 s4, vcc_lo
; %bb.2:
	v_mov_b32_e32 v2, 0
	ds_store_b32 v1, v2
; %bb.3:
	s_or_b32 exec_lo, exec_lo, s4
	s_clause 0x1
	s_load_b32 s8, s[0:1], 0xd8
	s_load_b128 s[4:7], s[0:1], 0x100
	s_mul_i32 s12, s16, s2
	s_mov_b32 s13, 0
	s_sub_co_i32 s17, s14, s12
	s_wait_dscnt 0x0
	s_mul_i32 s12, s11, s17
	s_add_co_i32 s17, s17, 1
	s_lshl_b32 s15, s12, 8
	s_barrier_signal -1
	s_barrier_wait -1
	s_wait_kmcnt 0x0
	s_sub_co_i32 s12, s8, s15
	s_delay_alu instid0(SALU_CYCLE_1) | instskip(NEXT) | instid1(SALU_CYCLE_1)
	s_add_nc_u64 s[18:19], s[12:13], 0xff
	s_lshr_b64 s[18:19], s[18:19], 8
	s_cmp_lt_u32 s17, s2
	s_cselect_b32 s11, s11, s18
	s_delay_alu instid0(SALU_CYCLE_1)
	s_cmp_lt_i32 s11, 1
	s_cbranch_scc1 .LBB53_25
; %bb.4:
	s_clause 0x1
	s_load_b32 s12, s[0:1], 0x6c
	s_load_b64 s[18:19], s[0:1], 0x0
	s_load_b32 s2, s[4:5], s16 offset:0x0 scale_offset
	s_wait_xcnt 0x0
	s_and_b32 s1, s10, 0xff
	s_wait_kmcnt 0x0
	s_mul_i32 s12, s12, s16
	s_delay_alu instid0(SALU_CYCLE_1)
	s_lshl_b64 s[4:5], s[12:13], 1
	s_cmp_lt_u32 s11, 4
	s_add_nc_u64 s[4:5], s[18:19], s[4:5]
	s_cbranch_scc1 .LBB53_19
; %bb.5:
	v_dual_mov_b32 v7, 1 :: v_dual_add_nc_u32 v6, s15, v0
	s_and_b32 s13, s11, 0x7ffffffc
	s_lshl_b32 s10, s9, 10
	s_mov_b32 s12, 0
	s_delay_alu instid0(VALU_DEP_1)
	v_add_nc_u32_e32 v2, 0x300, v6
	v_add_nc_u32_e32 v4, 0x200, v6
	;; [unrolled: 1-line block ×3, first 2 shown]
	v_mul_lo_u32 v6, s9, v6
	s_mov_b32 s16, 0
	v_mul_lo_u32 v3, s9, v2
	v_mul_lo_u32 v4, s9, v4
	;; [unrolled: 1-line block ×3, first 2 shown]
	s_branch .LBB53_7
.LBB53_6:                               ;   in Loop: Header=BB53_7 Depth=1
	s_or_b32 exec_lo, exec_lo, s17
	v_add_nc_u32_e32 v2, 0x400, v2
	s_add_co_i32 s16, s16, 4
	s_add_co_i32 s12, s12, s10
	s_cmp_eq_u32 s13, s16
	s_cbranch_scc1 .LBB53_19
.LBB53_7:                               ; =>This Inner Loop Header: Depth=1
	v_add_nc_u32_e32 v8, 0xfffffd00, v2
	s_mov_b32 s17, exec_lo
	s_delay_alu instid0(VALU_DEP_1)
	v_cmpx_gt_u32_e64 s8, v8
	s_cbranch_execz .LBB53_10
; %bb.8:                                ;   in Loop: Header=BB53_7 Depth=1
	v_add_nc_u32_e32 v8, s12, v6
	global_load_i16 v8, v8, s[4:5] scale_offset
	s_wait_loadcnt 0x0
	s_wait_xcnt 0x0
	v_add_nc_u32_e32 v8, 0x8000, v8
	s_delay_alu instid0(VALU_DEP_1) | instskip(NEXT) | instid1(VALU_DEP_1)
	v_bitop3_b32 v9, v8, s3, s2 bitop3:0x48
	v_cmp_eq_u32_e64 s0, 0, v9
	s_and_b32 exec_lo, exec_lo, s0
; %bb.9:                                ;   in Loop: Header=BB53_7 Depth=1
	v_bfe_u32 v8, v8, s1, 8
	s_delay_alu instid0(VALU_DEP_1)
	v_lshlrev_b32_e32 v8, 2, v8
	ds_add_u32 v8, v7
.LBB53_10:                              ;   in Loop: Header=BB53_7 Depth=1
	s_or_b32 exec_lo, exec_lo, s17
	v_add_nc_u32_e32 v8, 0xfffffe00, v2
	s_mov_b32 s17, exec_lo
	s_delay_alu instid0(VALU_DEP_1)
	v_cmpx_gt_u32_e64 s8, v8
	s_cbranch_execz .LBB53_13
; %bb.11:                               ;   in Loop: Header=BB53_7 Depth=1
	v_add_nc_u32_e32 v8, s12, v5
	global_load_i16 v8, v8, s[4:5] scale_offset
	s_wait_loadcnt 0x0
	v_add_nc_u32_e32 v8, 0x8000, v8
	s_delay_alu instid0(VALU_DEP_1) | instskip(NEXT) | instid1(VALU_DEP_1)
	v_bitop3_b32 v9, v8, s3, s2 bitop3:0x48
	v_cmp_eq_u32_e64 s0, 0, v9
	s_and_b32 exec_lo, exec_lo, s0
; %bb.12:                               ;   in Loop: Header=BB53_7 Depth=1
	v_bfe_u32 v8, v8, s1, 8
	s_delay_alu instid0(VALU_DEP_1)
	v_lshlrev_b32_e32 v8, 2, v8
	ds_add_u32 v8, v7
.LBB53_13:                              ;   in Loop: Header=BB53_7 Depth=1
	s_or_b32 exec_lo, exec_lo, s17
	v_add_nc_u32_e32 v8, 0xffffff00, v2
	s_mov_b32 s17, exec_lo
	s_delay_alu instid0(VALU_DEP_1)
	v_cmpx_gt_u32_e64 s8, v8
	s_cbranch_execz .LBB53_16
; %bb.14:                               ;   in Loop: Header=BB53_7 Depth=1
	v_add_nc_u32_e32 v8, s12, v4
	global_load_i16 v8, v8, s[4:5] scale_offset
	s_wait_loadcnt 0x0
	v_add_nc_u32_e32 v8, 0x8000, v8
	s_delay_alu instid0(VALU_DEP_1) | instskip(NEXT) | instid1(VALU_DEP_1)
	v_bitop3_b32 v9, v8, s3, s2 bitop3:0x48
	v_cmp_eq_u32_e64 s0, 0, v9
	s_and_b32 exec_lo, exec_lo, s0
; %bb.15:                               ;   in Loop: Header=BB53_7 Depth=1
	v_bfe_u32 v8, v8, s1, 8
	s_delay_alu instid0(VALU_DEP_1)
	v_lshlrev_b32_e32 v8, 2, v8
	ds_add_u32 v8, v7
.LBB53_16:                              ;   in Loop: Header=BB53_7 Depth=1
	s_or_b32 exec_lo, exec_lo, s17
	s_delay_alu instid0(SALU_CYCLE_1)
	s_mov_b32 s17, exec_lo
	v_cmpx_gt_u32_e64 s8, v2
	s_cbranch_execz .LBB53_6
; %bb.17:                               ;   in Loop: Header=BB53_7 Depth=1
	v_add_nc_u32_e32 v8, s12, v3
	global_load_i16 v8, v8, s[4:5] scale_offset
	s_wait_loadcnt 0x0
	v_add_nc_u32_e32 v8, 0x8000, v8
	s_delay_alu instid0(VALU_DEP_1) | instskip(NEXT) | instid1(VALU_DEP_1)
	v_bitop3_b32 v9, v8, s3, s2 bitop3:0x48
	v_cmp_eq_u32_e64 s0, 0, v9
	s_and_b32 exec_lo, exec_lo, s0
	s_cbranch_execz .LBB53_6
; %bb.18:                               ;   in Loop: Header=BB53_7 Depth=1
	v_bfe_u32 v8, v8, s1, 8
	s_delay_alu instid0(VALU_DEP_1)
	v_lshlrev_b32_e32 v8, 2, v8
	ds_add_u32 v8, v7
	s_branch .LBB53_6
.LBB53_19:
	s_and_b32 s10, s11, 3
	s_delay_alu instid0(SALU_CYCLE_1)
	s_cmp_eq_u32 s10, 0
	s_cbranch_scc1 .LBB53_25
; %bb.20:
	s_lshl_b32 s0, s13, 8
	v_mov_b32_e32 v4, 1
	v_add3_u32 v2, s0, s15, v0
	s_delay_alu instid0(VALU_DEP_1)
	v_mul_lo_u32 v3, s9, v2
	s_lshl_b32 s9, s9, 8
	s_branch .LBB53_22
.LBB53_21:                              ;   in Loop: Header=BB53_22 Depth=1
	s_or_b32 exec_lo, exec_lo, s11
	s_delay_alu instid0(VALU_DEP_2) | instskip(SKIP_2) | instid1(SALU_CYCLE_1)
	v_add_nc_u32_e32 v3, s9, v3
	v_add_nc_u32_e32 v2, 0x100, v2
	s_add_co_i32 s10, s10, -1
	s_cmp_lg_u32 s10, 0
	s_cbranch_scc0 .LBB53_25
.LBB53_22:                              ; =>This Inner Loop Header: Depth=1
	s_mov_b32 s11, exec_lo
	v_cmpx_gt_u32_e64 s8, v2
	s_cbranch_execz .LBB53_21
; %bb.23:                               ;   in Loop: Header=BB53_22 Depth=1
	global_load_i16 v5, v3, s[4:5] scale_offset
	s_wait_loadcnt 0x0
	v_add_nc_u32_e32 v5, 0x8000, v5
	s_delay_alu instid0(VALU_DEP_1) | instskip(NEXT) | instid1(VALU_DEP_1)
	v_bitop3_b32 v6, v5, s3, s2 bitop3:0x48
	v_cmp_eq_u32_e64 s0, 0, v6
	s_and_b32 exec_lo, exec_lo, s0
	s_cbranch_execz .LBB53_21
; %bb.24:                               ;   in Loop: Header=BB53_22 Depth=1
	v_bfe_u32 v5, v5, s1, 8
	s_delay_alu instid0(VALU_DEP_1)
	v_lshlrev_b32_e32 v5, 2, v5
	ds_add_u32 v5, v4
	s_branch .LBB53_21
.LBB53_25:
	s_wait_dscnt 0x0
	s_barrier_signal -1
	s_barrier_wait -1
	s_and_saveexec_b32 s0, vcc_lo
	s_cbranch_execz .LBB53_27
; %bb.26:
	ds_load_b32 v1, v1
	v_lshl_or_b32 v0, s14, 8, v0
	s_wait_dscnt 0x0
	global_store_b16 v0, v1, s[6:7] scale_offset
.LBB53_27:
	s_endpgm
	.section	.rodata,"a",@progbits
	.p2align	6, 0x0
	.amdhsa_kernel _ZN2at6native6mbtopk23computeBlockDigitCountsIsjjLi1EEEvNS_4cuda6detail10TensorInfoIKT_T0_EEjPjjS8_iijT1_PSB_Ps
		.amdhsa_group_segment_fixed_size 1024
		.amdhsa_private_segment_fixed_size 0
		.amdhsa_kernarg_size 528
		.amdhsa_user_sgpr_count 2
		.amdhsa_user_sgpr_dispatch_ptr 0
		.amdhsa_user_sgpr_queue_ptr 0
		.amdhsa_user_sgpr_kernarg_segment_ptr 1
		.amdhsa_user_sgpr_dispatch_id 0
		.amdhsa_user_sgpr_kernarg_preload_length 0
		.amdhsa_user_sgpr_kernarg_preload_offset 0
		.amdhsa_user_sgpr_private_segment_size 0
		.amdhsa_wavefront_size32 1
		.amdhsa_uses_dynamic_stack 0
		.amdhsa_enable_private_segment 0
		.amdhsa_system_sgpr_workgroup_id_x 1
		.amdhsa_system_sgpr_workgroup_id_y 1
		.amdhsa_system_sgpr_workgroup_id_z 1
		.amdhsa_system_sgpr_workgroup_info 0
		.amdhsa_system_vgpr_workitem_id 0
		.amdhsa_next_free_vgpr 10
		.amdhsa_next_free_sgpr 20
		.amdhsa_named_barrier_count 0
		.amdhsa_reserve_vcc 1
		.amdhsa_float_round_mode_32 0
		.amdhsa_float_round_mode_16_64 0
		.amdhsa_float_denorm_mode_32 3
		.amdhsa_float_denorm_mode_16_64 3
		.amdhsa_fp16_overflow 0
		.amdhsa_memory_ordered 1
		.amdhsa_forward_progress 1
		.amdhsa_inst_pref_size 10
		.amdhsa_round_robin_scheduling 0
		.amdhsa_exception_fp_ieee_invalid_op 0
		.amdhsa_exception_fp_denorm_src 0
		.amdhsa_exception_fp_ieee_div_zero 0
		.amdhsa_exception_fp_ieee_overflow 0
		.amdhsa_exception_fp_ieee_underflow 0
		.amdhsa_exception_fp_ieee_inexact 0
		.amdhsa_exception_int_div_zero 0
	.end_amdhsa_kernel
	.section	.text._ZN2at6native6mbtopk23computeBlockDigitCountsIsjjLi1EEEvNS_4cuda6detail10TensorInfoIKT_T0_EEjPjjS8_iijT1_PSB_Ps,"axG",@progbits,_ZN2at6native6mbtopk23computeBlockDigitCountsIsjjLi1EEEvNS_4cuda6detail10TensorInfoIKT_T0_EEjPjjS8_iijT1_PSB_Ps,comdat
.Lfunc_end53:
	.size	_ZN2at6native6mbtopk23computeBlockDigitCountsIsjjLi1EEEvNS_4cuda6detail10TensorInfoIKT_T0_EEjPjjS8_iijT1_PSB_Ps, .Lfunc_end53-_ZN2at6native6mbtopk23computeBlockDigitCountsIsjjLi1EEEvNS_4cuda6detail10TensorInfoIKT_T0_EEjPjjS8_iijT1_PSB_Ps
                                        ; -- End function
	.set _ZN2at6native6mbtopk23computeBlockDigitCountsIsjjLi1EEEvNS_4cuda6detail10TensorInfoIKT_T0_EEjPjjS8_iijT1_PSB_Ps.num_vgpr, 10
	.set _ZN2at6native6mbtopk23computeBlockDigitCountsIsjjLi1EEEvNS_4cuda6detail10TensorInfoIKT_T0_EEjPjjS8_iijT1_PSB_Ps.num_agpr, 0
	.set _ZN2at6native6mbtopk23computeBlockDigitCountsIsjjLi1EEEvNS_4cuda6detail10TensorInfoIKT_T0_EEjPjjS8_iijT1_PSB_Ps.numbered_sgpr, 20
	.set _ZN2at6native6mbtopk23computeBlockDigitCountsIsjjLi1EEEvNS_4cuda6detail10TensorInfoIKT_T0_EEjPjjS8_iijT1_PSB_Ps.num_named_barrier, 0
	.set _ZN2at6native6mbtopk23computeBlockDigitCountsIsjjLi1EEEvNS_4cuda6detail10TensorInfoIKT_T0_EEjPjjS8_iijT1_PSB_Ps.private_seg_size, 0
	.set _ZN2at6native6mbtopk23computeBlockDigitCountsIsjjLi1EEEvNS_4cuda6detail10TensorInfoIKT_T0_EEjPjjS8_iijT1_PSB_Ps.uses_vcc, 1
	.set _ZN2at6native6mbtopk23computeBlockDigitCountsIsjjLi1EEEvNS_4cuda6detail10TensorInfoIKT_T0_EEjPjjS8_iijT1_PSB_Ps.uses_flat_scratch, 0
	.set _ZN2at6native6mbtopk23computeBlockDigitCountsIsjjLi1EEEvNS_4cuda6detail10TensorInfoIKT_T0_EEjPjjS8_iijT1_PSB_Ps.has_dyn_sized_stack, 0
	.set _ZN2at6native6mbtopk23computeBlockDigitCountsIsjjLi1EEEvNS_4cuda6detail10TensorInfoIKT_T0_EEjPjjS8_iijT1_PSB_Ps.has_recursion, 0
	.set _ZN2at6native6mbtopk23computeBlockDigitCountsIsjjLi1EEEvNS_4cuda6detail10TensorInfoIKT_T0_EEjPjjS8_iijT1_PSB_Ps.has_indirect_call, 0
	.section	.AMDGPU.csdata,"",@progbits
; Kernel info:
; codeLenInByte = 1264
; TotalNumSgprs: 22
; NumVgprs: 10
; ScratchSize: 0
; MemoryBound: 0
; FloatMode: 240
; IeeeMode: 1
; LDSByteSize: 1024 bytes/workgroup (compile time only)
; SGPRBlocks: 0
; VGPRBlocks: 0
; NumSGPRsForWavesPerEU: 22
; NumVGPRsForWavesPerEU: 10
; NamedBarCnt: 0
; Occupancy: 16
; WaveLimiterHint : 1
; COMPUTE_PGM_RSRC2:SCRATCH_EN: 0
; COMPUTE_PGM_RSRC2:USER_SGPR: 2
; COMPUTE_PGM_RSRC2:TRAP_HANDLER: 0
; COMPUTE_PGM_RSRC2:TGID_X_EN: 1
; COMPUTE_PGM_RSRC2:TGID_Y_EN: 1
; COMPUTE_PGM_RSRC2:TGID_Z_EN: 1
; COMPUTE_PGM_RSRC2:TIDIG_COMP_CNT: 0
	.section	.text._ZN2at6native6mbtopk29computeBlockwiseWithinKCountsIjsEEvPT_PsPjjibS6_PT0_S6_S4_S6_j,"axG",@progbits,_ZN2at6native6mbtopk29computeBlockwiseWithinKCountsIjsEEvPT_PsPjjibS6_PT0_S6_S4_S6_j,comdat
	.protected	_ZN2at6native6mbtopk29computeBlockwiseWithinKCountsIjsEEvPT_PsPjjibS6_PT0_S6_S4_S6_j ; -- Begin function _ZN2at6native6mbtopk29computeBlockwiseWithinKCountsIjsEEvPT_PsPjjibS6_PT0_S6_S4_S6_j
	.globl	_ZN2at6native6mbtopk29computeBlockwiseWithinKCountsIjsEEvPT_PsPjjibS6_PT0_S6_S4_S6_j
	.p2align	8
	.type	_ZN2at6native6mbtopk29computeBlockwiseWithinKCountsIjsEEvPT_PsPjjibS6_PT0_S6_S4_S6_j,@function
_ZN2at6native6mbtopk29computeBlockwiseWithinKCountsIjsEEvPT_PsPjjibS6_PT0_S6_S4_S6_j: ; @_ZN2at6native6mbtopk29computeBlockwiseWithinKCountsIjsEEvPT_PsPjjibS6_PT0_S6_S4_S6_j
; %bb.0:
	s_bfe_u32 s2, ttmp6, 0x40010
	s_and_b32 s4, ttmp7, 0xffff
	s_add_co_i32 s5, s2, 1
	s_clause 0x2
	s_load_b96 s[16:18], s[0:1], 0x18
	s_load_b32 s6, s[0:1], 0x50
	s_load_b64 s[2:3], s[0:1], 0x58
	s_bfe_u32 s8, ttmp6, 0x4000c
	s_mul_i32 s5, s4, s5
	s_bfe_u32 s7, ttmp6, 0x40004
	s_add_co_i32 s8, s8, 1
	s_bfe_u32 s9, ttmp6, 0x40014
	s_add_co_i32 s7, s7, s5
	s_and_b32 s5, ttmp6, 15
	s_mul_i32 s8, ttmp9, s8
	s_lshr_b32 s10, ttmp7, 16
	s_add_co_i32 s9, s9, 1
	s_add_co_i32 s5, s5, s8
	s_mul_i32 s8, s10, s9
	s_bfe_u32 s9, ttmp6, 0x40008
	s_getreg_b32 s11, hwreg(HW_REG_IB_STS2, 6, 4)
	s_add_co_i32 s9, s9, s8
	s_cmp_eq_u32 s11, 0
	s_mov_b32 s21, 0
	s_cselect_b32 s8, s10, s9
	s_wait_kmcnt 0x0
	s_cvt_f32_u32 s9, s16
	s_mul_i32 s3, s3, s8
	s_cselect_b32 s4, s4, s7
	s_cselect_b32 s5, ttmp9, s5
	v_rcp_iflag_f32_e32 v1, s9
	s_add_co_i32 s3, s3, s4
	s_delay_alu instid0(SALU_CYCLE_1) | instskip(NEXT) | instid1(SALU_CYCLE_1)
	s_mul_i32 s2, s3, s2
	s_add_co_i32 s20, s2, s5
	v_nop
	s_delay_alu instid0(TRANS32_DEP_1)
	v_readfirstlane_b32 s2, v1
	s_cmp_ge_u32 s20, s6
	s_cbranch_scc1 .LBB54_49
; %bb.1:
	s_mul_f32 s2, s2, 0x4f7ffffe
	s_delay_alu instid0(SALU_CYCLE_3) | instskip(SKIP_1) | instid1(SALU_CYCLE_2)
	s_cvt_u32_f32 s4, s2
	s_sub_co_i32 s2, 0, s16
	s_mul_i32 s2, s2, s4
	s_delay_alu instid0(SALU_CYCLE_1) | instskip(SKIP_3) | instid1(SALU_CYCLE_1)
	s_mul_hi_u32 s5, s4, s2
	s_load_b64 s[2:3], s[0:1], 0x10
	s_add_co_i32 s4, s4, s5
	s_mov_b32 s5, s21
	s_mul_u64 s[4:5], s[20:21], s[4:5]
	s_delay_alu instid0(SALU_CYCLE_1) | instskip(SKIP_2) | instid1(SALU_CYCLE_1)
	s_mul_i32 s4, s5, s16
	s_add_co_i32 s6, s5, 1
	s_sub_co_i32 s4, s20, s4
	s_sub_co_i32 s7, s4, s16
	s_cmp_ge_u32 s4, s16
	s_cselect_b32 s5, s6, s5
	s_cselect_b32 s4, s7, s4
	s_add_co_i32 s6, s5, 1
	s_cmp_ge_u32 s4, s16
	s_cselect_b32 s22, s6, s5
	s_load_b128 s[12:15], s[0:1], 0x0
	s_wait_kmcnt 0x0
	s_load_b32 s19, s[2:3], s22 offset:0x0 scale_offset
	s_wait_xcnt 0x0
	v_cmp_gt_u32_e64 s2, 0x100, v0
	s_and_saveexec_b32 s3, s2
	s_cbranch_execz .LBB54_17
; %bb.2:
	s_mul_i32 s4, s22, s16
	s_mov_b32 s5, 0
	s_lshl_b32 s4, s4, 8
	v_dual_mov_b32 v3, 0 :: v_dual_lshlrev_b32 v2, 1, v0
	s_lshl_b64 s[6:7], s[4:5], 1
	s_cmp_lt_u32 s16, 4
	s_add_nc_u64 s[6:7], s[14:15], s[6:7]
	s_delay_alu instid0(VALU_DEP_1) | instid1(SALU_CYCLE_1)
	v_add_nc_u64_e32 v[4:5], s[6:7], v[2:3]
	s_cbranch_scc1 .LBB54_10
; %bb.3:
	v_readfirstlane_b32 s5, v0
	v_mov_b32_e32 v3, 0
	s_add_co_i32 s4, s16, -4
	s_delay_alu instid0(SALU_CYCLE_1)
	s_cmp_lt_u32 s4, 4
	s_cbranch_scc1 .LBB54_7
; %bb.4:
	s_delay_alu instid0(VALU_DEP_1)
	v_add_nc_u64_e32 v[6:7], s[6:7], v[2:3]
	s_lshr_b32 s4, s4, 2
	s_mov_b32 s7, 0
	s_add_co_i32 s6, s4, 1
	v_mov_b32_e32 v1, v3
	s_and_b64 s[8:9], s[6:7], 0x7ffffffe
	s_delay_alu instid0(SALU_CYCLE_1)
	s_mov_b64 s[4:5], s[8:9]
	v_add_nc_u64_e32 v[6:7], 0x800, v[6:7]
.LBB54_5:                               ; =>This Inner Loop Header: Depth=1
	s_clause 0x7
	global_load_i16 v2, v[6:7], off offset:-2048
	global_load_i16 v8, v[6:7], off
	global_load_i16 v9, v[6:7], off offset:512
	global_load_i16 v10, v[6:7], off offset:-1536
	global_load_i16 v11, v[6:7], off offset:-1024
	global_load_i16 v12, v[6:7], off offset:1024
	global_load_i16 v13, v[6:7], off offset:1536
	global_load_i16 v14, v[6:7], off offset:-512
	s_wait_xcnt 0x0
	v_add_nc_u64_e32 v[6:7], 0x1000, v[6:7]
	s_add_nc_u64 s[4:5], s[4:5], -2
	s_delay_alu instid0(SALU_CYCLE_1)
	s_cmp_lg_u64 s[4:5], 0
	s_wait_loadcnt 0x5
	v_add3_u32 v1, v1, v8, v9
	s_wait_loadcnt 0x4
	v_add3_u32 v2, v3, v2, v10
	s_wait_loadcnt 0x1
	s_delay_alu instid0(VALU_DEP_2) | instskip(SKIP_1) | instid1(VALU_DEP_2)
	v_add3_u32 v1, v1, v12, v13
	s_wait_loadcnt 0x0
	v_add3_u32 v3, v2, v11, v14
	s_cbranch_scc1 .LBB54_5
; %bb.6:
	s_lshl_b64 s[4:5], s[8:9], 11
	s_delay_alu instid0(VALU_DEP_1)
	v_add_nc_u32_e32 v3, v3, v1
	v_add_nc_u64_e32 v[4:5], s[4:5], v[4:5]
	s_lshl_b32 s5, s8, 2
	s_cmp_lg_u64 s[8:9], s[6:7]
	s_mov_b32 s4, s5
	s_cselect_b32 s6, -1, 0
	s_delay_alu instid0(SALU_CYCLE_1)
	s_and_b32 vcc_lo, exec_lo, s6
	s_cbranch_vccnz .LBB54_8
	s_branch .LBB54_10
.LBB54_7:
	s_mov_b32 s4, 0
	s_cbranch_execz .LBB54_10
.LBB54_8:                               ; =>This Inner Loop Header: Depth=1
	s_clause 0x3
	global_load_i16 v1, v[4:5], off
	global_load_i16 v2, v[4:5], off offset:512
	global_load_i16 v6, v[4:5], off offset:1024
	;; [unrolled: 1-line block ×3, first 2 shown]
	s_wait_xcnt 0x0
	v_add_nc_u64_e32 v[4:5], 0x800, v[4:5]
	s_add_co_i32 s5, s4, 7
	s_add_co_i32 s4, s4, 4
	s_cmp_ge_u32 s5, s16
	s_wait_loadcnt 0x2
	v_add3_u32 v1, v3, v1, v2
	s_wait_loadcnt 0x0
	s_delay_alu instid0(VALU_DEP_1)
	v_add3_u32 v3, v1, v6, v7
	s_cbranch_scc0 .LBB54_8
; %bb.9:
	s_mov_b32 s5, s4
.LBB54_10:
	s_delay_alu instid0(SALU_CYCLE_1)
	s_cmp_ge_u32 s5, s16
	s_cbranch_scc1 .LBB54_16
; %bb.11:
	s_not_b32 s4, s5
	s_mov_b32 s7, 0
	s_add_co_i32 s6, s16, s4
	s_delay_alu instid0(SALU_CYCLE_1)
	s_cmp_eq_u32 s6, 0
	s_cbranch_scc1 .LBB54_50
; %bb.12:
	v_add_nc_u64_e32 v[6:7], 0x200, v[4:5]
	s_add_nc_u64 s[6:7], s[6:7], 1
	v_mov_b32_e32 v1, 0
	s_and_b64 s[8:9], s[6:7], 0x1fffffffe
	s_delay_alu instid0(SALU_CYCLE_1)
	s_mov_b64 s[10:11], s[8:9]
.LBB54_13:                              ; =>This Inner Loop Header: Depth=1
	s_clause 0x1
	global_load_i16 v2, v[6:7], off
	global_load_i16 v8, v[6:7], off offset:-512
	s_wait_xcnt 0x0
	v_add_nc_u64_e32 v[6:7], 0x400, v[6:7]
	s_add_nc_u64 s[10:11], s[10:11], -2
	s_delay_alu instid0(SALU_CYCLE_1)
	s_cmp_lg_u64 s[10:11], 0
	s_wait_loadcnt 0x0
	v_dual_add_nc_u32 v1, v1, v2 :: v_dual_add_nc_u32 v3, v3, v8
	s_cbranch_scc1 .LBB54_13
; %bb.14:
	s_lshl_b64 s[10:11], s[8:9], 9
	s_add_co_i32 s5, s5, s8
	v_add_nc_u64_e32 v[4:5], s[10:11], v[4:5]
	v_add_nc_u32_e32 v3, v3, v1
	s_cmp_lg_u64 s[6:7], s[8:9]
	s_cselect_b32 s4, -1, 0
	s_delay_alu instid0(SALU_CYCLE_1)
	s_and_b32 vcc_lo, exec_lo, s4
	s_cbranch_vccz .LBB54_16
.LBB54_15:                              ; =>This Inner Loop Header: Depth=1
	global_load_i16 v1, v[4:5], off
	s_wait_xcnt 0x0
	v_add_nc_u64_e32 v[4:5], 0x200, v[4:5]
	s_add_co_i32 s5, s5, 1
	s_delay_alu instid0(SALU_CYCLE_1)
	s_cmp_lt_u32 s5, s16
	s_wait_loadcnt 0x0
	v_add_nc_u32_e32 v3, v3, v1
	s_cbranch_scc1 .LBB54_15
.LBB54_16:
	v_lshlrev_b32_e32 v1, 2, v0
	ds_store_b32 v1, v3 offset:1056
.LBB54_17:
	s_or_b32 exec_lo, exec_lo, s3
	v_dual_mov_b32 v5, 0 :: v_dual_lshlrev_b32 v1, 2, v0
	s_mov_b32 s23, s21
	s_wait_dscnt 0x0
	s_barrier_signal -1
	s_barrier_wait -1
	s_and_saveexec_b32 s3, s2
; %bb.18:
	ds_load_b32 v5, v1 offset:1056
; %bb.19:
	s_or_b32 exec_lo, exec_lo, s3
	v_lshrrev_b32_e32 v3, 5, v0
	v_cmp_gt_u32_e64 s3, 32, v0
	v_mbcnt_lo_u32_b32 v2, -1, 0
	s_delay_alu instid0(VALU_DEP_3)
	v_lshl_add_u32 v4, v3, 2, v1
	s_wait_dscnt 0x0
	ds_store_b32 v4, v5
	s_wait_dscnt 0x0
	s_barrier_signal -1
	s_barrier_wait -1
	s_and_saveexec_b32 s4, s3
	s_cbranch_execz .LBB54_21
; %bb.20:
	v_and_b32_e32 v6, 0xfc, v0
	s_delay_alu instid0(VALU_DEP_1)
	v_lshl_add_u32 v14, v0, 5, v6
	ds_load_2addr_b32 v[6:7], v14 offset1:1
	ds_load_2addr_b32 v[8:9], v14 offset0:2 offset1:3
	ds_load_2addr_b32 v[10:11], v14 offset0:4 offset1:5
	;; [unrolled: 1-line block ×3, first 2 shown]
	; wave barrier
	s_wait_dscnt 0x3
	v_add_nc_u32_e32 v7, v7, v6
	s_wait_dscnt 0x2
	s_delay_alu instid0(VALU_DEP_1) | instskip(SKIP_1) | instid1(VALU_DEP_1)
	v_add3_u32 v7, v7, v8, v9
	s_wait_dscnt 0x1
	v_add3_u32 v7, v7, v10, v11
	v_bfe_i32 v10, v2, 4, 1
	s_wait_dscnt 0x0
	s_delay_alu instid0(VALU_DEP_2) | instskip(SKIP_1) | instid1(VALU_DEP_2)
	v_add3_u32 v7, v7, v12, v13
	v_and_b32_e32 v8, 15, v2
	v_mov_b32_dpp v9, v7 row_shr:1 row_mask:0xf bank_mask:0xf
	s_delay_alu instid0(VALU_DEP_2) | instskip(NEXT) | instid1(VALU_DEP_2)
	v_cmp_ne_u32_e32 vcc_lo, 0, v8
	v_cndmask_b32_e32 v9, 0, v9, vcc_lo
	s_delay_alu instid0(VALU_DEP_1) | instskip(SKIP_1) | instid1(VALU_DEP_2)
	v_add_nc_u32_e32 v7, v9, v7
	v_cmp_lt_u32_e32 vcc_lo, 1, v8
	v_mov_b32_dpp v9, v7 row_shr:2 row_mask:0xf bank_mask:0xf
	s_delay_alu instid0(VALU_DEP_1) | instskip(SKIP_1) | instid1(VALU_DEP_2)
	v_cndmask_b32_e32 v9, 0, v9, vcc_lo
	v_cmp_lt_u32_e32 vcc_lo, 3, v8
	v_add_nc_u32_e32 v7, v7, v9
	s_delay_alu instid0(VALU_DEP_1) | instskip(NEXT) | instid1(VALU_DEP_1)
	v_mov_b32_dpp v9, v7 row_shr:4 row_mask:0xf bank_mask:0xf
	v_cndmask_b32_e32 v9, 0, v9, vcc_lo
	v_cmp_lt_u32_e32 vcc_lo, 7, v8
	s_delay_alu instid0(VALU_DEP_2) | instskip(NEXT) | instid1(VALU_DEP_1)
	v_add_nc_u32_e32 v7, v7, v9
	v_mov_b32_dpp v9, v7 row_shr:8 row_mask:0xf bank_mask:0xf
	s_delay_alu instid0(VALU_DEP_1) | instskip(NEXT) | instid1(VALU_DEP_1)
	v_cndmask_b32_e32 v8, 0, v9, vcc_lo
	v_add_nc_u32_e32 v7, v7, v8
	ds_swizzle_b32 v8, v7 offset:swizzle(BROADCAST,32,15)
	s_wait_dscnt 0x0
	v_dual_add_nc_u32 v9, -1, v2 :: v_dual_bitop2_b32 v8, v10, v8 bitop3:0x40
	s_delay_alu instid0(VALU_DEP_1) | instskip(NEXT) | instid1(VALU_DEP_2)
	v_cmp_gt_i32_e32 vcc_lo, 0, v9
	v_dual_add_nc_u32 v7, v7, v8 :: v_dual_cndmask_b32 v9, v9, v2, vcc_lo
	v_cmp_eq_u32_e32 vcc_lo, 0, v0
	s_delay_alu instid0(VALU_DEP_2) | instskip(SKIP_3) | instid1(VALU_DEP_1)
	v_lshlrev_b32_e32 v9, 2, v9
	ds_bpermute_b32 v7, v9, v7
	s_wait_dscnt 0x0
	v_add_nc_u32_e32 v6, v7, v6
	v_cndmask_b32_e32 v5, v6, v5, vcc_lo
	ds_store_b32 v14, v5
	; wave barrier
	ds_load_2addr_b32 v[6:7], v14 offset0:1 offset1:2
	ds_load_2addr_b32 v[8:9], v14 offset0:3 offset1:4
	;; [unrolled: 1-line block ×3, first 2 shown]
	ds_load_b32 v12, v14 offset:28
	s_wait_dscnt 0x3
	v_add_nc_u32_e32 v5, v6, v5
	s_delay_alu instid0(VALU_DEP_1) | instskip(SKIP_1) | instid1(VALU_DEP_1)
	v_add_nc_u32_e32 v6, v7, v5
	s_wait_dscnt 0x2
	v_add_nc_u32_e32 v7, v8, v6
	s_delay_alu instid0(VALU_DEP_1) | instskip(SKIP_1) | instid1(VALU_DEP_1)
	v_add_nc_u32_e32 v8, v9, v7
	;; [unrolled: 4-line block ×3, first 2 shown]
	s_wait_dscnt 0x0
	v_add_nc_u32_e32 v11, v12, v10
	ds_store_2addr_b32 v14, v5, v6 offset0:1 offset1:2
	ds_store_2addr_b32 v14, v7, v8 offset0:3 offset1:4
	;; [unrolled: 1-line block ×3, first 2 shown]
	ds_store_b32 v14, v11 offset:28
.LBB54_21:
	s_or_b32 exec_lo, exec_lo, s4
	s_wait_dscnt 0x0
	s_barrier_signal -1
	s_barrier_wait -1
	ds_load_b32 v5, v4
	s_wait_dscnt 0x0
	s_barrier_signal -1
	s_barrier_wait -1
	s_and_saveexec_b32 s4, s2
; %bb.22:
	ds_store_b32 v1, v5 offset:1056
; %bb.23:
	s_or_b32 exec_lo, exec_lo, s4
	s_clause 0x1
	s_load_b256 s[4:11], s[0:1], 0x28
	s_load_b64 s[24:25], s[0:1], 0x48
	s_wait_dscnt 0x0
	s_barrier_signal -1
	s_barrier_wait -1
	s_and_saveexec_b32 s26, s2
	s_cbranch_execz .LBB54_32
; %bb.24:
	v_mov_b32_e32 v4, 0
	s_wait_xcnt 0x0
	s_mov_b32 s0, exec_lo
	v_cmpx_ne_u32_e32 0, v0
; %bb.25:
	ds_load_b32 v4, v1 offset:1052
; %bb.26:
	s_or_b32 exec_lo, exec_lo, s0
	s_wait_dscnt 0x0
	s_wait_kmcnt 0x0
	v_cmp_gt_u32_e32 vcc_lo, s19, v4
	v_cmp_le_u32_e64 s0, s19, v5
	s_and_b32 s0, vcc_lo, s0
	s_delay_alu instid0(SALU_CYCLE_1)
	s_and_b32 exec_lo, exec_lo, s0
	s_cbranch_execz .LBB54_32
; %bb.27:
	v_dual_mov_b32 v6, 0 :: v_dual_lshlrev_b32 v7, s17, v0
	s_lshl_b64 s[0:1], s[22:23], 2
	s_lshl_b32 s2, 0xff, s17
	s_add_nc_u64 s[12:13], s[12:13], s[0:1]
	global_load_b32 v5, v6, s[12:13]
	s_wait_loadcnt 0x0
	v_bitop3_b32 v5, v5, v7, s2 bitop3:0xdc
	s_mul_i32 s2, s22, s16
	s_delay_alu instid0(SALU_CYCLE_1)
	s_cmp_lg_u32 s20, s2
	ds_store_b32 v6, v5 offset:2112
	s_cbranch_scc1 .LBB54_32
; %bb.28:
	s_add_nc_u64 s[10:11], s[10:11], s[0:1]
	s_cmp_lt_i32 s17, 1
	s_mov_b32 s2, -1
	global_store_b32 v6, v5, s[10:11]
	s_cbranch_scc0 .LBB54_30
; %bb.29:
	s_wait_xcnt 0x0
	v_xor_b32_e32 v5, 0xffff8000, v5
	v_mov_b32_e32 v6, 0
	s_lshl_b64 s[10:11], s[22:23], 1
	s_mov_b32 s2, 0
	s_add_nc_u64 s[6:7], s[6:7], s[10:11]
	global_store_b16 v6, v5, s[6:7]
.LBB54_30:
	s_and_not1_b32 vcc_lo, exec_lo, s2
	s_cbranch_vccnz .LBB54_32
; %bb.31:
	s_wait_xcnt 0x0
	v_dual_mov_b32 v5, 0 :: v_dual_sub_nc_u32 v4, s19, v4
	s_add_nc_u64 s[0:1], s[8:9], s[0:1]
	global_store_b32 v5, v4, s[0:1]
.LBB54_32:
	s_wait_xcnt 0x0
	s_or_b32 exec_lo, exec_lo, s26
	v_mov_b32_e32 v4, 0
	s_wait_storecnt_dscnt 0x0
	s_barrier_signal -1
	s_barrier_wait -1
	ds_load_b32 v4, v4 offset:2112
	s_bitcmp0_b32 s18, 0
	s_mov_b32 s0, 0
	s_wait_dscnt 0x0
	v_lshrrev_b32_e32 v4, s17, v4
	s_delay_alu instid0(VALU_DEP_1)
	v_and_b32_e32 v4, 0xff, v4
	s_cbranch_scc0 .LBB54_34
; %bb.33:
	v_and_b32_e32 v5, 0xe0, v0
	s_delay_alu instid0(VALU_DEP_2) | instskip(NEXT) | instid1(VALU_DEP_2)
	v_cmp_lt_u32_e64 s1, v0, v4
	v_cmp_lt_u32_e64 s2, v5, v4
	s_and_not1_b32 vcc_lo, exec_lo, s0
	s_cbranch_vccz .LBB54_35
	s_branch .LBB54_36
.LBB54_34:
                                        ; implicit-def: $sgpr1
                                        ; implicit-def: $sgpr2
.LBB54_35:
	v_or_b32_e32 v5, 31, v0
	s_delay_alu instid0(VALU_DEP_2) | instskip(SKIP_2) | instid1(VALU_DEP_2)
	v_cmp_gt_u32_e32 vcc_lo, v0, v4
	s_and_not1_b32 s1, s1, exec_lo
	s_and_not1_b32 s2, s2, exec_lo
	v_cmp_gt_u32_e64 s0, v5, v4
	s_wait_kmcnt 0x0
	s_and_b32 s6, vcc_lo, exec_lo
	s_delay_alu instid0(SALU_CYCLE_1) | instskip(SKIP_1) | instid1(SALU_CYCLE_1)
	s_or_b32 s1, s1, s6
	s_and_b32 s0, s0, exec_lo
	s_or_b32 s2, s2, s0
.LBB54_36:
	v_mov_b32_e32 v4, 0
	s_and_saveexec_b32 s0, s2
	s_cbranch_execz .LBB54_40
; %bb.37:
	v_mov_b32_e32 v4, 0
	s_and_saveexec_b32 s2, s1
	s_cbranch_execz .LBB54_39
; %bb.38:
	s_wait_kmcnt 0x0
	s_lshl_b32 s6, s20, 8
	s_mov_b32 s7, 0
	s_delay_alu instid0(SALU_CYCLE_1) | instskip(NEXT) | instid1(SALU_CYCLE_1)
	s_lshl_b64 s[6:7], s[6:7], 1
	s_add_nc_u64 s[6:7], s[14:15], s[6:7]
	global_load_i16 v4, v0, s[6:7] scale_offset
.LBB54_39:
	s_wait_xcnt 0x0
	s_or_b32 exec_lo, exec_lo, s2
	v_lshl_or_b32 v5, v2, 2, 64
	v_cmp_gt_u32_e32 vcc_lo, 24, v2
	s_wait_loadcnt 0x0
	ds_bpermute_b32 v5, v5, v4
	v_cndmask_b32_e64 v6, 0, 8, vcc_lo
	v_cmp_gt_u32_e32 vcc_lo, 28, v2
	s_delay_alu instid0(VALU_DEP_2)
	v_add_lshl_u32 v6, v6, v2, 2
	s_wait_dscnt 0x0
	v_add_nc_u32_e32 v4, v5, v4
	ds_bpermute_b32 v5, v6, v4
	v_cndmask_b32_e64 v6, 0, 4, vcc_lo
	v_cmp_gt_u32_e32 vcc_lo, 30, v2
	s_delay_alu instid0(VALU_DEP_2)
	v_add_lshl_u32 v6, v6, v2, 2
	s_wait_dscnt 0x0
	v_add_nc_u32_e32 v4, v5, v4
	ds_bpermute_b32 v5, v6, v4
	v_cndmask_b32_e64 v6, 0, 2, vcc_lo
	v_cmp_ne_u32_e32 vcc_lo, 31, v2
	s_delay_alu instid0(VALU_DEP_2)
	v_add_lshl_u32 v6, v6, v2, 2
	s_wait_dscnt 0x0
	v_add_nc_u32_e32 v4, v5, v4
	ds_bpermute_b32 v5, v6, v4
	v_add_co_ci_u32_e64 v6, null, 0, v2, vcc_lo
	s_wait_dscnt 0x0
	s_delay_alu instid0(VALU_DEP_1)
	v_dual_add_nc_u32 v4, v5, v4 :: v_dual_lshlrev_b32 v5, 2, v6
	ds_bpermute_b32 v5, v5, v4
	s_wait_dscnt 0x0
	v_add_nc_u32_e32 v4, v5, v4
.LBB54_40:
	s_or_b32 exec_lo, exec_lo, s0
	v_and_b32_e32 v5, 31, v0
	s_mov_b32 s0, exec_lo
	s_delay_alu instid0(VALU_DEP_1)
	v_cmpx_eq_u32_e32 0, v5
; %bb.41:
	v_lshlrev_b32_e32 v3, 2, v3
	ds_store_b32 v3, v4 offset:2080
; %bb.42:
	s_or_b32 exec_lo, exec_lo, s0
	s_wait_dscnt 0x0
	s_barrier_signal -1
	s_barrier_wait -1
	s_and_saveexec_b32 s0, s3
	s_cbranch_execz .LBB54_49
; %bb.43:
	v_mov_b32_e32 v3, 0
	s_mov_b32 s0, exec_lo
	v_cmpx_gt_u32_e32 8, v0
; %bb.44:
	ds_load_b32 v3, v1 offset:2080
; %bb.45:
	s_or_b32 exec_lo, exec_lo, s0
	v_cmp_gt_u32_e32 vcc_lo, 28, v2
	s_mov_b32 s0, exec_lo
	v_cndmask_b32_e64 v1, 0, 4, vcc_lo
	v_cmp_gt_u32_e32 vcc_lo, 30, v2
	s_delay_alu instid0(VALU_DEP_2)
	v_add_lshl_u32 v1, v1, v2, 2
	v_cndmask_b32_e64 v4, 0, 2, vcc_lo
	v_cmp_ne_u32_e32 vcc_lo, 31, v2
	s_wait_dscnt 0x0
	ds_bpermute_b32 v1, v1, v3
	v_add_lshl_u32 v4, v4, v2, 2
	v_add_co_ci_u32_e64 v2, null, 0, v2, vcc_lo
	s_wait_dscnt 0x0
	s_delay_alu instid0(VALU_DEP_1)
	v_dual_lshlrev_b32 v2, 2, v2 :: v_dual_add_nc_u32 v1, v1, v3
	ds_bpermute_b32 v3, v4, v1
	s_wait_dscnt 0x0
	v_add_nc_u32_e32 v1, v3, v1
	ds_bpermute_b32 v2, v2, v1
	v_cmpx_eq_u32_e32 0, v0
	s_cbranch_execz .LBB54_47
; %bb.46:
	v_mov_b32_e32 v3, 0
	s_lshl_b64 s[2:3], s[20:21], 2
	s_wait_kmcnt 0x0
	s_add_nc_u64 s[2:3], s[4:5], s[2:3]
	global_load_b32 v4, v3, s[2:3]
	s_wait_loadcnt_dscnt 0x0
	v_add3_u32 v1, v2, v1, v4
	global_store_b32 v3, v1, s[2:3]
.LBB54_47:
	s_wait_xcnt 0x0
	s_or_b32 exec_lo, exec_lo, s0
	v_or_b32_e32 v0, s17, v0
	s_delay_alu instid0(VALU_DEP_1)
	v_cmp_eq_u32_e32 vcc_lo, 0, v0
	s_and_b32 exec_lo, exec_lo, vcc_lo
	s_cbranch_execz .LBB54_49
; %bb.48:
	v_mov_b32_e32 v0, 0
	s_lshl_b32 s0, s20, 8
	s_mov_b32 s1, 0
	s_delay_alu instid0(SALU_CYCLE_1)
	s_lshl_b64 s[0:1], s[0:1], 1
	ds_load_b32 v1, v0 offset:2112
	s_add_nc_u64 s[0:1], s[14:15], s[0:1]
	s_wait_dscnt 0x0
	v_and_b32_e32 v1, 0xff, v1
	global_load_i16 v1, v1, s[0:1] scale_offset
	s_wait_xcnt 0x0
	s_lshl_b64 s[0:1], s[20:21], 2
	s_wait_kmcnt 0x0
	s_add_nc_u64 s[0:1], s[24:25], s[0:1]
	s_wait_loadcnt 0x0
	global_store_b32 v0, v1, s[0:1]
.LBB54_49:
	s_endpgm
.LBB54_50:
	s_cbranch_execnz .LBB54_15
	s_branch .LBB54_16
	.section	.rodata,"a",@progbits
	.p2align	6, 0x0
	.amdhsa_kernel _ZN2at6native6mbtopk29computeBlockwiseWithinKCountsIjsEEvPT_PsPjjibS6_PT0_S6_S4_S6_j
		.amdhsa_group_segment_fixed_size 2116
		.amdhsa_private_segment_fixed_size 0
		.amdhsa_kernarg_size 344
		.amdhsa_user_sgpr_count 2
		.amdhsa_user_sgpr_dispatch_ptr 0
		.amdhsa_user_sgpr_queue_ptr 0
		.amdhsa_user_sgpr_kernarg_segment_ptr 1
		.amdhsa_user_sgpr_dispatch_id 0
		.amdhsa_user_sgpr_kernarg_preload_length 0
		.amdhsa_user_sgpr_kernarg_preload_offset 0
		.amdhsa_user_sgpr_private_segment_size 0
		.amdhsa_wavefront_size32 1
		.amdhsa_uses_dynamic_stack 0
		.amdhsa_enable_private_segment 0
		.amdhsa_system_sgpr_workgroup_id_x 1
		.amdhsa_system_sgpr_workgroup_id_y 1
		.amdhsa_system_sgpr_workgroup_id_z 1
		.amdhsa_system_sgpr_workgroup_info 0
		.amdhsa_system_vgpr_workitem_id 0
		.amdhsa_next_free_vgpr 15
		.amdhsa_next_free_sgpr 27
		.amdhsa_named_barrier_count 0
		.amdhsa_reserve_vcc 1
		.amdhsa_float_round_mode_32 0
		.amdhsa_float_round_mode_16_64 0
		.amdhsa_float_denorm_mode_32 3
		.amdhsa_float_denorm_mode_16_64 3
		.amdhsa_fp16_overflow 0
		.amdhsa_memory_ordered 1
		.amdhsa_forward_progress 1
		.amdhsa_inst_pref_size 22
		.amdhsa_round_robin_scheduling 0
		.amdhsa_exception_fp_ieee_invalid_op 0
		.amdhsa_exception_fp_denorm_src 0
		.amdhsa_exception_fp_ieee_div_zero 0
		.amdhsa_exception_fp_ieee_overflow 0
		.amdhsa_exception_fp_ieee_underflow 0
		.amdhsa_exception_fp_ieee_inexact 0
		.amdhsa_exception_int_div_zero 0
	.end_amdhsa_kernel
	.section	.text._ZN2at6native6mbtopk29computeBlockwiseWithinKCountsIjsEEvPT_PsPjjibS6_PT0_S6_S4_S6_j,"axG",@progbits,_ZN2at6native6mbtopk29computeBlockwiseWithinKCountsIjsEEvPT_PsPjjibS6_PT0_S6_S4_S6_j,comdat
.Lfunc_end54:
	.size	_ZN2at6native6mbtopk29computeBlockwiseWithinKCountsIjsEEvPT_PsPjjibS6_PT0_S6_S4_S6_j, .Lfunc_end54-_ZN2at6native6mbtopk29computeBlockwiseWithinKCountsIjsEEvPT_PsPjjibS6_PT0_S6_S4_S6_j
                                        ; -- End function
	.set _ZN2at6native6mbtopk29computeBlockwiseWithinKCountsIjsEEvPT_PsPjjibS6_PT0_S6_S4_S6_j.num_vgpr, 15
	.set _ZN2at6native6mbtopk29computeBlockwiseWithinKCountsIjsEEvPT_PsPjjibS6_PT0_S6_S4_S6_j.num_agpr, 0
	.set _ZN2at6native6mbtopk29computeBlockwiseWithinKCountsIjsEEvPT_PsPjjibS6_PT0_S6_S4_S6_j.numbered_sgpr, 27
	.set _ZN2at6native6mbtopk29computeBlockwiseWithinKCountsIjsEEvPT_PsPjjibS6_PT0_S6_S4_S6_j.num_named_barrier, 0
	.set _ZN2at6native6mbtopk29computeBlockwiseWithinKCountsIjsEEvPT_PsPjjibS6_PT0_S6_S4_S6_j.private_seg_size, 0
	.set _ZN2at6native6mbtopk29computeBlockwiseWithinKCountsIjsEEvPT_PsPjjibS6_PT0_S6_S4_S6_j.uses_vcc, 1
	.set _ZN2at6native6mbtopk29computeBlockwiseWithinKCountsIjsEEvPT_PsPjjibS6_PT0_S6_S4_S6_j.uses_flat_scratch, 0
	.set _ZN2at6native6mbtopk29computeBlockwiseWithinKCountsIjsEEvPT_PsPjjibS6_PT0_S6_S4_S6_j.has_dyn_sized_stack, 0
	.set _ZN2at6native6mbtopk29computeBlockwiseWithinKCountsIjsEEvPT_PsPjjibS6_PT0_S6_S4_S6_j.has_recursion, 0
	.set _ZN2at6native6mbtopk29computeBlockwiseWithinKCountsIjsEEvPT_PsPjjibS6_PT0_S6_S4_S6_j.has_indirect_call, 0
	.section	.AMDGPU.csdata,"",@progbits
; Kernel info:
; codeLenInByte = 2704
; TotalNumSgprs: 29
; NumVgprs: 15
; ScratchSize: 0
; MemoryBound: 0
; FloatMode: 240
; IeeeMode: 1
; LDSByteSize: 2116 bytes/workgroup (compile time only)
; SGPRBlocks: 0
; VGPRBlocks: 0
; NumSGPRsForWavesPerEU: 29
; NumVGPRsForWavesPerEU: 15
; NamedBarCnt: 0
; Occupancy: 16
; WaveLimiterHint : 1
; COMPUTE_PGM_RSRC2:SCRATCH_EN: 0
; COMPUTE_PGM_RSRC2:USER_SGPR: 2
; COMPUTE_PGM_RSRC2:TRAP_HANDLER: 0
; COMPUTE_PGM_RSRC2:TGID_X_EN: 1
; COMPUTE_PGM_RSRC2:TGID_Y_EN: 1
; COMPUTE_PGM_RSRC2:TGID_Z_EN: 1
; COMPUTE_PGM_RSRC2:TIDIG_COMP_CNT: 0
	.section	.text._ZN2at6native6mbtopk10gatherTopKIsjLi1EEEvNS_4cuda6detail10TensorInfoIKT_T0_EES8_S8_bjS8_NS5_IS6_S8_EES8_NS5_IlS8_EES8_jjPS6_PjSD_j,"axG",@progbits,_ZN2at6native6mbtopk10gatherTopKIsjLi1EEEvNS_4cuda6detail10TensorInfoIKT_T0_EES8_S8_bjS8_NS5_IS6_S8_EES8_NS5_IlS8_EES8_jjPS6_PjSD_j,comdat
	.protected	_ZN2at6native6mbtopk10gatherTopKIsjLi1EEEvNS_4cuda6detail10TensorInfoIKT_T0_EES8_S8_bjS8_NS5_IS6_S8_EES8_NS5_IlS8_EES8_jjPS6_PjSD_j ; -- Begin function _ZN2at6native6mbtopk10gatherTopKIsjLi1EEEvNS_4cuda6detail10TensorInfoIKT_T0_EES8_S8_bjS8_NS5_IS6_S8_EES8_NS5_IlS8_EES8_jjPS6_PjSD_j
	.globl	_ZN2at6native6mbtopk10gatherTopKIsjLi1EEEvNS_4cuda6detail10TensorInfoIKT_T0_EES8_S8_bjS8_NS5_IS6_S8_EES8_NS5_IlS8_EES8_jjPS6_PjSD_j
	.p2align	8
	.type	_ZN2at6native6mbtopk10gatherTopKIsjLi1EEEvNS_4cuda6detail10TensorInfoIKT_T0_EES8_S8_bjS8_NS5_IS6_S8_EES8_NS5_IlS8_EES8_jjPS6_PjSD_j,@function
_ZN2at6native6mbtopk10gatherTopKIsjLi1EEEvNS_4cuda6detail10TensorInfoIKT_T0_EES8_S8_bjS8_NS5_IS6_S8_EES8_NS5_IlS8_EES8_jjPS6_PjSD_j: ; @_ZN2at6native6mbtopk10gatherTopKIsjLi1EEEvNS_4cuda6detail10TensorInfoIKT_T0_EES8_S8_bjS8_NS5_IS6_S8_EES8_NS5_IlS8_EES8_jjPS6_PjSD_j
; %bb.0:
	s_bfe_u32 s2, ttmp6, 0x40010
	s_and_b32 s4, ttmp7, 0xffff
	s_add_co_i32 s5, s2, 1
	s_clause 0x1
	s_load_b32 s6, s[0:1], 0x2d0
	s_load_b64 s[2:3], s[0:1], 0x2d8
	s_bfe_u32 s8, ttmp6, 0x4000c
	s_mul_i32 s5, s4, s5
	s_bfe_u32 s7, ttmp6, 0x40004
	s_add_co_i32 s8, s8, 1
	s_bfe_u32 s9, ttmp6, 0x40014
	s_add_co_i32 s7, s7, s5
	s_and_b32 s5, ttmp6, 15
	s_mul_i32 s8, ttmp9, s8
	s_lshr_b32 s10, ttmp7, 16
	s_add_co_i32 s9, s9, 1
	s_add_co_i32 s5, s5, s8
	s_mul_i32 s8, s10, s9
	s_bfe_u32 s9, ttmp6, 0x40008
	s_getreg_b32 s11, hwreg(HW_REG_IB_STS2, 6, 4)
	s_add_co_i32 s9, s9, s8
	s_cmp_eq_u32 s11, 0
	s_cselect_b32 s8, s10, s9
	s_cselect_b32 s4, s4, s7
	s_wait_kmcnt 0x0
	s_mul_i32 s3, s3, s8
	s_cselect_b32 s5, ttmp9, s5
	s_add_co_i32 s3, s3, s4
	s_delay_alu instid0(SALU_CYCLE_1) | instskip(NEXT) | instid1(SALU_CYCLE_1)
	s_mul_i32 s8, s3, s2
	s_add_co_i32 s8, s8, s5
	s_delay_alu instid0(SALU_CYCLE_1)
	s_cmp_ge_u32 s8, s6
	s_cbranch_scc1 .LBB55_40
; %bb.1:
	s_clause 0x1
	s_load_b96 s[12:14], s[0:1], 0x2a8
	s_load_b128 s[4:7], s[0:1], 0x2b8
	s_wait_kmcnt 0x0
	s_cvt_f32_u32 s2, s14
	s_sub_co_i32 s3, 0, s14
	s_delay_alu instid0(SALU_CYCLE_2) | instskip(SKIP_1) | instid1(TRANS32_DEP_1)
	v_rcp_iflag_f32_e32 v1, s2
	v_nop
	v_readfirstlane_b32 s2, v1
	s_mul_f32 s2, s2, 0x4f7ffffe
	s_delay_alu instid0(SALU_CYCLE_3) | instskip(NEXT) | instid1(SALU_CYCLE_3)
	s_cvt_u32_f32 s2, s2
	s_mul_i32 s3, s3, s2
	s_delay_alu instid0(SALU_CYCLE_1) | instskip(NEXT) | instid1(SALU_CYCLE_1)
	s_mul_hi_u32 s3, s2, s3
	s_add_co_i32 s2, s2, s3
	s_delay_alu instid0(SALU_CYCLE_1) | instskip(NEXT) | instid1(SALU_CYCLE_1)
	s_mul_hi_u32 s2, s8, s2
	s_mul_i32 s3, s2, s14
	s_add_co_i32 s9, s2, 1
	s_sub_co_i32 s3, s8, s3
	s_delay_alu instid0(SALU_CYCLE_1)
	s_sub_co_i32 s10, s3, s14
	s_cmp_ge_u32 s3, s14
	s_cselect_b32 s2, s9, s2
	s_cselect_b32 s3, s10, s3
	s_add_co_i32 s9, s2, 1
	s_cmp_ge_u32 s3, s14
	v_cmp_eq_u32_e64 s3, 0, v0
	s_cselect_b32 s15, s9, s2
	v_cmp_ne_u32_e64 s2, 0, v0
	v_mov_b32_e32 v1, s15
	global_load_u16 v1, v1, s[4:5] scale_offset
	s_wait_xcnt 0x0
	s_mul_i32 s4, s15, s14
	s_delay_alu instid0(SALU_CYCLE_1)
	s_sub_co_i32 s24, s8, s4
	s_and_saveexec_b32 s25, s3
	s_cbranch_execz .LBB55_17
; %bb.2:
	s_load_b64 s[18:19], s[0:1], 0x2c8
	s_mov_b32 s5, 0
	s_delay_alu instid0(SALU_CYCLE_1)
	s_lshl_b64 s[20:21], s[4:5], 2
	s_cmp_lt_u32 s14, 4
	s_cbranch_scc1 .LBB55_14
; %bb.3:
	s_mov_b64 s[16:17], 0
	s_mov_b32 s4, 0
.LBB55_4:                               ; =>This Inner Loop Header: Depth=1
	s_add_nc_u64 s[22:23], s[6:7], s[20:21]
	s_cmp_ge_u32 s4, s24
	s_load_b128 s[8:11], s[22:23], 0x0
	s_wait_kmcnt 0x0
	s_add_nc_u64 s[22:23], s[18:19], s[20:21]
	s_cbranch_scc0 .LBB55_11
; %bb.5:                                ;   in Loop: Header=BB55_4 Depth=1
	s_add_co_i32 s26, s4, 1
	s_delay_alu instid0(SALU_CYCLE_1)
	s_cmp_ge_u32 s26, s24
	s_cbranch_scc0 .LBB55_12
.LBB55_6:                               ;   in Loop: Header=BB55_4 Depth=1
	s_add_co_i32 s26, s26, 1
	s_delay_alu instid0(SALU_CYCLE_1)
	s_cmp_ge_u32 s26, s24
	s_cbranch_scc0 .LBB55_13
.LBB55_7:                               ;   in Loop: Header=BB55_4 Depth=1
	s_add_co_i32 s26, s26, 1
	s_delay_alu instid0(SALU_CYCLE_1)
	s_cmp_ge_u32 s26, s24
	s_cbranch_scc1 .LBB55_9
.LBB55_8:                               ;   in Loop: Header=BB55_4 Depth=1
	s_load_b32 s22, s[22:23], 0xc
	s_add_co_i32 s17, s11, s17
	s_wait_kmcnt 0x0
	s_add_co_i32 s16, s22, s16
.LBB55_9:                               ;   in Loop: Header=BB55_4 Depth=1
	s_add_co_i32 s5, s8, s5
	s_add_co_i32 s8, s26, 1
	;; [unrolled: 1-line block ×5, first 2 shown]
	s_add_nc_u64 s[6:7], s[6:7], 16
	s_add_co_i32 s5, s5, s11
	s_cmp_ge_u32 s9, s14
	s_add_nc_u64 s[18:19], s[18:19], 16
	s_cbranch_scc1 .LBB55_15
; %bb.10:                               ;   in Loop: Header=BB55_4 Depth=1
	s_mov_b32 s4, s8
	s_branch .LBB55_4
.LBB55_11:                              ;   in Loop: Header=BB55_4 Depth=1
	s_load_b32 s26, s[22:23], 0x0
	s_add_co_i32 s17, s8, s17
	s_wait_kmcnt 0x0
	s_add_co_i32 s16, s26, s16
	s_add_co_i32 s26, s4, 1
	s_delay_alu instid0(SALU_CYCLE_1)
	s_cmp_ge_u32 s26, s24
	s_cbranch_scc1 .LBB55_6
.LBB55_12:                              ;   in Loop: Header=BB55_4 Depth=1
	s_load_b32 s27, s[22:23], 0x4
	s_add_co_i32 s17, s9, s17
	s_wait_kmcnt 0x0
	s_add_co_i32 s16, s27, s16
	s_add_co_i32 s26, s26, 1
	s_delay_alu instid0(SALU_CYCLE_1)
	s_cmp_ge_u32 s26, s24
	s_cbranch_scc1 .LBB55_7
.LBB55_13:                              ;   in Loop: Header=BB55_4 Depth=1
	s_load_b32 s27, s[22:23], 0x8
	s_add_co_i32 s17, s10, s17
	s_wait_kmcnt 0x0
	s_add_co_i32 s16, s27, s16
	s_add_co_i32 s26, s26, 1
	s_delay_alu instid0(SALU_CYCLE_1)
	s_cmp_ge_u32 s26, s24
	s_cbranch_scc0 .LBB55_8
	s_branch .LBB55_9
.LBB55_14:
	s_mov_b64 s[16:17], 0
	s_add_nc_u64 s[6:7], s[6:7], s[20:21]
	s_wait_kmcnt 0x0
	s_add_nc_u64 s[8:9], s[18:19], s[20:21]
	s_mov_b32 s4, 0
	s_delay_alu instid0(SALU_CYCLE_1)
	s_cmp_ge_u32 s4, s14
	s_cbranch_scc0 .LBB55_38
	s_branch .LBB55_16
.LBB55_15:
	s_add_co_i32 s4, s4, 4
	s_add_nc_u64 s[8:9], s[18:19], s[20:21]
	s_add_nc_u64 s[6:7], s[6:7], s[20:21]
	s_cmp_ge_u32 s4, s14
	s_cbranch_scc0 .LBB55_38
.LBB55_16:
	v_dual_mov_b32 v2, s16 :: v_dual_mov_b32 v3, s5
	v_dual_mov_b32 v4, s17 :: v_dual_mov_b32 v5, 0
	ds_store_b96 v5, v[2:4] offset:1056
.LBB55_17:
	s_or_b32 exec_lo, exec_lo, s25
	s_clause 0x6
	s_load_b32 s20, s[0:1], 0x23c
	s_load_b64 s[10:11], s[0:1], 0x1d0
	s_load_b32 s21, s[0:1], 0x15c
	s_load_b64 s[8:9], s[0:1], 0xf0
	;; [unrolled: 2-line block ×3, first 2 shown]
	s_load_b96 s[4:6], s[0:1], 0xd8
	s_mul_i32 s7, s13, s24
	s_mov_b32 s19, 0
	s_lshl_b32 s7, s7, 8
	s_wait_loadcnt_dscnt 0x0
	s_barrier_signal -1
	s_barrier_wait -1
	s_wait_kmcnt 0x0
	s_sub_co_i32 s18, s4, s7
	s_delay_alu instid0(SALU_CYCLE_1) | instskip(SKIP_4) | instid1(SALU_CYCLE_1)
	s_add_nc_u64 s[26:27], s[18:19], 0xff
	s_add_co_i32 s18, s24, 1
	s_lshr_b64 s[24:25], s[26:27], 8
	s_cmp_lt_u32 s18, s14
	s_cselect_b32 s13, s13, s24
	s_cmp_eq_u32 s13, 0
	s_cbranch_scc1 .LBB55_40
; %bb.18:
	v_dual_mov_b32 v7, 0 :: v_dual_lshrrev_b32 v8, 3, v0
	s_mul_i32 s18, s15, s22
	s_mul_i32 s22, s15, s21
	;; [unrolled: 1-line block ×3, first 2 shown]
	ds_load_b96 v[2:4], v7 offset:1056
	s_clause 0x1
	s_load_b32 s15, s[0:1], 0xe8
	s_load_b32 s14, s[0:1], 0x1c8
	v_dual_add_nc_u32 v11, -1, v0 :: v_dual_add_nc_u32 v6, s7, v0
	v_and_b32_e32 v8, 28, v8
	v_bfe_i32 v5, v1, 0, 16
	v_and_b32_e32 v10, 0xfc, v0
	s_delay_alu instid0(VALU_DEP_4)
	v_lshrrev_b32_e32 v9, 3, v11
	s_mov_b32 s23, s19
	s_mov_b32 s21, s19
	s_wait_xcnt 0x0
	s_lshl_b64 s[0:1], s[18:19], 1
	s_lshl_b64 s[18:19], s[22:23], 1
	v_and_b32_e32 v12, 0x1ffffffc, v9
	s_lshl_b64 s[20:21], s[20:21], 3
	s_bitcmp1_b32 s6, 0
	s_add_nc_u64 s[6:7], s[16:17], s[0:1]
	v_add_nc_u32_e32 v5, 0x8000, v5
	v_lshl_add_u32 v8, v0, 2, v8
	v_cmp_gt_u32_e64 s0, 32, v0
	s_add_nc_u64 s[8:9], s[8:9], s[18:19]
	s_wait_kmcnt 0x0
	v_mul_lo_u32 v9, s15, v6
	s_wait_dscnt 0x0
	v_dual_add_nc_u32 v2, v2, v3 :: v_dual_lshlrev_b32 v13, 5, v0
	v_mbcnt_lo_u32_b32 v3, -1, 0
	v_lshl_add_u32 v0, v11, 2, v12
	s_add_nc_u64 s[10:11], s[10:11], s[20:21]
	s_cselect_b32 s1, -1, 0
	s_delay_alu instid0(VALU_DEP_2)
	v_dual_add_nc_u32 v10, v10, v13 :: v_dual_bitop2_b32 v11, 15, v3 bitop3:0x40
	v_bfe_i32 v12, v3, 4, 1
	v_add_nc_u32_e32 v13, -1, v3
	s_lshl_b32 s15, s15, 8
                                        ; implicit-def: $vgpr14
	s_branch .LBB55_21
.LBB55_19:                              ;   in Loop: Header=BB55_21 Depth=1
	s_wait_xcnt 0x0
	s_or_b32 exec_lo, exec_lo, s16
	v_add_nc_u32_e32 v2, v17, v2
.LBB55_20:                              ;   in Loop: Header=BB55_21 Depth=1
	v_dual_add_nc_u32 v4, v16, v4 :: v_dual_add_nc_u32 v9, s15, v9
	v_add_nc_u32_e32 v6, 0x100, v6
	s_add_co_i32 s13, s13, -1
	s_delay_alu instid0(SALU_CYCLE_1)
	s_cmp_lg_u32 s13, 0
	s_cbranch_scc0 .LBB55_40
.LBB55_21:                              ; =>This Inner Loop Header: Depth=1
	v_dual_mov_b32 v17, 0 :: v_dual_mov_b32 v15, 0
	s_mov_b32 s16, exec_lo
	v_cmpx_gt_u32_e64 s4, v6
	s_cbranch_execz .LBB55_23
; %bb.22:                               ;   in Loop: Header=BB55_21 Depth=1
	global_load_u16 v14, v9, s[6:7] scale_offset
	s_wait_loadcnt 0x0
	v_bfe_i32 v15, v14, 0, 16
	s_delay_alu instid0(VALU_DEP_1) | instskip(NEXT) | instid1(VALU_DEP_1)
	v_add_nc_u32_e32 v15, 0x8000, v15
	v_cmp_gt_u32_e32 vcc_lo, v15, v5
	v_cndmask_b32_e64 v16, 0, 1, vcc_lo
	v_cmp_lt_u32_e32 vcc_lo, v15, v5
	v_cndmask_b32_e64 v15, 0, 1, vcc_lo
	v_cmp_eq_u16_e32 vcc_lo, v14, v1
	s_delay_alu instid0(VALU_DEP_2) | instskip(NEXT) | instid1(VALU_DEP_1)
	v_cndmask_b32_e64 v15, v15, v16, s1
	v_and_b32_e32 v17, 1, v15
	v_cndmask_b32_e64 v15, 0, 1, vcc_lo
.LBB55_23:                              ;   in Loop: Header=BB55_21 Depth=1
	s_wait_xcnt 0x0
	s_or_b32 exec_lo, exec_lo, s16
	ds_store_b32 v8, v17
	s_wait_dscnt 0x0
	s_barrier_signal -1
	s_barrier_wait -1
	s_and_saveexec_b32 s16, s0
	s_cbranch_execz .LBB55_25
; %bb.24:                               ;   in Loop: Header=BB55_21 Depth=1
	ds_load_2addr_b32 v[18:19], v10 offset1:1
	ds_load_2addr_b32 v[20:21], v10 offset0:2 offset1:3
	ds_load_2addr_b32 v[22:23], v10 offset0:4 offset1:5
	;; [unrolled: 1-line block ×3, first 2 shown]
	v_cmp_ne_u32_e32 vcc_lo, 0, v11
	; wave barrier
	s_wait_dscnt 0x3
	v_add_nc_u32_e32 v16, v19, v18
	s_wait_dscnt 0x2
	s_delay_alu instid0(VALU_DEP_1) | instskip(SKIP_1) | instid1(VALU_DEP_1)
	v_add3_u32 v16, v16, v20, v21
	s_wait_dscnt 0x1
	v_add3_u32 v16, v16, v22, v23
	s_wait_dscnt 0x0
	s_delay_alu instid0(VALU_DEP_1) | instskip(NEXT) | instid1(VALU_DEP_1)
	v_add3_u32 v16, v16, v24, v25
	v_mov_b32_dpp v19, v16 row_shr:1 row_mask:0xf bank_mask:0xf
	s_delay_alu instid0(VALU_DEP_1) | instskip(SKIP_1) | instid1(VALU_DEP_2)
	v_cndmask_b32_e32 v19, 0, v19, vcc_lo
	v_cmp_lt_u32_e32 vcc_lo, 1, v11
	v_add_nc_u32_e32 v16, v19, v16
	s_delay_alu instid0(VALU_DEP_1) | instskip(NEXT) | instid1(VALU_DEP_1)
	v_mov_b32_dpp v19, v16 row_shr:2 row_mask:0xf bank_mask:0xf
	v_cndmask_b32_e32 v19, 0, v19, vcc_lo
	v_cmp_lt_u32_e32 vcc_lo, 3, v11
	s_delay_alu instid0(VALU_DEP_2) | instskip(NEXT) | instid1(VALU_DEP_1)
	v_add_nc_u32_e32 v16, v16, v19
	v_mov_b32_dpp v19, v16 row_shr:4 row_mask:0xf bank_mask:0xf
	s_delay_alu instid0(VALU_DEP_1) | instskip(SKIP_1) | instid1(VALU_DEP_2)
	v_cndmask_b32_e32 v19, 0, v19, vcc_lo
	v_cmp_lt_u32_e32 vcc_lo, 7, v11
	v_add_nc_u32_e32 v16, v16, v19
	s_delay_alu instid0(VALU_DEP_1) | instskip(NEXT) | instid1(VALU_DEP_1)
	v_mov_b32_dpp v19, v16 row_shr:8 row_mask:0xf bank_mask:0xf
	v_cndmask_b32_e32 v19, 0, v19, vcc_lo
	v_cmp_gt_i32_e32 vcc_lo, 0, v13
	v_cndmask_b32_e32 v20, v13, v3, vcc_lo
	s_delay_alu instid0(VALU_DEP_1) | instskip(SKIP_3) | instid1(VALU_DEP_1)
	v_dual_add_nc_u32 v16, v16, v19 :: v_dual_lshlrev_b32 v20, 2, v20
	ds_swizzle_b32 v19, v16 offset:swizzle(BROADCAST,32,15)
	s_wait_dscnt 0x0
	v_and_b32_e32 v19, v12, v19
	v_add_nc_u32_e32 v16, v16, v19
	ds_bpermute_b32 v16, v20, v16
	s_wait_dscnt 0x0
	v_add_nc_u32_e32 v16, v16, v18
	s_delay_alu instid0(VALU_DEP_1)
	v_cndmask_b32_e64 v16, v16, v17, s3
	ds_store_b32 v10, v16
	; wave barrier
	ds_load_2addr_b32 v[18:19], v10 offset0:1 offset1:2
	ds_load_2addr_b32 v[20:21], v10 offset0:3 offset1:4
	;; [unrolled: 1-line block ×3, first 2 shown]
	ds_load_b32 v24, v10 offset:28
	s_wait_dscnt 0x3
	v_add_nc_u32_e32 v16, v18, v16
	s_delay_alu instid0(VALU_DEP_1) | instskip(SKIP_1) | instid1(VALU_DEP_1)
	v_add_nc_u32_e32 v18, v19, v16
	s_wait_dscnt 0x2
	v_add_nc_u32_e32 v19, v20, v18
	s_delay_alu instid0(VALU_DEP_1) | instskip(SKIP_1) | instid1(VALU_DEP_1)
	v_add_nc_u32_e32 v20, v21, v19
	;; [unrolled: 4-line block ×3, first 2 shown]
	s_wait_dscnt 0x0
	v_add_nc_u32_e32 v23, v24, v22
	ds_store_2addr_b32 v10, v16, v18 offset0:1 offset1:2
	ds_store_2addr_b32 v10, v19, v20 offset0:3 offset1:4
	;; [unrolled: 1-line block ×3, first 2 shown]
	ds_store_b32 v10, v23 offset:28
.LBB55_25:                              ;   in Loop: Header=BB55_21 Depth=1
	s_or_b32 exec_lo, exec_lo, s16
	v_mov_b32_e32 v18, 0
	s_wait_dscnt 0x0
	s_barrier_signal -1
	s_barrier_wait -1
	s_and_saveexec_b32 s16, s2
; %bb.26:                               ;   in Loop: Header=BB55_21 Depth=1
	ds_load_b32 v18, v0
; %bb.27:                               ;   in Loop: Header=BB55_21 Depth=1
	s_or_b32 exec_lo, exec_lo, s16
	ds_load_b32 v16, v7 offset:1048
	s_mov_b32 s16, exec_lo
	s_wait_dscnt 0x0
	s_barrier_signal -1
	s_barrier_wait -1
	v_cmpx_ne_u32_e32 0, v17
	s_cbranch_execz .LBB55_29
; %bb.28:                               ;   in Loop: Header=BB55_21 Depth=1
	v_add_nc_u32_e32 v17, v18, v4
	s_delay_alu instid0(VALU_DEP_1)
	v_mul_lo_u32 v18, v17, s14
	v_mul_lo_u32 v17, v17, s12
	global_store_b16 v18, v14, s[8:9] scale_offset
	global_store_b64 v17, v[6:7], s[10:11] scale_offset
.LBB55_29:                              ;   in Loop: Header=BB55_21 Depth=1
	s_wait_xcnt 0x0
	s_or_b32 exec_lo, exec_lo, s16
	v_cmp_le_u32_e32 vcc_lo, s5, v2
	s_cbranch_vccnz .LBB55_20
; %bb.30:                               ;   in Loop: Header=BB55_21 Depth=1
	ds_store_b32 v8, v15
	s_wait_storecnt_dscnt 0x0
	s_barrier_signal -1
	s_barrier_wait -1
	s_and_saveexec_b32 s16, s0
	s_cbranch_execz .LBB55_32
; %bb.31:                               ;   in Loop: Header=BB55_21 Depth=1
	ds_load_2addr_b32 v[18:19], v10 offset1:1
	ds_load_2addr_b32 v[20:21], v10 offset0:2 offset1:3
	ds_load_2addr_b32 v[22:23], v10 offset0:4 offset1:5
	;; [unrolled: 1-line block ×3, first 2 shown]
	v_cmp_ne_u32_e32 vcc_lo, 0, v11
	; wave barrier
	s_wait_dscnt 0x3
	v_add_nc_u32_e32 v17, v19, v18
	s_wait_dscnt 0x2
	s_delay_alu instid0(VALU_DEP_1) | instskip(SKIP_1) | instid1(VALU_DEP_1)
	v_add3_u32 v17, v17, v20, v21
	s_wait_dscnt 0x1
	v_add3_u32 v17, v17, v22, v23
	s_wait_dscnt 0x0
	s_delay_alu instid0(VALU_DEP_1) | instskip(NEXT) | instid1(VALU_DEP_1)
	v_add3_u32 v17, v17, v24, v25
	v_mov_b32_dpp v19, v17 row_shr:1 row_mask:0xf bank_mask:0xf
	s_delay_alu instid0(VALU_DEP_1) | instskip(SKIP_1) | instid1(VALU_DEP_2)
	v_cndmask_b32_e32 v19, 0, v19, vcc_lo
	v_cmp_lt_u32_e32 vcc_lo, 1, v11
	v_add_nc_u32_e32 v17, v19, v17
	s_delay_alu instid0(VALU_DEP_1) | instskip(NEXT) | instid1(VALU_DEP_1)
	v_mov_b32_dpp v19, v17 row_shr:2 row_mask:0xf bank_mask:0xf
	v_cndmask_b32_e32 v19, 0, v19, vcc_lo
	v_cmp_lt_u32_e32 vcc_lo, 3, v11
	s_delay_alu instid0(VALU_DEP_2) | instskip(NEXT) | instid1(VALU_DEP_1)
	v_add_nc_u32_e32 v17, v17, v19
	v_mov_b32_dpp v19, v17 row_shr:4 row_mask:0xf bank_mask:0xf
	s_delay_alu instid0(VALU_DEP_1) | instskip(SKIP_1) | instid1(VALU_DEP_2)
	v_cndmask_b32_e32 v19, 0, v19, vcc_lo
	v_cmp_lt_u32_e32 vcc_lo, 7, v11
	v_add_nc_u32_e32 v17, v17, v19
	s_delay_alu instid0(VALU_DEP_1) | instskip(NEXT) | instid1(VALU_DEP_1)
	v_mov_b32_dpp v19, v17 row_shr:8 row_mask:0xf bank_mask:0xf
	v_cndmask_b32_e32 v19, 0, v19, vcc_lo
	v_cmp_gt_i32_e32 vcc_lo, 0, v13
	s_delay_alu instid0(VALU_DEP_2) | instskip(SKIP_4) | instid1(VALU_DEP_1)
	v_add_nc_u32_e32 v17, v17, v19
	v_cndmask_b32_e32 v20, v13, v3, vcc_lo
	ds_swizzle_b32 v19, v17 offset:swizzle(BROADCAST,32,15)
	s_wait_dscnt 0x0
	v_dual_lshlrev_b32 v20, 2, v20 :: v_dual_bitop2_b32 v19, v12, v19 bitop3:0x40
	v_add_nc_u32_e32 v17, v17, v19
	ds_bpermute_b32 v17, v20, v17
	s_wait_dscnt 0x0
	v_add_nc_u32_e32 v17, v17, v18
	s_delay_alu instid0(VALU_DEP_1)
	v_cndmask_b32_e64 v17, v17, v15, s3
	ds_store_b32 v10, v17
	; wave barrier
	ds_load_2addr_b32 v[18:19], v10 offset0:1 offset1:2
	ds_load_2addr_b32 v[20:21], v10 offset0:3 offset1:4
	;; [unrolled: 1-line block ×3, first 2 shown]
	ds_load_b32 v24, v10 offset:28
	s_wait_dscnt 0x3
	v_add_nc_u32_e32 v17, v18, v17
	s_delay_alu instid0(VALU_DEP_1) | instskip(SKIP_1) | instid1(VALU_DEP_1)
	v_add_nc_u32_e32 v18, v19, v17
	s_wait_dscnt 0x2
	v_add_nc_u32_e32 v19, v20, v18
	s_delay_alu instid0(VALU_DEP_1) | instskip(SKIP_1) | instid1(VALU_DEP_1)
	v_add_nc_u32_e32 v20, v21, v19
	;; [unrolled: 4-line block ×3, first 2 shown]
	s_wait_dscnt 0x0
	v_add_nc_u32_e32 v23, v24, v22
	ds_store_2addr_b32 v10, v17, v18 offset0:1 offset1:2
	ds_store_2addr_b32 v10, v19, v20 offset0:3 offset1:4
	ds_store_2addr_b32 v10, v21, v22 offset0:5 offset1:6
	ds_store_b32 v10, v23 offset:28
.LBB55_32:                              ;   in Loop: Header=BB55_21 Depth=1
	s_or_b32 exec_lo, exec_lo, s16
	v_mov_b32_e32 v18, 0
	s_wait_dscnt 0x0
	s_barrier_signal -1
	s_barrier_wait -1
	s_and_saveexec_b32 s16, s2
; %bb.33:                               ;   in Loop: Header=BB55_21 Depth=1
	ds_load_b32 v18, v0
; %bb.34:                               ;   in Loop: Header=BB55_21 Depth=1
	s_or_b32 exec_lo, exec_lo, s16
	ds_load_b32 v17, v7 offset:1048
	s_mov_b32 s16, exec_lo
	s_wait_dscnt 0x0
	s_barrier_signal -1
	s_barrier_wait -1
	v_cmpx_ne_u32_e32 0, v15
	s_cbranch_execz .LBB55_19
; %bb.35:                               ;   in Loop: Header=BB55_21 Depth=1
	v_add_nc_u32_e32 v15, v18, v2
	s_delay_alu instid0(VALU_DEP_1)
	v_cmp_gt_u32_e32 vcc_lo, s5, v15
	s_and_b32 exec_lo, exec_lo, vcc_lo
	s_cbranch_execz .LBB55_19
; %bb.36:                               ;   in Loop: Header=BB55_21 Depth=1
	v_mul_lo_u32 v18, v15, s14
	v_mul_lo_u32 v15, v15, s12
	global_store_b16 v18, v14, s[8:9] scale_offset
	global_store_b64 v15, v[6:7], s[10:11] scale_offset
	s_branch .LBB55_19
.LBB55_37:                              ;   in Loop: Header=BB55_38 Depth=1
	s_add_co_i32 s4, s4, 1
	s_wait_kmcnt 0x0
	s_add_co_i32 s5, s10, s5
	s_add_nc_u64 s[6:7], s[6:7], 4
	s_cmp_lt_u32 s4, s14
	s_add_nc_u64 s[8:9], s[8:9], 4
	s_cbranch_scc0 .LBB55_16
.LBB55_38:                              ; =>This Inner Loop Header: Depth=1
	s_load_b32 s10, s[6:7], 0x0
	s_cmp_ge_u32 s4, s24
	s_cbranch_scc1 .LBB55_37
; %bb.39:                               ;   in Loop: Header=BB55_38 Depth=1
	s_load_b32 s11, s[8:9], 0x0
	s_wait_kmcnt 0x0
	s_add_co_i32 s17, s10, s17
	s_add_co_i32 s16, s11, s16
	s_branch .LBB55_37
.LBB55_40:
	s_endpgm
	.section	.rodata,"a",@progbits
	.p2align	6, 0x0
	.amdhsa_kernel _ZN2at6native6mbtopk10gatherTopKIsjLi1EEEvNS_4cuda6detail10TensorInfoIKT_T0_EES8_S8_bjS8_NS5_IS6_S8_EES8_NS5_IlS8_EES8_jjPS6_PjSD_j
		.amdhsa_group_segment_fixed_size 1068
		.amdhsa_private_segment_fixed_size 0
		.amdhsa_kernarg_size 984
		.amdhsa_user_sgpr_count 2
		.amdhsa_user_sgpr_dispatch_ptr 0
		.amdhsa_user_sgpr_queue_ptr 0
		.amdhsa_user_sgpr_kernarg_segment_ptr 1
		.amdhsa_user_sgpr_dispatch_id 0
		.amdhsa_user_sgpr_kernarg_preload_length 0
		.amdhsa_user_sgpr_kernarg_preload_offset 0
		.amdhsa_user_sgpr_private_segment_size 0
		.amdhsa_wavefront_size32 1
		.amdhsa_uses_dynamic_stack 0
		.amdhsa_enable_private_segment 0
		.amdhsa_system_sgpr_workgroup_id_x 1
		.amdhsa_system_sgpr_workgroup_id_y 1
		.amdhsa_system_sgpr_workgroup_id_z 1
		.amdhsa_system_sgpr_workgroup_info 0
		.amdhsa_system_vgpr_workitem_id 0
		.amdhsa_next_free_vgpr 26
		.amdhsa_next_free_sgpr 28
		.amdhsa_named_barrier_count 0
		.amdhsa_reserve_vcc 1
		.amdhsa_float_round_mode_32 0
		.amdhsa_float_round_mode_16_64 0
		.amdhsa_float_denorm_mode_32 3
		.amdhsa_float_denorm_mode_16_64 3
		.amdhsa_fp16_overflow 0
		.amdhsa_memory_ordered 1
		.amdhsa_forward_progress 1
		.amdhsa_inst_pref_size 19
		.amdhsa_round_robin_scheduling 0
		.amdhsa_exception_fp_ieee_invalid_op 0
		.amdhsa_exception_fp_denorm_src 0
		.amdhsa_exception_fp_ieee_div_zero 0
		.amdhsa_exception_fp_ieee_overflow 0
		.amdhsa_exception_fp_ieee_underflow 0
		.amdhsa_exception_fp_ieee_inexact 0
		.amdhsa_exception_int_div_zero 0
	.end_amdhsa_kernel
	.section	.text._ZN2at6native6mbtopk10gatherTopKIsjLi1EEEvNS_4cuda6detail10TensorInfoIKT_T0_EES8_S8_bjS8_NS5_IS6_S8_EES8_NS5_IlS8_EES8_jjPS6_PjSD_j,"axG",@progbits,_ZN2at6native6mbtopk10gatherTopKIsjLi1EEEvNS_4cuda6detail10TensorInfoIKT_T0_EES8_S8_bjS8_NS5_IS6_S8_EES8_NS5_IlS8_EES8_jjPS6_PjSD_j,comdat
.Lfunc_end55:
	.size	_ZN2at6native6mbtopk10gatherTopKIsjLi1EEEvNS_4cuda6detail10TensorInfoIKT_T0_EES8_S8_bjS8_NS5_IS6_S8_EES8_NS5_IlS8_EES8_jjPS6_PjSD_j, .Lfunc_end55-_ZN2at6native6mbtopk10gatherTopKIsjLi1EEEvNS_4cuda6detail10TensorInfoIKT_T0_EES8_S8_bjS8_NS5_IS6_S8_EES8_NS5_IlS8_EES8_jjPS6_PjSD_j
                                        ; -- End function
	.set _ZN2at6native6mbtopk10gatherTopKIsjLi1EEEvNS_4cuda6detail10TensorInfoIKT_T0_EES8_S8_bjS8_NS5_IS6_S8_EES8_NS5_IlS8_EES8_jjPS6_PjSD_j.num_vgpr, 26
	.set _ZN2at6native6mbtopk10gatherTopKIsjLi1EEEvNS_4cuda6detail10TensorInfoIKT_T0_EES8_S8_bjS8_NS5_IS6_S8_EES8_NS5_IlS8_EES8_jjPS6_PjSD_j.num_agpr, 0
	.set _ZN2at6native6mbtopk10gatherTopKIsjLi1EEEvNS_4cuda6detail10TensorInfoIKT_T0_EES8_S8_bjS8_NS5_IS6_S8_EES8_NS5_IlS8_EES8_jjPS6_PjSD_j.numbered_sgpr, 28
	.set _ZN2at6native6mbtopk10gatherTopKIsjLi1EEEvNS_4cuda6detail10TensorInfoIKT_T0_EES8_S8_bjS8_NS5_IS6_S8_EES8_NS5_IlS8_EES8_jjPS6_PjSD_j.num_named_barrier, 0
	.set _ZN2at6native6mbtopk10gatherTopKIsjLi1EEEvNS_4cuda6detail10TensorInfoIKT_T0_EES8_S8_bjS8_NS5_IS6_S8_EES8_NS5_IlS8_EES8_jjPS6_PjSD_j.private_seg_size, 0
	.set _ZN2at6native6mbtopk10gatherTopKIsjLi1EEEvNS_4cuda6detail10TensorInfoIKT_T0_EES8_S8_bjS8_NS5_IS6_S8_EES8_NS5_IlS8_EES8_jjPS6_PjSD_j.uses_vcc, 1
	.set _ZN2at6native6mbtopk10gatherTopKIsjLi1EEEvNS_4cuda6detail10TensorInfoIKT_T0_EES8_S8_bjS8_NS5_IS6_S8_EES8_NS5_IlS8_EES8_jjPS6_PjSD_j.uses_flat_scratch, 0
	.set _ZN2at6native6mbtopk10gatherTopKIsjLi1EEEvNS_4cuda6detail10TensorInfoIKT_T0_EES8_S8_bjS8_NS5_IS6_S8_EES8_NS5_IlS8_EES8_jjPS6_PjSD_j.has_dyn_sized_stack, 0
	.set _ZN2at6native6mbtopk10gatherTopKIsjLi1EEEvNS_4cuda6detail10TensorInfoIKT_T0_EES8_S8_bjS8_NS5_IS6_S8_EES8_NS5_IlS8_EES8_jjPS6_PjSD_j.has_recursion, 0
	.set _ZN2at6native6mbtopk10gatherTopKIsjLi1EEEvNS_4cuda6detail10TensorInfoIKT_T0_EES8_S8_bjS8_NS5_IS6_S8_EES8_NS5_IlS8_EES8_jjPS6_PjSD_j.has_indirect_call, 0
	.section	.AMDGPU.csdata,"",@progbits
; Kernel info:
; codeLenInByte = 2428
; TotalNumSgprs: 30
; NumVgprs: 26
; ScratchSize: 0
; MemoryBound: 0
; FloatMode: 240
; IeeeMode: 1
; LDSByteSize: 1068 bytes/workgroup (compile time only)
; SGPRBlocks: 0
; VGPRBlocks: 1
; NumSGPRsForWavesPerEU: 30
; NumVGPRsForWavesPerEU: 26
; NamedBarCnt: 0
; Occupancy: 16
; WaveLimiterHint : 1
; COMPUTE_PGM_RSRC2:SCRATCH_EN: 0
; COMPUTE_PGM_RSRC2:USER_SGPR: 2
; COMPUTE_PGM_RSRC2:TRAP_HANDLER: 0
; COMPUTE_PGM_RSRC2:TGID_X_EN: 1
; COMPUTE_PGM_RSRC2:TGID_Y_EN: 1
; COMPUTE_PGM_RSRC2:TGID_Z_EN: 1
; COMPUTE_PGM_RSRC2:TIDIG_COMP_CNT: 0
	.section	.text._ZN2at6native6sbtopk10gatherTopKIsjLi1ELb0EEEvNS_4cuda6detail10TensorInfoIKT_T0_EES8_S8_bS8_S8_NS5_IS6_S8_EES8_NS5_IlS8_EES8_PS6_,"axG",@progbits,_ZN2at6native6sbtopk10gatherTopKIsjLi1ELb0EEEvNS_4cuda6detail10TensorInfoIKT_T0_EES8_S8_bS8_S8_NS5_IS6_S8_EES8_NS5_IlS8_EES8_PS6_,comdat
	.protected	_ZN2at6native6sbtopk10gatherTopKIsjLi1ELb0EEEvNS_4cuda6detail10TensorInfoIKT_T0_EES8_S8_bS8_S8_NS5_IS6_S8_EES8_NS5_IlS8_EES8_PS6_ ; -- Begin function _ZN2at6native6sbtopk10gatherTopKIsjLi1ELb0EEEvNS_4cuda6detail10TensorInfoIKT_T0_EES8_S8_bS8_S8_NS5_IS6_S8_EES8_NS5_IlS8_EES8_PS6_
	.globl	_ZN2at6native6sbtopk10gatherTopKIsjLi1ELb0EEEvNS_4cuda6detail10TensorInfoIKT_T0_EES8_S8_bS8_S8_NS5_IS6_S8_EES8_NS5_IlS8_EES8_PS6_
	.p2align	8
	.type	_ZN2at6native6sbtopk10gatherTopKIsjLi1ELb0EEEvNS_4cuda6detail10TensorInfoIKT_T0_EES8_S8_bS8_S8_NS5_IS6_S8_EES8_NS5_IlS8_EES8_PS6_,@function
_ZN2at6native6sbtopk10gatherTopKIsjLi1ELb0EEEvNS_4cuda6detail10TensorInfoIKT_T0_EES8_S8_bS8_S8_NS5_IS6_S8_EES8_NS5_IlS8_EES8_PS6_: ; @_ZN2at6native6sbtopk10gatherTopKIsjLi1ELb0EEEvNS_4cuda6detail10TensorInfoIKT_T0_EES8_S8_bS8_S8_NS5_IS6_S8_EES8_NS5_IlS8_EES8_PS6_
; %bb.0:
	s_clause 0x1
	s_load_b128 s[36:39], s[0:1], 0xd8
	s_load_b64 s[8:9], s[0:1], 0x2b8
	s_bfe_u32 s2, ttmp6, 0x40010
	s_and_b32 s3, ttmp7, 0xffff
	s_add_co_i32 s2, s2, 1
	s_bfe_u32 s5, ttmp6, 0x4000c
	s_mul_i32 s2, s3, s2
	s_bfe_u32 s4, ttmp6, 0x40004
	s_add_co_i32 s5, s5, 1
	s_bfe_u32 s6, ttmp6, 0x40014
	s_add_co_i32 s4, s4, s2
	s_and_b32 s2, ttmp6, 15
	s_mul_i32 s5, ttmp9, s5
	s_lshr_b32 s7, ttmp7, 16
	s_add_co_i32 s6, s6, 1
	s_add_co_i32 s2, s2, s5
	s_mul_i32 s5, s7, s6
	s_bfe_u32 s6, ttmp6, 0x40008
	s_getreg_b32 s10, hwreg(HW_REG_IB_STS2, 6, 4)
	s_add_co_i32 s6, s6, s5
	s_cmp_eq_u32 s10, 0
	s_cselect_b32 s5, s7, s6
	s_cselect_b32 s3, s3, s4
	s_wait_kmcnt 0x0
	s_mul_i32 s5, s9, s5
	s_cselect_b32 s7, ttmp9, s2
	s_add_co_i32 s2, s5, s3
	s_delay_alu instid0(SALU_CYCLE_1) | instskip(NEXT) | instid1(SALU_CYCLE_1)
	s_mul_i32 s59, s2, s8
	s_add_co_i32 s59, s59, s7
	s_delay_alu instid0(SALU_CYCLE_1)
	s_cmp_ge_u32 s59, s39
	s_cbranch_scc1 .LBB56_414
; %bb.1:
	s_clause 0x2
	s_load_b32 s57, s[0:1], 0xe8
	s_load_b32 s4, s[0:1], 0x6c
	s_load_b64 s[2:3], s[0:1], 0x0
	v_cmp_eq_u32_e64 s5, 0, v0
	s_add_nc_u64 s[14:15], s[0:1], 0x2b8
	s_and_saveexec_b32 s6, s5
; %bb.2:
	v_dual_mov_b32 v2, 0 :: v_dual_mov_b32 v3, s36
	s_delay_alu instid0(VALU_DEP_1)
	v_mov_b32_e32 v4, v2
	ds_store_b96 v2, v[2:4] offset:4096
; %bb.3:
	s_or_b32 exec_lo, exec_lo, s6
	s_wait_dscnt 0x0
	s_barrier_signal -1
	s_barrier_wait -1
	s_load_b32 s9, s[14:15], 0xc
	s_clause 0x3
	s_load_b32 s60, s[0:1], 0x23c
	s_load_b64 s[40:41], s[0:1], 0x1d0
	s_load_b32 s61, s[0:1], 0x15c
	s_load_b64 s[42:43], s[0:1], 0xf0
	v_mbcnt_lo_u32_b32 v1, -1, 0
	s_wait_kmcnt 0x0
	s_mul_i32 s44, s4, s59
	s_mov_b32 s45, 0
	v_cmp_gt_u32_e32 vcc_lo, 32, v0
	s_lshl_b64 s[10:11], s[44:45], 1
	s_bitcmp1_b32 s38, 0
	s_add_nc_u64 s[38:39], s[2:3], s[10:11]
	v_cmp_gt_i32_e64 s2, 4, v1
	s_cselect_b32 s4, -1, 0
	v_lshlrev_b64_e64 v[2:3], v1, -1
	s_xor_b32 s62, s4, -1
	v_dual_mov_b32 v17, 0 :: v_dual_lshlrev_b32 v11, 2, v0
	s_and_b32 s64, vcc_lo, s2
	v_mul_lo_u32 v14, s57, v0
	s_and_b32 s56, s9, 0xffff
	s_delay_alu instid0(VALU_DEP_2)
	v_mov_b32_e32 v15, v17
	s_lshl_b32 s63, s56, 2
	s_cmp_gt_u32 s36, 0x600
	v_not_b32_e32 v10, v2
	s_cselect_b32 s65, -1, 0
	s_cmp_gt_u32 s56, 31
	v_lshrrev_b32_e32 v2, 1, v0
	s_cselect_b32 s66, -1, 0
	s_add_co_i32 s67, s56, -1
	v_add_max_u32_e64 v3, v0, 2, s36
	s_add_co_i32 s13, s67, s36
	s_cmp_lt_u32 s7, s8
	s_movk_i32 s7, 0x1f0
	s_cselect_b32 s44, 12, 18
	s_bfe_u32 s68, s9, 0xb0005
	s_cvt_f32_u32 s9, s63
	s_add_co_i32 s8, s68, -2
	v_and_or_b32 v21, v2, s7, 0xc00
	s_lshr_b32 s10, s8, 1
	v_rcp_iflag_f32_e32 v4, s9
	s_add_co_i32 s10, s10, 1
	s_cmp_gt_u32 s56, 63
	s_cvt_f32_u32 s9, s56
	s_cselect_b32 s69, -1, 0
	s_and_b32 s70, s68, 0x7fe
	s_and_b32 s71, s10, 7
	v_nop
	v_readfirstlane_b32 s7, v4
	s_cmp_gt_u32 s8, 13
	v_rcp_iflag_f32_e32 v5, s9
	s_cselect_b32 s72, -1, 0
	s_and_b32 s73, s10, -8
	s_mul_f32 s7, s7, 0x4f7ffffe
	s_cmp_lg_u32 s71, 0
	v_xad_u32 v3, v0, -1, v3
	s_cselect_b32 s74, -1, 0
	s_cmp_lg_u32 s70, s68
	s_cvt_u32_f32 s7, s7
	s_cselect_b32 s75, -1, 0
	s_sub_co_i32 s8, 0, s63
	v_readfirstlane_b32 s9, v5
	s_mul_i32 s8, s8, s7
	v_lshl_add_u64 v[12:13], v[14:15], 1, s[38:39]
	s_mul_hi_u32 s8, s7, s8
	v_dual_lshlrev_b32 v15, 1, v0 :: v_dual_add_nc_u32 v2, -4, v3
	s_add_co_i32 s46, s7, s8
	s_mul_f32 s9, s9, 0x4f7ffffe
	s_mul_hi_u32 s8, s36, s46
	s_delay_alu instid0(VALU_DEP_1)
	v_dual_lshrrev_b32 v4, 2, v2 :: v_dual_bitop2_b32 v22, -4, v3 bitop3:0x40
	s_mul_i32 s8, s8, s63
	s_cvt_u32_f32 s9, s9
	s_sub_co_i32 s8, s36, s8
	v_cmp_lt_u32_e64 s7, 31, v3
	s_sub_co_i32 s10, s8, s63
	s_cmp_ge_u32 s8, s63
	v_add_nc_u32_e32 v4, 1, v4
	s_cselect_b32 s8, s10, s8
	v_cmp_eq_u32_e64 s2, 0, v1
	s_sub_co_i32 s10, s8, s63
	s_cmp_ge_u32 s8, s63
	v_cmp_gt_u32_e64 s3, s36, v0
	s_cselect_b32 s16, s10, s8
	s_sub_co_i32 s10, 0, s56
	s_sub_co_i32 s79, s36, s16
	s_mul_i32 s10, s10, s9
	v_cmp_lt_u32_e64 s8, 11, v2
	s_mul_hi_u32 s10, s9, s10
	v_add_nc_u32_e32 v23, s79, v0
	s_add_co_i32 s48, s9, s10
	v_add3_u32 v2, s56, s36, v0
	s_mul_hi_u32 s10, s13, s48
	v_cmp_gt_u32_e64 s6, 2, v0
	s_mul_i32 s10, s10, s56
	v_dual_mov_b32 v33, s37 :: v_dual_add_nc_u32 v20, 0xc00, v15
	s_sub_co_i32 s11, s13, s10
	v_cmp_ne_u32_e64 s10, v3, v22
	s_sub_co_i32 s12, s11, s56
	s_cmp_ge_u32 s11, s56
	v_or_b32_e32 v3, 2, v11
	v_dual_mov_b32 v32, 0 :: v_dual_bitop2_b32 v5, 3, v4 bitop3:0x40
	v_and_b32_e32 v24, 0x7ffffffc, v4
	v_or_b32_e32 v4, 3, v11
	v_mul_lo_u32 v16, v23, s57
	v_subrev_nc_u32_e32 v2, s16, v2
	s_cselect_b32 s17, s12, s11
	v_mul_lo_u32 v27, s57, v3
	s_sub_co_i32 s18, s17, s56
	s_cmp_ge_u32 s17, s56
	v_mul_lo_u32 v28, s57, v4
	v_mul_lo_u32 v29, s57, v2
	s_cselect_b32 s17, s18, s17
	v_cmp_ne_u32_e64 s9, 0, v5
	s_sub_co_i32 s80, s13, s17
	v_cmp_gt_u32_e64 s11, s79, v11
	v_cmp_gt_u32_e64 s12, s36, v23
	v_lshl_add_u64 v[18:19], v[16:17], 1, s[38:39]
	v_cmp_gt_u32_e64 s13, s80, v0
	v_dual_mov_b32 v25, 0 :: v_dual_lshlrev_b32 v26, 3, v5
	v_lshl_or_b32 v30, v1, 2, 0xc00
	v_mov_b32_e32 v31, 0
	s_mul_i32 s58, s57, s56
	s_mov_b32 s76, s57
	s_mov_b32 s77, s57
	;; [unrolled: 1-line block ×5, first 2 shown]
	s_lshl_b32 s81, s58, 2
	s_lshl_b32 s82, s56, 3
	;; [unrolled: 1-line block ×3, first 2 shown]
	s_mov_b32 s84, 14
	s_add_nc_u64 s[50:51], s[14:15], s[44:45]
	s_mov_b32 s85, 0
	s_mov_b32 s87, 0
                                        ; implicit-def: $sgpr86
                                        ; implicit-def: $sgpr90
                                        ; implicit-def: $sgpr89
                                        ; implicit-def: $sgpr91
                                        ; implicit-def: $sgpr88
                                        ; implicit-def: $sgpr95
                                        ; implicit-def: $sgpr96
                                        ; implicit-def: $sgpr92
                                        ; implicit-def: $sgpr94
                                        ; implicit-def: $sgpr93
	s_branch .LBB56_6
.LBB56_4:                               ;   in Loop: Header=BB56_6 Depth=1
	s_or_b32 exec_lo, exec_lo, s17
	v_mov_b32_e32 v33, v5
	s_and_not1_b32 s17, s93, exec_lo
	s_and_b32 s16, s16, exec_lo
	s_and_not1_b32 s94, s94, exec_lo
	s_or_b32 s93, s17, s16
	s_and_not1_b32 s92, s92, exec_lo
	s_and_not1_b32 s96, s96, exec_lo
	;; [unrolled: 1-line block ×3, first 2 shown]
	s_or_not1_b32 s17, s15, exec_lo
.LBB56_5:                               ;   in Loop: Header=BB56_6 Depth=1
	s_or_b32 exec_lo, exec_lo, s14
	s_delay_alu instid0(SALU_CYCLE_1) | instskip(NEXT) | instid1(SALU_CYCLE_1)
	s_and_b32 s14, exec_lo, s17
	s_or_b32 s85, s14, s85
	s_and_not1_b32 s14, s88, exec_lo
	s_and_b32 s15, s93, exec_lo
	s_and_not1_b32 s16, s91, exec_lo
	s_or_b32 s88, s14, s15
	s_and_b32 s14, s94, exec_lo
	s_and_not1_b32 s15, s89, exec_lo
	s_and_b32 s17, s92, exec_lo
	s_or_b32 s91, s16, s14
	s_or_b32 s89, s15, s17
	s_and_not1_b32 s14, s90, exec_lo
	s_and_b32 s15, s96, exec_lo
	s_and_not1_b32 s16, s86, exec_lo
	s_and_b32 s17, s95, exec_lo
	s_or_b32 s90, s14, s15
	s_or_b32 s86, s16, s17
	s_and_not1_b32 exec_lo, exec_lo, s85
	s_cbranch_execz .LBB56_410
.LBB56_6:                               ; =>This Loop Header: Depth=1
                                        ;     Child Loop BB56_11 Depth 2
                                        ;     Child Loop BB56_32 Depth 2
	;; [unrolled: 1-line block ×27, first 2 shown]
	ds_load_b64 v[2:3], v17 offset:4096
	s_wait_dscnt 0x0
	v_readfirstlane_b32 s44, v2
	s_cmp_lg_u32 s44, 0
	s_cbranch_scc1 .LBB56_51
; %bb.7:                                ;   in Loop: Header=BB56_6 Depth=1
	s_and_b32 vcc_lo, exec_lo, s65
	s_cbranch_vccz .LBB56_19
; %bb.8:                                ;   in Loop: Header=BB56_6 Depth=1
	v_cmp_gt_u32_e32 vcc_lo, 0x601, v3
	s_mov_b32 s16, 0
	s_mov_b32 s14, 0
	s_cbranch_vccz .LBB56_20
; %bb.9:                                ;   in Loop: Header=BB56_6 Depth=1
	global_load_u16 v3, v[12:13], off
	s_load_u16 s17, s[50:51], 0x0
	s_mov_b32 s18, 0
	s_wait_kmcnt 0x0
	v_dual_mov_b32 v4, v0 :: v_dual_add_nc_u32 v2, s17, v0
	s_mul_i32 s19, s57, s17
	s_delay_alu instid0(VALU_DEP_1)
	v_mul_lo_u32 v2, s57, v2
	s_branch .LBB56_11
.LBB56_10:                              ;   in Loop: Header=BB56_11 Depth=2
	s_or_b32 exec_lo, exec_lo, s15
	v_dual_mov_b32 v3, v5 :: v_dual_add_nc_u32 v2, s19, v2
	s_and_not1_b32 exec_lo, exec_lo, s18
	s_cbranch_execz .LBB56_26
.LBB56_11:                              ;   Parent Loop BB56_6 Depth=1
                                        ; =>  This Inner Loop Header: Depth=2
	s_wait_dscnt 0x0
	v_dual_add_nc_u32 v4, s17, v4 :: v_dual_mov_b32 v6, 0
	v_mov_b32_e32 v5, 0
	s_mov_b32 s15, exec_lo
	s_delay_alu instid0(VALU_DEP_2)
	v_cmp_le_u32_e32 vcc_lo, s36, v4
	v_cmpx_gt_u32_e64 s36, v4
	s_cbranch_execz .LBB56_13
; %bb.12:                               ;   in Loop: Header=BB56_11 Depth=2
	global_load_u16 v5, v2, s[38:39] scale_offset
.LBB56_13:                              ;   in Loop: Header=BB56_11 Depth=2
	s_wait_xcnt 0x0
	s_or_b32 exec_lo, exec_lo, s15
	s_wait_loadcnt 0x0
	v_bfe_i32 v7, v3, 0, 16
	s_delay_alu instid0(VALU_DEP_1) | instskip(NEXT) | instid1(VALU_DEP_1)
	v_add_nc_u32_e32 v7, 0x8000, v7
	v_and_b32_e32 v7, v7, v31
	s_delay_alu instid0(VALU_DEP_1) | instskip(SKIP_2) | instid1(SALU_CYCLE_1)
	v_cmp_eq_u32_e64 s14, v7, v25
	s_cmp_lg_u32 s14, 0
	s_cselect_b32 s15, -1, 0
	s_and_b32 s15, s2, s15
	s_delay_alu instid0(SALU_CYCLE_1)
	s_and_saveexec_b32 s20, s15
	s_cbranch_execz .LBB56_17
; %bb.14:                               ;   in Loop: Header=BB56_11 Depth=2
	s_mov_b32 s23, exec_lo
	s_bcnt1_i32_b32 s21, s14
	v_mbcnt_lo_u32_b32 v6, s23, 0
	s_mov_b32 s22, exec_lo
                                        ; implicit-def: $vgpr7
	s_delay_alu instid0(VALU_DEP_1)
	v_cmpx_eq_u32_e32 0, v6
; %bb.15:                               ;   in Loop: Header=BB56_11 Depth=2
	s_bcnt1_i32_b32 s15, s23
	s_delay_alu instid0(SALU_CYCLE_1) | instskip(NEXT) | instid1(SALU_CYCLE_1)
	s_mul_i32 s15, s21, s15
	v_mov_b32_e32 v7, s15
	ds_add_rtn_u32 v7, v17, v7 offset:4104
; %bb.16:                               ;   in Loop: Header=BB56_11 Depth=2
	s_or_b32 exec_lo, exec_lo, s22
	s_wait_dscnt 0x0
	v_readfirstlane_b32 s15, v7
	s_delay_alu instid0(VALU_DEP_1)
	v_mad_u32_u24 v6, s21, v6, s15
.LBB56_17:                              ;   in Loop: Header=BB56_11 Depth=2
	s_or_b32 exec_lo, exec_lo, s20
	ds_bpermute_b32 v6, v17, v6
	s_and_b32 s15, exec_lo, vcc_lo
	s_delay_alu instid0(SALU_CYCLE_1)
	s_or_b32 s18, s15, s18
	s_and_saveexec_b32 s15, s14
	s_cbranch_execz .LBB56_10
; %bb.18:                               ;   in Loop: Header=BB56_11 Depth=2
	v_and_b32_e32 v7, s14, v10
	s_delay_alu instid0(VALU_DEP_1) | instskip(NEXT) | instid1(VALU_DEP_1)
	v_bcnt_u32_b32 v7, v7, 0
	v_lshlrev_b32_e32 v7, 1, v7
	s_wait_dscnt 0x0
	s_delay_alu instid0(VALU_DEP_1)
	v_lshl_add_u32 v6, v6, 1, v7
	ds_store_b16 v6, v3
	s_branch .LBB56_10
.LBB56_19:                              ;   in Loop: Header=BB56_6 Depth=1
	s_mov_b32 s16, -1
	s_mov_b32 s14, 0
.LBB56_20:                              ;   in Loop: Header=BB56_6 Depth=1
	s_and_b32 vcc_lo, exec_lo, s16
	s_cbranch_vccz .LBB56_49
.LBB56_21:                              ;   in Loop: Header=BB56_6 Depth=1
	s_and_saveexec_b32 s15, s3
	s_cbranch_execz .LBB56_46
; %bb.22:                               ;   in Loop: Header=BB56_6 Depth=1
	global_load_u16 v16, v[12:13], off
	s_load_u16 s17, s[50:51], 0x0
	s_mov_b32 s16, exec_lo
	s_wait_kmcnt 0x0
	v_dual_mov_b32 v3, v0 :: v_dual_add_nc_u32 v2, s17, v0
	s_delay_alu instid0(VALU_DEP_1)
	v_cmpx_gt_u32_e64 s36, v2
	s_cbranch_execz .LBB56_45
; %bb.23:                               ;   in Loop: Header=BB56_6 Depth=1
	s_mov_b32 s14, 0
	s_mul_i32 s18, s57, s17
                                        ; implicit-def: $vgpr3
                                        ; implicit-def: $vgpr6
                                        ; implicit-def: $vgpr4
                                        ; implicit-def: $vgpr5
	s_and_saveexec_b32 s19, s7
	s_delay_alu instid0(SALU_CYCLE_1)
	s_xor_b32 s19, exec_lo, s19
	s_cbranch_execnz .LBB56_29
; %bb.24:                               ;   in Loop: Header=BB56_6 Depth=1
	s_and_not1_saveexec_b32 s19, s19
	s_cbranch_execnz .LBB56_40
.LBB56_25:                              ;   in Loop: Header=BB56_6 Depth=1
	s_or_b32 exec_lo, exec_lo, s19
	s_and_saveexec_b32 s18, s14
	s_cbranch_execnz .LBB56_41
	s_branch .LBB56_44
.LBB56_26:                              ;   in Loop: Header=BB56_6 Depth=1
	s_or_b32 exec_lo, exec_lo, s18
	s_wait_dscnt 0x0
	s_barrier_signal -1
	s_barrier_wait -1
	s_and_saveexec_b32 s14, s5
	s_cbranch_execz .LBB56_28
; %bb.27:                               ;   in Loop: Header=BB56_6 Depth=1
	ds_load_b32 v2, v17 offset:4104
	s_wait_dscnt 0x0
	ds_store_b32 v17, v2 offset:4096
.LBB56_28:                              ;   in Loop: Header=BB56_6 Depth=1
	s_or_b32 exec_lo, exec_lo, s14
	s_wait_dscnt 0x0
	s_barrier_signal -1
	s_mov_b32 s14, -1
	s_barrier_wait -1
	s_and_b32 vcc_lo, exec_lo, s16
	s_cbranch_vccnz .LBB56_21
	s_branch .LBB56_49
.LBB56_29:                              ;   in Loop: Header=BB56_6 Depth=1
	s_cvt_f32_u32 s14, s17
	v_add_max_u32_e64 v3, v2, s17, s36
	s_delay_alu instid0(SALU_CYCLE_2) | instskip(SKIP_1) | instid1(VALU_DEP_1)
	v_rcp_iflag_f32_e32 v4, s14
	s_lshl_b32 s14, s17, 1
	v_sub_nc_u32_e32 v3, v3, v0
	s_delay_alu instid0(VALU_DEP_1) | instskip(NEXT) | instid1(TRANS32_DEP_1)
	v_cmp_ne_u32_e32 vcc_lo, s14, v3
	v_readfirstlane_b32 s20, v4
	v_cndmask_b32_e64 v4, 0, 1, vcc_lo
	s_mul_f32 s20, s20, 0x4f7ffffe
	s_delay_alu instid0(VALU_DEP_1) | instskip(NEXT) | instid1(SALU_CYCLE_2)
	v_or_b32_e32 v4, s14, v4
	s_cvt_u32_f32 s14, s20
	s_sub_co_i32 s20, 0, s17
	s_delay_alu instid0(SALU_CYCLE_2) | instskip(NEXT) | instid1(VALU_DEP_1)
	s_mul_i32 s20, s20, s14
	v_sub_nc_u32_e32 v3, v3, v4
	s_mul_hi_u32 s20, s14, s20
	s_delay_alu instid0(SALU_CYCLE_1)
	s_add_co_i32 s14, s14, s20
	s_delay_alu instid0(VALU_DEP_1) | instid1(SALU_CYCLE_1)
	v_mul_hi_u32 v4, v3, s14
	s_delay_alu instid0(VALU_DEP_1) | instskip(NEXT) | instid1(VALU_DEP_1)
	v_mul_lo_u32 v5, v4, s17
	v_dual_sub_nc_u32 v3, v3, v5 :: v_dual_add_nc_u32 v5, 1, v4
	s_delay_alu instid0(VALU_DEP_1) | instskip(SKIP_1) | instid1(VALU_DEP_1)
	v_subrev_nc_u32_e32 v6, s17, v3
	v_cmp_le_u32_e64 s14, s17, v3
	v_dual_cndmask_b32 v4, v4, v5, s14 :: v_dual_cndmask_b32 v3, v3, v6, s14
	s_delay_alu instid0(VALU_DEP_1) | instskip(NEXT) | instid1(VALU_DEP_2)
	v_add_nc_u32_e32 v5, 1, v4
	v_cmp_le_u32_e64 s14, s17, v3
	s_delay_alu instid0(VALU_DEP_1) | instskip(SKIP_2) | instid1(VALU_DEP_2)
	v_cndmask_b32_e64 v3, v4, v5, s14
	v_mul_lo_u32 v4, s57, v2
	s_abs_i32 s14, s18
	v_add_co_ci_u32_e64 v3, null, 0, v3, vcc_lo
	s_delay_alu instid0(VALU_DEP_1) | instskip(SKIP_2) | instid1(SALU_CYCLE_1)
	v_mul_hi_u32 v5, s14, v3
	v_mul_lo_u32 v3, s14, v3
	s_not_b32 s14, s18
	s_ashr_i32 s14, s14, 31
	s_cmp_eq_u32 s17, 1
	s_delay_alu instid0(VALU_DEP_4) | instskip(SKIP_1) | instid1(VALU_DEP_3)
	v_xor_b32_e32 v4, s14, v4
	s_cselect_b32 s20, -1, 0
	v_cmp_eq_u32_e32 vcc_lo, 0, v5
	s_delay_alu instid0(VALU_DEP_2) | instskip(SKIP_2) | instid1(SALU_CYCLE_1)
	v_cmp_le_u32_e64 s14, v3, v4
	v_mov_b32_e32 v4, v0
                                        ; implicit-def: $vgpr3
	s_and_b32 s20, vcc_lo, s20
	s_and_b32 s21, s20, s14
	s_mov_b32 s20, -1
	s_and_saveexec_b32 s14, s21
	s_cbranch_execz .LBB56_39
; %bb.30:                               ;   in Loop: Header=BB56_6 Depth=1
	v_dual_add_nc_u32 v5, 3, v2 :: v_dual_add_nc_u32 v4, 2, v2
	s_wait_loadcnt 0x0
	v_dual_add_nc_u32 v3, 1, v2 :: v_dual_lshlrev_b32 v34, 16, v16
	v_mov_b32_e32 v37, 0
                                        ; implicit-def: $vgpr16
	s_delay_alu instid0(VALU_DEP_3) | instskip(NEXT) | instid1(VALU_DEP_3)
	v_mov_b64_e32 v[8:9], v[4:5]
	v_mov_b64_e32 v[6:7], v[2:3]
	s_and_saveexec_b32 s20, s8
	s_cbranch_execz .LBB56_34
; %bb.31:                               ;   in Loop: Header=BB56_6 Depth=1
	v_mov_b64_e32 v[8:9], v[4:5]
	v_mov_b64_e32 v[6:7], v[2:3]
	v_dual_mov_b32 v35, v24 :: v_dual_mov_b32 v36, v15
	s_mov_b32 s21, 0
	s_mov_b32 s22, 0
.LBB56_32:                              ;   Parent Loop BB56_6 Depth=1
                                        ; =>  This Inner Loop Header: Depth=2
	s_delay_alu instid0(VALU_DEP_2) | instskip(SKIP_1) | instid1(VALU_DEP_4)
	v_mul_lo_u32 v16, v6, s57
	v_dual_mov_b32 v5, v17 :: v_dual_add_nc_u32 v3, 4, v6
	v_dual_add_nc_u32 v37, 4, v7 :: v_dual_add_nc_u32 v42, 4, v8
	v_dual_mov_b32 v43, v17 :: v_dual_add_nc_u32 v44, 4, v9
	v_mul_lo_u32 v40, v7, s76
	v_dual_mov_b32 v41, v17 :: v_dual_mov_b32 v39, v17
	s_delay_alu instid0(VALU_DEP_3)
	v_mul_lo_u32 v46, v44, s78
	v_mul_lo_u32 v44, v42, s77
	;; [unrolled: 1-line block ×3, first 2 shown]
	v_lshl_add_u64 v[60:61], v[16:17], 1, s[38:39]
	v_mul_lo_u32 v16, v3, s57
	v_dual_add_nc_u32 v62, 8, v6 :: v_dual_add_nc_u32 v48, 8, v7
	v_dual_add_nc_u32 v50, 8, v8 :: v_dual_add_nc_u32 v52, 8, v9
	v_lshl_add_u64 v[40:41], v[40:41], 1, s[38:39]
	s_clause 0x1
	global_load_u16 v3, v[60:61], off
	global_load_u16 v64, v[40:41], off
	s_wait_xcnt 0x0
	v_lshl_add_u64 v[40:41], v[42:43], 1, s[38:39]
	v_lshl_add_u64 v[42:43], v[16:17], 1, s[38:39]
	v_mul_lo_u32 v16, v62, s57
	v_dual_add_nc_u32 v54, 12, v7 :: v_dual_add_nc_u32 v56, 12, v8
	v_mul_lo_u32 v38, v8, s77
	v_dual_mov_b32 v53, v17 :: v_dual_add_nc_u32 v63, 12, v6
	v_mul_lo_u32 v4, v9, s78
	v_dual_mov_b32 v55, v17 :: v_dual_add_nc_u32 v58, 12, v9
	v_mul_lo_u32 v52, v52, s78
	v_mul_lo_u32 v54, v54, s76
	;; [unrolled: 1-line block ×5, first 2 shown]
	v_lshl_add_u64 v[60:61], v[16:17], 1, s[38:39]
	v_mul_lo_u32 v16, v63, s57
	v_mul_lo_u32 v58, v58, s78
	v_dual_mov_b32 v45, v17 :: v_dual_mov_b32 v47, v17
	v_dual_mov_b32 v57, v17 :: v_dual_mov_b32 v59, v17
	;; [unrolled: 1-line block ×3, first 2 shown]
	v_lshl_add_u64 v[38:39], v[38:39], 1, s[38:39]
	v_lshl_add_u64 v[4:5], v[4:5], 1, s[38:39]
	v_lshl_add_u64 v[52:53], v[52:53], 1, s[38:39]
	v_lshl_add_u64 v[54:55], v[54:55], 1, s[38:39]
	v_lshl_add_u64 v[44:45], v[44:45], 1, s[38:39]
	v_lshl_add_u64 v[46:47], v[46:47], 1, s[38:39]
	v_lshl_add_u64 v[56:57], v[56:57], 1, s[38:39]
	v_lshl_add_u64 v[48:49], v[48:49], 1, s[38:39]
	v_lshl_add_u64 v[50:51], v[50:51], 1, s[38:39]
	s_clause 0x8
	global_load_u16 v38, v[38:39], off
	global_load_u16 v62, v[4:5], off
	;; [unrolled: 1-line block ×9, first 2 shown]
	v_lshl_add_u64 v[4:5], v[16:17], 1, s[38:39]
	v_lshl_add_u64 v[58:59], v[58:59], 1, s[38:39]
	s_clause 0x4
	global_load_u16 v47, v[52:53], off
	global_load_u16 v48, v[54:55], off
	;; [unrolled: 1-line block ×5, first 2 shown]
	s_add_co_i32 s22, s22, 16
	s_delay_alu instid0(SALU_CYCLE_1) | instskip(SKIP_2) | instid1(VALU_DEP_3)
	v_dual_add_nc_u32 v35, -4, v35 :: v_dual_mov_b32 v37, s22
	v_dual_add_nc_u32 v9, 16, v9 :: v_dual_add_nc_u32 v8, 16, v8
	v_dual_add_nc_u32 v7, 16, v7 :: v_dual_add_nc_u32 v6, 16, v6
	v_cmp_eq_u32_e32 vcc_lo, 0, v35
	s_or_b32 s21, vcc_lo, s21
	s_wait_loadcnt 0xd
	v_perm_b32 v39, v38, v64, 0x5040100
	v_alignbit_b32 v38, v3, v34, 16
	s_wait_loadcnt 0x9
	v_perm_b32 v41, v41, v40, 0x5040100
	v_perm_b32 v40, v42, v62, 0x5040100
	s_wait_loadcnt 0x7
	v_perm_b32 v42, v45, v44, 0x5040100
	s_wait_loadcnt 0x5
	;; [unrolled: 2-line block ×5, first 2 shown]
	v_perm_b32 v34, v16, v49, 0x5040100
	ds_store_b128 v36, v[38:41]
	ds_store_b128 v36, v[42:45] offset:16
	v_add_nc_u32_e32 v36, 32, v36
	s_wait_xcnt 0x0
	s_and_not1_b32 exec_lo, exec_lo, s21
	s_cbranch_execnz .LBB56_32
; %bb.33:                               ;   in Loop: Header=BB56_6 Depth=1
	s_or_b32 exec_lo, exec_lo, s21
.LBB56_34:                              ;   in Loop: Header=BB56_6 Depth=1
	s_delay_alu instid0(SALU_CYCLE_1)
	s_or_b32 exec_lo, exec_lo, s20
	s_and_saveexec_b32 s20, s9
	s_cbranch_execz .LBB56_38
; %bb.35:                               ;   in Loop: Header=BB56_6 Depth=1
	v_lshl_add_u32 v3, v37, 1, v15
	v_mov_b32_e32 v4, v26
	s_mov_b32 s21, 0
.LBB56_36:                              ;   Parent Loop BB56_6 Depth=1
                                        ; =>  This Inner Loop Header: Depth=2
	v_mul_lo_u32 v36, v7, s76
	v_mul_lo_u32 v38, v8, s77
	;; [unrolled: 1-line block ×4, first 2 shown]
	v_dual_mov_b32 v37, v17 :: v_dual_mov_b32 v39, v17
	v_dual_mov_b32 v41, v17 :: v_dual_add_nc_u32 v9, 4, v9
	v_dual_add_nc_u32 v4, -8, v4 :: v_dual_add_nc_u32 v6, 4, v6
	v_dual_add_nc_u32 v8, 4, v8 :: v_dual_add_nc_u32 v7, 4, v7
	s_delay_alu instid0(VALU_DEP_4)
	v_lshl_add_u64 v[36:37], v[36:37], 1, s[38:39]
	v_lshl_add_u64 v[38:39], v[38:39], 1, s[38:39]
	;; [unrolled: 1-line block ×4, first 2 shown]
	s_clause 0x3
	global_load_u16 v5, v[36:37], off
	global_load_u16 v36, v[38:39], off
	;; [unrolled: 1-line block ×4, first 2 shown]
	v_cmp_eq_u32_e32 vcc_lo, 0, v4
	s_or_b32 s21, vcc_lo, s21
	s_wait_loadcnt 0x2
	v_perm_b32 v35, v36, v5, 0x5040100
	s_wait_loadcnt 0x1
	v_perm_b32 v5, v16, v36, 0x5040100
	s_wait_loadcnt 0x0
	v_alignbit_b32 v34, v37, v34, 16
	ds_store_b64 v3, v[34:35]
	v_dual_mov_b32 v34, v5 :: v_dual_add_nc_u32 v3, 8, v3
	s_and_not1_b32 exec_lo, exec_lo, s21
	s_cbranch_execnz .LBB56_36
; %bb.37:                               ;   in Loop: Header=BB56_6 Depth=1
	s_or_b32 exec_lo, exec_lo, s21
.LBB56_38:                              ;   in Loop: Header=BB56_6 Depth=1
	s_delay_alu instid0(SALU_CYCLE_1) | instskip(SKIP_2) | instid1(VALU_DEP_1)
	s_or_b32 exec_lo, exec_lo, s20
	v_dual_add_nc_u32 v2, v2, v22 :: v_dual_add_nc_u32 v4, v0, v22
	s_or_not1_b32 s20, s10, exec_lo
	v_add_nc_u32_e32 v3, -1, v2
.LBB56_39:                              ;   in Loop: Header=BB56_6 Depth=1
	s_or_b32 exec_lo, exec_lo, s14
	s_wait_loadcnt 0x0
	v_dual_mov_b32 v5, s18 :: v_dual_mov_b32 v6, v16
	s_and_b32 s14, s20, exec_lo
	s_and_not1_saveexec_b32 s19, s19
	s_cbranch_execz .LBB56_25
.LBB56_40:                              ;   in Loop: Header=BB56_6 Depth=1
	s_wait_loadcnt 0x0
	v_dual_mov_b32 v5, s18 :: v_dual_mov_b32 v6, v16
	v_mov_b32_e32 v4, v0
	s_or_b32 s14, s14, exec_lo
	s_or_b32 exec_lo, exec_lo, s19
	s_and_saveexec_b32 s18, s14
	s_cbranch_execz .LBB56_44
.LBB56_41:                              ;   in Loop: Header=BB56_6 Depth=1
	v_mul_lo_u32 v3, s57, v2
	s_mov_b32 s19, 0
	s_sub_co_i32 s14, 0, s17
.LBB56_42:                              ;   Parent Loop BB56_6 Depth=1
                                        ; =>  This Inner Loop Header: Depth=2
	s_wait_loadcnt 0x0
	global_load_u16 v16, v3, s[38:39] scale_offset
	v_dual_mov_b32 v7, v2 :: v_dual_lshlrev_b32 v4, 1, v4
	s_wait_xcnt 0x0
	s_delay_alu instid0(VALU_DEP_1)
	v_dual_add_nc_u32 v3, v3, v5 :: v_dual_add_nc_u32 v2, s17, v7
	ds_store_b16 v4, v6
	v_mov_b32_e32 v4, v7
	v_cmp_le_u32_e32 vcc_lo, s36, v2
	s_or_b32 s19, vcc_lo, s19
	s_wait_loadcnt 0x0
	v_mov_b32_e32 v6, v16
	s_and_not1_b32 exec_lo, exec_lo, s19
	s_cbranch_execnz .LBB56_42
; %bb.43:                               ;   in Loop: Header=BB56_6 Depth=1
	s_or_b32 exec_lo, exec_lo, s19
	v_add_nc_u32_e32 v3, s14, v2
.LBB56_44:                              ;   in Loop: Header=BB56_6 Depth=1
	s_or_b32 exec_lo, exec_lo, s18
.LBB56_45:                              ;   in Loop: Header=BB56_6 Depth=1
	s_delay_alu instid0(SALU_CYCLE_1) | instskip(NEXT) | instid1(VALU_DEP_1)
	s_or_b32 exec_lo, exec_lo, s16
	v_lshlrev_b32_e32 v2, 1, v3
	s_wait_loadcnt 0x0
	ds_store_b16 v2, v16
.LBB56_46:                              ;   in Loop: Header=BB56_6 Depth=1
	s_or_b32 exec_lo, exec_lo, s15
	s_wait_dscnt 0x0
	s_barrier_signal -1
	s_barrier_wait -1
	s_and_saveexec_b32 s14, s5
; %bb.47:                               ;   in Loop: Header=BB56_6 Depth=1
	v_mov_b32_e32 v2, s36
	ds_store_b32 v17, v2 offset:4096
; %bb.48:                               ;   in Loop: Header=BB56_6 Depth=1
	s_or_b32 exec_lo, exec_lo, s14
	s_mov_b32 s14, -1
	s_wait_dscnt 0x0
	s_barrier_signal -1
	s_barrier_wait -1
.LBB56_49:                              ;   in Loop: Header=BB56_6 Depth=1
	s_and_b32 vcc_lo, exec_lo, s14
	s_mov_b32 s44, 0
	s_cbranch_vccz .LBB56_51
; %bb.50:                               ;   in Loop: Header=BB56_6 Depth=1
	ds_load_b32 v2, v17 offset:4096
	s_wait_dscnt 0x0
	v_readfirstlane_b32 s44, v2
.LBB56_51:                              ;   in Loop: Header=BB56_6 Depth=1
	s_delay_alu instid0(VALU_DEP_1)
	s_cmp_lt_i32 s44, 1
	s_mov_b32 s14, -1
                                        ; implicit-def: $vgpr4_vgpr5
	s_cbranch_scc1 .LBB56_64
; %bb.52:                               ;   in Loop: Header=BB56_6 Depth=1
	s_and_b32 vcc_lo, exec_lo, s14
	s_cbranch_vccnz .LBB56_75
.LBB56_53:                              ;   in Loop: Header=BB56_6 Depth=1
	s_lshl_b32 s16, s87, 7
	s_and_saveexec_b32 s14, s2
.LBB56_54:                              ;   in Loop: Header=BB56_6 Depth=1
	v_lshl_add_u32 v6, s16, 2, v21
	ds_store_b128 v6, v[2:5]
.LBB56_55:                              ;   in Loop: Header=BB56_6 Depth=1
	s_or_b32 exec_lo, exec_lo, s14
	s_wait_dscnt 0x0
	s_barrier_signal -1
	s_barrier_wait -1
	s_and_saveexec_b32 s17, s64
	s_cbranch_execz .LBB56_88
; %bb.56:                               ;   in Loop: Header=BB56_6 Depth=1
	v_dual_add_nc_u32 v4, s16, v1 :: v_dual_mov_b32 v2, 0
	s_and_not1_b32 vcc_lo, exec_lo, s66
	s_cbranch_vccnz .LBB56_87
; %bb.57:                               ;   in Loop: Header=BB56_6 Depth=1
	s_and_not1_b32 vcc_lo, exec_lo, s69
	s_cbranch_vccnz .LBB56_84
; %bb.58:                               ;   in Loop: Header=BB56_6 Depth=1
	v_lshl_add_u32 v5, v4, 2, 0xc00
	s_and_not1_b32 vcc_lo, exec_lo, s72
	s_cbranch_vccnz .LBB56_112
; %bb.59:                               ;   in Loop: Header=BB56_6 Depth=1
	v_dual_mov_b32 v2, 0 :: v_dual_mov_b32 v3, 0
	s_mov_b32 s15, 1
	s_mov_b32 s14, 0
	s_mov_b32 s18, s73
.LBB56_60:                              ;   Parent Loop BB56_6 Depth=1
                                        ; =>  This Inner Loop Header: Depth=2
	v_lshl_add_u32 v16, s15, 4, v5
	v_lshl_add_u32 v44, s14, 4, v5
	s_add_co_i32 s18, s18, -8
	s_add_co_i32 s15, s15, 16
	s_add_co_i32 s14, s14, 16
	ds_load_2addr_b32 v[6:7], v16 offset1:8
	ds_load_2addr_b32 v[8:9], v44 offset1:8
	ds_load_2addr_b32 v[34:35], v16 offset0:16 offset1:24
	ds_load_2addr_b32 v[36:37], v44 offset0:16 offset1:24
	;; [unrolled: 1-line block ×6, first 2 shown]
	s_cmp_lg_u32 s18, 0
	s_wait_dscnt 0x7
	v_add3_u32 v3, v6, v3, v7
	s_wait_dscnt 0x6
	v_add3_u32 v2, v8, v2, v9
	s_wait_dscnt 0x5
	s_delay_alu instid0(VALU_DEP_2) | instskip(SKIP_1) | instid1(VALU_DEP_2)
	v_add3_u32 v3, v34, v3, v35
	s_wait_dscnt 0x4
	v_add3_u32 v2, v36, v2, v37
	s_wait_dscnt 0x3
	s_delay_alu instid0(VALU_DEP_2) | instskip(SKIP_1) | instid1(VALU_DEP_2)
	v_add3_u32 v3, v38, v3, v39
	s_wait_dscnt 0x2
	v_add3_u32 v2, v40, v2, v41
	s_wait_dscnt 0x1
	s_delay_alu instid0(VALU_DEP_2) | instskip(SKIP_1) | instid1(VALU_DEP_2)
	v_add3_u32 v3, v42, v3, v43
	s_wait_dscnt 0x0
	v_add3_u32 v2, v44, v2, v45
	s_cbranch_scc1 .LBB56_60
; %bb.61:                               ;   in Loop: Header=BB56_6 Depth=1
	s_and_not1_b32 vcc_lo, exec_lo, s74
	s_mov_b32 s18, s71
	s_cbranch_vccnz .LBB56_63
.LBB56_62:                              ;   Parent Loop BB56_6 Depth=1
                                        ; =>  This Inner Loop Header: Depth=2
	v_lshl_add_u32 v6, s15, 4, v5
	v_lshl_add_u32 v7, s14, 4, v5
	s_add_co_i32 s18, s18, -1
	s_add_co_i32 s15, s15, 2
	s_add_co_i32 s14, s14, 2
	ds_load_b32 v6, v6
	ds_load_b32 v7, v7
	s_cmp_lg_u32 s18, 0
	s_wait_dscnt 0x0
	v_dual_add_nc_u32 v3, v6, v3 :: v_dual_add_nc_u32 v2, v7, v2
	s_cbranch_scc1 .LBB56_62
.LBB56_63:                              ;   in Loop: Header=BB56_6 Depth=1
	s_delay_alu instid0(VALU_DEP_1) | instskip(SKIP_2) | instid1(SALU_CYCLE_1)
	v_add_nc_u32_e32 v2, v2, v3
	s_mov_b32 s14, s70
	s_mov_b32 s15, s75
	s_and_b32 vcc_lo, exec_lo, s15
	s_cbranch_vccnz .LBB56_85
	s_branch .LBB56_87
.LBB56_64:                              ;   in Loop: Header=BB56_6 Depth=1
	v_mov_b64_e32 v[4:5], 0
	v_mov_b64_e32 v[2:3], 0
	s_and_saveexec_b32 s54, s11
	s_cbranch_execz .LBB56_68
; %bb.65:                               ;   in Loop: Header=BB56_6 Depth=1
	v_mov_b32_e32 v6, v11
	s_mov_b32 s55, 0
	s_mov_b32 s97, 0
	;; [unrolled: 1-line block ×6, first 2 shown]
.LBB56_66:                              ;   Parent Loop BB56_6 Depth=1
                                        ; =>  This Inner Loop Header: Depth=2
	v_dual_lshlrev_b32 v2, 2, v14 :: v_dual_add_nc_u32 v4, s97, v27
	v_add_nc_u32_e32 v5, s97, v28
	v_mad_u32 v3, s57, v11, s57
	v_add_nc_u32_e32 v6, s63, v6
	s_delay_alu instid0(VALU_DEP_4) | instskip(NEXT) | instid1(VALU_DEP_2)
	v_add_nc_u32_e32 v2, s97, v2
	v_cmp_le_u32_e32 vcc_lo, s79, v6
	global_load_i16 v2, v2, s[38:39] scale_offset
	v_add_nc_u32_e32 v3, s97, v3
	s_clause 0x2
	global_load_i16 v3, v3, s[38:39] scale_offset
	global_load_i16 v4, v4, s[38:39] scale_offset
	;; [unrolled: 1-line block ×3, first 2 shown]
	s_add_co_i32 s97, s97, s81
	s_wait_loadcnt 0x3
	s_wait_xcnt 0x3
	v_add_nc_u32_e32 v2, 0x8000, v2
	s_delay_alu instid0(VALU_DEP_1)
	v_and_b32_e32 v7, v2, v31
	v_bfe_u32 v2, v2, s84, 2
	s_wait_loadcnt 0x2
	s_wait_xcnt 0x2
	v_add_nc_u32_e32 v3, 0x8000, v3
	s_wait_loadcnt 0x1
	s_wait_xcnt 0x1
	v_add_nc_u32_e32 v4, 0x8000, v4
	s_wait_loadcnt 0x0
	v_add_nc_u32_e32 v5, 0x8000, v5
	v_cmp_eq_u32_e64 s14, v7, v25
	v_cmp_eq_u32_e64 s15, 0, v2
	;; [unrolled: 1-line block ×5, first 2 shown]
	v_and_b32_e32 v2, v3, v31
	s_and_b32 s15, s14, s15
	v_bfe_u32 v3, v3, s84, 2
	v_cndmask_b32_e64 v9, 0, 1, s15
	s_and_b32 s15, s14, s16
	v_and_b32_e32 v7, v4, v31
	v_bfe_u32 v4, v4, s84, 2
	v_cndmask_b32_e64 v16, 0, 1, s15
	s_and_b32 s15, s14, s17
	s_and_b32 s14, s14, s18
	v_and_b32_e32 v8, v5, v31
	v_bfe_u32 v5, v5, s84, 2
	v_cndmask_b32_e64 v35, 0, 1, s14
	v_cmp_eq_u32_e64 s14, v2, v25
	v_cmp_eq_u32_e64 s17, 0, v3
	v_cndmask_b32_e64 v34, 0, 1, s15
	v_cmp_eq_u32_e64 s15, v7, v25
	v_cmp_eq_u32_e64 s18, 0, v4
	;; [unrolled: 1-line block ×4, first 2 shown]
	s_and_b32 s17, s14, s17
	v_cmp_eq_u32_e64 s20, 1, v3
	v_cndmask_b32_e64 v2, 0, 1, s17
	s_and_b32 s17, s15, s18
	v_cmp_eq_u32_e64 s21, 1, v4
	v_cmp_eq_u32_e64 s23, 2, v3
	v_cmp_eq_u32_e64 s26, 3, v3
	v_cndmask_b32_e64 v3, 0, 1, s17
	s_and_b32 s17, s16, s19
	v_cmp_eq_u32_e64 s22, 1, v5
	v_cmp_eq_u32_e64 s24, 2, v4
	;; [unrolled: 5-line block ×3, first 2 shown]
	v_cndmask_b32_e64 v5, 0, 1, s17
	s_and_b32 s17, s15, s21
	v_cmp_ne_u32_e64 s29, 0, v9
	v_cndmask_b32_e64 v7, 0, 1, s17
	s_and_b32 s17, s16, s22
	v_cmp_ne_u32_e64 s33, 0, v35
	v_cndmask_b32_e64 v8, 0, 1, s17
	s_and_b32 s17, s14, s23
	s_and_b32 s14, s14, s26
	v_cndmask_b32_e64 v9, 0, 1, s17
	s_and_b32 s17, s15, s24
	v_cndmask_b32_e64 v35, 0, 1, s14
	s_and_b32 s14, s15, s27
	v_cmp_ne_u32_e64 s30, 0, v16
	v_cndmask_b32_e64 v16, 0, 1, s17
	s_and_b32 s17, s16, s25
	v_cndmask_b32_e64 v36, 0, 1, s14
	s_and_b32 s14, s16, s28
	v_cmp_ne_u32_e64 s31, 0, v34
	v_cndmask_b32_e64 v34, 0, 1, s17
	v_cndmask_b32_e64 v37, 0, 1, s14
	v_cmp_ne_u32_e64 s14, 0, v2
	v_cmp_ne_u32_e64 s17, 0, v5
	;; [unrolled: 1-line block ×8, first 2 shown]
	s_bcnt1_i32_b32 s26, s29
	s_bcnt1_i32_b32 s27, s30
	;; [unrolled: 1-line block ×4, first 2 shown]
	v_cmp_ne_u32_e64 s16, 0, v4
	v_cmp_ne_u32_e64 s19, 0, v8
	;; [unrolled: 1-line block ×4, first 2 shown]
	s_add_co_i32 s26, s26, s34
	s_add_co_i32 s27, s27, s35
	;; [unrolled: 1-line block ×4, first 2 shown]
	s_bcnt1_i32_b32 s14, s14
	s_bcnt1_i32_b32 s17, s17
	;; [unrolled: 1-line block ×8, first 2 shown]
	s_add_co_i32 s17, s27, s17
	s_add_co_i32 s14, s26, s14
	;; [unrolled: 1-line block ×4, first 2 shown]
	s_bcnt1_i32_b32 s16, s16
	s_bcnt1_i32_b32 s19, s19
	;; [unrolled: 1-line block ×4, first 2 shown]
	s_add_co_i32 s14, s14, s15
	s_add_co_i32 s15, s17, s18
	;; [unrolled: 1-line block ×8, first 2 shown]
	v_mov_b64_e32 v[2:3], s[34:35]
	v_mov_b64_e32 v[4:5], s[52:53]
	s_or_b32 s55, vcc_lo, s55
	s_delay_alu instid0(SALU_CYCLE_1)
	s_and_not1_b32 exec_lo, exec_lo, s55
	s_cbranch_execnz .LBB56_66
; %bb.67:                               ;   in Loop: Header=BB56_6 Depth=1
	s_or_b32 exec_lo, exec_lo, s55
.LBB56_68:                              ;   in Loop: Header=BB56_6 Depth=1
	s_delay_alu instid0(SALU_CYCLE_1)
	s_or_b32 exec_lo, exec_lo, s54
	s_and_saveexec_b32 s18, s12
	s_cbranch_execz .LBB56_74
; %bb.69:                               ;   in Loop: Header=BB56_6 Depth=1
	global_load_u16 v9, v[18:19], off
	v_dual_mov_b32 v6, v29 :: v_dual_mov_b32 v7, v23
	s_mov_b32 s19, 0
	s_branch .LBB56_71
.LBB56_70:                              ;   in Loop: Header=BB56_71 Depth=2
	s_wait_xcnt 0x0
	s_or_b32 exec_lo, exec_lo, s15
	s_wait_loadcnt 0x0
	v_bfe_i32 v9, v9, 0, 16
	s_and_b32 s15, exec_lo, vcc_lo
	v_add_nc_u32_e32 v6, s58, v6
	s_or_b32 s19, s15, s19
	s_delay_alu instid0(VALU_DEP_2) | instskip(NEXT) | instid1(VALU_DEP_1)
	v_add_nc_u32_e32 v9, 0x8000, v9
	v_and_b32_e32 v16, v9, v31
	v_bfe_u32 v9, v9, s84, 2
	s_delay_alu instid0(VALU_DEP_2) | instskip(NEXT) | instid1(VALU_DEP_2)
	v_cmp_eq_u32_e32 vcc_lo, v16, v25
	v_cmp_eq_u32_e64 s14, 0, v9
	v_cmp_eq_u32_e64 s15, 1, v9
	;; [unrolled: 1-line block ×4, first 2 shown]
	s_and_b32 s14, vcc_lo, s14
	s_delay_alu instid0(SALU_CYCLE_1) | instskip(SKIP_1) | instid1(SALU_CYCLE_1)
	v_cndmask_b32_e64 v9, 0, 1, s14
	s_and_b32 s14, vcc_lo, s15
	v_cndmask_b32_e64 v16, 0, 1, s14
	s_and_b32 s14, vcc_lo, s16
	s_delay_alu instid0(SALU_CYCLE_1)
	v_cndmask_b32_e64 v34, 0, 1, s14
	s_and_b32 s14, vcc_lo, s17
	v_cmp_ne_u32_e32 vcc_lo, 0, v9
	v_cndmask_b32_e64 v35, 0, 1, s14
	v_cmp_ne_u32_e64 s14, 0, v16
	v_cmp_ne_u32_e64 s15, 0, v34
	v_mov_b32_e32 v9, v8
	s_bcnt1_i32_b32 s17, vcc_lo
	v_cmp_ne_u32_e64 s16, 0, v35
	s_bcnt1_i32_b32 s14, s14
	s_bcnt1_i32_b32 s15, s15
	v_dual_add_nc_u32 v3, s14, v3 :: v_dual_add_nc_u32 v2, s17, v2
	s_bcnt1_i32_b32 s16, s16
	s_delay_alu instid0(SALU_CYCLE_1)
	v_dual_add_nc_u32 v4, s15, v4 :: v_dual_add_nc_u32 v5, s16, v5
	s_and_not1_b32 exec_lo, exec_lo, s19
	s_cbranch_execz .LBB56_73
.LBB56_71:                              ;   Parent Loop BB56_6 Depth=1
                                        ; =>  This Inner Loop Header: Depth=2
	s_delay_alu instid0(VALU_DEP_1) | instskip(SKIP_1) | instid1(VALU_DEP_1)
	v_dual_mov_b32 v8, 0 :: v_dual_add_nc_u32 v7, s56, v7
	s_mov_b32 s15, exec_lo
	v_cmp_le_u32_e32 vcc_lo, s36, v7
	s_wait_xcnt 0x0
	v_cmpx_gt_u32_e64 s36, v7
	s_cbranch_execz .LBB56_70
; %bb.72:                               ;   in Loop: Header=BB56_71 Depth=2
	global_load_u16 v8, v6, s[38:39] scale_offset
	s_branch .LBB56_70
.LBB56_73:                              ;   in Loop: Header=BB56_6 Depth=1
	s_or_b32 exec_lo, exec_lo, s19
.LBB56_74:                              ;   in Loop: Header=BB56_6 Depth=1
	s_delay_alu instid0(SALU_CYCLE_1)
	s_or_b32 exec_lo, exec_lo, s18
	s_branch .LBB56_53
.LBB56_75:                              ;   in Loop: Header=BB56_6 Depth=1
	s_mul_u64 s[14:15], s[44:45], s[46:47]
	v_mov_b64_e32 v[4:5], 0
	s_mul_i32 s14, s15, s63
	v_mov_b64_e32 v[2:3], 0
	s_sub_co_i32 s14, s44, s14
	s_mov_b32 s97, exec_lo
	s_sub_co_i32 s15, s14, s63
	s_cmp_ge_u32 s14, s63
	s_cselect_b32 s14, s15, s14
	s_delay_alu instid0(SALU_CYCLE_1) | instskip(SKIP_2) | instid1(SALU_CYCLE_1)
	s_sub_co_i32 s15, s14, s63
	s_cmp_ge_u32 s14, s63
	s_cselect_b32 s14, s15, s14
	s_sub_co_i32 s35, s44, s14
	s_delay_alu instid0(SALU_CYCLE_1)
	v_cmpx_gt_u32_e64 s35, v11
	s_cbranch_execz .LBB56_79
; %bb.76:                               ;   in Loop: Header=BB56_6 Depth=1
	v_dual_mov_b32 v6, v11 :: v_dual_lshlrev_b32 v7, 3, v0
	s_mov_b32 s98, 0
	s_mov_b32 s52, 0
	;; [unrolled: 1-line block ×5, first 2 shown]
.LBB56_77:                              ;   Parent Loop BB56_6 Depth=1
                                        ; =>  This Inner Loop Header: Depth=2
	ds_load_b64 v[2:3], v7
	v_dual_add_nc_u32 v6, s63, v6 :: v_dual_add_nc_u32 v7, s82, v7
	s_delay_alu instid0(VALU_DEP_1)
	v_cmp_le_u32_e32 vcc_lo, s35, v6
	s_wait_dscnt 0x0
	v_bfe_i32 v4, v2, 0, 16
	v_ashrrev_i32_e32 v2, 16, v2
	v_bfe_i32 v5, v3, 0, 16
	v_ashrrev_i32_e32 v3, 16, v3
	s_delay_alu instid0(VALU_DEP_4) | instskip(NEXT) | instid1(VALU_DEP_4)
	v_add_nc_u32_e32 v4, 0x8000, v4
	v_add_nc_u32_e32 v2, 0x8000, v2
	s_delay_alu instid0(VALU_DEP_4) | instskip(NEXT) | instid1(VALU_DEP_4)
	v_add_nc_u32_e32 v5, 0x8000, v5
	v_add_nc_u32_e32 v3, 0x8000, v3
	s_delay_alu instid0(VALU_DEP_4)
	v_and_b32_e32 v8, v4, v31
	v_bfe_u32 v4, v4, s84, 2
	v_and_b32_e32 v9, v2, v31
	v_bfe_u32 v2, v2, s84, 2
	;; [unrolled: 2-line block ×3, first 2 shown]
	v_cmp_eq_u32_e64 s14, v8, v25
	v_cmp_eq_u32_e64 s18, 0, v4
	v_and_b32_e32 v34, v3, v31
	v_bfe_u32 v3, v3, s84, 2
	v_cmp_eq_u32_e64 s15, v9, v25
	v_cmp_eq_u32_e64 s19, 0, v2
	v_cmp_eq_u32_e64 s16, v16, v25
	v_cmp_eq_u32_e64 s20, 0, v5
	s_and_b32 s18, s14, s18
	v_cmp_eq_u32_e64 s17, v34, v25
	v_cmp_eq_u32_e64 s21, 0, v3
	;; [unrolled: 1-line block ×5, first 2 shown]
	v_cndmask_b32_e64 v2, 0, 1, s18
	s_and_b32 s18, s15, s19
	v_cmp_eq_u32_e64 s22, 1, v4
	v_cmp_eq_u32_e64 s25, 1, v3
	;; [unrolled: 1-line block ×4, first 2 shown]
	v_cndmask_b32_e64 v3, 0, 1, s18
	s_and_b32 s18, s16, s20
	v_cmp_eq_u32_e64 s26, 2, v4
	v_cmp_eq_u32_e64 s30, 3, v4
	v_cndmask_b32_e64 v4, 0, 1, s18
	s_and_b32 s18, s17, s21
	v_cmp_eq_u32_e64 s24, 1, v5
	v_cmp_eq_u32_e64 s28, 2, v5
	;; [unrolled: 1-line block ×3, first 2 shown]
	v_cndmask_b32_e64 v5, 0, 1, s18
	s_and_b32 s18, s14, s22
	s_delay_alu instid0(SALU_CYCLE_1) | instskip(SKIP_1) | instid1(SALU_CYCLE_1)
	v_cndmask_b32_e64 v8, 0, 1, s18
	s_and_b32 s18, s15, s23
	v_cndmask_b32_e64 v9, 0, 1, s18
	s_and_b32 s18, s16, s24
	s_delay_alu instid0(SALU_CYCLE_1) | instskip(SKIP_1) | instid1(VALU_DEP_2)
	v_cndmask_b32_e64 v16, 0, 1, s18
	s_and_b32 s18, s17, s25
	v_cmp_ne_u32_e64 s19, 0, v9
	v_cndmask_b32_e64 v34, 0, 1, s18
	s_and_b32 s18, s14, s26
	s_and_b32 s14, s14, s30
	v_cndmask_b32_e64 v35, 0, 1, s18
	s_and_b32 s18, s15, s27
	v_cndmask_b32_e64 v39, 0, 1, s14
	;; [unrolled: 2-line block ×7, first 2 shown]
	v_cndmask_b32_e64 v42, 0, 1, s14
	v_cmp_ne_u32_e64 s14, 0, v2
	v_cmp_ne_u32_e64 s18, 0, v8
	;; [unrolled: 1-line block ×11, first 2 shown]
	s_bcnt1_i32_b32 s14, s14
	s_bcnt1_i32_b32 s18, s18
	;; [unrolled: 1-line block ×4, first 2 shown]
	v_cmp_ne_u32_e64 s17, 0, v5
	v_cmp_ne_u32_e64 s21, 0, v34
	v_cmp_ne_u32_e64 s25, 0, v38
	v_cmp_ne_u32_e64 s29, 0, v42
	s_bcnt1_i32_b32 s15, s15
	s_bcnt1_i32_b32 s19, s19
	s_bcnt1_i32_b32 s23, s23
	s_bcnt1_i32_b32 s27, s27
	s_add_co_i32 s14, s14, s52
	s_add_co_i32 s18, s18, s53
	s_add_co_i32 s22, s22, s54
	s_add_co_i32 s26, s26, s55
	s_bcnt1_i32_b32 s16, s16
	s_bcnt1_i32_b32 s20, s20
	s_bcnt1_i32_b32 s24, s24
	s_bcnt1_i32_b32 s28, s28
	s_add_co_i32 s18, s18, s19
	s_add_co_i32 s14, s14, s15
	s_add_co_i32 s15, s26, s27
	s_add_co_i32 s19, s22, s23
	;; [unrolled: 8-line block ×3, first 2 shown]
	s_add_co_i32 s53, s16, s21
	s_add_co_i32 s52, s14, s17
	s_add_co_i32 s55, s15, s29
	s_add_co_i32 s54, s18, s25
	v_mov_b64_e32 v[2:3], s[52:53]
	v_mov_b64_e32 v[4:5], s[54:55]
	s_or_b32 s98, vcc_lo, s98
	s_delay_alu instid0(SALU_CYCLE_1)
	s_and_not1_b32 exec_lo, exec_lo, s98
	s_cbranch_execnz .LBB56_77
; %bb.78:                               ;   in Loop: Header=BB56_6 Depth=1
	s_or_b32 exec_lo, exec_lo, s98
.LBB56_79:                              ;   in Loop: Header=BB56_6 Depth=1
	s_delay_alu instid0(SALU_CYCLE_1) | instskip(SKIP_2) | instid1(VALU_DEP_1)
	s_or_b32 exec_lo, exec_lo, s97
	v_add_nc_u32_e32 v6, s35, v0
	s_mov_b32 s19, exec_lo
	v_cmpx_gt_u32_e64 s44, v6
	s_cbranch_execz .LBB56_83
; %bb.80:                               ;   in Loop: Header=BB56_6 Depth=1
	v_lshlrev_b32_e32 v7, 1, v6
	s_mov_b32 s20, 0
.LBB56_81:                              ;   Parent Loop BB56_6 Depth=1
                                        ; =>  This Inner Loop Header: Depth=2
	ds_load_i16 v8, v7
	v_dual_add_nc_u32 v6, s56, v6 :: v_dual_add_nc_u32 v7, s83, v7
	s_delay_alu instid0(VALU_DEP_1) | instskip(SKIP_2) | instid1(VALU_DEP_1)
	v_cmp_le_u32_e32 vcc_lo, s44, v6
	s_wait_dscnt 0x0
	v_add_nc_u32_e32 v8, 0x8000, v8
	v_and_b32_e32 v9, v8, v31
	v_bfe_u32 v8, v8, s84, 2
	s_delay_alu instid0(VALU_DEP_2) | instskip(NEXT) | instid1(VALU_DEP_2)
	v_cmp_eq_u32_e64 s14, v9, v25
	v_cmp_eq_u32_e64 s15, 0, v8
	;; [unrolled: 1-line block ×5, first 2 shown]
	s_and_b32 s15, s14, s15
	s_delay_alu instid0(SALU_CYCLE_1) | instskip(SKIP_1) | instid1(SALU_CYCLE_1)
	v_cndmask_b32_e64 v8, 0, 1, s15
	s_and_b32 s15, s14, s16
	v_cndmask_b32_e64 v9, 0, 1, s15
	s_and_b32 s15, s14, s17
	s_and_b32 s14, s14, s18
	v_cndmask_b32_e64 v16, 0, 1, s15
	v_cndmask_b32_e64 v34, 0, 1, s14
	v_cmp_ne_u32_e64 s14, 0, v8
	v_cmp_ne_u32_e64 s15, 0, v9
	s_delay_alu instid0(VALU_DEP_4) | instskip(NEXT) | instid1(VALU_DEP_4)
	v_cmp_ne_u32_e64 s16, 0, v16
	v_cmp_ne_u32_e64 s17, 0, v34
	s_bcnt1_i32_b32 s14, s14
	s_bcnt1_i32_b32 s15, s15
	v_add_nc_u32_e32 v2, s14, v2
	s_bcnt1_i32_b32 s16, s16
	s_bcnt1_i32_b32 s17, s17
	s_delay_alu instid0(SALU_CYCLE_1) | instskip(SKIP_2) | instid1(SALU_CYCLE_1)
	v_dual_add_nc_u32 v3, s15, v3 :: v_dual_add_nc_u32 v5, s17, v5
	v_add_nc_u32_e32 v4, s16, v4
	s_or_b32 s20, vcc_lo, s20
	s_and_not1_b32 exec_lo, exec_lo, s20
	s_cbranch_execnz .LBB56_81
; %bb.82:                               ;   in Loop: Header=BB56_6 Depth=1
	s_or_b32 exec_lo, exec_lo, s20
.LBB56_83:                              ;   in Loop: Header=BB56_6 Depth=1
	s_delay_alu instid0(SALU_CYCLE_1)
	s_or_b32 exec_lo, exec_lo, s19
	s_lshl_b32 s16, s87, 7
	s_and_saveexec_b32 s14, s2
	s_cbranch_execnz .LBB56_54
	s_branch .LBB56_55
.LBB56_84:                              ;   in Loop: Header=BB56_6 Depth=1
	v_mov_b32_e32 v2, 0
	s_mov_b32 s14, 0
	s_cbranch_execz .LBB56_87
.LBB56_85:                              ;   in Loop: Header=BB56_6 Depth=1
	s_lshl_b32 s15, s87, 9
	s_lshl_b32 s18, s14, 4
	s_sub_co_i32 s14, s68, s14
	v_add3_u32 v3, s15, s18, v30
.LBB56_86:                              ;   Parent Loop BB56_6 Depth=1
                                        ; =>  This Inner Loop Header: Depth=2
	ds_load_b32 v5, v3
	v_add_nc_u32_e32 v3, 16, v3
	s_add_co_i32 s14, s14, -1
	s_delay_alu instid0(SALU_CYCLE_1)
	s_cmp_eq_u32 s14, 0
	s_wait_dscnt 0x0
	v_add_nc_u32_e32 v2, v5, v2
	s_cbranch_scc0 .LBB56_86
.LBB56_87:                              ;   in Loop: Header=BB56_6 Depth=1
	s_delay_alu instid0(VALU_DEP_1)
	v_lshlrev_b32_e32 v3, 2, v4
	ds_store_b32 v3, v2 offset:3072
.LBB56_88:                              ;   in Loop: Header=BB56_6 Depth=1
	s_or_b32 exec_lo, exec_lo, s17
	s_lshl_b32 s14, s16, 2
	s_wait_dscnt 0x0
	v_mov_b32_e32 v2, s14
	s_barrier_signal -1
	s_barrier_wait -1
	v_cmp_eq_u32_e64 s14, 1, v33
	ds_load_b128 v[2:5], v2 offset:3072
	s_lshl_b32 s18, 3, s84
	s_mov_b32 s26, -1
	s_not_b32 s19, s18
	s_mov_b32 s16, 0
	s_and_not1_b32 vcc_lo, exec_lo, s62
	s_mov_b32 s23, 0
	s_mov_b32 s15, 0
                                        ; implicit-def: $sgpr24
                                        ; implicit-def: $sgpr25
                                        ; implicit-def: $vgpr6
	s_wait_dscnt 0x0
	v_readfirstlane_b32 s17, v2
	v_readfirstlane_b32 s20, v3
	;; [unrolled: 1-line block ×4, first 2 shown]
                                        ; implicit-def: $vgpr5
                                        ; implicit-def: $vgpr2
                                        ; implicit-def: $vgpr3
                                        ; implicit-def: $vgpr4
	s_cbranch_vccnz .LBB56_247
; %bb.89:                               ;   in Loop: Header=BB56_6 Depth=1
	s_cmp_eq_u32 s17, 1
	v_dual_mov_b32 v3, v25 :: v_dual_mov_b32 v4, v31
	v_mov_b32_e32 v6, v32
	s_cselect_b32 s15, -1, 0
	s_mov_b32 s29, -1
	s_and_b32 s28, s15, s14
                                        ; implicit-def: $sgpr25
                                        ; implicit-def: $sgpr24
	s_delay_alu instid0(SALU_CYCLE_1)
	s_and_saveexec_b32 s15, s28
	s_cbranch_execz .LBB56_116
; %bb.90:                               ;   in Loop: Header=BB56_6 Depth=1
	ds_load_b32 v2, v17 offset:4096
	s_wait_dscnt 0x0
	s_barrier_signal -1
	s_barrier_wait -1
	v_readfirstlane_b32 s26, v2
	s_and_saveexec_b32 s23, s6
; %bb.91:                               ;   in Loop: Header=BB56_6 Depth=1
	ds_store_b16 v20, v17
; %bb.92:                               ;   in Loop: Header=BB56_6 Depth=1
	s_or_b32 exec_lo, exec_lo, s23
	v_and_b32_e32 v3, s19, v25
	v_or_b32_e32 v4, s18, v31
	s_mov_b32 s24, -1
	s_mov_b32 s25, 0
	s_cmp_eq_u32 s26, 0
	s_mov_b32 s23, 0
	s_mov_b32 s27, -1
	s_wait_dscnt 0x0
	s_barrier_signal -1
	s_barrier_wait -1
                                        ; implicit-def: $vgpr6
	s_cbranch_scc1 .LBB56_103
; %bb.93:                               ;   in Loop: Header=BB56_6 Depth=1
	s_add_co_i32 s44, s26, s67
	s_mov_b32 s29, exec_lo
	s_mul_u64 s[30:31], s[44:45], s[48:49]
                                        ; implicit-def: $vgpr6
	s_delay_alu instid0(SALU_CYCLE_1) | instskip(NEXT) | instid1(SALU_CYCLE_1)
	s_mul_i32 s23, s31, s56
	s_sub_co_i32 s23, s44, s23
	s_delay_alu instid0(SALU_CYCLE_1) | instskip(SKIP_2) | instid1(SALU_CYCLE_1)
	s_sub_co_i32 s27, s23, s56
	s_cmp_ge_u32 s23, s56
	s_cselect_b32 s23, s27, s23
	s_sub_co_i32 s27, s23, s56
	s_cmp_ge_u32 s23, s56
	s_cselect_b32 s23, s27, s23
	s_mov_b32 s27, 0
	s_sub_co_i32 s30, s44, s23
	s_mov_b32 s23, 0
	v_cmpx_gt_u32_e64 s30, v0
	s_cbranch_execz .LBB56_102
; %bb.94:                               ;   in Loop: Header=BB56_6 Depth=1
	v_dual_mov_b32 v2, v15 :: v_dual_mov_b32 v5, v0
                                        ; implicit-def: $sgpr31
	s_branch .LBB56_97
.LBB56_95:                              ;   in Loop: Header=BB56_97 Depth=2
	s_or_b32 exec_lo, exec_lo, s33
	s_wait_dscnt 0x0
	s_barrier_signal -1
	s_barrier_wait -1
	ds_load_b32 v6, v17 offset:3072
	s_mov_b32 s33, -1
	s_mov_b32 s34, -1
	s_wait_dscnt 0x0
	s_barrier_signal -1
	s_barrier_wait -1
	v_and_b32_e32 v7, 0xffff, v6
	s_delay_alu instid0(VALU_DEP_1)
	v_cmp_ne_u32_e32 vcc_lo, 0, v7
	s_cbranch_vccz .LBB56_100
.LBB56_96:                              ;   in Loop: Header=BB56_97 Depth=2
	s_and_b32 s33, exec_lo, s33
	s_delay_alu instid0(SALU_CYCLE_1) | instskip(SKIP_2) | instid1(SALU_CYCLE_1)
	s_or_b32 s23, s33, s23
	s_and_not1_b32 s31, s31, exec_lo
	s_and_b32 s33, s34, exec_lo
	s_or_b32 s31, s31, s33
	s_and_not1_b32 exec_lo, exec_lo, s23
	s_cbranch_execz .LBB56_101
.LBB56_97:                              ;   Parent Loop BB56_6 Depth=1
                                        ; =>  This Inner Loop Header: Depth=2
	s_mov_b32 s33, exec_lo
	s_delay_alu instid0(VALU_DEP_1)
	v_cmpx_gt_u32_e64 s26, v5
	s_cbranch_execz .LBB56_95
; %bb.98:                               ;   in Loop: Header=BB56_97 Depth=2
	ds_load_u16 v6, v2
	s_wait_dscnt 0x0
	v_bfe_i32 v7, v6, 0, 16
	s_delay_alu instid0(VALU_DEP_1) | instskip(NEXT) | instid1(VALU_DEP_1)
	v_add_nc_u32_e32 v7, 0x8000, v7
	v_and_b32_e32 v7, v7, v4
	s_delay_alu instid0(VALU_DEP_1)
	v_cmp_eq_u32_e32 vcc_lo, v7, v3
	s_and_b32 exec_lo, exec_lo, vcc_lo
	s_cbranch_execz .LBB56_95
; %bb.99:                               ;   in Loop: Header=BB56_97 Depth=2
	v_perm_b32 v6, v6, 1, 0x5040100
	ds_store_b32 v17, v6 offset:3072
	s_branch .LBB56_95
.LBB56_100:                             ;   in Loop: Header=BB56_97 Depth=2
	v_dual_add_nc_u32 v5, s56, v5 :: v_dual_add_nc_u32 v2, s83, v2
	s_mov_b32 s34, 0
	s_delay_alu instid0(VALU_DEP_1)
	v_cmp_le_u32_e32 vcc_lo, s30, v5
	s_or_not1_b32 s33, vcc_lo, exec_lo
	s_branch .LBB56_96
.LBB56_101:                             ;   in Loop: Header=BB56_6 Depth=1
	s_or_b32 exec_lo, exec_lo, s23
	v_lshrrev_b32_e32 v6, 16, v6
	s_and_b32 s23, s31, exec_lo
.LBB56_102:                             ;   in Loop: Header=BB56_6 Depth=1
	s_or_b32 exec_lo, exec_lo, s29
.LBB56_103:                             ;   in Loop: Header=BB56_6 Depth=1
	s_delay_alu instid0(SALU_CYCLE_1)
	s_and_b32 vcc_lo, exec_lo, s27
	s_cbranch_vccz .LBB56_115
; %bb.104:                              ;   in Loop: Header=BB56_6 Depth=1
                                        ; implicit-def: $vgpr6
	s_and_saveexec_b32 s24, s13
	s_cbranch_execz .LBB56_114
; %bb.105:                              ;   in Loop: Header=BB56_6 Depth=1
	v_dual_mov_b32 v2, v14 :: v_dual_mov_b32 v5, v0
	s_mov_b32 s25, 0
                                        ; implicit-def: $sgpr26
	s_branch .LBB56_108
.LBB56_106:                             ;   in Loop: Header=BB56_108 Depth=2
	s_or_b32 exec_lo, exec_lo, s27
	s_wait_dscnt 0x0
	s_barrier_signal -1
	s_barrier_wait -1
	ds_load_b32 v6, v17 offset:3072
	s_mov_b32 s27, -1
	s_mov_b32 s29, -1
	s_wait_dscnt 0x0
	s_barrier_signal -1
	s_barrier_wait -1
	v_and_b32_e32 v7, 0xffff, v6
	s_delay_alu instid0(VALU_DEP_1)
	v_cmp_ne_u32_e32 vcc_lo, 0, v7
	s_cbranch_vccz .LBB56_111
.LBB56_107:                             ;   in Loop: Header=BB56_108 Depth=2
	s_and_b32 s27, exec_lo, s27
	s_delay_alu instid0(SALU_CYCLE_1) | instskip(SKIP_2) | instid1(SALU_CYCLE_1)
	s_or_b32 s25, s27, s25
	s_and_not1_b32 s26, s26, exec_lo
	s_and_b32 s27, s29, exec_lo
	s_or_b32 s26, s26, s27
	s_and_not1_b32 exec_lo, exec_lo, s25
	s_cbranch_execz .LBB56_113
.LBB56_108:                             ;   Parent Loop BB56_6 Depth=1
                                        ; =>  This Inner Loop Header: Depth=2
	s_mov_b32 s27, exec_lo
	s_delay_alu instid0(VALU_DEP_1)
	v_cmpx_gt_u32_e64 s36, v5
	s_cbranch_execz .LBB56_106
; %bb.109:                              ;   in Loop: Header=BB56_108 Depth=2
	global_load_u16 v6, v2, s[38:39] scale_offset
	s_wait_loadcnt 0x0
	v_bfe_i32 v7, v6, 0, 16
	s_delay_alu instid0(VALU_DEP_1) | instskip(NEXT) | instid1(VALU_DEP_1)
	v_add_nc_u32_e32 v7, 0x8000, v7
	v_and_b32_e32 v7, v7, v4
	s_delay_alu instid0(VALU_DEP_1)
	v_cmp_eq_u32_e32 vcc_lo, v7, v3
	s_and_b32 exec_lo, exec_lo, vcc_lo
	s_cbranch_execz .LBB56_106
; %bb.110:                              ;   in Loop: Header=BB56_108 Depth=2
	v_perm_b32 v6, v6, 1, 0x5040100
	ds_store_b32 v17, v6 offset:3072
	s_branch .LBB56_106
.LBB56_111:                             ;   in Loop: Header=BB56_108 Depth=2
	v_dual_add_nc_u32 v5, s56, v5 :: v_dual_add_nc_u32 v2, s58, v2
	s_mov_b32 s29, 0
	s_delay_alu instid0(VALU_DEP_1)
	v_cmp_le_u32_e32 vcc_lo, s80, v5
	s_or_not1_b32 s27, vcc_lo, exec_lo
	s_branch .LBB56_107
.LBB56_112:                             ;   in Loop: Header=BB56_6 Depth=1
	s_mov_b64 s[14:15], 0x100000000
	v_mov_b64_e32 v[2:3], 0
	s_and_not1_b32 vcc_lo, exec_lo, s74
	s_mov_b32 s18, s71
	s_cbranch_vccz .LBB56_62
	s_branch .LBB56_63
.LBB56_113:                             ;   in Loop: Header=BB56_6 Depth=1
	s_or_b32 exec_lo, exec_lo, s25
	v_lshrrev_b32_e32 v6, 16, v6
	s_and_not1_b32 s23, s23, exec_lo
	s_and_b32 s25, s26, exec_lo
	s_delay_alu instid0(SALU_CYCLE_1)
	s_or_b32 s23, s23, s25
.LBB56_114:                             ;   in Loop: Header=BB56_6 Depth=1
	s_or_b32 exec_lo, exec_lo, s24
	s_mov_b32 s24, 0
	s_mov_b32 s25, -1
.LBB56_115:                             ;   in Loop: Header=BB56_6 Depth=1
	s_or_not1_b32 s29, s23, exec_lo
.LBB56_116:                             ;   in Loop: Header=BB56_6 Depth=1
	s_or_b32 exec_lo, exec_lo, s15
	s_mov_b32 s26, 0
	s_mov_b32 s23, 0
	;; [unrolled: 1-line block ×3, first 2 shown]
                                        ; implicit-def: $vgpr5
                                        ; implicit-def: $vgpr2
	s_and_saveexec_b32 s27, s29
	s_cbranch_execz .LBB56_246
; %bb.117:                              ;   in Loop: Header=BB56_6 Depth=1
	v_dual_mov_b32 v5, 1 :: v_dual_mov_b32 v2, 1
	s_xor_b32 s23, s28, -1
	s_mov_b32 s30, 0
	s_and_saveexec_b32 s15, s23
	s_cbranch_execz .LBB56_126
; %bb.118:                              ;   in Loop: Header=BB56_6 Depth=1
	s_mov_b32 s23, exec_lo
	v_cmpx_ge_u32_e64 s17, v33
	s_xor_b32 s23, exec_lo, s23
	s_cbranch_execz .LBB56_123
; %bb.119:                              ;   in Loop: Header=BB56_6 Depth=1
	ds_load_b32 v2, v17 offset:4096
	v_and_b32_e32 v3, s19, v3
	v_or_b32_e32 v4, s18, v4
	s_wait_dscnt 0x0
	v_cmp_ne_u32_e32 vcc_lo, 0, v2
	s_cbranch_vccnz .LBB56_123
; %bb.120:                              ;   in Loop: Header=BB56_6 Depth=1
	s_and_saveexec_b32 s28, s5
; %bb.121:                              ;   in Loop: Header=BB56_6 Depth=1
	v_mov_b32_e32 v2, s17
	ds_store_b32 v17, v2 offset:4100
; %bb.122:                              ;   in Loop: Header=BB56_6 Depth=1
	s_or_b32 exec_lo, exec_lo, s28
	s_wait_dscnt 0x0
	s_barrier_signal -1
	s_barrier_wait -1
.LBB56_123:                             ;   in Loop: Header=BB56_6 Depth=1
	s_or_saveexec_b32 s23, s23
	v_dual_mov_b32 v2, 8 :: v_dual_mov_b32 v5, v33
	s_mov_b32 s28, 0
	s_xor_b32 exec_lo, exec_lo, s23
; %bb.124:                              ;   in Loop: Header=BB56_6 Depth=1
	v_subrev_nc_u32_e32 v5, s17, v33
	v_mov_b32_e32 v2, 0
	s_mov_b32 s28, exec_lo
; %bb.125:                              ;   in Loop: Header=BB56_6 Depth=1
	s_or_b32 exec_lo, exec_lo, s23
	s_delay_alu instid0(SALU_CYCLE_1)
	s_and_b32 s30, s28, exec_lo
.LBB56_126:                             ;   in Loop: Header=BB56_6 Depth=1
	s_or_b32 exec_lo, exec_lo, s15
	s_mov_b32 s29, -1
                                        ; implicit-def: $sgpr23
                                        ; implicit-def: $sgpr28
	s_and_saveexec_b32 s15, s30
	s_delay_alu instid0(SALU_CYCLE_1)
	s_xor_b32 s15, exec_lo, s15
	s_cbranch_execz .LBB56_243
; %bb.127:                              ;   in Loop: Header=BB56_6 Depth=1
	v_cmp_eq_u32_e32 vcc_lo, 1, v5
	s_cmp_eq_u32 s20, 1
	s_mov_b32 s31, -1
	s_cselect_b32 s23, -1, 0
                                        ; implicit-def: $sgpr28
	s_delay_alu instid0(SALU_CYCLE_1) | instskip(NEXT) | instid1(SALU_CYCLE_1)
	s_and_b32 s30, s23, vcc_lo
                                        ; implicit-def: $sgpr23
	s_and_saveexec_b32 s29, s30
	s_cbranch_execz .LBB56_153
; %bb.128:                              ;   in Loop: Header=BB56_6 Depth=1
	ds_load_b32 v6, v17 offset:4096
	s_wait_dscnt 0x0
	s_barrier_signal -1
	s_barrier_wait -1
	v_readfirstlane_b32 s33, v6
	s_and_saveexec_b32 s23, s6
; %bb.129:                              ;   in Loop: Header=BB56_6 Depth=1
	ds_store_b16 v20, v17
; %bb.130:                              ;   in Loop: Header=BB56_6 Depth=1
	s_or_b32 exec_lo, exec_lo, s23
	s_lshl_b32 s23, 1, s84
	v_or_b32_e32 v4, s18, v4
	v_and_or_b32 v3, v3, s19, s23
	s_mov_b32 s23, -1
	s_mov_b32 s28, 0
	s_cmp_eq_u32 s33, 0
	s_mov_b32 s31, 0
	s_mov_b32 s34, -1
	s_wait_dscnt 0x0
	s_barrier_signal -1
	s_barrier_wait -1
                                        ; implicit-def: $vgpr6
	s_cbranch_scc1 .LBB56_141
; %bb.131:                              ;   in Loop: Header=BB56_6 Depth=1
	s_add_co_i32 s44, s33, s67
                                        ; implicit-def: $vgpr6
	s_delay_alu instid0(SALU_CYCLE_1) | instskip(NEXT) | instid1(SALU_CYCLE_1)
	s_mul_u64 s[34:35], s[44:45], s[48:49]
	s_mul_i32 s31, s35, s56
	s_mov_b32 s35, exec_lo
	s_sub_co_i32 s31, s44, s31
	s_delay_alu instid0(SALU_CYCLE_1) | instskip(SKIP_2) | instid1(SALU_CYCLE_1)
	s_sub_co_i32 s34, s31, s56
	s_cmp_ge_u32 s31, s56
	s_cselect_b32 s31, s34, s31
	s_sub_co_i32 s34, s31, s56
	s_cmp_ge_u32 s31, s56
	s_cselect_b32 s31, s34, s31
	s_mov_b32 s34, 0
	s_sub_co_i32 s44, s44, s31
	s_mov_b32 s31, 0
	v_cmpx_gt_u32_e64 s44, v0
	s_cbranch_execz .LBB56_140
; %bb.132:                              ;   in Loop: Header=BB56_6 Depth=1
	v_dual_mov_b32 v6, v15 :: v_dual_mov_b32 v7, v0
                                        ; implicit-def: $sgpr52
	s_branch .LBB56_135
.LBB56_133:                             ;   in Loop: Header=BB56_135 Depth=2
	s_or_b32 exec_lo, exec_lo, s53
	s_wait_dscnt 0x0
	s_barrier_signal -1
	s_barrier_wait -1
	ds_load_b32 v8, v17 offset:3072
	s_mov_b32 s53, -1
	s_mov_b32 s54, -1
	s_wait_dscnt 0x0
	s_barrier_signal -1
	s_barrier_wait -1
	v_and_b32_e32 v9, 0xffff, v8
	s_delay_alu instid0(VALU_DEP_1)
	v_cmp_ne_u32_e32 vcc_lo, 0, v9
	s_cbranch_vccz .LBB56_138
.LBB56_134:                             ;   in Loop: Header=BB56_135 Depth=2
	s_and_b32 s53, exec_lo, s53
	s_delay_alu instid0(SALU_CYCLE_1) | instskip(SKIP_2) | instid1(SALU_CYCLE_1)
	s_or_b32 s31, s53, s31
	s_and_not1_b32 s52, s52, exec_lo
	s_and_b32 s53, s54, exec_lo
	s_or_b32 s52, s52, s53
	s_and_not1_b32 exec_lo, exec_lo, s31
	s_cbranch_execz .LBB56_139
.LBB56_135:                             ;   Parent Loop BB56_6 Depth=1
                                        ; =>  This Inner Loop Header: Depth=2
	s_mov_b32 s53, exec_lo
	s_delay_alu instid0(VALU_DEP_1)
	v_cmpx_gt_u32_e64 s33, v7
	s_cbranch_execz .LBB56_133
; %bb.136:                              ;   in Loop: Header=BB56_135 Depth=2
	ds_load_u16 v8, v6
	s_wait_dscnt 0x0
	v_bfe_i32 v9, v8, 0, 16
	s_delay_alu instid0(VALU_DEP_1) | instskip(NEXT) | instid1(VALU_DEP_1)
	v_add_nc_u32_e32 v9, 0x8000, v9
	v_and_b32_e32 v9, v9, v4
	s_delay_alu instid0(VALU_DEP_1)
	v_cmp_eq_u32_e32 vcc_lo, v9, v3
	s_and_b32 exec_lo, exec_lo, vcc_lo
	s_cbranch_execz .LBB56_133
; %bb.137:                              ;   in Loop: Header=BB56_135 Depth=2
	v_perm_b32 v8, v8, 1, 0x5040100
	ds_store_b32 v17, v8 offset:3072
	s_branch .LBB56_133
.LBB56_138:                             ;   in Loop: Header=BB56_135 Depth=2
	v_dual_add_nc_u32 v7, s56, v7 :: v_dual_add_nc_u32 v6, s83, v6
	s_mov_b32 s54, 0
	s_delay_alu instid0(VALU_DEP_1)
	v_cmp_le_u32_e32 vcc_lo, s44, v7
	s_or_not1_b32 s53, vcc_lo, exec_lo
	s_branch .LBB56_134
.LBB56_139:                             ;   in Loop: Header=BB56_6 Depth=1
	s_or_b32 exec_lo, exec_lo, s31
	v_lshrrev_b32_e32 v6, 16, v8
	s_and_b32 s31, s52, exec_lo
.LBB56_140:                             ;   in Loop: Header=BB56_6 Depth=1
	s_or_b32 exec_lo, exec_lo, s35
.LBB56_141:                             ;   in Loop: Header=BB56_6 Depth=1
	s_delay_alu instid0(SALU_CYCLE_1)
	s_and_b32 vcc_lo, exec_lo, s34
	s_cbranch_vccz .LBB56_152
; %bb.142:                              ;   in Loop: Header=BB56_6 Depth=1
                                        ; implicit-def: $vgpr6
	s_and_saveexec_b32 s23, s13
	s_cbranch_execz .LBB56_151
; %bb.143:                              ;   in Loop: Header=BB56_6 Depth=1
	v_dual_mov_b32 v6, v14 :: v_dual_mov_b32 v7, v0
	s_mov_b32 s28, 0
                                        ; implicit-def: $sgpr33
	s_branch .LBB56_146
.LBB56_144:                             ;   in Loop: Header=BB56_146 Depth=2
	s_or_b32 exec_lo, exec_lo, s34
	s_wait_dscnt 0x0
	s_barrier_signal -1
	s_barrier_wait -1
	ds_load_b32 v8, v17 offset:3072
	s_mov_b32 s34, -1
	s_mov_b32 s35, -1
	s_wait_dscnt 0x0
	s_barrier_signal -1
	s_barrier_wait -1
	v_and_b32_e32 v9, 0xffff, v8
	s_delay_alu instid0(VALU_DEP_1)
	v_cmp_eq_u32_e32 vcc_lo, 0, v9
	s_cbranch_vccnz .LBB56_149
.LBB56_145:                             ;   in Loop: Header=BB56_146 Depth=2
	s_and_b32 s34, exec_lo, s34
	s_delay_alu instid0(SALU_CYCLE_1) | instskip(SKIP_2) | instid1(SALU_CYCLE_1)
	s_or_b32 s28, s34, s28
	s_and_not1_b32 s33, s33, exec_lo
	s_and_b32 s34, s35, exec_lo
	s_or_b32 s33, s33, s34
	s_and_not1_b32 exec_lo, exec_lo, s28
	s_cbranch_execz .LBB56_150
.LBB56_146:                             ;   Parent Loop BB56_6 Depth=1
                                        ; =>  This Inner Loop Header: Depth=2
	s_mov_b32 s34, exec_lo
	s_delay_alu instid0(VALU_DEP_1)
	v_cmpx_gt_u32_e64 s36, v7
	s_cbranch_execz .LBB56_144
; %bb.147:                              ;   in Loop: Header=BB56_146 Depth=2
	global_load_u16 v8, v6, s[38:39] scale_offset
	s_wait_loadcnt 0x0
	v_bfe_i32 v9, v8, 0, 16
	s_delay_alu instid0(VALU_DEP_1) | instskip(NEXT) | instid1(VALU_DEP_1)
	v_add_nc_u32_e32 v9, 0x8000, v9
	v_and_b32_e32 v9, v9, v4
	s_delay_alu instid0(VALU_DEP_1)
	v_cmp_eq_u32_e32 vcc_lo, v9, v3
	s_and_b32 exec_lo, exec_lo, vcc_lo
	s_cbranch_execz .LBB56_144
; %bb.148:                              ;   in Loop: Header=BB56_146 Depth=2
	v_perm_b32 v8, v8, 1, 0x5040100
	ds_store_b32 v17, v8 offset:3072
	s_branch .LBB56_144
.LBB56_149:                             ;   in Loop: Header=BB56_146 Depth=2
	v_dual_add_nc_u32 v7, s56, v7 :: v_dual_add_nc_u32 v6, s58, v6
	s_mov_b32 s35, 0
	s_delay_alu instid0(VALU_DEP_1)
	v_cmp_le_u32_e32 vcc_lo, s80, v7
	s_or_not1_b32 s34, vcc_lo, exec_lo
	s_branch .LBB56_145
.LBB56_150:                             ;   in Loop: Header=BB56_6 Depth=1
	s_or_b32 exec_lo, exec_lo, s28
	v_lshrrev_b32_e32 v6, 16, v8
	s_and_not1_b32 s28, s31, exec_lo
	s_and_b32 s31, s33, exec_lo
	s_delay_alu instid0(SALU_CYCLE_1)
	s_or_b32 s31, s28, s31
.LBB56_151:                             ;   in Loop: Header=BB56_6 Depth=1
	s_or_b32 exec_lo, exec_lo, s23
	s_mov_b32 s23, 0
	s_mov_b32 s28, -1
.LBB56_152:                             ;   in Loop: Header=BB56_6 Depth=1
	s_or_not1_b32 s31, s31, exec_lo
.LBB56_153:                             ;   in Loop: Header=BB56_6 Depth=1
	s_or_b32 exec_lo, exec_lo, s29
	s_mov_b32 s33, 0
	s_and_saveexec_b32 s29, s31
	s_cbranch_execz .LBB56_242
; %bb.154:                              ;   in Loop: Header=BB56_6 Depth=1
	v_dual_mov_b32 v7, 1 :: v_dual_mov_b32 v2, 1
	s_xor_b32 s31, s30, -1
	s_mov_b32 s35, 0
	s_and_saveexec_b32 s30, s31
	s_cbranch_execz .LBB56_163
; %bb.155:                              ;   in Loop: Header=BB56_6 Depth=1
	s_mov_b32 s31, exec_lo
	v_cmpx_ge_u32_e64 s20, v5
	s_xor_b32 s31, exec_lo, s31
	s_cbranch_execz .LBB56_160
; %bb.156:                              ;   in Loop: Header=BB56_6 Depth=1
	ds_load_b32 v2, v17 offset:4096
	s_lshl_b32 s33, 1, s84
	v_or_b32_e32 v4, s18, v4
	v_and_or_b32 v3, v3, s19, s33
	s_wait_dscnt 0x0
	v_cmp_ne_u32_e32 vcc_lo, 0, v2
	s_cbranch_vccnz .LBB56_160
; %bb.157:                              ;   in Loop: Header=BB56_6 Depth=1
	s_and_saveexec_b32 s33, s5
; %bb.158:                              ;   in Loop: Header=BB56_6 Depth=1
	v_mov_b32_e32 v2, s20
	ds_store_b32 v17, v2 offset:4100
; %bb.159:                              ;   in Loop: Header=BB56_6 Depth=1
	s_or_b32 exec_lo, exec_lo, s33
	s_wait_dscnt 0x0
	s_barrier_signal -1
	s_barrier_wait -1
.LBB56_160:                             ;   in Loop: Header=BB56_6 Depth=1
	s_or_saveexec_b32 s31, s31
	v_mov_b32_e32 v2, 8
	s_mov_b32 s33, 0
	s_xor_b32 exec_lo, exec_lo, s31
; %bb.161:                              ;   in Loop: Header=BB56_6 Depth=1
	v_subrev_nc_u32_e32 v5, s20, v5
	v_mov_b32_e32 v2, 0
	s_mov_b32 s33, exec_lo
; %bb.162:                              ;   in Loop: Header=BB56_6 Depth=1
	s_or_b32 exec_lo, exec_lo, s31
	s_delay_alu instid0(VALU_DEP_2)
	v_mov_b32_e32 v7, v5
	s_and_b32 s35, s33, exec_lo
.LBB56_163:                             ;   in Loop: Header=BB56_6 Depth=1
	s_or_b32 exec_lo, exec_lo, s30
	s_mov_b32 s34, -1
                                        ; implicit-def: $sgpr31
                                        ; implicit-def: $sgpr33
	s_and_saveexec_b32 s30, s35
	s_cbranch_execz .LBB56_241
; %bb.164:                              ;   in Loop: Header=BB56_6 Depth=1
	v_cmp_eq_u32_e32 vcc_lo, 1, v7
	s_cmp_eq_u32 s21, 1
	s_mov_b32 s44, -1
	s_cselect_b32 s31, -1, 0
                                        ; implicit-def: $sgpr33
	s_delay_alu instid0(SALU_CYCLE_1) | instskip(NEXT) | instid1(SALU_CYCLE_1)
	s_and_b32 s35, s31, vcc_lo
                                        ; implicit-def: $sgpr31
	s_and_saveexec_b32 s34, s35
	s_cbranch_execz .LBB56_190
; %bb.165:                              ;   in Loop: Header=BB56_6 Depth=1
	ds_load_b32 v5, v17 offset:4096
	s_wait_dscnt 0x0
	s_barrier_signal -1
	s_barrier_wait -1
	v_readfirstlane_b32 s52, v5
	s_and_saveexec_b32 s31, s6
; %bb.166:                              ;   in Loop: Header=BB56_6 Depth=1
	ds_store_b16 v20, v17
; %bb.167:                              ;   in Loop: Header=BB56_6 Depth=1
	s_or_b32 exec_lo, exec_lo, s31
	s_lshl_b32 s31, 2, s84
	v_or_b32_e32 v4, s18, v4
	v_and_or_b32 v3, v3, s19, s31
	s_mov_b32 s31, -1
	s_mov_b32 s33, 0
	s_cmp_eq_u32 s52, 0
	s_mov_b32 s44, 0
	s_mov_b32 s53, -1
	s_wait_dscnt 0x0
	s_barrier_signal -1
	s_barrier_wait -1
                                        ; implicit-def: $vgpr6
	s_cbranch_scc1 .LBB56_178
; %bb.168:                              ;   in Loop: Header=BB56_6 Depth=1
	s_add_co_i32 s44, s52, s67
                                        ; implicit-def: $vgpr6
	s_delay_alu instid0(SALU_CYCLE_1) | instskip(NEXT) | instid1(SALU_CYCLE_1)
	s_mul_u64 s[54:55], s[44:45], s[48:49]
	s_mul_i32 s53, s55, s56
	s_delay_alu instid0(SALU_CYCLE_1) | instskip(NEXT) | instid1(SALU_CYCLE_1)
	s_sub_co_i32 s53, s44, s53
	s_sub_co_i32 s54, s53, s56
	s_cmp_ge_u32 s53, s56
	s_cselect_b32 s53, s54, s53
	s_delay_alu instid0(SALU_CYCLE_1)
	s_sub_co_i32 s54, s53, s56
	s_cmp_ge_u32 s53, s56
	s_cselect_b32 s53, s54, s53
	s_mov_b32 s54, exec_lo
	s_sub_co_i32 s55, s44, s53
	s_mov_b32 s53, 0
	s_mov_b32 s44, 0
	v_cmpx_gt_u32_e64 s55, v0
	s_cbranch_execz .LBB56_177
; %bb.169:                              ;   in Loop: Header=BB56_6 Depth=1
	v_dual_mov_b32 v5, v15 :: v_dual_mov_b32 v6, v0
                                        ; implicit-def: $sgpr97
	s_branch .LBB56_172
.LBB56_170:                             ;   in Loop: Header=BB56_172 Depth=2
	s_or_b32 exec_lo, exec_lo, s98
	s_wait_dscnt 0x0
	s_barrier_signal -1
	s_barrier_wait -1
	ds_load_b32 v8, v17 offset:3072
	s_mov_b32 s98, -1
	s_mov_b32 s99, -1
	s_wait_dscnt 0x0
	s_barrier_signal -1
	s_barrier_wait -1
	v_and_b32_e32 v9, 0xffff, v8
	s_delay_alu instid0(VALU_DEP_1)
	v_cmp_ne_u32_e32 vcc_lo, 0, v9
	s_cbranch_vccz .LBB56_175
.LBB56_171:                             ;   in Loop: Header=BB56_172 Depth=2
	s_and_b32 s98, exec_lo, s98
	s_delay_alu instid0(SALU_CYCLE_1) | instskip(SKIP_2) | instid1(SALU_CYCLE_1)
	s_or_b32 s44, s98, s44
	s_and_not1_b32 s97, s97, exec_lo
	s_and_b32 s98, s99, exec_lo
	s_or_b32 s97, s97, s98
	s_and_not1_b32 exec_lo, exec_lo, s44
	s_cbranch_execz .LBB56_176
.LBB56_172:                             ;   Parent Loop BB56_6 Depth=1
                                        ; =>  This Inner Loop Header: Depth=2
	s_mov_b32 s98, exec_lo
	s_delay_alu instid0(VALU_DEP_1)
	v_cmpx_gt_u32_e64 s52, v6
	s_cbranch_execz .LBB56_170
; %bb.173:                              ;   in Loop: Header=BB56_172 Depth=2
	ds_load_u16 v8, v5
	s_wait_dscnt 0x0
	v_bfe_i32 v9, v8, 0, 16
	s_delay_alu instid0(VALU_DEP_1) | instskip(NEXT) | instid1(VALU_DEP_1)
	v_add_nc_u32_e32 v9, 0x8000, v9
	v_and_b32_e32 v9, v9, v4
	s_delay_alu instid0(VALU_DEP_1)
	v_cmp_eq_u32_e32 vcc_lo, v9, v3
	s_and_b32 exec_lo, exec_lo, vcc_lo
	s_cbranch_execz .LBB56_170
; %bb.174:                              ;   in Loop: Header=BB56_172 Depth=2
	v_perm_b32 v8, v8, 1, 0x5040100
	ds_store_b32 v17, v8 offset:3072
	s_branch .LBB56_170
.LBB56_175:                             ;   in Loop: Header=BB56_172 Depth=2
	v_dual_add_nc_u32 v6, s56, v6 :: v_dual_add_nc_u32 v5, s83, v5
	s_mov_b32 s99, 0
	s_delay_alu instid0(VALU_DEP_1)
	v_cmp_le_u32_e32 vcc_lo, s55, v6
	s_or_not1_b32 s98, vcc_lo, exec_lo
	s_branch .LBB56_171
.LBB56_176:                             ;   in Loop: Header=BB56_6 Depth=1
	s_or_b32 exec_lo, exec_lo, s44
	v_lshrrev_b32_e32 v6, 16, v8
	s_and_b32 s44, s97, exec_lo
.LBB56_177:                             ;   in Loop: Header=BB56_6 Depth=1
	s_or_b32 exec_lo, exec_lo, s54
.LBB56_178:                             ;   in Loop: Header=BB56_6 Depth=1
	s_delay_alu instid0(SALU_CYCLE_1)
	s_and_b32 vcc_lo, exec_lo, s53
	s_cbranch_vccz .LBB56_189
; %bb.179:                              ;   in Loop: Header=BB56_6 Depth=1
                                        ; implicit-def: $vgpr6
	s_and_saveexec_b32 s31, s13
	s_cbranch_execz .LBB56_188
; %bb.180:                              ;   in Loop: Header=BB56_6 Depth=1
	v_dual_mov_b32 v5, v14 :: v_dual_mov_b32 v6, v0
	s_mov_b32 s33, 0
                                        ; implicit-def: $sgpr52
	s_branch .LBB56_183
.LBB56_181:                             ;   in Loop: Header=BB56_183 Depth=2
	s_or_b32 exec_lo, exec_lo, s53
	s_wait_dscnt 0x0
	s_barrier_signal -1
	s_barrier_wait -1
	ds_load_b32 v8, v17 offset:3072
	s_mov_b32 s53, -1
	s_mov_b32 s54, -1
	s_wait_dscnt 0x0
	s_barrier_signal -1
	s_barrier_wait -1
	v_and_b32_e32 v9, 0xffff, v8
	s_delay_alu instid0(VALU_DEP_1)
	v_cmp_eq_u32_e32 vcc_lo, 0, v9
	s_cbranch_vccnz .LBB56_186
.LBB56_182:                             ;   in Loop: Header=BB56_183 Depth=2
	s_and_b32 s53, exec_lo, s53
	s_delay_alu instid0(SALU_CYCLE_1) | instskip(SKIP_2) | instid1(SALU_CYCLE_1)
	s_or_b32 s33, s53, s33
	s_and_not1_b32 s52, s52, exec_lo
	s_and_b32 s53, s54, exec_lo
	s_or_b32 s52, s52, s53
	s_and_not1_b32 exec_lo, exec_lo, s33
	s_cbranch_execz .LBB56_187
.LBB56_183:                             ;   Parent Loop BB56_6 Depth=1
                                        ; =>  This Inner Loop Header: Depth=2
	s_mov_b32 s53, exec_lo
	s_delay_alu instid0(VALU_DEP_1)
	v_cmpx_gt_u32_e64 s36, v6
	s_cbranch_execz .LBB56_181
; %bb.184:                              ;   in Loop: Header=BB56_183 Depth=2
	global_load_u16 v8, v5, s[38:39] scale_offset
	s_wait_loadcnt 0x0
	v_bfe_i32 v9, v8, 0, 16
	s_delay_alu instid0(VALU_DEP_1) | instskip(NEXT) | instid1(VALU_DEP_1)
	v_add_nc_u32_e32 v9, 0x8000, v9
	v_and_b32_e32 v9, v9, v4
	s_delay_alu instid0(VALU_DEP_1)
	v_cmp_eq_u32_e32 vcc_lo, v9, v3
	s_and_b32 exec_lo, exec_lo, vcc_lo
	s_cbranch_execz .LBB56_181
; %bb.185:                              ;   in Loop: Header=BB56_183 Depth=2
	v_perm_b32 v8, v8, 1, 0x5040100
	ds_store_b32 v17, v8 offset:3072
	s_branch .LBB56_181
.LBB56_186:                             ;   in Loop: Header=BB56_183 Depth=2
	v_dual_add_nc_u32 v6, s56, v6 :: v_dual_add_nc_u32 v5, s58, v5
	s_mov_b32 s54, 0
	s_delay_alu instid0(VALU_DEP_1)
	v_cmp_le_u32_e32 vcc_lo, s80, v6
	s_or_not1_b32 s53, vcc_lo, exec_lo
	s_branch .LBB56_182
.LBB56_187:                             ;   in Loop: Header=BB56_6 Depth=1
	s_or_b32 exec_lo, exec_lo, s33
	v_lshrrev_b32_e32 v6, 16, v8
	s_and_not1_b32 s33, s44, exec_lo
	s_and_b32 s44, s52, exec_lo
	s_delay_alu instid0(SALU_CYCLE_1)
	s_or_b32 s44, s33, s44
.LBB56_188:                             ;   in Loop: Header=BB56_6 Depth=1
	s_or_b32 exec_lo, exec_lo, s31
	s_mov_b32 s31, 0
	s_mov_b32 s33, -1
.LBB56_189:                             ;   in Loop: Header=BB56_6 Depth=1
	s_or_not1_b32 s44, s44, exec_lo
.LBB56_190:                             ;   in Loop: Header=BB56_6 Depth=1
	s_or_b32 exec_lo, exec_lo, s34
	s_mov_b32 s52, 0
	s_and_saveexec_b32 s34, s44
	s_cbranch_execz .LBB56_240
; %bb.191:                              ;   in Loop: Header=BB56_6 Depth=1
	v_dual_mov_b32 v5, 1 :: v_dual_mov_b32 v2, 1
	s_xor_b32 s44, s35, -1
	s_mov_b32 s53, 0
	s_and_saveexec_b32 s35, s44
	s_cbranch_execz .LBB56_200
; %bb.192:                              ;   in Loop: Header=BB56_6 Depth=1
	s_mov_b32 s44, exec_lo
	v_cmpx_ge_u32_e64 s21, v7
	s_xor_b32 s44, exec_lo, s44
	s_cbranch_execz .LBB56_197
; %bb.193:                              ;   in Loop: Header=BB56_6 Depth=1
	ds_load_b32 v2, v17 offset:4096
	s_lshl_b32 s52, 2, s84
	v_or_b32_e32 v4, s18, v4
	v_and_or_b32 v3, v3, s19, s52
	s_wait_dscnt 0x0
	v_cmp_ne_u32_e32 vcc_lo, 0, v2
	s_cbranch_vccnz .LBB56_197
; %bb.194:                              ;   in Loop: Header=BB56_6 Depth=1
	s_and_saveexec_b32 s52, s5
; %bb.195:                              ;   in Loop: Header=BB56_6 Depth=1
	v_mov_b32_e32 v2, s21
	ds_store_b32 v17, v2 offset:4100
; %bb.196:                              ;   in Loop: Header=BB56_6 Depth=1
	s_or_b32 exec_lo, exec_lo, s52
	s_wait_dscnt 0x0
	s_barrier_signal -1
	s_barrier_wait -1
.LBB56_197:                             ;   in Loop: Header=BB56_6 Depth=1
	s_or_saveexec_b32 s44, s44
	v_mov_b32_e32 v2, 8
	s_mov_b32 s52, 0
	s_xor_b32 exec_lo, exec_lo, s44
; %bb.198:                              ;   in Loop: Header=BB56_6 Depth=1
	v_subrev_nc_u32_e32 v7, s21, v7
	v_mov_b32_e32 v2, 0
	s_mov_b32 s52, exec_lo
; %bb.199:                              ;   in Loop: Header=BB56_6 Depth=1
	s_or_b32 exec_lo, exec_lo, s44
	s_delay_alu instid0(VALU_DEP_2)
	v_mov_b32_e32 v5, v7
	s_and_b32 s53, s52, exec_lo
.LBB56_200:                             ;   in Loop: Header=BB56_6 Depth=1
	s_or_b32 exec_lo, exec_lo, s35
	s_mov_b32 s44, -1
                                        ; implicit-def: $sgpr54
                                        ; implicit-def: $sgpr52
	s_and_saveexec_b32 s35, s53
	s_cbranch_execz .LBB56_239
; %bb.201:                              ;   in Loop: Header=BB56_6 Depth=1
	v_cmp_eq_u32_e32 vcc_lo, 1, v5
	s_cmp_eq_u32 s22, 1
	s_mov_b32 s97, -1
	s_cselect_b32 s44, -1, 0
                                        ; implicit-def: $sgpr54
                                        ; implicit-def: $sgpr52
	s_delay_alu instid0(SALU_CYCLE_1) | instskip(NEXT) | instid1(SALU_CYCLE_1)
	s_and_b32 s53, s44, vcc_lo
	s_and_saveexec_b32 s55, s53
	s_cbranch_execz .LBB56_227
; %bb.202:                              ;   in Loop: Header=BB56_6 Depth=1
	ds_load_b32 v6, v17 offset:4096
	s_wait_dscnt 0x0
	s_barrier_signal -1
	s_barrier_wait -1
	v_readfirstlane_b32 s97, v6
	s_and_saveexec_b32 s44, s6
; %bb.203:                              ;   in Loop: Header=BB56_6 Depth=1
	ds_store_b16 v20, v17
; %bb.204:                              ;   in Loop: Header=BB56_6 Depth=1
	s_or_b32 exec_lo, exec_lo, s44
	v_or_b32_e32 v3, s18, v3
	v_or_b32_e32 v4, s18, v4
	s_mov_b32 s52, -1
	s_mov_b32 s54, 0
	s_cmp_eq_u32 s97, 0
	s_mov_b32 s44, 0
	s_mov_b32 s98, -1
	s_wait_dscnt 0x0
	s_barrier_signal -1
	s_barrier_wait -1
                                        ; implicit-def: $vgpr6
	s_cbranch_scc1 .LBB56_215
; %bb.205:                              ;   in Loop: Header=BB56_6 Depth=1
	s_add_co_i32 s44, s97, s67
                                        ; implicit-def: $vgpr6
	s_delay_alu instid0(SALU_CYCLE_1) | instskip(NEXT) | instid1(SALU_CYCLE_1)
	s_mul_u64 s[98:99], s[44:45], s[48:49]
	s_mul_i32 s98, s99, s56
	s_delay_alu instid0(SALU_CYCLE_1) | instskip(NEXT) | instid1(SALU_CYCLE_1)
	s_sub_co_i32 s98, s44, s98
	s_sub_co_i32 s99, s98, s56
	s_cmp_ge_u32 s98, s56
	s_cselect_b32 s98, s99, s98
	s_delay_alu instid0(SALU_CYCLE_1)
	s_sub_co_i32 s99, s98, s56
	s_cmp_ge_u32 s98, s56
	s_cselect_b32 s98, s99, s98
	s_mov_b32 s99, exec_lo
	s_sub_co_i32 s100, s44, s98
	s_mov_b32 s98, 0
	s_mov_b32 s44, 0
	v_cmpx_gt_u32_e64 s100, v0
	s_cbranch_execz .LBB56_214
; %bb.206:                              ;   in Loop: Header=BB56_6 Depth=1
	v_dual_mov_b32 v6, v15 :: v_dual_mov_b32 v7, v0
                                        ; implicit-def: $sgpr101
	s_branch .LBB56_209
.LBB56_207:                             ;   in Loop: Header=BB56_209 Depth=2
	s_or_b32 exec_lo, exec_lo, s102
	s_wait_dscnt 0x0
	s_barrier_signal -1
	s_barrier_wait -1
	ds_load_b32 v8, v17 offset:3072
	s_mov_b32 s102, -1
	s_mov_b32 s103, -1
	s_wait_dscnt 0x0
	s_barrier_signal -1
	s_barrier_wait -1
	v_and_b32_e32 v9, 0xffff, v8
	s_delay_alu instid0(VALU_DEP_1)
	v_cmp_ne_u32_e32 vcc_lo, 0, v9
	s_cbranch_vccz .LBB56_212
.LBB56_208:                             ;   in Loop: Header=BB56_209 Depth=2
	s_and_b32 s102, exec_lo, s102
	s_delay_alu instid0(SALU_CYCLE_1) | instskip(SKIP_2) | instid1(SALU_CYCLE_1)
	s_or_b32 s44, s102, s44
	s_and_not1_b32 s101, s101, exec_lo
	s_and_b32 s102, s103, exec_lo
	s_or_b32 s101, s101, s102
	s_and_not1_b32 exec_lo, exec_lo, s44
	s_cbranch_execz .LBB56_213
.LBB56_209:                             ;   Parent Loop BB56_6 Depth=1
                                        ; =>  This Inner Loop Header: Depth=2
	s_mov_b32 s102, exec_lo
	s_delay_alu instid0(VALU_DEP_1)
	v_cmpx_gt_u32_e64 s97, v7
	s_cbranch_execz .LBB56_207
; %bb.210:                              ;   in Loop: Header=BB56_209 Depth=2
	ds_load_u16 v8, v6
	s_wait_dscnt 0x0
	v_bfe_i32 v9, v8, 0, 16
	s_delay_alu instid0(VALU_DEP_1) | instskip(NEXT) | instid1(VALU_DEP_1)
	v_add_nc_u32_e32 v9, 0x8000, v9
	v_and_b32_e32 v9, v9, v4
	s_delay_alu instid0(VALU_DEP_1)
	v_cmp_eq_u32_e32 vcc_lo, v9, v3
	s_and_b32 exec_lo, exec_lo, vcc_lo
	s_cbranch_execz .LBB56_207
; %bb.211:                              ;   in Loop: Header=BB56_209 Depth=2
	v_perm_b32 v8, v8, 1, 0x5040100
	ds_store_b32 v17, v8 offset:3072
	s_branch .LBB56_207
.LBB56_212:                             ;   in Loop: Header=BB56_209 Depth=2
	v_dual_add_nc_u32 v7, s56, v7 :: v_dual_add_nc_u32 v6, s83, v6
	s_mov_b32 s103, 0
	s_delay_alu instid0(VALU_DEP_1)
	v_cmp_le_u32_e32 vcc_lo, s100, v7
	s_or_not1_b32 s102, vcc_lo, exec_lo
	s_branch .LBB56_208
.LBB56_213:                             ;   in Loop: Header=BB56_6 Depth=1
	s_or_b32 exec_lo, exec_lo, s44
	v_lshrrev_b32_e32 v6, 16, v8
	s_and_b32 s44, s101, exec_lo
.LBB56_214:                             ;   in Loop: Header=BB56_6 Depth=1
	s_or_b32 exec_lo, exec_lo, s99
.LBB56_215:                             ;   in Loop: Header=BB56_6 Depth=1
	s_delay_alu instid0(SALU_CYCLE_1)
	s_and_b32 vcc_lo, exec_lo, s98
	s_cbranch_vccz .LBB56_226
; %bb.216:                              ;   in Loop: Header=BB56_6 Depth=1
                                        ; implicit-def: $vgpr6
	s_and_saveexec_b32 s52, s13
	s_cbranch_execz .LBB56_225
; %bb.217:                              ;   in Loop: Header=BB56_6 Depth=1
	v_dual_mov_b32 v6, v14 :: v_dual_mov_b32 v7, v0
	s_mov_b32 s54, 0
                                        ; implicit-def: $sgpr97
	s_branch .LBB56_220
.LBB56_218:                             ;   in Loop: Header=BB56_220 Depth=2
	s_or_b32 exec_lo, exec_lo, s98
	s_wait_dscnt 0x0
	s_barrier_signal -1
	s_barrier_wait -1
	ds_load_b32 v8, v17 offset:3072
	s_mov_b32 s98, -1
	s_mov_b32 s99, -1
	s_wait_dscnt 0x0
	s_barrier_signal -1
	s_barrier_wait -1
	v_and_b32_e32 v9, 0xffff, v8
	s_delay_alu instid0(VALU_DEP_1)
	v_cmp_eq_u32_e32 vcc_lo, 0, v9
	s_cbranch_vccnz .LBB56_223
.LBB56_219:                             ;   in Loop: Header=BB56_220 Depth=2
	s_and_b32 s98, exec_lo, s98
	s_delay_alu instid0(SALU_CYCLE_1) | instskip(SKIP_2) | instid1(SALU_CYCLE_1)
	s_or_b32 s54, s98, s54
	s_and_not1_b32 s97, s97, exec_lo
	s_and_b32 s98, s99, exec_lo
	s_or_b32 s97, s97, s98
	s_and_not1_b32 exec_lo, exec_lo, s54
	s_cbranch_execz .LBB56_224
.LBB56_220:                             ;   Parent Loop BB56_6 Depth=1
                                        ; =>  This Inner Loop Header: Depth=2
	s_mov_b32 s98, exec_lo
	s_delay_alu instid0(VALU_DEP_1)
	v_cmpx_gt_u32_e64 s36, v7
	s_cbranch_execz .LBB56_218
; %bb.221:                              ;   in Loop: Header=BB56_220 Depth=2
	global_load_u16 v8, v6, s[38:39] scale_offset
	s_wait_loadcnt 0x0
	v_bfe_i32 v9, v8, 0, 16
	s_delay_alu instid0(VALU_DEP_1) | instskip(NEXT) | instid1(VALU_DEP_1)
	v_add_nc_u32_e32 v9, 0x8000, v9
	v_and_b32_e32 v9, v9, v4
	s_delay_alu instid0(VALU_DEP_1)
	v_cmp_eq_u32_e32 vcc_lo, v9, v3
	s_and_b32 exec_lo, exec_lo, vcc_lo
	s_cbranch_execz .LBB56_218
; %bb.222:                              ;   in Loop: Header=BB56_220 Depth=2
	v_perm_b32 v8, v8, 1, 0x5040100
	ds_store_b32 v17, v8 offset:3072
	s_branch .LBB56_218
.LBB56_223:                             ;   in Loop: Header=BB56_220 Depth=2
	v_dual_add_nc_u32 v7, s56, v7 :: v_dual_add_nc_u32 v6, s58, v6
	s_mov_b32 s99, 0
	s_delay_alu instid0(VALU_DEP_1)
	v_cmp_le_u32_e32 vcc_lo, s80, v7
	s_or_not1_b32 s98, vcc_lo, exec_lo
	s_branch .LBB56_219
.LBB56_224:                             ;   in Loop: Header=BB56_6 Depth=1
	s_or_b32 exec_lo, exec_lo, s54
	v_lshrrev_b32_e32 v6, 16, v8
	s_and_not1_b32 s44, s44, exec_lo
	s_and_b32 s54, s97, exec_lo
	s_delay_alu instid0(SALU_CYCLE_1)
	s_or_b32 s44, s44, s54
.LBB56_225:                             ;   in Loop: Header=BB56_6 Depth=1
	s_or_b32 exec_lo, exec_lo, s52
	s_mov_b32 s52, 0
	s_mov_b32 s54, -1
.LBB56_226:                             ;   in Loop: Header=BB56_6 Depth=1
	s_or_not1_b32 s97, s44, exec_lo
.LBB56_227:                             ;   in Loop: Header=BB56_6 Depth=1
	s_or_b32 exec_lo, exec_lo, s55
	s_mov_b32 s55, 0
	s_and_saveexec_b32 s44, s97
	s_cbranch_execz .LBB56_238
; %bb.228:                              ;   in Loop: Header=BB56_6 Depth=1
	v_dual_mov_b32 v2, 1 :: v_dual_mov_b32 v7, 1
	s_xor_b32 s55, s53, -1
	s_delay_alu instid0(SALU_CYCLE_1)
	s_and_saveexec_b32 s53, s55
	s_cbranch_execz .LBB56_237
; %bb.229:                              ;   in Loop: Header=BB56_6 Depth=1
	s_mov_b32 s55, exec_lo
	v_cmpx_ge_u32_e64 s22, v5
	s_xor_b32 s55, exec_lo, s55
	s_cbranch_execz .LBB56_234
; %bb.230:                              ;   in Loop: Header=BB56_6 Depth=1
	ds_load_b32 v2, v17 offset:4096
	v_or_b32_e32 v3, s18, v3
	v_or_b32_e32 v4, s18, v4
	s_wait_dscnt 0x0
	v_cmp_ne_u32_e32 vcc_lo, 0, v2
	s_cbranch_vccnz .LBB56_234
; %bb.231:                              ;   in Loop: Header=BB56_6 Depth=1
	s_and_saveexec_b32 s97, s5
; %bb.232:                              ;   in Loop: Header=BB56_6 Depth=1
	v_mov_b32_e32 v2, s22
	ds_store_b32 v17, v2 offset:4100
; %bb.233:                              ;   in Loop: Header=BB56_6 Depth=1
	s_or_b32 exec_lo, exec_lo, s97
	s_wait_dscnt 0x0
	s_barrier_signal -1
	s_barrier_wait -1
.LBB56_234:                             ;   in Loop: Header=BB56_6 Depth=1
	s_and_not1_saveexec_b32 s55, s55
; %bb.235:                              ;   in Loop: Header=BB56_6 Depth=1
	v_subrev_nc_u32_e32 v5, s22, v5
; %bb.236:                              ;   in Loop: Header=BB56_6 Depth=1
	s_or_b32 exec_lo, exec_lo, s55
	s_delay_alu instid0(VALU_DEP_1)
	v_dual_mov_b32 v2, 8 :: v_dual_mov_b32 v7, v5
.LBB56_237:                             ;   in Loop: Header=BB56_6 Depth=1
	s_or_b32 exec_lo, exec_lo, s53
	s_delay_alu instid0(VALU_DEP_1)
	v_mov_b32_e32 v5, v7
	s_mov_b32 s55, exec_lo
.LBB56_238:                             ;   in Loop: Header=BB56_6 Depth=1
	s_or_b32 exec_lo, exec_lo, s44
	s_delay_alu instid0(SALU_CYCLE_1)
	s_or_not1_b32 s44, s55, exec_lo
.LBB56_239:                             ;   in Loop: Header=BB56_6 Depth=1
	s_or_b32 exec_lo, exec_lo, s35
	v_mov_b32_e32 v7, v5
	s_and_not1_b32 s33, s33, exec_lo
	s_and_b32 s35, s54, exec_lo
	s_and_not1_b32 s31, s31, exec_lo
	s_and_b32 s52, s52, exec_lo
	s_or_b32 s33, s33, s35
	s_or_b32 s31, s31, s52
	s_and_b32 s52, s44, exec_lo
.LBB56_240:                             ;   in Loop: Header=BB56_6 Depth=1
	s_or_b32 exec_lo, exec_lo, s34
	s_delay_alu instid0(SALU_CYCLE_1)
	s_or_not1_b32 s34, s52, exec_lo
.LBB56_241:                             ;   in Loop: Header=BB56_6 Depth=1
	s_or_b32 exec_lo, exec_lo, s30
	v_mov_b32_e32 v5, v7
	s_and_not1_b32 s28, s28, exec_lo
	s_and_b32 s30, s33, exec_lo
	s_and_not1_b32 s23, s23, exec_lo
	s_and_b32 s31, s31, exec_lo
	s_or_b32 s28, s28, s30
	s_or_b32 s23, s23, s31
	s_and_b32 s33, s34, exec_lo
.LBB56_242:                             ;   in Loop: Header=BB56_6 Depth=1
	s_or_b32 exec_lo, exec_lo, s29
	s_delay_alu instid0(SALU_CYCLE_1)
	s_or_not1_b32 s29, s33, exec_lo
.LBB56_243:                             ;   in Loop: Header=BB56_6 Depth=1
	s_or_b32 exec_lo, exec_lo, s15
	s_mov_b32 s30, 0
	s_mov_b32 s31, 0
	s_and_saveexec_b32 s15, s29
	s_delay_alu instid0(SALU_CYCLE_1)
	s_xor_b32 s29, exec_lo, s15
; %bb.244:                              ;   in Loop: Header=BB56_6 Depth=1
	v_cmp_ne_u32_e32 vcc_lo, 8, v2
	v_cmp_eq_u32_e64 s15, 8, v2
	s_and_b32 s31, vcc_lo, exec_lo
	s_and_b32 s30, s15, exec_lo
; %bb.245:                              ;   in Loop: Header=BB56_6 Depth=1
	s_or_b32 exec_lo, exec_lo, s29
	s_delay_alu instid0(SALU_CYCLE_1)
	s_and_not1_b32 s15, s25, exec_lo
	s_and_b32 s25, s28, exec_lo
	s_and_not1_b32 s24, s24, exec_lo
	s_and_b32 s23, s23, exec_lo
	s_or_b32 s25, s15, s25
	s_or_b32 s24, s24, s23
	s_and_b32 s15, s31, exec_lo
	s_and_b32 s23, s30, exec_lo
.LBB56_246:                             ;   in Loop: Header=BB56_6 Depth=1
	s_or_b32 exec_lo, exec_lo, s27
.LBB56_247:                             ;   in Loop: Header=BB56_6 Depth=1
	s_delay_alu instid0(SALU_CYCLE_1)
	s_and_b32 vcc_lo, exec_lo, s26
	s_cbranch_vccz .LBB56_260
; %bb.248:                              ;   in Loop: Header=BB56_6 Depth=1
	s_cmp_eq_u32 s22, 1
	s_mov_b32 s25, -1
	s_cselect_b32 s16, -1, 0
                                        ; implicit-def: $sgpr26
	s_delay_alu instid0(SALU_CYCLE_1) | instskip(NEXT) | instid1(SALU_CYCLE_1)
	s_and_b32 s14, s16, s14
                                        ; implicit-def: $sgpr16
	s_and_saveexec_b32 s24, s14
	s_cbranch_execz .LBB56_275
; %bb.249:                              ;   in Loop: Header=BB56_6 Depth=1
	ds_load_b32 v2, v17 offset:4096
	s_wait_dscnt 0x0
	s_barrier_signal -1
	s_barrier_wait -1
	v_readfirstlane_b32 s27, v2
	s_and_saveexec_b32 s16, s6
; %bb.250:                              ;   in Loop: Header=BB56_6 Depth=1
	ds_store_b16 v20, v17
; %bb.251:                              ;   in Loop: Header=BB56_6 Depth=1
	s_or_b32 exec_lo, exec_lo, s16
	v_or_b32_e32 v25, s18, v25
	v_or_b32_e32 v31, s18, v31
	s_mov_b32 s16, -1
	s_mov_b32 s26, 0
	s_cmp_eq_u32 s27, 0
	s_mov_b32 s25, 0
	s_mov_b32 s28, -1
	s_wait_dscnt 0x0
	s_barrier_signal -1
	s_barrier_wait -1
                                        ; implicit-def: $vgpr32
	s_cbranch_scc1 .LBB56_263
; %bb.252:                              ;   in Loop: Header=BB56_6 Depth=1
	s_add_co_i32 s44, s27, s67
                                        ; implicit-def: $vgpr32
	s_delay_alu instid0(SALU_CYCLE_1) | instskip(NEXT) | instid1(SALU_CYCLE_1)
	s_mul_u64 s[28:29], s[44:45], s[48:49]
	s_mul_i32 s25, s29, s56
	s_mov_b32 s29, exec_lo
	s_sub_co_i32 s25, s44, s25
	s_delay_alu instid0(SALU_CYCLE_1) | instskip(SKIP_2) | instid1(SALU_CYCLE_1)
	s_sub_co_i32 s28, s25, s56
	s_cmp_ge_u32 s25, s56
	s_cselect_b32 s25, s28, s25
	s_sub_co_i32 s28, s25, s56
	s_cmp_ge_u32 s25, s56
	s_cselect_b32 s25, s28, s25
	s_mov_b32 s28, 0
	s_sub_co_i32 s30, s44, s25
	s_mov_b32 s25, 0
	v_cmpx_gt_u32_e64 s30, v0
	s_cbranch_execz .LBB56_262
; %bb.253:                              ;   in Loop: Header=BB56_6 Depth=1
	v_dual_mov_b32 v2, v15 :: v_dual_mov_b32 v3, v0
                                        ; implicit-def: $sgpr31
	s_branch .LBB56_256
.LBB56_254:                             ;   in Loop: Header=BB56_256 Depth=2
	s_or_b32 exec_lo, exec_lo, s33
	s_wait_dscnt 0x0
	s_barrier_signal -1
	s_barrier_wait -1
	ds_load_b32 v4, v17 offset:3072
	s_mov_b32 s33, -1
	s_mov_b32 s34, -1
	s_wait_dscnt 0x0
	s_barrier_signal -1
	s_barrier_wait -1
	v_and_b32_e32 v5, 0xffff, v4
	s_delay_alu instid0(VALU_DEP_1)
	v_cmp_ne_u32_e32 vcc_lo, 0, v5
	s_cbranch_vccz .LBB56_259
.LBB56_255:                             ;   in Loop: Header=BB56_256 Depth=2
	s_and_b32 s33, exec_lo, s33
	s_delay_alu instid0(SALU_CYCLE_1) | instskip(SKIP_2) | instid1(SALU_CYCLE_1)
	s_or_b32 s25, s33, s25
	s_and_not1_b32 s31, s31, exec_lo
	s_and_b32 s33, s34, exec_lo
	s_or_b32 s31, s31, s33
	s_and_not1_b32 exec_lo, exec_lo, s25
	s_cbranch_execz .LBB56_261
.LBB56_256:                             ;   Parent Loop BB56_6 Depth=1
                                        ; =>  This Inner Loop Header: Depth=2
	s_mov_b32 s33, exec_lo
	s_delay_alu instid0(VALU_DEP_1)
	v_cmpx_gt_u32_e64 s27, v3
	s_cbranch_execz .LBB56_254
; %bb.257:                              ;   in Loop: Header=BB56_256 Depth=2
	ds_load_u16 v4, v2
	s_wait_dscnt 0x0
	v_bfe_i32 v5, v4, 0, 16
	s_delay_alu instid0(VALU_DEP_1) | instskip(NEXT) | instid1(VALU_DEP_1)
	v_add_nc_u32_e32 v5, 0x8000, v5
	v_and_b32_e32 v5, v5, v31
	s_delay_alu instid0(VALU_DEP_1)
	v_cmp_eq_u32_e32 vcc_lo, v5, v25
	s_and_b32 exec_lo, exec_lo, vcc_lo
	s_cbranch_execz .LBB56_254
; %bb.258:                              ;   in Loop: Header=BB56_256 Depth=2
	v_perm_b32 v4, v4, 1, 0x5040100
	ds_store_b32 v17, v4 offset:3072
	s_branch .LBB56_254
.LBB56_259:                             ;   in Loop: Header=BB56_256 Depth=2
	v_dual_add_nc_u32 v3, s56, v3 :: v_dual_add_nc_u32 v2, s83, v2
	s_mov_b32 s34, 0
	s_delay_alu instid0(VALU_DEP_1)
	v_cmp_le_u32_e32 vcc_lo, s30, v3
	s_or_not1_b32 s33, vcc_lo, exec_lo
	s_branch .LBB56_255
.LBB56_260:                             ;   in Loop: Header=BB56_6 Depth=1
	v_dual_mov_b32 v25, v3 :: v_dual_mov_b32 v31, v4
	v_mov_b32_e32 v32, v6
	s_mov_b32 s26, 0
	s_and_saveexec_b32 s14, s23
	s_cbranch_execnz .LBB56_406
	s_branch .LBB56_407
.LBB56_261:                             ;   in Loop: Header=BB56_6 Depth=1
	s_or_b32 exec_lo, exec_lo, s25
	v_lshrrev_b32_e32 v32, 16, v4
	s_and_b32 s25, s31, exec_lo
.LBB56_262:                             ;   in Loop: Header=BB56_6 Depth=1
	s_or_b32 exec_lo, exec_lo, s29
.LBB56_263:                             ;   in Loop: Header=BB56_6 Depth=1
	s_delay_alu instid0(SALU_CYCLE_1)
	s_and_b32 vcc_lo, exec_lo, s28
	s_cbranch_vccz .LBB56_274
; %bb.264:                              ;   in Loop: Header=BB56_6 Depth=1
                                        ; implicit-def: $vgpr32
	s_and_saveexec_b32 s16, s13
	s_cbranch_execz .LBB56_273
; %bb.265:                              ;   in Loop: Header=BB56_6 Depth=1
	v_dual_mov_b32 v2, v14 :: v_dual_mov_b32 v3, v0
	s_mov_b32 s26, 0
                                        ; implicit-def: $sgpr27
	s_branch .LBB56_268
.LBB56_266:                             ;   in Loop: Header=BB56_268 Depth=2
	s_or_b32 exec_lo, exec_lo, s28
	s_wait_dscnt 0x0
	s_barrier_signal -1
	s_barrier_wait -1
	ds_load_b32 v4, v17 offset:3072
	s_mov_b32 s28, -1
	s_mov_b32 s29, -1
	s_wait_dscnt 0x0
	s_barrier_signal -1
	s_barrier_wait -1
	v_and_b32_e32 v5, 0xffff, v4
	s_delay_alu instid0(VALU_DEP_1)
	v_cmp_ne_u32_e32 vcc_lo, 0, v5
	s_cbranch_vccz .LBB56_271
.LBB56_267:                             ;   in Loop: Header=BB56_268 Depth=2
	s_and_b32 s28, exec_lo, s28
	s_delay_alu instid0(SALU_CYCLE_1) | instskip(SKIP_2) | instid1(SALU_CYCLE_1)
	s_or_b32 s26, s28, s26
	s_and_not1_b32 s27, s27, exec_lo
	s_and_b32 s28, s29, exec_lo
	s_or_b32 s27, s27, s28
	s_and_not1_b32 exec_lo, exec_lo, s26
	s_cbranch_execz .LBB56_272
.LBB56_268:                             ;   Parent Loop BB56_6 Depth=1
                                        ; =>  This Inner Loop Header: Depth=2
	s_mov_b32 s28, exec_lo
	s_delay_alu instid0(VALU_DEP_1)
	v_cmpx_gt_u32_e64 s36, v3
	s_cbranch_execz .LBB56_266
; %bb.269:                              ;   in Loop: Header=BB56_268 Depth=2
	global_load_u16 v4, v2, s[38:39] scale_offset
	s_wait_loadcnt 0x0
	v_bfe_i32 v5, v4, 0, 16
	s_delay_alu instid0(VALU_DEP_1) | instskip(NEXT) | instid1(VALU_DEP_1)
	v_add_nc_u32_e32 v5, 0x8000, v5
	v_and_b32_e32 v5, v5, v31
	s_delay_alu instid0(VALU_DEP_1)
	v_cmp_eq_u32_e32 vcc_lo, v5, v25
	s_and_b32 exec_lo, exec_lo, vcc_lo
	s_cbranch_execz .LBB56_266
; %bb.270:                              ;   in Loop: Header=BB56_268 Depth=2
	v_perm_b32 v4, v4, 1, 0x5040100
	ds_store_b32 v17, v4 offset:3072
	s_branch .LBB56_266
.LBB56_271:                             ;   in Loop: Header=BB56_268 Depth=2
	v_dual_add_nc_u32 v3, s56, v3 :: v_dual_add_nc_u32 v2, s58, v2
	s_mov_b32 s29, 0
	s_delay_alu instid0(VALU_DEP_1)
	v_cmp_le_u32_e32 vcc_lo, s80, v3
	s_or_not1_b32 s28, vcc_lo, exec_lo
	s_branch .LBB56_267
.LBB56_272:                             ;   in Loop: Header=BB56_6 Depth=1
	s_or_b32 exec_lo, exec_lo, s26
	v_lshrrev_b32_e32 v32, 16, v4
	s_and_not1_b32 s25, s25, exec_lo
	s_and_b32 s26, s27, exec_lo
	s_delay_alu instid0(SALU_CYCLE_1)
	s_or_b32 s25, s25, s26
.LBB56_273:                             ;   in Loop: Header=BB56_6 Depth=1
	s_or_b32 exec_lo, exec_lo, s16
	s_mov_b32 s16, 0
	s_mov_b32 s26, -1
.LBB56_274:                             ;   in Loop: Header=BB56_6 Depth=1
	s_or_not1_b32 s25, s25, exec_lo
.LBB56_275:                             ;   in Loop: Header=BB56_6 Depth=1
	s_or_b32 exec_lo, exec_lo, s24
                                        ; implicit-def: $vgpr5
                                        ; implicit-def: $vgpr2
	s_and_saveexec_b32 s24, s25
	s_cbranch_execz .LBB56_405
; %bb.276:                              ;   in Loop: Header=BB56_6 Depth=1
	v_dual_mov_b32 v5, 1 :: v_dual_mov_b32 v2, 1
	s_xor_b32 s25, s14, -1
	s_mov_b32 s28, 0
	s_and_saveexec_b32 s14, s25
	s_cbranch_execz .LBB56_285
; %bb.277:                              ;   in Loop: Header=BB56_6 Depth=1
	s_mov_b32 s25, exec_lo
	v_cmpx_ge_u32_e64 s22, v33
	s_xor_b32 s25, exec_lo, s25
	s_cbranch_execz .LBB56_282
; %bb.278:                              ;   in Loop: Header=BB56_6 Depth=1
	ds_load_b32 v2, v17 offset:4096
	v_or_b32_e32 v25, s18, v25
	v_or_b32_e32 v31, s18, v31
	s_wait_dscnt 0x0
	v_cmp_ne_u32_e32 vcc_lo, 0, v2
	s_cbranch_vccnz .LBB56_282
; %bb.279:                              ;   in Loop: Header=BB56_6 Depth=1
	s_and_saveexec_b32 s27, s5
; %bb.280:                              ;   in Loop: Header=BB56_6 Depth=1
	v_mov_b32_e32 v2, s22
	ds_store_b32 v17, v2 offset:4100
; %bb.281:                              ;   in Loop: Header=BB56_6 Depth=1
	s_or_b32 exec_lo, exec_lo, s27
	s_wait_dscnt 0x0
	s_barrier_signal -1
	s_barrier_wait -1
.LBB56_282:                             ;   in Loop: Header=BB56_6 Depth=1
	s_or_saveexec_b32 s25, s25
	v_mov_b32_e32 v2, 5
	s_mov_b32 s27, 0
	s_xor_b32 exec_lo, exec_lo, s25
; %bb.283:                              ;   in Loop: Header=BB56_6 Depth=1
	v_subrev_nc_u32_e32 v33, s22, v33
	v_mov_b32_e32 v2, 0
	s_mov_b32 s27, exec_lo
; %bb.284:                              ;   in Loop: Header=BB56_6 Depth=1
	s_or_b32 exec_lo, exec_lo, s25
	s_delay_alu instid0(VALU_DEP_2)
	v_mov_b32_e32 v5, v33
	s_and_b32 s28, s27, exec_lo
.LBB56_285:                             ;   in Loop: Header=BB56_6 Depth=1
	s_or_b32 exec_lo, exec_lo, s14
	s_mov_b32 s27, -1
                                        ; implicit-def: $sgpr22
                                        ; implicit-def: $sgpr25
	s_and_saveexec_b32 s14, s28
	s_delay_alu instid0(SALU_CYCLE_1)
	s_xor_b32 s14, exec_lo, s14
	s_cbranch_execz .LBB56_402
; %bb.286:                              ;   in Loop: Header=BB56_6 Depth=1
	v_cmp_eq_u32_e32 vcc_lo, 1, v5
	s_cmp_eq_u32 s21, 1
	s_mov_b32 s29, -1
	s_cselect_b32 s22, -1, 0
                                        ; implicit-def: $sgpr25
	s_delay_alu instid0(SALU_CYCLE_1) | instskip(NEXT) | instid1(SALU_CYCLE_1)
	s_and_b32 s28, s22, vcc_lo
                                        ; implicit-def: $sgpr22
	s_and_saveexec_b32 s27, s28
	s_cbranch_execz .LBB56_312
; %bb.287:                              ;   in Loop: Header=BB56_6 Depth=1
	ds_load_b32 v3, v17 offset:4096
	s_wait_dscnt 0x0
	s_barrier_signal -1
	s_barrier_wait -1
	v_readfirstlane_b32 s30, v3
	s_and_saveexec_b32 s22, s6
; %bb.288:                              ;   in Loop: Header=BB56_6 Depth=1
	ds_store_b16 v20, v17
; %bb.289:                              ;   in Loop: Header=BB56_6 Depth=1
	s_or_b32 exec_lo, exec_lo, s22
	s_lshl_b32 s22, 2, s84
	v_or_b32_e32 v31, s18, v31
	v_and_or_b32 v25, v25, s19, s22
	s_mov_b32 s22, -1
	s_mov_b32 s25, 0
	s_cmp_eq_u32 s30, 0
	s_mov_b32 s29, 0
	s_mov_b32 s31, -1
	s_wait_dscnt 0x0
	s_barrier_signal -1
	s_barrier_wait -1
                                        ; implicit-def: $vgpr32
	s_cbranch_scc1 .LBB56_300
; %bb.290:                              ;   in Loop: Header=BB56_6 Depth=1
	s_add_co_i32 s44, s30, s67
	s_mov_b32 s33, exec_lo
	s_mul_u64 s[34:35], s[44:45], s[48:49]
                                        ; implicit-def: $vgpr32
	s_delay_alu instid0(SALU_CYCLE_1) | instskip(NEXT) | instid1(SALU_CYCLE_1)
	s_mul_i32 s29, s35, s56
	s_sub_co_i32 s29, s44, s29
	s_delay_alu instid0(SALU_CYCLE_1) | instskip(SKIP_2) | instid1(SALU_CYCLE_1)
	s_sub_co_i32 s31, s29, s56
	s_cmp_ge_u32 s29, s56
	s_cselect_b32 s29, s31, s29
	s_sub_co_i32 s31, s29, s56
	s_cmp_ge_u32 s29, s56
	s_cselect_b32 s29, s31, s29
	s_mov_b32 s31, 0
	s_sub_co_i32 s34, s44, s29
	s_mov_b32 s29, 0
	v_cmpx_gt_u32_e64 s34, v0
	s_cbranch_execz .LBB56_299
; %bb.291:                              ;   in Loop: Header=BB56_6 Depth=1
	v_dual_mov_b32 v3, v15 :: v_dual_mov_b32 v4, v0
                                        ; implicit-def: $sgpr35
	s_branch .LBB56_294
.LBB56_292:                             ;   in Loop: Header=BB56_294 Depth=2
	s_or_b32 exec_lo, exec_lo, s44
	s_wait_dscnt 0x0
	s_barrier_signal -1
	s_barrier_wait -1
	ds_load_b32 v6, v17 offset:3072
	s_mov_b32 s44, -1
	s_mov_b32 s52, -1
	s_wait_dscnt 0x0
	s_barrier_signal -1
	s_barrier_wait -1
	v_and_b32_e32 v7, 0xffff, v6
	s_delay_alu instid0(VALU_DEP_1)
	v_cmp_ne_u32_e32 vcc_lo, 0, v7
	s_cbranch_vccz .LBB56_297
.LBB56_293:                             ;   in Loop: Header=BB56_294 Depth=2
	s_and_b32 s44, exec_lo, s44
	s_delay_alu instid0(SALU_CYCLE_1) | instskip(SKIP_2) | instid1(SALU_CYCLE_1)
	s_or_b32 s29, s44, s29
	s_and_not1_b32 s35, s35, exec_lo
	s_and_b32 s44, s52, exec_lo
	s_or_b32 s35, s35, s44
	s_and_not1_b32 exec_lo, exec_lo, s29
	s_cbranch_execz .LBB56_298
.LBB56_294:                             ;   Parent Loop BB56_6 Depth=1
                                        ; =>  This Inner Loop Header: Depth=2
	s_mov_b32 s44, exec_lo
	s_delay_alu instid0(VALU_DEP_1)
	v_cmpx_gt_u32_e64 s30, v4
	s_cbranch_execz .LBB56_292
; %bb.295:                              ;   in Loop: Header=BB56_294 Depth=2
	ds_load_u16 v6, v3
	s_wait_dscnt 0x0
	v_bfe_i32 v7, v6, 0, 16
	s_delay_alu instid0(VALU_DEP_1) | instskip(NEXT) | instid1(VALU_DEP_1)
	v_add_nc_u32_e32 v7, 0x8000, v7
	v_and_b32_e32 v7, v7, v31
	s_delay_alu instid0(VALU_DEP_1)
	v_cmp_eq_u32_e32 vcc_lo, v7, v25
	s_and_b32 exec_lo, exec_lo, vcc_lo
	s_cbranch_execz .LBB56_292
; %bb.296:                              ;   in Loop: Header=BB56_294 Depth=2
	v_perm_b32 v6, v6, 1, 0x5040100
	ds_store_b32 v17, v6 offset:3072
	s_branch .LBB56_292
.LBB56_297:                             ;   in Loop: Header=BB56_294 Depth=2
	v_dual_add_nc_u32 v4, s56, v4 :: v_dual_add_nc_u32 v3, s83, v3
	s_mov_b32 s52, 0
	s_delay_alu instid0(VALU_DEP_1)
	v_cmp_le_u32_e32 vcc_lo, s34, v4
	s_or_not1_b32 s44, vcc_lo, exec_lo
	s_branch .LBB56_293
.LBB56_298:                             ;   in Loop: Header=BB56_6 Depth=1
	s_or_b32 exec_lo, exec_lo, s29
	v_lshrrev_b32_e32 v32, 16, v6
	s_and_b32 s29, s35, exec_lo
.LBB56_299:                             ;   in Loop: Header=BB56_6 Depth=1
	s_or_b32 exec_lo, exec_lo, s33
.LBB56_300:                             ;   in Loop: Header=BB56_6 Depth=1
	s_delay_alu instid0(SALU_CYCLE_1)
	s_and_b32 vcc_lo, exec_lo, s31
	s_cbranch_vccz .LBB56_311
; %bb.301:                              ;   in Loop: Header=BB56_6 Depth=1
                                        ; implicit-def: $vgpr32
	s_and_saveexec_b32 s22, s13
	s_cbranch_execz .LBB56_310
; %bb.302:                              ;   in Loop: Header=BB56_6 Depth=1
	v_dual_mov_b32 v3, v14 :: v_dual_mov_b32 v4, v0
	s_mov_b32 s25, 0
                                        ; implicit-def: $sgpr30
	s_branch .LBB56_305
.LBB56_303:                             ;   in Loop: Header=BB56_305 Depth=2
	s_or_b32 exec_lo, exec_lo, s31
	s_wait_dscnt 0x0
	s_barrier_signal -1
	s_barrier_wait -1
	ds_load_b32 v6, v17 offset:3072
	s_mov_b32 s31, -1
	s_mov_b32 s33, -1
	s_wait_dscnt 0x0
	s_barrier_signal -1
	s_barrier_wait -1
	v_and_b32_e32 v7, 0xffff, v6
	s_delay_alu instid0(VALU_DEP_1)
	v_cmp_eq_u32_e32 vcc_lo, 0, v7
	s_cbranch_vccnz .LBB56_308
.LBB56_304:                             ;   in Loop: Header=BB56_305 Depth=2
	s_and_b32 s31, exec_lo, s31
	s_delay_alu instid0(SALU_CYCLE_1) | instskip(SKIP_2) | instid1(SALU_CYCLE_1)
	s_or_b32 s25, s31, s25
	s_and_not1_b32 s30, s30, exec_lo
	s_and_b32 s31, s33, exec_lo
	s_or_b32 s30, s30, s31
	s_and_not1_b32 exec_lo, exec_lo, s25
	s_cbranch_execz .LBB56_309
.LBB56_305:                             ;   Parent Loop BB56_6 Depth=1
                                        ; =>  This Inner Loop Header: Depth=2
	s_mov_b32 s31, exec_lo
	s_delay_alu instid0(VALU_DEP_1)
	v_cmpx_gt_u32_e64 s36, v4
	s_cbranch_execz .LBB56_303
; %bb.306:                              ;   in Loop: Header=BB56_305 Depth=2
	global_load_u16 v6, v3, s[38:39] scale_offset
	s_wait_loadcnt 0x0
	v_bfe_i32 v7, v6, 0, 16
	s_delay_alu instid0(VALU_DEP_1) | instskip(NEXT) | instid1(VALU_DEP_1)
	v_add_nc_u32_e32 v7, 0x8000, v7
	v_and_b32_e32 v7, v7, v31
	s_delay_alu instid0(VALU_DEP_1)
	v_cmp_eq_u32_e32 vcc_lo, v7, v25
	s_and_b32 exec_lo, exec_lo, vcc_lo
	s_cbranch_execz .LBB56_303
; %bb.307:                              ;   in Loop: Header=BB56_305 Depth=2
	v_perm_b32 v6, v6, 1, 0x5040100
	ds_store_b32 v17, v6 offset:3072
	s_branch .LBB56_303
.LBB56_308:                             ;   in Loop: Header=BB56_305 Depth=2
	v_dual_add_nc_u32 v4, s56, v4 :: v_dual_add_nc_u32 v3, s58, v3
	s_mov_b32 s33, 0
	s_delay_alu instid0(VALU_DEP_1)
	v_cmp_le_u32_e32 vcc_lo, s80, v4
	s_or_not1_b32 s31, vcc_lo, exec_lo
	s_branch .LBB56_304
.LBB56_309:                             ;   in Loop: Header=BB56_6 Depth=1
	s_or_b32 exec_lo, exec_lo, s25
	v_lshrrev_b32_e32 v32, 16, v6
	s_and_not1_b32 s25, s29, exec_lo
	s_and_b32 s29, s30, exec_lo
	s_delay_alu instid0(SALU_CYCLE_1)
	s_or_b32 s29, s25, s29
.LBB56_310:                             ;   in Loop: Header=BB56_6 Depth=1
	s_or_b32 exec_lo, exec_lo, s22
	s_mov_b32 s22, 0
	s_mov_b32 s25, -1
.LBB56_311:                             ;   in Loop: Header=BB56_6 Depth=1
	s_or_not1_b32 s29, s29, exec_lo
.LBB56_312:                             ;   in Loop: Header=BB56_6 Depth=1
	s_or_b32 exec_lo, exec_lo, s27
	s_mov_b32 s30, 0
	s_and_saveexec_b32 s27, s29
	s_cbranch_execz .LBB56_401
; %bb.313:                              ;   in Loop: Header=BB56_6 Depth=1
	v_dual_mov_b32 v3, 1 :: v_dual_mov_b32 v2, 1
	s_xor_b32 s29, s28, -1
	s_mov_b32 s31, 0
	s_and_saveexec_b32 s28, s29
	s_cbranch_execz .LBB56_322
; %bb.314:                              ;   in Loop: Header=BB56_6 Depth=1
	s_mov_b32 s29, exec_lo
	v_cmpx_ge_u32_e64 s21, v5
	s_xor_b32 s29, exec_lo, s29
	s_cbranch_execz .LBB56_319
; %bb.315:                              ;   in Loop: Header=BB56_6 Depth=1
	ds_load_b32 v2, v17 offset:4096
	s_lshl_b32 s30, 2, s84
	v_or_b32_e32 v31, s18, v31
	v_and_or_b32 v25, v25, s19, s30
	s_wait_dscnt 0x0
	v_cmp_ne_u32_e32 vcc_lo, 0, v2
	s_cbranch_vccnz .LBB56_319
; %bb.316:                              ;   in Loop: Header=BB56_6 Depth=1
	s_and_saveexec_b32 s30, s5
; %bb.317:                              ;   in Loop: Header=BB56_6 Depth=1
	v_mov_b32_e32 v2, s21
	ds_store_b32 v17, v2 offset:4100
; %bb.318:                              ;   in Loop: Header=BB56_6 Depth=1
	s_or_b32 exec_lo, exec_lo, s30
	s_wait_dscnt 0x0
	s_barrier_signal -1
	s_barrier_wait -1
.LBB56_319:                             ;   in Loop: Header=BB56_6 Depth=1
	s_or_saveexec_b32 s29, s29
	v_mov_b32_e32 v2, 5
	s_mov_b32 s30, 0
	s_xor_b32 exec_lo, exec_lo, s29
; %bb.320:                              ;   in Loop: Header=BB56_6 Depth=1
	v_subrev_nc_u32_e32 v5, s21, v5
	v_mov_b32_e32 v2, 0
	s_mov_b32 s30, exec_lo
; %bb.321:                              ;   in Loop: Header=BB56_6 Depth=1
	s_or_b32 exec_lo, exec_lo, s29
	s_delay_alu instid0(VALU_DEP_2)
	v_mov_b32_e32 v3, v5
	s_and_b32 s31, s30, exec_lo
.LBB56_322:                             ;   in Loop: Header=BB56_6 Depth=1
	s_or_b32 exec_lo, exec_lo, s28
	s_mov_b32 s30, -1
                                        ; implicit-def: $sgpr28
                                        ; implicit-def: $sgpr29
	s_and_saveexec_b32 s21, s31
	s_cbranch_execz .LBB56_400
; %bb.323:                              ;   in Loop: Header=BB56_6 Depth=1
	v_cmp_eq_u32_e32 vcc_lo, 1, v3
	s_cmp_eq_u32 s20, 1
	s_mov_b32 s33, -1
	s_cselect_b32 s28, -1, 0
                                        ; implicit-def: $sgpr29
	s_delay_alu instid0(SALU_CYCLE_1) | instskip(NEXT) | instid1(SALU_CYCLE_1)
	s_and_b32 s31, s28, vcc_lo
                                        ; implicit-def: $sgpr28
	s_and_saveexec_b32 s30, s31
	s_cbranch_execz .LBB56_349
; %bb.324:                              ;   in Loop: Header=BB56_6 Depth=1
	ds_load_b32 v4, v17 offset:4096
	s_wait_dscnt 0x0
	s_barrier_signal -1
	s_barrier_wait -1
	v_readfirstlane_b32 s34, v4
	s_and_saveexec_b32 s28, s6
; %bb.325:                              ;   in Loop: Header=BB56_6 Depth=1
	ds_store_b16 v20, v17
; %bb.326:                              ;   in Loop: Header=BB56_6 Depth=1
	s_or_b32 exec_lo, exec_lo, s28
	s_lshl_b32 s28, 1, s84
	v_or_b32_e32 v31, s18, v31
	v_and_or_b32 v25, v25, s19, s28
	s_mov_b32 s28, -1
	s_mov_b32 s29, 0
	s_cmp_eq_u32 s34, 0
	s_mov_b32 s33, 0
	s_mov_b32 s35, -1
	s_wait_dscnt 0x0
	s_barrier_signal -1
	s_barrier_wait -1
                                        ; implicit-def: $vgpr32
	s_cbranch_scc1 .LBB56_337
; %bb.327:                              ;   in Loop: Header=BB56_6 Depth=1
	s_add_co_i32 s44, s34, s67
                                        ; implicit-def: $vgpr32
	s_delay_alu instid0(SALU_CYCLE_1) | instskip(NEXT) | instid1(SALU_CYCLE_1)
	s_mul_u64 s[52:53], s[44:45], s[48:49]
	s_mul_i32 s33, s53, s56
	s_delay_alu instid0(SALU_CYCLE_1) | instskip(NEXT) | instid1(SALU_CYCLE_1)
	s_sub_co_i32 s33, s44, s33
	s_sub_co_i32 s35, s33, s56
	s_cmp_ge_u32 s33, s56
	s_cselect_b32 s33, s35, s33
	s_delay_alu instid0(SALU_CYCLE_1)
	s_sub_co_i32 s35, s33, s56
	s_cmp_ge_u32 s33, s56
	s_cselect_b32 s33, s35, s33
	s_mov_b32 s35, 0
	s_sub_co_i32 s52, s44, s33
	s_mov_b32 s33, 0
	s_mov_b32 s44, exec_lo
	v_cmpx_gt_u32_e64 s52, v0
	s_cbranch_execz .LBB56_336
; %bb.328:                              ;   in Loop: Header=BB56_6 Depth=1
	v_dual_mov_b32 v4, v15 :: v_dual_mov_b32 v5, v0
                                        ; implicit-def: $sgpr53
	s_branch .LBB56_331
.LBB56_329:                             ;   in Loop: Header=BB56_331 Depth=2
	s_or_b32 exec_lo, exec_lo, s54
	s_wait_dscnt 0x0
	s_barrier_signal -1
	s_barrier_wait -1
	ds_load_b32 v6, v17 offset:3072
	s_mov_b32 s54, -1
	s_mov_b32 s55, -1
	s_wait_dscnt 0x0
	s_barrier_signal -1
	s_barrier_wait -1
	v_and_b32_e32 v7, 0xffff, v6
	s_delay_alu instid0(VALU_DEP_1)
	v_cmp_ne_u32_e32 vcc_lo, 0, v7
	s_cbranch_vccz .LBB56_334
.LBB56_330:                             ;   in Loop: Header=BB56_331 Depth=2
	s_and_b32 s54, exec_lo, s54
	s_delay_alu instid0(SALU_CYCLE_1) | instskip(SKIP_2) | instid1(SALU_CYCLE_1)
	s_or_b32 s33, s54, s33
	s_and_not1_b32 s53, s53, exec_lo
	s_and_b32 s54, s55, exec_lo
	s_or_b32 s53, s53, s54
	s_and_not1_b32 exec_lo, exec_lo, s33
	s_cbranch_execz .LBB56_335
.LBB56_331:                             ;   Parent Loop BB56_6 Depth=1
                                        ; =>  This Inner Loop Header: Depth=2
	s_mov_b32 s54, exec_lo
	s_delay_alu instid0(VALU_DEP_1)
	v_cmpx_gt_u32_e64 s34, v5
	s_cbranch_execz .LBB56_329
; %bb.332:                              ;   in Loop: Header=BB56_331 Depth=2
	ds_load_u16 v6, v4
	s_wait_dscnt 0x0
	v_bfe_i32 v7, v6, 0, 16
	s_delay_alu instid0(VALU_DEP_1) | instskip(NEXT) | instid1(VALU_DEP_1)
	v_add_nc_u32_e32 v7, 0x8000, v7
	v_and_b32_e32 v7, v7, v31
	s_delay_alu instid0(VALU_DEP_1)
	v_cmp_eq_u32_e32 vcc_lo, v7, v25
	s_and_b32 exec_lo, exec_lo, vcc_lo
	s_cbranch_execz .LBB56_329
; %bb.333:                              ;   in Loop: Header=BB56_331 Depth=2
	v_perm_b32 v6, v6, 1, 0x5040100
	ds_store_b32 v17, v6 offset:3072
	s_branch .LBB56_329
.LBB56_334:                             ;   in Loop: Header=BB56_331 Depth=2
	v_dual_add_nc_u32 v5, s56, v5 :: v_dual_add_nc_u32 v4, s83, v4
	s_mov_b32 s55, 0
	s_delay_alu instid0(VALU_DEP_1)
	v_cmp_le_u32_e32 vcc_lo, s52, v5
	s_or_not1_b32 s54, vcc_lo, exec_lo
	s_branch .LBB56_330
.LBB56_335:                             ;   in Loop: Header=BB56_6 Depth=1
	s_or_b32 exec_lo, exec_lo, s33
	v_lshrrev_b32_e32 v32, 16, v6
	s_and_b32 s33, s53, exec_lo
.LBB56_336:                             ;   in Loop: Header=BB56_6 Depth=1
	s_or_b32 exec_lo, exec_lo, s44
.LBB56_337:                             ;   in Loop: Header=BB56_6 Depth=1
	s_delay_alu instid0(SALU_CYCLE_1)
	s_and_b32 vcc_lo, exec_lo, s35
	s_cbranch_vccz .LBB56_348
; %bb.338:                              ;   in Loop: Header=BB56_6 Depth=1
                                        ; implicit-def: $vgpr32
	s_and_saveexec_b32 s28, s13
	s_cbranch_execz .LBB56_347
; %bb.339:                              ;   in Loop: Header=BB56_6 Depth=1
	v_dual_mov_b32 v4, v14 :: v_dual_mov_b32 v5, v0
	s_mov_b32 s29, 0
                                        ; implicit-def: $sgpr34
	s_branch .LBB56_342
.LBB56_340:                             ;   in Loop: Header=BB56_342 Depth=2
	s_or_b32 exec_lo, exec_lo, s35
	s_wait_dscnt 0x0
	s_barrier_signal -1
	s_barrier_wait -1
	ds_load_b32 v6, v17 offset:3072
	s_mov_b32 s35, -1
	s_mov_b32 s44, -1
	s_wait_dscnt 0x0
	s_barrier_signal -1
	s_barrier_wait -1
	v_and_b32_e32 v7, 0xffff, v6
	s_delay_alu instid0(VALU_DEP_1)
	v_cmp_eq_u32_e32 vcc_lo, 0, v7
	s_cbranch_vccnz .LBB56_345
.LBB56_341:                             ;   in Loop: Header=BB56_342 Depth=2
	s_and_b32 s35, exec_lo, s35
	s_delay_alu instid0(SALU_CYCLE_1) | instskip(SKIP_2) | instid1(SALU_CYCLE_1)
	s_or_b32 s29, s35, s29
	s_and_not1_b32 s34, s34, exec_lo
	s_and_b32 s35, s44, exec_lo
	s_or_b32 s34, s34, s35
	s_and_not1_b32 exec_lo, exec_lo, s29
	s_cbranch_execz .LBB56_346
.LBB56_342:                             ;   Parent Loop BB56_6 Depth=1
                                        ; =>  This Inner Loop Header: Depth=2
	s_mov_b32 s35, exec_lo
	s_delay_alu instid0(VALU_DEP_1)
	v_cmpx_gt_u32_e64 s36, v5
	s_cbranch_execz .LBB56_340
; %bb.343:                              ;   in Loop: Header=BB56_342 Depth=2
	global_load_u16 v6, v4, s[38:39] scale_offset
	s_wait_loadcnt 0x0
	v_bfe_i32 v7, v6, 0, 16
	s_delay_alu instid0(VALU_DEP_1) | instskip(NEXT) | instid1(VALU_DEP_1)
	v_add_nc_u32_e32 v7, 0x8000, v7
	v_and_b32_e32 v7, v7, v31
	s_delay_alu instid0(VALU_DEP_1)
	v_cmp_eq_u32_e32 vcc_lo, v7, v25
	s_and_b32 exec_lo, exec_lo, vcc_lo
	s_cbranch_execz .LBB56_340
; %bb.344:                              ;   in Loop: Header=BB56_342 Depth=2
	v_perm_b32 v6, v6, 1, 0x5040100
	ds_store_b32 v17, v6 offset:3072
	s_branch .LBB56_340
.LBB56_345:                             ;   in Loop: Header=BB56_342 Depth=2
	v_dual_add_nc_u32 v5, s56, v5 :: v_dual_add_nc_u32 v4, s58, v4
	s_mov_b32 s44, 0
	s_delay_alu instid0(VALU_DEP_1)
	v_cmp_le_u32_e32 vcc_lo, s80, v5
	s_or_not1_b32 s35, vcc_lo, exec_lo
	s_branch .LBB56_341
.LBB56_346:                             ;   in Loop: Header=BB56_6 Depth=1
	s_or_b32 exec_lo, exec_lo, s29
	v_lshrrev_b32_e32 v32, 16, v6
	s_and_not1_b32 s29, s33, exec_lo
	s_and_b32 s33, s34, exec_lo
	s_delay_alu instid0(SALU_CYCLE_1)
	s_or_b32 s33, s29, s33
.LBB56_347:                             ;   in Loop: Header=BB56_6 Depth=1
	s_or_b32 exec_lo, exec_lo, s28
	s_mov_b32 s28, 0
	s_mov_b32 s29, -1
.LBB56_348:                             ;   in Loop: Header=BB56_6 Depth=1
	s_or_not1_b32 s33, s33, exec_lo
.LBB56_349:                             ;   in Loop: Header=BB56_6 Depth=1
	s_or_b32 exec_lo, exec_lo, s30
	s_mov_b32 s34, 0
	s_and_saveexec_b32 s30, s33
	s_cbranch_execz .LBB56_399
; %bb.350:                              ;   in Loop: Header=BB56_6 Depth=1
	v_dual_mov_b32 v4, 1 :: v_dual_mov_b32 v2, 1
	s_xor_b32 s33, s31, -1
	s_mov_b32 s35, 0
	s_and_saveexec_b32 s31, s33
	s_cbranch_execz .LBB56_359
; %bb.351:                              ;   in Loop: Header=BB56_6 Depth=1
	s_mov_b32 s33, exec_lo
	v_cmpx_ge_u32_e64 s20, v3
	s_xor_b32 s33, exec_lo, s33
	s_cbranch_execz .LBB56_356
; %bb.352:                              ;   in Loop: Header=BB56_6 Depth=1
	ds_load_b32 v2, v17 offset:4096
	s_lshl_b32 s34, 1, s84
	v_or_b32_e32 v31, s18, v31
	v_and_or_b32 v25, v25, s19, s34
	s_wait_dscnt 0x0
	v_cmp_ne_u32_e32 vcc_lo, 0, v2
	s_cbranch_vccnz .LBB56_356
; %bb.353:                              ;   in Loop: Header=BB56_6 Depth=1
	s_and_saveexec_b32 s34, s5
; %bb.354:                              ;   in Loop: Header=BB56_6 Depth=1
	v_mov_b32_e32 v2, s20
	ds_store_b32 v17, v2 offset:4100
; %bb.355:                              ;   in Loop: Header=BB56_6 Depth=1
	s_or_b32 exec_lo, exec_lo, s34
	s_wait_dscnt 0x0
	s_barrier_signal -1
	s_barrier_wait -1
.LBB56_356:                             ;   in Loop: Header=BB56_6 Depth=1
	s_or_saveexec_b32 s33, s33
	v_mov_b32_e32 v2, 5
	s_mov_b32 s34, 0
	s_xor_b32 exec_lo, exec_lo, s33
; %bb.357:                              ;   in Loop: Header=BB56_6 Depth=1
	v_subrev_nc_u32_e32 v3, s20, v3
	v_mov_b32_e32 v2, 0
	s_mov_b32 s34, exec_lo
; %bb.358:                              ;   in Loop: Header=BB56_6 Depth=1
	s_or_b32 exec_lo, exec_lo, s33
	s_delay_alu instid0(VALU_DEP_2)
	v_mov_b32_e32 v4, v3
	s_and_b32 s35, s34, exec_lo
.LBB56_359:                             ;   in Loop: Header=BB56_6 Depth=1
	s_or_b32 exec_lo, exec_lo, s31
	s_mov_b32 s33, -1
                                        ; implicit-def: $sgpr34
                                        ; implicit-def: $sgpr31
	s_and_saveexec_b32 s20, s35
	s_cbranch_execz .LBB56_398
; %bb.360:                              ;   in Loop: Header=BB56_6 Depth=1
	v_cmp_eq_u32_e32 vcc_lo, 1, v4
	s_cmp_eq_u32 s17, 1
	s_mov_b32 s44, -1
	s_cselect_b32 s31, -1, 0
                                        ; implicit-def: $sgpr34
	s_delay_alu instid0(SALU_CYCLE_1) | instskip(NEXT) | instid1(SALU_CYCLE_1)
	s_and_b32 s33, s31, vcc_lo
                                        ; implicit-def: $sgpr31
	s_and_saveexec_b32 s35, s33
	s_cbranch_execz .LBB56_386
; %bb.361:                              ;   in Loop: Header=BB56_6 Depth=1
	ds_load_b32 v3, v17 offset:4096
	s_wait_dscnt 0x0
	s_barrier_signal -1
	s_barrier_wait -1
	v_readfirstlane_b32 s52, v3
	s_and_saveexec_b32 s31, s6
; %bb.362:                              ;   in Loop: Header=BB56_6 Depth=1
	ds_store_b16 v20, v17
; %bb.363:                              ;   in Loop: Header=BB56_6 Depth=1
	s_or_b32 exec_lo, exec_lo, s31
	v_and_b32_e32 v25, s19, v25
	v_or_b32_e32 v31, s18, v31
	s_mov_b32 s31, -1
	s_mov_b32 s34, 0
	s_cmp_eq_u32 s52, 0
	s_mov_b32 s44, 0
	s_mov_b32 s53, -1
	s_wait_dscnt 0x0
	s_barrier_signal -1
	s_barrier_wait -1
                                        ; implicit-def: $vgpr32
	s_cbranch_scc1 .LBB56_374
; %bb.364:                              ;   in Loop: Header=BB56_6 Depth=1
	s_add_co_i32 s44, s52, s67
                                        ; implicit-def: $vgpr32
	s_delay_alu instid0(SALU_CYCLE_1) | instskip(NEXT) | instid1(SALU_CYCLE_1)
	s_mul_u64 s[54:55], s[44:45], s[48:49]
	s_mul_i32 s53, s55, s56
	s_delay_alu instid0(SALU_CYCLE_1) | instskip(NEXT) | instid1(SALU_CYCLE_1)
	s_sub_co_i32 s53, s44, s53
	s_sub_co_i32 s54, s53, s56
	s_cmp_ge_u32 s53, s56
	s_cselect_b32 s53, s54, s53
	s_delay_alu instid0(SALU_CYCLE_1)
	s_sub_co_i32 s54, s53, s56
	s_cmp_ge_u32 s53, s56
	s_cselect_b32 s53, s54, s53
	s_mov_b32 s54, exec_lo
	s_sub_co_i32 s55, s44, s53
	s_mov_b32 s53, 0
	s_mov_b32 s44, 0
	v_cmpx_gt_u32_e64 s55, v0
	s_cbranch_execz .LBB56_373
; %bb.365:                              ;   in Loop: Header=BB56_6 Depth=1
	v_dual_mov_b32 v3, v15 :: v_dual_mov_b32 v5, v0
                                        ; implicit-def: $sgpr97
	s_branch .LBB56_368
.LBB56_366:                             ;   in Loop: Header=BB56_368 Depth=2
	s_or_b32 exec_lo, exec_lo, s98
	s_wait_dscnt 0x0
	s_barrier_signal -1
	s_barrier_wait -1
	ds_load_b32 v6, v17 offset:3072
	s_mov_b32 s98, -1
	s_mov_b32 s99, -1
	s_wait_dscnt 0x0
	s_barrier_signal -1
	s_barrier_wait -1
	v_and_b32_e32 v7, 0xffff, v6
	s_delay_alu instid0(VALU_DEP_1)
	v_cmp_ne_u32_e32 vcc_lo, 0, v7
	s_cbranch_vccz .LBB56_371
.LBB56_367:                             ;   in Loop: Header=BB56_368 Depth=2
	s_and_b32 s98, exec_lo, s98
	s_delay_alu instid0(SALU_CYCLE_1) | instskip(SKIP_2) | instid1(SALU_CYCLE_1)
	s_or_b32 s44, s98, s44
	s_and_not1_b32 s97, s97, exec_lo
	s_and_b32 s98, s99, exec_lo
	s_or_b32 s97, s97, s98
	s_and_not1_b32 exec_lo, exec_lo, s44
	s_cbranch_execz .LBB56_372
.LBB56_368:                             ;   Parent Loop BB56_6 Depth=1
                                        ; =>  This Inner Loop Header: Depth=2
	s_mov_b32 s98, exec_lo
	s_delay_alu instid0(VALU_DEP_1)
	v_cmpx_gt_u32_e64 s52, v5
	s_cbranch_execz .LBB56_366
; %bb.369:                              ;   in Loop: Header=BB56_368 Depth=2
	ds_load_u16 v6, v3
	s_wait_dscnt 0x0
	v_bfe_i32 v7, v6, 0, 16
	s_delay_alu instid0(VALU_DEP_1) | instskip(NEXT) | instid1(VALU_DEP_1)
	v_add_nc_u32_e32 v7, 0x8000, v7
	v_and_b32_e32 v7, v7, v31
	s_delay_alu instid0(VALU_DEP_1)
	v_cmp_eq_u32_e32 vcc_lo, v7, v25
	s_and_b32 exec_lo, exec_lo, vcc_lo
	s_cbranch_execz .LBB56_366
; %bb.370:                              ;   in Loop: Header=BB56_368 Depth=2
	v_perm_b32 v6, v6, 1, 0x5040100
	ds_store_b32 v17, v6 offset:3072
	s_branch .LBB56_366
.LBB56_371:                             ;   in Loop: Header=BB56_368 Depth=2
	v_dual_add_nc_u32 v5, s56, v5 :: v_dual_add_nc_u32 v3, s83, v3
	s_mov_b32 s99, 0
	s_delay_alu instid0(VALU_DEP_1)
	v_cmp_le_u32_e32 vcc_lo, s55, v5
	s_or_not1_b32 s98, vcc_lo, exec_lo
	s_branch .LBB56_367
.LBB56_372:                             ;   in Loop: Header=BB56_6 Depth=1
	s_or_b32 exec_lo, exec_lo, s44
	v_lshrrev_b32_e32 v32, 16, v6
	s_and_b32 s44, s97, exec_lo
.LBB56_373:                             ;   in Loop: Header=BB56_6 Depth=1
	s_or_b32 exec_lo, exec_lo, s54
.LBB56_374:                             ;   in Loop: Header=BB56_6 Depth=1
	s_delay_alu instid0(SALU_CYCLE_1)
	s_and_b32 vcc_lo, exec_lo, s53
	s_cbranch_vccz .LBB56_385
; %bb.375:                              ;   in Loop: Header=BB56_6 Depth=1
                                        ; implicit-def: $vgpr32
	s_and_saveexec_b32 s31, s13
	s_cbranch_execz .LBB56_384
; %bb.376:                              ;   in Loop: Header=BB56_6 Depth=1
	v_dual_mov_b32 v3, v14 :: v_dual_mov_b32 v5, v0
	s_mov_b32 s34, 0
                                        ; implicit-def: $sgpr52
	s_branch .LBB56_379
.LBB56_377:                             ;   in Loop: Header=BB56_379 Depth=2
	s_or_b32 exec_lo, exec_lo, s53
	s_wait_dscnt 0x0
	s_barrier_signal -1
	s_barrier_wait -1
	ds_load_b32 v6, v17 offset:3072
	s_mov_b32 s53, -1
	s_mov_b32 s54, -1
	s_wait_dscnt 0x0
	s_barrier_signal -1
	s_barrier_wait -1
	v_and_b32_e32 v7, 0xffff, v6
	s_delay_alu instid0(VALU_DEP_1)
	v_cmp_eq_u32_e32 vcc_lo, 0, v7
	s_cbranch_vccnz .LBB56_382
.LBB56_378:                             ;   in Loop: Header=BB56_379 Depth=2
	s_and_b32 s53, exec_lo, s53
	s_delay_alu instid0(SALU_CYCLE_1) | instskip(SKIP_2) | instid1(SALU_CYCLE_1)
	s_or_b32 s34, s53, s34
	s_and_not1_b32 s52, s52, exec_lo
	s_and_b32 s53, s54, exec_lo
	s_or_b32 s52, s52, s53
	s_and_not1_b32 exec_lo, exec_lo, s34
	s_cbranch_execz .LBB56_383
.LBB56_379:                             ;   Parent Loop BB56_6 Depth=1
                                        ; =>  This Inner Loop Header: Depth=2
	s_mov_b32 s53, exec_lo
	s_delay_alu instid0(VALU_DEP_1)
	v_cmpx_gt_u32_e64 s36, v5
	s_cbranch_execz .LBB56_377
; %bb.380:                              ;   in Loop: Header=BB56_379 Depth=2
	global_load_u16 v6, v3, s[38:39] scale_offset
	s_wait_loadcnt 0x0
	v_bfe_i32 v7, v6, 0, 16
	s_delay_alu instid0(VALU_DEP_1) | instskip(NEXT) | instid1(VALU_DEP_1)
	v_add_nc_u32_e32 v7, 0x8000, v7
	v_and_b32_e32 v7, v7, v31
	s_delay_alu instid0(VALU_DEP_1)
	v_cmp_eq_u32_e32 vcc_lo, v7, v25
	s_and_b32 exec_lo, exec_lo, vcc_lo
	s_cbranch_execz .LBB56_377
; %bb.381:                              ;   in Loop: Header=BB56_379 Depth=2
	v_perm_b32 v6, v6, 1, 0x5040100
	ds_store_b32 v17, v6 offset:3072
	s_branch .LBB56_377
.LBB56_382:                             ;   in Loop: Header=BB56_379 Depth=2
	v_dual_add_nc_u32 v5, s56, v5 :: v_dual_add_nc_u32 v3, s58, v3
	s_mov_b32 s54, 0
	s_delay_alu instid0(VALU_DEP_1)
	v_cmp_le_u32_e32 vcc_lo, s80, v5
	s_or_not1_b32 s53, vcc_lo, exec_lo
	s_branch .LBB56_378
.LBB56_383:                             ;   in Loop: Header=BB56_6 Depth=1
	s_or_b32 exec_lo, exec_lo, s34
	v_lshrrev_b32_e32 v32, 16, v6
	s_and_not1_b32 s34, s44, exec_lo
	s_and_b32 s44, s52, exec_lo
	s_delay_alu instid0(SALU_CYCLE_1)
	s_or_b32 s44, s34, s44
.LBB56_384:                             ;   in Loop: Header=BB56_6 Depth=1
	s_or_b32 exec_lo, exec_lo, s31
	s_mov_b32 s31, 0
	s_mov_b32 s34, -1
.LBB56_385:                             ;   in Loop: Header=BB56_6 Depth=1
	s_or_not1_b32 s44, s44, exec_lo
.LBB56_386:                             ;   in Loop: Header=BB56_6 Depth=1
	s_or_b32 exec_lo, exec_lo, s35
	s_mov_b32 s52, 0
	s_and_saveexec_b32 s35, s44
	s_cbranch_execz .LBB56_397
; %bb.387:                              ;   in Loop: Header=BB56_6 Depth=1
	v_dual_mov_b32 v2, 1 :: v_dual_mov_b32 v3, 1
	s_xor_b32 s44, s33, -1
	s_delay_alu instid0(SALU_CYCLE_1)
	s_and_saveexec_b32 s33, s44
	s_cbranch_execz .LBB56_396
; %bb.388:                              ;   in Loop: Header=BB56_6 Depth=1
	s_mov_b32 s44, exec_lo
	v_cmpx_ge_u32_e64 s17, v4
	s_xor_b32 s44, exec_lo, s44
	s_cbranch_execz .LBB56_393
; %bb.389:                              ;   in Loop: Header=BB56_6 Depth=1
	ds_load_b32 v2, v17 offset:4096
	v_and_b32_e32 v25, s19, v25
	v_or_b32_e32 v31, s18, v31
	s_wait_dscnt 0x0
	v_cmp_ne_u32_e32 vcc_lo, 0, v2
	s_cbranch_vccnz .LBB56_393
; %bb.390:                              ;   in Loop: Header=BB56_6 Depth=1
	s_and_saveexec_b32 s18, s5
; %bb.391:                              ;   in Loop: Header=BB56_6 Depth=1
	v_mov_b32_e32 v2, s17
	ds_store_b32 v17, v2 offset:4100
; %bb.392:                              ;   in Loop: Header=BB56_6 Depth=1
	s_or_b32 exec_lo, exec_lo, s18
	s_wait_dscnt 0x0
	s_barrier_signal -1
	s_barrier_wait -1
.LBB56_393:                             ;   in Loop: Header=BB56_6 Depth=1
	s_and_not1_saveexec_b32 s18, s44
; %bb.394:                              ;   in Loop: Header=BB56_6 Depth=1
	v_subrev_nc_u32_e32 v4, s17, v4
; %bb.395:                              ;   in Loop: Header=BB56_6 Depth=1
	s_or_b32 exec_lo, exec_lo, s18
	s_delay_alu instid0(VALU_DEP_1)
	v_dual_mov_b32 v2, 5 :: v_dual_mov_b32 v3, v4
.LBB56_396:                             ;   in Loop: Header=BB56_6 Depth=1
	s_or_b32 exec_lo, exec_lo, s33
	s_delay_alu instid0(VALU_DEP_1)
	v_mov_b32_e32 v4, v3
	s_mov_b32 s52, exec_lo
.LBB56_397:                             ;   in Loop: Header=BB56_6 Depth=1
	s_or_b32 exec_lo, exec_lo, s35
	s_delay_alu instid0(SALU_CYCLE_1)
	s_or_not1_b32 s33, s52, exec_lo
.LBB56_398:                             ;   in Loop: Header=BB56_6 Depth=1
	s_or_b32 exec_lo, exec_lo, s20
	v_mov_b32_e32 v3, v4
	s_and_not1_b32 s17, s29, exec_lo
	s_and_b32 s18, s34, exec_lo
	s_and_not1_b32 s19, s28, exec_lo
	s_and_b32 s20, s31, exec_lo
	s_or_b32 s29, s17, s18
	s_or_b32 s28, s19, s20
	s_and_b32 s34, s33, exec_lo
.LBB56_399:                             ;   in Loop: Header=BB56_6 Depth=1
	s_or_b32 exec_lo, exec_lo, s30
	s_delay_alu instid0(SALU_CYCLE_1)
	s_or_not1_b32 s30, s34, exec_lo
.LBB56_400:                             ;   in Loop: Header=BB56_6 Depth=1
	s_or_b32 exec_lo, exec_lo, s21
	v_mov_b32_e32 v5, v3
	s_and_not1_b32 s17, s25, exec_lo
	s_and_b32 s18, s29, exec_lo
	s_and_not1_b32 s19, s22, exec_lo
	s_and_b32 s20, s28, exec_lo
	s_or_b32 s25, s17, s18
	s_or_b32 s22, s19, s20
	s_and_b32 s30, s30, exec_lo
.LBB56_401:                             ;   in Loop: Header=BB56_6 Depth=1
	s_or_b32 exec_lo, exec_lo, s27
	s_delay_alu instid0(SALU_CYCLE_1)
	s_or_not1_b32 s27, s30, exec_lo
.LBB56_402:                             ;   in Loop: Header=BB56_6 Depth=1
	s_or_b32 exec_lo, exec_lo, s14
	s_mov_b32 s14, s23
	s_mov_b32 s17, s15
	s_and_saveexec_b32 s18, s27
; %bb.403:                              ;   in Loop: Header=BB56_6 Depth=1
	v_cmp_ne_u32_e32 vcc_lo, 5, v2
	v_cmp_eq_u32_e64 s14, 5, v2
	s_and_not1_b32 s17, s15, exec_lo
	s_and_not1_b32 s19, s23, exec_lo
	s_and_b32 s20, vcc_lo, exec_lo
	s_and_b32 s14, s14, exec_lo
	s_or_b32 s17, s17, s20
	s_or_b32 s14, s19, s14
; %bb.404:                              ;   in Loop: Header=BB56_6 Depth=1
	s_or_b32 exec_lo, exec_lo, s18
	s_delay_alu instid0(SALU_CYCLE_1)
	s_and_not1_b32 s18, s26, exec_lo
	s_and_b32 s19, s25, exec_lo
	s_and_not1_b32 s16, s16, exec_lo
	s_and_b32 s20, s22, exec_lo
	s_or_b32 s26, s18, s19
	s_and_not1_b32 s15, s15, exec_lo
	s_and_b32 s17, s17, exec_lo
	s_and_not1_b32 s18, s23, exec_lo
	s_and_b32 s14, s14, exec_lo
	s_or_b32 s16, s16, s20
	s_or_b32 s15, s15, s17
	;; [unrolled: 1-line block ×3, first 2 shown]
.LBB56_405:                             ;   in Loop: Header=BB56_6 Depth=1
	s_or_b32 exec_lo, exec_lo, s24
	s_mov_b32 s24, 0
	s_mov_b32 s25, 0
	s_and_saveexec_b32 s14, s23
.LBB56_406:                             ;   in Loop: Header=BB56_6 Depth=1
	v_mov_b32_e32 v2, 0
	s_or_b32 s15, s15, exec_lo
.LBB56_407:                             ;   in Loop: Header=BB56_6 Depth=1
	s_or_b32 exec_lo, exec_lo, s14
	s_delay_alu instid0(SALU_CYCLE_1)
	s_and_not1_b32 s14, s94, exec_lo
	s_and_b32 s18, s26, exec_lo
	s_and_not1_b32 s19, s92, exec_lo
	s_and_b32 s16, s16, exec_lo
	v_mov_b32_e32 v33, v5
	s_or_b32 s94, s14, s18
	s_or_b32 s92, s19, s16
	s_and_not1_b32 s14, s96, exec_lo
	s_and_b32 s16, s25, exec_lo
	s_and_not1_b32 s18, s95, exec_lo
	s_and_b32 s19, s24, exec_lo
	s_mov_b32 s17, -1
	s_and_not1_b32 s93, s93, exec_lo
	s_or_b32 s96, s14, s16
	s_or_b32 s95, s18, s19
	s_and_saveexec_b32 s14, s15
	s_delay_alu instid0(SALU_CYCLE_1)
	s_xor_b32 s14, exec_lo, s14
	s_cbranch_execz .LBB56_5
; %bb.408:                              ;   in Loop: Header=BB56_6 Depth=1
	s_mov_b32 s15, -1
	s_mov_b32 s16, -1
	s_mov_b32 s17, exec_lo
	v_cmpx_eq_u32_e32 0, v2
	s_cbranch_execz .LBB56_4
; %bb.409:                              ;   in Loop: Header=BB56_6 Depth=1
	s_xor_b32 s87, s87, 1
	s_add_co_i32 s18, s84, -2
	s_cmp_eq_u32 s84, 0
	s_mov_b32 s84, s18
	s_cselect_b32 s15, -1, 0
	s_xor_b32 s16, exec_lo, -1
	s_or_not1_b32 s15, s15, exec_lo
	s_branch .LBB56_4
.LBB56_410:
	s_or_b32 exec_lo, exec_lo, s85
	s_xor_b32 s7, s91, -1
	s_xor_b32 s9, s89, -1
	;; [unrolled: 1-line block ×5, first 2 shown]
	s_mov_b32 s8, 0
	s_and_saveexec_b32 s12, s11
	s_delay_alu instid0(SALU_CYCLE_1)
	s_xor_b32 s12, exec_lo, s12
	s_cbranch_execnz .LBB56_415
; %bb.411:
	s_and_not1_saveexec_b32 s0, s12
	s_cbranch_execnz .LBB56_434
.LBB56_412:
	s_or_b32 exec_lo, exec_lo, s0
	s_and_saveexec_b32 s0, s8
.LBB56_413:
	; divergent unreachable
.LBB56_414:
	s_sendmsg sendmsg(MSG_DEALLOC_VGPRS)
	s_endpgm
.LBB56_415:
	s_and_saveexec_b32 s11, s10
	s_delay_alu instid0(SALU_CYCLE_1)
	s_xor_b32 s13, exec_lo, s11
	s_cbranch_execz .LBB56_432
; %bb.416:
	s_and_saveexec_b32 s10, s9
	s_delay_alu instid0(SALU_CYCLE_1)
	s_xor_b32 s14, exec_lo, s10
	s_cbranch_execz .LBB56_430
; %bb.417:
	;; [unrolled: 5-line block ×3, first 2 shown]
	s_and_saveexec_b32 s7, s6
	s_delay_alu instid0(SALU_CYCLE_1)
	s_xor_b32 s6, exec_lo, s7
; %bb.419:
	v_xor_b32_e32 v32, 0xffff8000, v25
; %bb.420:
	s_or_b32 exec_lo, exec_lo, s6
	s_and_saveexec_b32 s6, s5
; %bb.421:
	v_mov_b32_e32 v1, 0
	ds_store_b32 v1, v1 offset:4108
; %bb.422:
	s_or_b32 exec_lo, exec_lo, s6
	v_mov_b32_e32 v1, 0
	s_wait_dscnt 0x0
	s_barrier_signal -1
	s_barrier_wait -1
	s_and_saveexec_b32 s5, s3
	s_cbranch_execz .LBB56_424
; %bb.423:
	global_load_u16 v1, v[12:13], off
.LBB56_424:
	s_wait_xcnt 0x0
	s_or_b32 exec_lo, exec_lo, s5
	s_clause 0x1
	s_load_b32 s5, s[0:1], 0x1c8
	s_load_b32 s16, s[0:1], 0x2a8
	s_add_co_i32 s17, s36, 31
	s_mov_b32 s11, 0
	s_and_not1_b32 s17, s17, 31
	s_mul_i32 s10, s61, s59
	s_wait_xcnt 0x0
	s_mul_i32 s0, s60, s59
	s_mov_b32 s1, s11
	v_cmp_gt_u32_e32 vcc_lo, s17, v0
	s_lshl_b64 s[6:7], s[10:11], 1
	s_lshl_b64 s[0:1], s[0:1], 3
	s_add_nc_u64 s[6:7], s[42:43], s[6:7]
	s_add_nc_u64 s[8:9], s[40:41], s[0:1]
	s_mov_b32 s0, -1
	s_mov_b32 s1, 0
	s_and_saveexec_b32 s10, vcc_lo
	s_cbranch_execnz .LBB56_435
; %bb.425:
	s_or_b32 exec_lo, exec_lo, s10
	s_and_saveexec_b32 s4, s0
	s_cbranch_execnz .LBB56_450
.LBB56_426:
	s_or_b32 exec_lo, exec_lo, s4
	s_and_saveexec_b32 s0, s1
	s_delay_alu instid0(SALU_CYCLE_1)
	s_xor_b32 s0, exec_lo, s0
	s_cbranch_execnz .LBB56_473
.LBB56_427:
	s_or_b32 exec_lo, exec_lo, s0
	s_delay_alu instid0(SALU_CYCLE_1)
	s_and_b32 s8, s11, exec_lo
.LBB56_428:
	s_and_not1_saveexec_b32 s0, s15
	s_cbranch_execnz .LBB56_475
.LBB56_429:
	s_or_b32 exec_lo, exec_lo, s0
	s_delay_alu instid0(SALU_CYCLE_1)
	s_and_b32 s8, s8, exec_lo
.LBB56_430:
	s_and_not1_saveexec_b32 s0, s14
	s_cbranch_execnz .LBB56_474
.LBB56_431:
	s_or_b32 exec_lo, exec_lo, s0
	s_delay_alu instid0(SALU_CYCLE_1)
	s_and_b32 s8, s8, exec_lo
.LBB56_432:
	s_and_not1_saveexec_b32 s0, s13
	s_cbranch_execnz .LBB56_469
.LBB56_433:
	s_or_b32 exec_lo, exec_lo, s0
	s_delay_alu instid0(SALU_CYCLE_1)
	s_and_b32 s8, s8, exec_lo
	s_and_not1_saveexec_b32 s0, s12
	s_cbranch_execz .LBB56_412
.LBB56_434:
	s_or_b32 s8, s8, exec_lo
	s_trap 2
	s_or_b32 exec_lo, exec_lo, s0
	s_and_saveexec_b32 s0, s8
	s_cbranch_execnz .LBB56_413
	s_branch .LBB56_414
.LBB56_435:
	v_add_nc_u32_e32 v2, s56, v0
	v_bfe_i32 v3, v32, 0, 16
	s_mov_b32 s18, 0
                                        ; implicit-def: $sgpr19
                                        ; implicit-def: $vgpr8
	s_delay_alu instid0(VALU_DEP_1)
	v_add_nc_u32_e32 v5, 0x8000, v3
	v_mov_b32_e32 v3, 0
	v_mul_lo_u32 v4, s57, v2
	v_mov_b32_e32 v2, v0
	s_branch .LBB56_437
.LBB56_436:                             ;   in Loop: Header=BB56_437 Depth=1
	s_or_b32 exec_lo, exec_lo, s21
	s_xor_b32 s0, s20, -1
	s_and_b32 s1, exec_lo, s1
	v_dual_mov_b32 v1, v7 :: v_dual_mov_b32 v2, v6
	s_or_b32 s18, s1, s18
	s_and_not1_b32 s1, s19, exec_lo
	s_and_b32 s0, s0, exec_lo
	s_delay_alu instid0(SALU_CYCLE_1)
	s_or_b32 s19, s1, s0
	s_and_not1_b32 exec_lo, exec_lo, s18
	s_cbranch_execz .LBB56_449
.LBB56_437:                             ; =>This Inner Loop Header: Depth=1
	s_delay_alu instid0(VALU_DEP_1) | instskip(SKIP_1) | instid1(VALU_DEP_1)
	v_dual_mov_b32 v7, 0 :: v_dual_add_nc_u32 v6, s56, v2
	s_mov_b32 s1, exec_lo
	v_cmpx_gt_u32_e64 s36, v6
	s_cbranch_execz .LBB56_439
; %bb.438:                              ;   in Loop: Header=BB56_437 Depth=1
	global_load_u16 v7, v4, s[38:39] scale_offset
.LBB56_439:                             ;   in Loop: Header=BB56_437 Depth=1
	s_wait_xcnt 0x0
	s_or_b32 exec_lo, exec_lo, s1
	s_wait_loadcnt 0x0
	v_bfe_i32 v9, v1, 0, 16
	s_delay_alu instid0(VALU_DEP_1) | instskip(NEXT) | instid1(VALU_DEP_1)
	v_add_nc_u32_e32 v9, 0x8000, v9
	v_cmp_gt_u32_e64 s0, v9, v5
	s_delay_alu instid0(VALU_DEP_1) | instskip(SKIP_1) | instid1(VALU_DEP_1)
	v_cndmask_b32_e64 v11, 0, 1, s0
	v_cmp_lt_u32_e64 s0, v9, v5
	v_cndmask_b32_e64 v9, 0, 1, s0
	v_cmp_gt_u32_e64 s0, s36, v2
	s_delay_alu instid0(VALU_DEP_2) | instskip(NEXT) | instid1(VALU_DEP_1)
	v_cndmask_b32_e64 v9, v9, v11, s4
	v_and_b32_e32 v9, 1, v9
	s_delay_alu instid0(VALU_DEP_1) | instskip(SKIP_1) | instid1(SALU_CYCLE_1)
	v_cmp_eq_u32_e64 s1, 1, v9
	s_and_b32 s20, s0, s1
	v_cndmask_b32_e64 v9, 0, 1, s20
	s_delay_alu instid0(VALU_DEP_1) | instskip(SKIP_2) | instid1(SALU_CYCLE_1)
	v_cmp_ne_u32_e64 s0, 0, v9
	s_cmp_lg_u32 s0, 0
	s_cselect_b32 s1, -1, 0
	s_and_b32 s1, s2, s1
	s_delay_alu instid0(SALU_CYCLE_1)
	s_and_saveexec_b32 s21, s1
	s_cbranch_execz .LBB56_443
; %bb.440:                              ;   in Loop: Header=BB56_437 Depth=1
	s_mov_b32 s24, exec_lo
	s_bcnt1_i32_b32 s22, s0
	s_wait_dscnt 0x0
	v_mbcnt_lo_u32_b32 v8, s24, 0
	s_mov_b32 s23, exec_lo
                                        ; implicit-def: $vgpr9
	s_delay_alu instid0(VALU_DEP_1)
	v_cmpx_eq_u32_e32 0, v8
; %bb.441:                              ;   in Loop: Header=BB56_437 Depth=1
	s_bcnt1_i32_b32 s1, s24
	s_delay_alu instid0(SALU_CYCLE_1) | instskip(NEXT) | instid1(SALU_CYCLE_1)
	s_mul_i32 s1, s22, s1
	v_mov_b32_e32 v9, s1
	ds_add_rtn_u32 v9, v3, v9 offset:4108
; %bb.442:                              ;   in Loop: Header=BB56_437 Depth=1
	s_or_b32 exec_lo, exec_lo, s23
	s_wait_dscnt 0x0
	v_readfirstlane_b32 s1, v9
	s_delay_alu instid0(VALU_DEP_1)
	v_mad_u32_u24 v8, s22, v8, s1
.LBB56_443:                             ;   in Loop: Header=BB56_437 Depth=1
	s_or_b32 exec_lo, exec_lo, s21
	s_wait_dscnt 0x0
	ds_bpermute_b32 v8, v3, v8
	s_mov_b32 s1, -1
	s_mov_b32 s22, -1
	s_and_saveexec_b32 s21, s20
	s_cbranch_execz .LBB56_447
; %bb.444:                              ;   in Loop: Header=BB56_437 Depth=1
	v_and_b32_e32 v9, s0, v10
	s_mov_b32 s20, 0
	s_mov_b32 s22, exec_lo
	s_wait_dscnt 0x0
	s_delay_alu instid0(VALU_DEP_1) | instskip(NEXT) | instid1(VALU_DEP_1)
	v_bcnt_u32_b32 v9, v9, v8
	v_cmpx_gt_u32_e64 s37, v9
	s_cbranch_execz .LBB56_446
; %bb.445:                              ;   in Loop: Header=BB56_437 Depth=1
	s_wait_kmcnt 0x0
	v_mul_lo_u32 v11, v9, s5
	v_mul_lo_u32 v9, v9, s16
	s_mov_b32 s20, exec_lo
	global_store_b16 v11, v1, s[6:7] scale_offset
	global_store_b64 v9, v[2:3], s[8:9] scale_offset
.LBB56_446:                             ;   in Loop: Header=BB56_437 Depth=1
	s_wait_xcnt 0x0
	s_or_b32 exec_lo, exec_lo, s22
	s_delay_alu instid0(SALU_CYCLE_1)
	s_or_not1_b32 s22, s20, exec_lo
.LBB56_447:                             ;   in Loop: Header=BB56_437 Depth=1
	s_or_b32 exec_lo, exec_lo, s21
	s_mov_b32 s20, -1
	s_and_saveexec_b32 s21, s22
	s_cbranch_execz .LBB56_436
; %bb.448:                              ;   in Loop: Header=BB56_437 Depth=1
	v_cmp_le_u32_e64 s0, s17, v6
	v_add_nc_u32_e32 v4, s58, v4
	s_xor_b32 s20, exec_lo, -1
	s_or_not1_b32 s1, s0, exec_lo
	s_branch .LBB56_436
.LBB56_449:
	s_or_b32 exec_lo, exec_lo, s18
	s_delay_alu instid0(SALU_CYCLE_1)
	s_mov_b32 s1, exec_lo
	s_or_not1_b32 s0, s19, exec_lo
	s_or_b32 exec_lo, exec_lo, s10
	s_and_saveexec_b32 s4, s0
	s_cbranch_execz .LBB56_426
.LBB56_450:
	v_mov_b32_e32 v6, 0
	s_wait_storecnt 0x0
	s_wait_loadcnt_dscnt 0x0
	s_barrier_signal -1
	s_barrier_wait -1
	s_and_saveexec_b32 s0, s3
	s_cbranch_execz .LBB56_452
; %bb.451:
	global_load_u16 v6, v[12:13], off
.LBB56_452:
	s_wait_xcnt 0x0
	s_or_b32 exec_lo, exec_lo, s0
	s_mov_b32 s0, 0
	s_and_saveexec_b32 s3, vcc_lo
	s_cbranch_execz .LBB56_472
; %bb.453:
	v_add_nc_u32_e32 v1, s56, v0
	s_mov_b32 s10, 0
                                        ; implicit-def: $sgpr11
                                        ; implicit-def: $vgpr5
	s_delay_alu instid0(VALU_DEP_1)
	v_mul_lo_u32 v2, s57, v1
	v_mov_b32_e32 v1, 0
	s_branch .LBB56_456
.LBB56_454:                             ;   in Loop: Header=BB56_456 Depth=1
	s_or_b32 exec_lo, exec_lo, s20
	s_delay_alu instid0(SALU_CYCLE_1)
	s_or_not1_b32 s20, s18, exec_lo
	s_or_not1_b32 s19, s19, exec_lo
.LBB56_455:                             ;   in Loop: Header=BB56_456 Depth=1
	s_or_b32 exec_lo, exec_lo, s0
	s_xor_b32 s0, s20, -1
	s_and_b32 s18, exec_lo, s19
	v_dual_mov_b32 v0, v3 :: v_dual_mov_b32 v6, v4
	s_or_b32 s10, s18, s10
	s_and_not1_b32 s11, s11, exec_lo
	s_and_b32 s0, s0, exec_lo
	s_delay_alu instid0(SALU_CYCLE_1)
	s_or_b32 s11, s11, s0
	s_and_not1_b32 exec_lo, exec_lo, s10
	s_cbranch_execz .LBB56_470
.LBB56_456:                             ; =>This Inner Loop Header: Depth=1
	v_dual_mov_b32 v4, 0 :: v_dual_add_nc_u32 v3, s56, v0
	s_mov_b32 s0, exec_lo
	s_delay_alu instid0(VALU_DEP_1)
	v_cmpx_gt_u32_e64 s36, v3
	s_cbranch_execz .LBB56_458
; %bb.457:                              ;   in Loop: Header=BB56_456 Depth=1
	global_load_u16 v4, v2, s[38:39] scale_offset
.LBB56_458:                             ;   in Loop: Header=BB56_456 Depth=1
	s_wait_xcnt 0x0
	s_or_b32 exec_lo, exec_lo, s0
	v_cmp_gt_u32_e32 vcc_lo, s36, v0
	s_wait_loadcnt 0x0
	v_cmp_eq_u16_e64 s0, v6, v32
	s_and_b32 s18, vcc_lo, s0
	s_delay_alu instid0(SALU_CYCLE_1) | instskip(NEXT) | instid1(VALU_DEP_1)
	v_cndmask_b32_e64 v6, 0, 1, s18
	v_cmp_ne_u32_e32 vcc_lo, 0, v6
	s_cmp_lg_u32 vcc_lo, 0
	s_cselect_b32 s0, -1, 0
	s_delay_alu instid0(SALU_CYCLE_1) | instskip(NEXT) | instid1(SALU_CYCLE_1)
	s_and_b32 s0, s2, s0
	s_and_saveexec_b32 s19, s0
	s_cbranch_execz .LBB56_462
; %bb.459:                              ;   in Loop: Header=BB56_456 Depth=1
	s_mov_b32 s22, exec_lo
	s_bcnt1_i32_b32 s20, vcc_lo
	v_mbcnt_lo_u32_b32 v5, s22, 0
	s_mov_b32 s21, exec_lo
                                        ; implicit-def: $vgpr6
	s_delay_alu instid0(VALU_DEP_1)
	v_cmpx_eq_u32_e32 0, v5
; %bb.460:                              ;   in Loop: Header=BB56_456 Depth=1
	s_bcnt1_i32_b32 s0, s22
	s_delay_alu instid0(SALU_CYCLE_1) | instskip(NEXT) | instid1(SALU_CYCLE_1)
	s_mul_i32 s0, s20, s0
	v_mov_b32_e32 v6, s0
	ds_add_rtn_u32 v6, v1, v6 offset:4108
; %bb.461:                              ;   in Loop: Header=BB56_456 Depth=1
	s_or_b32 exec_lo, exec_lo, s21
	s_wait_dscnt 0x0
	v_readfirstlane_b32 s0, v6
	s_delay_alu instid0(VALU_DEP_1)
	v_mad_u32_u24 v5, s20, v5, s0
.LBB56_462:                             ;   in Loop: Header=BB56_456 Depth=1
	s_or_b32 exec_lo, exec_lo, s19
	ds_bpermute_b32 v5, v1, v5
	s_cmp_eq_u32 vcc_lo, 0
	s_mov_b32 s19, -1
	s_cselect_b32 s20, -1, 0
	s_wait_dscnt 0x0
	v_cmp_gt_u32_e64 s0, s37, v5
	s_or_b32 s21, s20, s0
	s_mov_b32 s20, -1
	s_and_saveexec_b32 s0, s21
	s_cbranch_execz .LBB56_455
; %bb.463:                              ;   in Loop: Header=BB56_456 Depth=1
	v_dual_sub_nc_u32 v7, s37, v5 :: v_dual_bitop2_b32 v6, vcc_lo, v10 bitop3:0x40
	s_mov_b32 s21, -1
	s_delay_alu instid0(VALU_DEP_1) | instskip(NEXT) | instid1(VALU_DEP_1)
	v_bcnt_u32_b32 v6, v6, 0
	v_bcnt_u32_b32 v6, 0, v6
	s_delay_alu instid0(VALU_DEP_1)
	v_cmp_gt_u32_e32 vcc_lo, v7, v6
	s_and_b32 s22, s18, vcc_lo
	s_mov_b32 s18, -1
	s_and_saveexec_b32 s20, s22
	s_cbranch_execz .LBB56_467
; %bb.464:                              ;   in Loop: Header=BB56_456 Depth=1
	v_add_nc_u32_e32 v6, v5, v6
	s_mov_b32 s21, 0
	s_mov_b32 s18, exec_lo
	s_delay_alu instid0(VALU_DEP_1)
	v_cmpx_gt_u32_e64 s37, v6
	s_cbranch_execz .LBB56_466
; %bb.465:                              ;   in Loop: Header=BB56_456 Depth=1
	s_wait_kmcnt 0x0
	v_mul_lo_u32 v7, v6, s5
	v_mul_lo_u32 v6, v6, s16
	s_mov_b32 s21, exec_lo
	global_store_b16 v7, v32, s[6:7] scale_offset
	global_store_b64 v6, v[0:1], s[8:9] scale_offset
.LBB56_466:                             ;   in Loop: Header=BB56_456 Depth=1
	s_wait_xcnt 0x0
	s_or_b32 exec_lo, exec_lo, s18
	s_delay_alu instid0(SALU_CYCLE_1)
	s_xor_b32 s18, exec_lo, -1
	s_or_not1_b32 s21, s21, exec_lo
.LBB56_467:                             ;   in Loop: Header=BB56_456 Depth=1
	s_or_b32 exec_lo, exec_lo, s20
	s_and_saveexec_b32 s20, s21
	s_cbranch_execz .LBB56_454
; %bb.468:                              ;   in Loop: Header=BB56_456 Depth=1
	v_cmp_le_u32_e32 vcc_lo, s17, v3
	v_add_nc_u32_e32 v2, s58, v2
	s_or_b32 s18, s18, exec_lo
	s_or_not1_b32 s19, vcc_lo, exec_lo
	s_branch .LBB56_454
.LBB56_469:
	s_or_b32 s8, s8, exec_lo
	s_trap 2
	s_branch .LBB56_433
.LBB56_470:
	s_or_b32 exec_lo, exec_lo, s10
	s_mov_b32 s0, 0
	s_and_saveexec_b32 s2, s11
	s_delay_alu instid0(SALU_CYCLE_1)
	s_xor_b32 s2, exec_lo, s2
	s_cbranch_execnz .LBB56_476
.LBB56_471:
	s_or_b32 exec_lo, exec_lo, s2
	s_delay_alu instid0(SALU_CYCLE_1)
	s_and_b32 s0, s0, exec_lo
.LBB56_472:
	s_or_b32 exec_lo, exec_lo, s3
	s_delay_alu instid0(SALU_CYCLE_1) | instskip(SKIP_3) | instid1(SALU_CYCLE_1)
	s_and_b32 s11, s0, exec_lo
	s_and_not1_b32 s1, s1, exec_lo
	s_or_b32 exec_lo, exec_lo, s4
	s_and_saveexec_b32 s0, s1
	s_xor_b32 s0, exec_lo, s0
	s_cbranch_execz .LBB56_427
.LBB56_473:
	s_or_b32 s11, s11, exec_lo
	s_trap 2
	s_branch .LBB56_427
.LBB56_474:
	s_or_b32 s8, s8, exec_lo
	s_trap 2
	s_branch .LBB56_431
.LBB56_475:
	s_or_b32 s8, s8, exec_lo
	s_trap 2
	s_branch .LBB56_429
.LBB56_476:
	s_mov_b32 s0, exec_lo
	s_trap 2
	s_branch .LBB56_471
	.section	.rodata,"a",@progbits
	.p2align	6, 0x0
	.amdhsa_kernel _ZN2at6native6sbtopk10gatherTopKIsjLi1ELb0EEEvNS_4cuda6detail10TensorInfoIKT_T0_EES8_S8_bS8_S8_NS5_IS6_S8_EES8_NS5_IlS8_EES8_PS6_
		.amdhsa_group_segment_fixed_size 4112
		.amdhsa_private_segment_fixed_size 0
		.amdhsa_kernarg_size 952
		.amdhsa_user_sgpr_count 2
		.amdhsa_user_sgpr_dispatch_ptr 0
		.amdhsa_user_sgpr_queue_ptr 0
		.amdhsa_user_sgpr_kernarg_segment_ptr 1
		.amdhsa_user_sgpr_dispatch_id 0
		.amdhsa_user_sgpr_kernarg_preload_length 0
		.amdhsa_user_sgpr_kernarg_preload_offset 0
		.amdhsa_user_sgpr_private_segment_size 0
		.amdhsa_wavefront_size32 1
		.amdhsa_uses_dynamic_stack 0
		.amdhsa_enable_private_segment 0
		.amdhsa_system_sgpr_workgroup_id_x 1
		.amdhsa_system_sgpr_workgroup_id_y 1
		.amdhsa_system_sgpr_workgroup_id_z 1
		.amdhsa_system_sgpr_workgroup_info 0
		.amdhsa_system_vgpr_workitem_id 0
		.amdhsa_next_free_vgpr 65
		.amdhsa_next_free_sgpr 104
		.amdhsa_named_barrier_count 0
		.amdhsa_reserve_vcc 1
		.amdhsa_float_round_mode_32 0
		.amdhsa_float_round_mode_16_64 0
		.amdhsa_float_denorm_mode_32 3
		.amdhsa_float_denorm_mode_16_64 3
		.amdhsa_fp16_overflow 0
		.amdhsa_memory_ordered 1
		.amdhsa_forward_progress 1
		.amdhsa_inst_pref_size 129
		.amdhsa_round_robin_scheduling 0
		.amdhsa_exception_fp_ieee_invalid_op 0
		.amdhsa_exception_fp_denorm_src 0
		.amdhsa_exception_fp_ieee_div_zero 0
		.amdhsa_exception_fp_ieee_overflow 0
		.amdhsa_exception_fp_ieee_underflow 0
		.amdhsa_exception_fp_ieee_inexact 0
		.amdhsa_exception_int_div_zero 0
	.end_amdhsa_kernel
	.section	.text._ZN2at6native6sbtopk10gatherTopKIsjLi1ELb0EEEvNS_4cuda6detail10TensorInfoIKT_T0_EES8_S8_bS8_S8_NS5_IS6_S8_EES8_NS5_IlS8_EES8_PS6_,"axG",@progbits,_ZN2at6native6sbtopk10gatherTopKIsjLi1ELb0EEEvNS_4cuda6detail10TensorInfoIKT_T0_EES8_S8_bS8_S8_NS5_IS6_S8_EES8_NS5_IlS8_EES8_PS6_,comdat
.Lfunc_end56:
	.size	_ZN2at6native6sbtopk10gatherTopKIsjLi1ELb0EEEvNS_4cuda6detail10TensorInfoIKT_T0_EES8_S8_bS8_S8_NS5_IS6_S8_EES8_NS5_IlS8_EES8_PS6_, .Lfunc_end56-_ZN2at6native6sbtopk10gatherTopKIsjLi1ELb0EEEvNS_4cuda6detail10TensorInfoIKT_T0_EES8_S8_bS8_S8_NS5_IS6_S8_EES8_NS5_IlS8_EES8_PS6_
                                        ; -- End function
	.set _ZN2at6native6sbtopk10gatherTopKIsjLi1ELb0EEEvNS_4cuda6detail10TensorInfoIKT_T0_EES8_S8_bS8_S8_NS5_IS6_S8_EES8_NS5_IlS8_EES8_PS6_.num_vgpr, 65
	.set _ZN2at6native6sbtopk10gatherTopKIsjLi1ELb0EEEvNS_4cuda6detail10TensorInfoIKT_T0_EES8_S8_bS8_S8_NS5_IS6_S8_EES8_NS5_IlS8_EES8_PS6_.num_agpr, 0
	.set _ZN2at6native6sbtopk10gatherTopKIsjLi1ELb0EEEvNS_4cuda6detail10TensorInfoIKT_T0_EES8_S8_bS8_S8_NS5_IS6_S8_EES8_NS5_IlS8_EES8_PS6_.numbered_sgpr, 104
	.set _ZN2at6native6sbtopk10gatherTopKIsjLi1ELb0EEEvNS_4cuda6detail10TensorInfoIKT_T0_EES8_S8_bS8_S8_NS5_IS6_S8_EES8_NS5_IlS8_EES8_PS6_.num_named_barrier, 0
	.set _ZN2at6native6sbtopk10gatherTopKIsjLi1ELb0EEEvNS_4cuda6detail10TensorInfoIKT_T0_EES8_S8_bS8_S8_NS5_IS6_S8_EES8_NS5_IlS8_EES8_PS6_.private_seg_size, 0
	.set _ZN2at6native6sbtopk10gatherTopKIsjLi1ELb0EEEvNS_4cuda6detail10TensorInfoIKT_T0_EES8_S8_bS8_S8_NS5_IS6_S8_EES8_NS5_IlS8_EES8_PS6_.uses_vcc, 1
	.set _ZN2at6native6sbtopk10gatherTopKIsjLi1ELb0EEEvNS_4cuda6detail10TensorInfoIKT_T0_EES8_S8_bS8_S8_NS5_IS6_S8_EES8_NS5_IlS8_EES8_PS6_.uses_flat_scratch, 0
	.set _ZN2at6native6sbtopk10gatherTopKIsjLi1ELb0EEEvNS_4cuda6detail10TensorInfoIKT_T0_EES8_S8_bS8_S8_NS5_IS6_S8_EES8_NS5_IlS8_EES8_PS6_.has_dyn_sized_stack, 0
	.set _ZN2at6native6sbtopk10gatherTopKIsjLi1ELb0EEEvNS_4cuda6detail10TensorInfoIKT_T0_EES8_S8_bS8_S8_NS5_IS6_S8_EES8_NS5_IlS8_EES8_PS6_.has_recursion, 0
	.set _ZN2at6native6sbtopk10gatherTopKIsjLi1ELb0EEEvNS_4cuda6detail10TensorInfoIKT_T0_EES8_S8_bS8_S8_NS5_IS6_S8_EES8_NS5_IlS8_EES8_PS6_.has_indirect_call, 0
	.section	.AMDGPU.csdata,"",@progbits
; Kernel info:
; codeLenInByte = 16440
; TotalNumSgprs: 106
; NumVgprs: 65
; ScratchSize: 0
; MemoryBound: 0
; FloatMode: 240
; IeeeMode: 1
; LDSByteSize: 4112 bytes/workgroup (compile time only)
; SGPRBlocks: 0
; VGPRBlocks: 4
; NumSGPRsForWavesPerEU: 106
; NumVGPRsForWavesPerEU: 65
; NamedBarCnt: 0
; Occupancy: 12
; WaveLimiterHint : 1
; COMPUTE_PGM_RSRC2:SCRATCH_EN: 0
; COMPUTE_PGM_RSRC2:USER_SGPR: 2
; COMPUTE_PGM_RSRC2:TRAP_HANDLER: 0
; COMPUTE_PGM_RSRC2:TGID_X_EN: 1
; COMPUTE_PGM_RSRC2:TGID_Y_EN: 1
; COMPUTE_PGM_RSRC2:TGID_Z_EN: 1
; COMPUTE_PGM_RSRC2:TIDIG_COMP_CNT: 0
	.section	.text._ZN2at6native6mbtopk23computeBlockDigitCountsIsjjLi2EEEvNS_4cuda6detail10TensorInfoIKT_T0_EEjPjjS8_iijT1_PSB_Ps,"axG",@progbits,_ZN2at6native6mbtopk23computeBlockDigitCountsIsjjLi2EEEvNS_4cuda6detail10TensorInfoIKT_T0_EEjPjjS8_iijT1_PSB_Ps,comdat
	.protected	_ZN2at6native6mbtopk23computeBlockDigitCountsIsjjLi2EEEvNS_4cuda6detail10TensorInfoIKT_T0_EEjPjjS8_iijT1_PSB_Ps ; -- Begin function _ZN2at6native6mbtopk23computeBlockDigitCountsIsjjLi2EEEvNS_4cuda6detail10TensorInfoIKT_T0_EEjPjjS8_iijT1_PSB_Ps
	.globl	_ZN2at6native6mbtopk23computeBlockDigitCountsIsjjLi2EEEvNS_4cuda6detail10TensorInfoIKT_T0_EEjPjjS8_iijT1_PSB_Ps
	.p2align	8
	.type	_ZN2at6native6mbtopk23computeBlockDigitCountsIsjjLi2EEEvNS_4cuda6detail10TensorInfoIKT_T0_EEjPjjS8_iijT1_PSB_Ps,@function
_ZN2at6native6mbtopk23computeBlockDigitCountsIsjjLi2EEEvNS_4cuda6detail10TensorInfoIKT_T0_EEjPjjS8_iijT1_PSB_Ps: ; @_ZN2at6native6mbtopk23computeBlockDigitCountsIsjjLi2EEEvNS_4cuda6detail10TensorInfoIKT_T0_EEjPjjS8_iijT1_PSB_Ps
; %bb.0:
	s_load_b64 s[2:3], s[0:1], 0xf8
	s_bfe_u32 s4, ttmp6, 0x40010
	s_and_b32 s6, ttmp7, 0xffff
	s_add_co_i32 s7, s4, 1
	s_bfe_u32 s8, ttmp6, 0x40004
	s_mul_i32 s7, s6, s7
	s_load_b64 s[4:5], s[0:1], 0x110
	s_add_co_i32 s7, s8, s7
	s_bfe_u32 s9, ttmp6, 0x4000c
	s_bfe_u32 s11, ttmp6, 0x40014
	s_add_co_i32 s9, s9, 1
	s_and_b32 s10, ttmp6, 15
	s_mul_i32 s9, ttmp9, s9
	s_add_co_i32 s11, s11, 1
	s_add_co_i32 s12, s10, s9
	s_bfe_u32 s10, ttmp6, 0x40008
	s_mov_b32 s15, 0
	s_wait_kmcnt 0x0
	s_cvt_f32_u32 s8, s2
	s_delay_alu instid0(SALU_CYCLE_3) | instskip(SKIP_1) | instid1(SALU_CYCLE_1)
	v_rcp_iflag_f32_e32 v1, s8
	s_lshr_b32 s8, ttmp7, 16
	s_mul_i32 s9, s8, s11
	s_getreg_b32 s11, hwreg(HW_REG_IB_STS2, 6, 4)
	s_add_co_i32 s10, s10, s9
	s_cmp_eq_u32 s11, 0
	v_nop
	v_readfirstlane_b32 s13, v1
	s_cselect_b32 s14, s8, s10
	s_load_b128 s[8:11], s[0:1], 0xe8
	s_mul_i32 s5, s5, s14
	s_cselect_b32 s12, ttmp9, s12
	s_mul_f32 s13, s13, 0x4f7ffffe
	s_cselect_b32 s6, s6, s7
	s_sub_co_i32 s7, 0, s2
	s_add_co_i32 s5, s5, s6
	s_cvt_u32_f32 s13, s13
	s_mul_i32 s16, s5, s4
	s_delay_alu instid0(SALU_CYCLE_1) | instskip(NEXT) | instid1(SALU_CYCLE_1)
	s_add_co_i32 s16, s16, s12
	s_mul_i32 s7, s7, s13
	s_delay_alu instid0(SALU_CYCLE_1) | instskip(NEXT) | instid1(SALU_CYCLE_1)
	s_mul_hi_u32 s4, s13, s7
	s_add_co_i32 s13, s13, s4
	s_delay_alu instid0(SALU_CYCLE_1) | instskip(NEXT) | instid1(SALU_CYCLE_1)
	s_mul_hi_u32 s4, s16, s13
	s_mul_i32 s5, s4, s2
	s_add_co_i32 s6, s4, 1
	s_sub_co_i32 s5, s16, s5
	s_delay_alu instid0(SALU_CYCLE_1)
	s_sub_co_i32 s7, s5, s2
	s_cmp_ge_u32 s5, s2
	s_cselect_b32 s4, s6, s4
	s_cselect_b32 s5, s7, s5
	s_add_co_i32 s6, s4, 1
	s_cmp_ge_u32 s5, s2
	s_cselect_b32 s14, s6, s4
	s_wait_kmcnt 0x0
	s_cmp_ge_u32 s14, s8
	s_cbranch_scc1 .LBB57_27
; %bb.1:
	s_load_b32 s18, s[0:1], 0xc
	v_cmp_gt_u32_e32 vcc_lo, 0x100, v0
	s_wait_kmcnt 0x0
	s_cvt_f32_u32 s4, s18
	s_delay_alu instid0(SALU_CYCLE_3) | instskip(SKIP_1) | instid1(TRANS32_DEP_1)
	v_rcp_iflag_f32_e32 v1, s4
	v_nop
	v_readfirstlane_b32 s19, v1
	v_lshlrev_b32_e32 v1, 2, v0
	s_and_saveexec_b32 s4, vcc_lo
; %bb.2:
	v_mov_b32_e32 v2, 0
	ds_store_b32 v1, v2
; %bb.3:
	s_or_b32 exec_lo, exec_lo, s4
	s_clause 0x1
	s_load_b32 s8, s[0:1], 0xd8
	s_load_b128 s[4:7], s[0:1], 0x100
	s_mul_i32 s12, s14, s2
	s_mov_b32 s13, 0
	s_sub_co_i32 s22, s16, s12
	s_wait_dscnt 0x0
	s_mul_i32 s12, s11, s22
	s_add_co_i32 s22, s22, 1
	s_lshl_b32 s17, s12, 8
	s_barrier_signal -1
	s_barrier_wait -1
	s_wait_kmcnt 0x0
	s_sub_co_i32 s12, s8, s17
	s_delay_alu instid0(SALU_CYCLE_1) | instskip(NEXT) | instid1(SALU_CYCLE_1)
	s_add_nc_u64 s[20:21], s[12:13], 0xff
	s_lshr_b64 s[20:21], s[20:21], 8
	s_cmp_lt_u32 s22, s2
	s_cselect_b32 s11, s11, s20
	s_delay_alu instid0(SALU_CYCLE_1)
	s_cmp_lt_i32 s11, 1
	s_cbranch_scc1 .LBB57_25
; %bb.4:
	s_mul_f32 s2, s19, 0x4f7ffffe
	s_sub_co_i32 s12, 0, s18
	s_mov_b32 s21, s15
	s_clause 0x1
	s_load_b64 s[22:23], s[0:1], 0x6c
	s_load_b64 s[24:25], s[0:1], 0x0
	s_cvt_u32_f32 s2, s2
	s_wait_xcnt 0x0
	s_load_b32 s1, s[4:5], s14 offset:0x0 scale_offset
	s_delay_alu instid0(SALU_CYCLE_1) | instskip(NEXT) | instid1(SALU_CYCLE_1)
	s_mul_i32 s12, s12, s2
	s_mul_hi_u32 s12, s2, s12
	s_delay_alu instid0(SALU_CYCLE_1) | instskip(NEXT) | instid1(SALU_CYCLE_1)
	s_add_co_i32 s20, s2, s12
	s_mul_u64 s[20:21], s[14:15], s[20:21]
	s_delay_alu instid0(SALU_CYCLE_1) | instskip(NEXT) | instid1(SALU_CYCLE_1)
	s_mul_i32 s2, s21, s18
	s_sub_co_i32 s0, s14, s2
	s_add_co_i32 s2, s21, 1
	s_sub_co_i32 s12, s0, s18
	s_cmp_ge_u32 s0, s18
	s_cselect_b32 s2, s2, s21
	s_cselect_b32 s0, s12, s0
	s_wait_xcnt 0x0
	s_add_co_i32 s4, s2, 1
	s_cmp_ge_u32 s0, s18
	s_cselect_b32 s0, s4, s2
	s_delay_alu instid0(SALU_CYCLE_1) | instskip(SKIP_3) | instid1(SALU_CYCLE_1)
	s_mul_i32 s2, s0, s18
	s_wait_kmcnt 0x0
	s_mul_i32 s0, s0, s22
	s_sub_co_i32 s2, s14, s2
	s_mul_i32 s2, s2, s23
	s_delay_alu instid0(SALU_CYCLE_1)
	s_add_co_i32 s12, s0, s2
	s_and_b32 s2, s10, 0xff
	s_lshl_b64 s[4:5], s[12:13], 1
	s_cmp_lt_u32 s11, 4
	s_add_nc_u64 s[4:5], s[24:25], s[4:5]
	s_cbranch_scc1 .LBB57_19
; %bb.5:
	v_dual_mov_b32 v7, 1 :: v_dual_add_nc_u32 v6, s17, v0
	s_and_b32 s13, s11, 0x7ffffffc
	s_lshl_b32 s10, s9, 10
	s_mov_b32 s12, 0
	s_delay_alu instid0(VALU_DEP_1)
	v_add_nc_u32_e32 v2, 0x300, v6
	v_add_nc_u32_e32 v4, 0x200, v6
	;; [unrolled: 1-line block ×3, first 2 shown]
	v_mul_lo_u32 v6, s9, v6
	s_mov_b32 s14, 0
	v_mul_lo_u32 v3, s9, v2
	v_mul_lo_u32 v4, s9, v4
	;; [unrolled: 1-line block ×3, first 2 shown]
	s_branch .LBB57_7
.LBB57_6:                               ;   in Loop: Header=BB57_7 Depth=1
	s_or_b32 exec_lo, exec_lo, s15
	v_add_nc_u32_e32 v2, 0x400, v2
	s_add_co_i32 s14, s14, 4
	s_add_co_i32 s12, s12, s10
	s_cmp_eq_u32 s13, s14
	s_cbranch_scc1 .LBB57_19
.LBB57_7:                               ; =>This Inner Loop Header: Depth=1
	v_add_nc_u32_e32 v8, 0xfffffd00, v2
	s_mov_b32 s15, exec_lo
	s_delay_alu instid0(VALU_DEP_1)
	v_cmpx_gt_u32_e64 s8, v8
	s_cbranch_execz .LBB57_10
; %bb.8:                                ;   in Loop: Header=BB57_7 Depth=1
	v_add_nc_u32_e32 v8, s12, v6
	global_load_i16 v8, v8, s[4:5] scale_offset
	s_wait_loadcnt 0x0
	s_wait_xcnt 0x0
	v_add_nc_u32_e32 v8, 0x8000, v8
	s_delay_alu instid0(VALU_DEP_1) | instskip(NEXT) | instid1(VALU_DEP_1)
	v_bitop3_b32 v9, v8, s3, s1 bitop3:0x48
	v_cmp_eq_u32_e64 s0, 0, v9
	s_and_b32 exec_lo, exec_lo, s0
; %bb.9:                                ;   in Loop: Header=BB57_7 Depth=1
	v_bfe_u32 v8, v8, s2, 8
	s_delay_alu instid0(VALU_DEP_1)
	v_lshlrev_b32_e32 v8, 2, v8
	ds_add_u32 v8, v7
.LBB57_10:                              ;   in Loop: Header=BB57_7 Depth=1
	s_or_b32 exec_lo, exec_lo, s15
	v_add_nc_u32_e32 v8, 0xfffffe00, v2
	s_mov_b32 s15, exec_lo
	s_delay_alu instid0(VALU_DEP_1)
	v_cmpx_gt_u32_e64 s8, v8
	s_cbranch_execz .LBB57_13
; %bb.11:                               ;   in Loop: Header=BB57_7 Depth=1
	v_add_nc_u32_e32 v8, s12, v5
	global_load_i16 v8, v8, s[4:5] scale_offset
	s_wait_loadcnt 0x0
	v_add_nc_u32_e32 v8, 0x8000, v8
	s_delay_alu instid0(VALU_DEP_1) | instskip(NEXT) | instid1(VALU_DEP_1)
	v_bitop3_b32 v9, v8, s3, s1 bitop3:0x48
	v_cmp_eq_u32_e64 s0, 0, v9
	s_and_b32 exec_lo, exec_lo, s0
; %bb.12:                               ;   in Loop: Header=BB57_7 Depth=1
	v_bfe_u32 v8, v8, s2, 8
	s_delay_alu instid0(VALU_DEP_1)
	v_lshlrev_b32_e32 v8, 2, v8
	ds_add_u32 v8, v7
.LBB57_13:                              ;   in Loop: Header=BB57_7 Depth=1
	s_or_b32 exec_lo, exec_lo, s15
	v_add_nc_u32_e32 v8, 0xffffff00, v2
	s_mov_b32 s15, exec_lo
	s_delay_alu instid0(VALU_DEP_1)
	v_cmpx_gt_u32_e64 s8, v8
	s_cbranch_execz .LBB57_16
; %bb.14:                               ;   in Loop: Header=BB57_7 Depth=1
	v_add_nc_u32_e32 v8, s12, v4
	global_load_i16 v8, v8, s[4:5] scale_offset
	s_wait_loadcnt 0x0
	v_add_nc_u32_e32 v8, 0x8000, v8
	s_delay_alu instid0(VALU_DEP_1) | instskip(NEXT) | instid1(VALU_DEP_1)
	v_bitop3_b32 v9, v8, s3, s1 bitop3:0x48
	v_cmp_eq_u32_e64 s0, 0, v9
	s_and_b32 exec_lo, exec_lo, s0
; %bb.15:                               ;   in Loop: Header=BB57_7 Depth=1
	v_bfe_u32 v8, v8, s2, 8
	s_delay_alu instid0(VALU_DEP_1)
	v_lshlrev_b32_e32 v8, 2, v8
	ds_add_u32 v8, v7
.LBB57_16:                              ;   in Loop: Header=BB57_7 Depth=1
	s_or_b32 exec_lo, exec_lo, s15
	s_delay_alu instid0(SALU_CYCLE_1)
	s_mov_b32 s15, exec_lo
	v_cmpx_gt_u32_e64 s8, v2
	s_cbranch_execz .LBB57_6
; %bb.17:                               ;   in Loop: Header=BB57_7 Depth=1
	v_add_nc_u32_e32 v8, s12, v3
	global_load_i16 v8, v8, s[4:5] scale_offset
	s_wait_loadcnt 0x0
	v_add_nc_u32_e32 v8, 0x8000, v8
	s_delay_alu instid0(VALU_DEP_1) | instskip(NEXT) | instid1(VALU_DEP_1)
	v_bitop3_b32 v9, v8, s3, s1 bitop3:0x48
	v_cmp_eq_u32_e64 s0, 0, v9
	s_and_b32 exec_lo, exec_lo, s0
	s_cbranch_execz .LBB57_6
; %bb.18:                               ;   in Loop: Header=BB57_7 Depth=1
	v_bfe_u32 v8, v8, s2, 8
	s_delay_alu instid0(VALU_DEP_1)
	v_lshlrev_b32_e32 v8, 2, v8
	ds_add_u32 v8, v7
	s_branch .LBB57_6
.LBB57_19:
	s_and_b32 s10, s11, 3
	s_delay_alu instid0(SALU_CYCLE_1)
	s_cmp_eq_u32 s10, 0
	s_cbranch_scc1 .LBB57_25
; %bb.20:
	s_lshl_b32 s0, s13, 8
	v_mov_b32_e32 v4, 1
	v_add3_u32 v2, s0, s17, v0
	s_delay_alu instid0(VALU_DEP_1)
	v_mul_lo_u32 v3, s9, v2
	s_lshl_b32 s9, s9, 8
	s_branch .LBB57_22
.LBB57_21:                              ;   in Loop: Header=BB57_22 Depth=1
	s_or_b32 exec_lo, exec_lo, s11
	s_delay_alu instid0(VALU_DEP_2) | instskip(SKIP_2) | instid1(SALU_CYCLE_1)
	v_add_nc_u32_e32 v3, s9, v3
	v_add_nc_u32_e32 v2, 0x100, v2
	s_add_co_i32 s10, s10, -1
	s_cmp_lg_u32 s10, 0
	s_cbranch_scc0 .LBB57_25
.LBB57_22:                              ; =>This Inner Loop Header: Depth=1
	s_mov_b32 s11, exec_lo
	v_cmpx_gt_u32_e64 s8, v2
	s_cbranch_execz .LBB57_21
; %bb.23:                               ;   in Loop: Header=BB57_22 Depth=1
	global_load_i16 v5, v3, s[4:5] scale_offset
	s_wait_loadcnt 0x0
	v_add_nc_u32_e32 v5, 0x8000, v5
	s_delay_alu instid0(VALU_DEP_1) | instskip(NEXT) | instid1(VALU_DEP_1)
	v_bitop3_b32 v6, v5, s3, s1 bitop3:0x48
	v_cmp_eq_u32_e64 s0, 0, v6
	s_and_b32 exec_lo, exec_lo, s0
	s_cbranch_execz .LBB57_21
; %bb.24:                               ;   in Loop: Header=BB57_22 Depth=1
	v_bfe_u32 v5, v5, s2, 8
	s_delay_alu instid0(VALU_DEP_1)
	v_lshlrev_b32_e32 v5, 2, v5
	ds_add_u32 v5, v4
	s_branch .LBB57_21
.LBB57_25:
	s_wait_dscnt 0x0
	s_barrier_signal -1
	s_barrier_wait -1
	s_and_saveexec_b32 s0, vcc_lo
	s_cbranch_execz .LBB57_27
; %bb.26:
	ds_load_b32 v1, v1
	v_lshl_or_b32 v0, s16, 8, v0
	s_wait_dscnt 0x0
	global_store_b16 v0, v1, s[6:7] scale_offset
.LBB57_27:
	s_endpgm
	.section	.rodata,"a",@progbits
	.p2align	6, 0x0
	.amdhsa_kernel _ZN2at6native6mbtopk23computeBlockDigitCountsIsjjLi2EEEvNS_4cuda6detail10TensorInfoIKT_T0_EEjPjjS8_iijT1_PSB_Ps
		.amdhsa_group_segment_fixed_size 1024
		.amdhsa_private_segment_fixed_size 0
		.amdhsa_kernarg_size 528
		.amdhsa_user_sgpr_count 2
		.amdhsa_user_sgpr_dispatch_ptr 0
		.amdhsa_user_sgpr_queue_ptr 0
		.amdhsa_user_sgpr_kernarg_segment_ptr 1
		.amdhsa_user_sgpr_dispatch_id 0
		.amdhsa_user_sgpr_kernarg_preload_length 0
		.amdhsa_user_sgpr_kernarg_preload_offset 0
		.amdhsa_user_sgpr_private_segment_size 0
		.amdhsa_wavefront_size32 1
		.amdhsa_uses_dynamic_stack 0
		.amdhsa_enable_private_segment 0
		.amdhsa_system_sgpr_workgroup_id_x 1
		.amdhsa_system_sgpr_workgroup_id_y 1
		.amdhsa_system_sgpr_workgroup_id_z 1
		.amdhsa_system_sgpr_workgroup_info 0
		.amdhsa_system_vgpr_workitem_id 0
		.amdhsa_next_free_vgpr 10
		.amdhsa_next_free_sgpr 26
		.amdhsa_named_barrier_count 0
		.amdhsa_reserve_vcc 1
		.amdhsa_float_round_mode_32 0
		.amdhsa_float_round_mode_16_64 0
		.amdhsa_float_denorm_mode_32 3
		.amdhsa_float_denorm_mode_16_64 3
		.amdhsa_fp16_overflow 0
		.amdhsa_memory_ordered 1
		.amdhsa_forward_progress 1
		.amdhsa_inst_pref_size 12
		.amdhsa_round_robin_scheduling 0
		.amdhsa_exception_fp_ieee_invalid_op 0
		.amdhsa_exception_fp_denorm_src 0
		.amdhsa_exception_fp_ieee_div_zero 0
		.amdhsa_exception_fp_ieee_overflow 0
		.amdhsa_exception_fp_ieee_underflow 0
		.amdhsa_exception_fp_ieee_inexact 0
		.amdhsa_exception_int_div_zero 0
	.end_amdhsa_kernel
	.section	.text._ZN2at6native6mbtopk23computeBlockDigitCountsIsjjLi2EEEvNS_4cuda6detail10TensorInfoIKT_T0_EEjPjjS8_iijT1_PSB_Ps,"axG",@progbits,_ZN2at6native6mbtopk23computeBlockDigitCountsIsjjLi2EEEvNS_4cuda6detail10TensorInfoIKT_T0_EEjPjjS8_iijT1_PSB_Ps,comdat
.Lfunc_end57:
	.size	_ZN2at6native6mbtopk23computeBlockDigitCountsIsjjLi2EEEvNS_4cuda6detail10TensorInfoIKT_T0_EEjPjjS8_iijT1_PSB_Ps, .Lfunc_end57-_ZN2at6native6mbtopk23computeBlockDigitCountsIsjjLi2EEEvNS_4cuda6detail10TensorInfoIKT_T0_EEjPjjS8_iijT1_PSB_Ps
                                        ; -- End function
	.set _ZN2at6native6mbtopk23computeBlockDigitCountsIsjjLi2EEEvNS_4cuda6detail10TensorInfoIKT_T0_EEjPjjS8_iijT1_PSB_Ps.num_vgpr, 10
	.set _ZN2at6native6mbtopk23computeBlockDigitCountsIsjjLi2EEEvNS_4cuda6detail10TensorInfoIKT_T0_EEjPjjS8_iijT1_PSB_Ps.num_agpr, 0
	.set _ZN2at6native6mbtopk23computeBlockDigitCountsIsjjLi2EEEvNS_4cuda6detail10TensorInfoIKT_T0_EEjPjjS8_iijT1_PSB_Ps.numbered_sgpr, 26
	.set _ZN2at6native6mbtopk23computeBlockDigitCountsIsjjLi2EEEvNS_4cuda6detail10TensorInfoIKT_T0_EEjPjjS8_iijT1_PSB_Ps.num_named_barrier, 0
	.set _ZN2at6native6mbtopk23computeBlockDigitCountsIsjjLi2EEEvNS_4cuda6detail10TensorInfoIKT_T0_EEjPjjS8_iijT1_PSB_Ps.private_seg_size, 0
	.set _ZN2at6native6mbtopk23computeBlockDigitCountsIsjjLi2EEEvNS_4cuda6detail10TensorInfoIKT_T0_EEjPjjS8_iijT1_PSB_Ps.uses_vcc, 1
	.set _ZN2at6native6mbtopk23computeBlockDigitCountsIsjjLi2EEEvNS_4cuda6detail10TensorInfoIKT_T0_EEjPjjS8_iijT1_PSB_Ps.uses_flat_scratch, 0
	.set _ZN2at6native6mbtopk23computeBlockDigitCountsIsjjLi2EEEvNS_4cuda6detail10TensorInfoIKT_T0_EEjPjjS8_iijT1_PSB_Ps.has_dyn_sized_stack, 0
	.set _ZN2at6native6mbtopk23computeBlockDigitCountsIsjjLi2EEEvNS_4cuda6detail10TensorInfoIKT_T0_EEjPjjS8_iijT1_PSB_Ps.has_recursion, 0
	.set _ZN2at6native6mbtopk23computeBlockDigitCountsIsjjLi2EEEvNS_4cuda6detail10TensorInfoIKT_T0_EEjPjjS8_iijT1_PSB_Ps.has_indirect_call, 0
	.section	.AMDGPU.csdata,"",@progbits
; Kernel info:
; codeLenInByte = 1412
; TotalNumSgprs: 28
; NumVgprs: 10
; ScratchSize: 0
; MemoryBound: 0
; FloatMode: 240
; IeeeMode: 1
; LDSByteSize: 1024 bytes/workgroup (compile time only)
; SGPRBlocks: 0
; VGPRBlocks: 0
; NumSGPRsForWavesPerEU: 28
; NumVGPRsForWavesPerEU: 10
; NamedBarCnt: 0
; Occupancy: 16
; WaveLimiterHint : 1
; COMPUTE_PGM_RSRC2:SCRATCH_EN: 0
; COMPUTE_PGM_RSRC2:USER_SGPR: 2
; COMPUTE_PGM_RSRC2:TRAP_HANDLER: 0
; COMPUTE_PGM_RSRC2:TGID_X_EN: 1
; COMPUTE_PGM_RSRC2:TGID_Y_EN: 1
; COMPUTE_PGM_RSRC2:TGID_Z_EN: 1
; COMPUTE_PGM_RSRC2:TIDIG_COMP_CNT: 0
	.section	.text._ZN2at6native6mbtopk10gatherTopKIsjLi2EEEvNS_4cuda6detail10TensorInfoIKT_T0_EES8_S8_bjS8_NS5_IS6_S8_EES8_NS5_IlS8_EES8_jjPS6_PjSD_j,"axG",@progbits,_ZN2at6native6mbtopk10gatherTopKIsjLi2EEEvNS_4cuda6detail10TensorInfoIKT_T0_EES8_S8_bjS8_NS5_IS6_S8_EES8_NS5_IlS8_EES8_jjPS6_PjSD_j,comdat
	.protected	_ZN2at6native6mbtopk10gatherTopKIsjLi2EEEvNS_4cuda6detail10TensorInfoIKT_T0_EES8_S8_bjS8_NS5_IS6_S8_EES8_NS5_IlS8_EES8_jjPS6_PjSD_j ; -- Begin function _ZN2at6native6mbtopk10gatherTopKIsjLi2EEEvNS_4cuda6detail10TensorInfoIKT_T0_EES8_S8_bjS8_NS5_IS6_S8_EES8_NS5_IlS8_EES8_jjPS6_PjSD_j
	.globl	_ZN2at6native6mbtopk10gatherTopKIsjLi2EEEvNS_4cuda6detail10TensorInfoIKT_T0_EES8_S8_bjS8_NS5_IS6_S8_EES8_NS5_IlS8_EES8_jjPS6_PjSD_j
	.p2align	8
	.type	_ZN2at6native6mbtopk10gatherTopKIsjLi2EEEvNS_4cuda6detail10TensorInfoIKT_T0_EES8_S8_bjS8_NS5_IS6_S8_EES8_NS5_IlS8_EES8_jjPS6_PjSD_j,@function
_ZN2at6native6mbtopk10gatherTopKIsjLi2EEEvNS_4cuda6detail10TensorInfoIKT_T0_EES8_S8_bjS8_NS5_IS6_S8_EES8_NS5_IlS8_EES8_jjPS6_PjSD_j: ; @_ZN2at6native6mbtopk10gatherTopKIsjLi2EEEvNS_4cuda6detail10TensorInfoIKT_T0_EES8_S8_bjS8_NS5_IS6_S8_EES8_NS5_IlS8_EES8_jjPS6_PjSD_j
; %bb.0:
	s_bfe_u32 s2, ttmp6, 0x40010
	s_and_b32 s4, ttmp7, 0xffff
	s_add_co_i32 s5, s2, 1
	s_clause 0x1
	s_load_b32 s6, s[0:1], 0x2d0
	s_load_b64 s[2:3], s[0:1], 0x2d8
	s_bfe_u32 s8, ttmp6, 0x4000c
	s_mul_i32 s5, s4, s5
	s_bfe_u32 s7, ttmp6, 0x40004
	s_add_co_i32 s8, s8, 1
	s_bfe_u32 s9, ttmp6, 0x40014
	s_add_co_i32 s7, s7, s5
	s_and_b32 s5, ttmp6, 15
	s_mul_i32 s8, ttmp9, s8
	s_lshr_b32 s10, ttmp7, 16
	s_add_co_i32 s9, s9, 1
	s_add_co_i32 s5, s5, s8
	s_mul_i32 s8, s10, s9
	s_bfe_u32 s9, ttmp6, 0x40008
	s_getreg_b32 s11, hwreg(HW_REG_IB_STS2, 6, 4)
	s_add_co_i32 s9, s9, s8
	s_cmp_eq_u32 s11, 0
	s_mov_b32 s17, 0
	s_cselect_b32 s8, s10, s9
	s_cselect_b32 s4, s4, s7
	s_wait_kmcnt 0x0
	s_mul_i32 s3, s3, s8
	s_cselect_b32 s5, ttmp9, s5
	s_add_co_i32 s3, s3, s4
	s_delay_alu instid0(SALU_CYCLE_1) | instskip(NEXT) | instid1(SALU_CYCLE_1)
	s_mul_i32 s2, s3, s2
	s_add_co_i32 s2, s2, s5
	s_delay_alu instid0(SALU_CYCLE_1)
	s_cmp_ge_u32 s2, s6
	s_cbranch_scc1 .LBB58_40
; %bb.1:
	s_clause 0x3
	s_load_b96 s[12:14], s[0:1], 0x2a8
	s_load_b64 s[18:19], s[0:1], 0x23c
	s_load_b64 s[22:23], s[0:1], 0x6c
	;; [unrolled: 1-line block ×3, first 2 shown]
	s_mov_b32 s25, s17
	s_mov_b32 s27, s17
	s_wait_kmcnt 0x0
	s_cvt_f32_u32 s3, s14
	s_sub_co_i32 s4, 0, s14
	s_delay_alu instid0(SALU_CYCLE_2) | instskip(SKIP_1) | instid1(TRANS32_DEP_1)
	v_rcp_iflag_f32_e32 v1, s3
	v_nop
	v_readfirstlane_b32 s3, v1
	s_mul_f32 s3, s3, 0x4f7ffffe
	s_delay_alu instid0(SALU_CYCLE_3) | instskip(NEXT) | instid1(SALU_CYCLE_3)
	s_cvt_u32_f32 s3, s3
	s_mul_i32 s4, s4, s3
	s_delay_alu instid0(SALU_CYCLE_1) | instskip(NEXT) | instid1(SALU_CYCLE_1)
	s_mul_hi_u32 s4, s3, s4
	s_add_co_i32 s3, s3, s4
	s_load_b128 s[4:7], s[0:1], 0x2b8
	s_mul_hi_u32 s3, s2, s3
	s_delay_alu instid0(SALU_CYCLE_1) | instskip(SKIP_2) | instid1(SALU_CYCLE_1)
	s_mul_i32 s8, s3, s14
	s_add_co_i32 s9, s3, 1
	s_sub_co_i32 s8, s2, s8
	s_sub_co_i32 s10, s8, s14
	s_cmp_ge_u32 s8, s14
	s_cselect_b32 s3, s9, s3
	s_cselect_b32 s8, s10, s8
	s_add_co_i32 s9, s3, 1
	s_cmp_ge_u32 s8, s14
	s_cselect_b32 s16, s9, s3
	s_delay_alu instid0(SALU_CYCLE_1) | instskip(SKIP_1) | instid1(SALU_CYCLE_1)
	v_mov_b32_e32 v1, s16
	s_mul_i32 s28, s16, s14
	s_sub_co_i32 s41, s2, s28
	s_wait_kmcnt 0x0
	global_load_u16 v1, v1, s[4:5] scale_offset
	s_clause 0x2
	s_load_b32 s40, s[0:1], 0xc
	s_load_b32 s33, s[0:1], 0xfc
	;; [unrolled: 1-line block ×3, first 2 shown]
	s_wait_kmcnt 0x0
	s_cvt_f32_u32 s3, s40
	s_cvt_f32_u32 s4, s33
	;; [unrolled: 1-line block ×3, first 2 shown]
	s_delay_alu instid0(SALU_CYCLE_1) | instskip(NEXT) | instid1(SALU_CYCLE_2)
	v_rcp_iflag_f32_e32 v2, s3
	v_rcp_iflag_f32_e32 v3, s5
	s_delay_alu instid0(TRANS32_DEP_2) | instskip(SKIP_1) | instid1(TRANS32_DEP_2)
	v_readfirstlane_b32 s3, v2
	v_rcp_iflag_f32_e32 v2, s4
	v_readfirstlane_b32 s8, v3
	s_sub_co_i32 s4, 0, s40
	s_mul_f32 s3, s3, 0x4f7ffffe
	s_mul_f32 s2, s8, 0x4f7ffffe
	s_delay_alu instid0(TRANS32_DEP_1) | instskip(NEXT) | instid1(SALU_CYCLE_1)
	v_readfirstlane_b32 s5, v2
	s_cvt_u32_f32 s3, s3
	s_sub_co_i32 s8, 0, s33
	s_cvt_u32_f32 s9, s2
	s_sub_co_i32 s2, 0, s15
	s_mul_i32 s4, s4, s3
	s_mul_f32 s5, s5, 0x4f7ffffe
	s_mul_hi_u32 s4, s3, s4
	s_mul_i32 s2, s2, s9
	s_add_co_i32 s4, s3, s4
	s_cvt_u32_f32 s3, s5
	s_mov_b32 s5, s17
	s_delay_alu instid0(SALU_CYCLE_2) | instskip(NEXT) | instid1(SALU_CYCLE_1)
	s_mul_i32 s8, s8, s3
	s_mul_hi_u32 s8, s3, s8
	s_delay_alu instid0(SALU_CYCLE_1)
	s_add_co_i32 s24, s3, s8
	s_mul_hi_u32 s8, s9, s2
	v_cmp_ne_u32_e64 s2, 0, v0
	v_cmp_eq_u32_e64 s3, 0, v0
	s_add_co_i32 s26, s9, s8
	s_and_saveexec_b32 s42, s3
	s_cbranch_execz .LBB58_17
; %bb.2:
	s_load_b64 s[34:35], s[0:1], 0x2c8
	s_mov_b32 s29, 0
	s_delay_alu instid0(SALU_CYCLE_1)
	s_lshl_b64 s[36:37], s[28:29], 2
	s_cmp_lt_u32 s14, 4
	s_cbranch_scc1 .LBB58_14
; %bb.3:
	s_mov_b64 s[30:31], 0
	s_mov_b32 s28, 0
.LBB58_4:                               ; =>This Inner Loop Header: Depth=1
	s_add_nc_u64 s[38:39], s[6:7], s[36:37]
	s_cmp_ge_u32 s28, s41
	s_load_b128 s[8:11], s[38:39], 0x0
	s_wait_kmcnt 0x0
	s_add_nc_u64 s[38:39], s[34:35], s[36:37]
	s_cbranch_scc0 .LBB58_11
; %bb.5:                                ;   in Loop: Header=BB58_4 Depth=1
	s_add_co_i32 s43, s28, 1
	s_delay_alu instid0(SALU_CYCLE_1)
	s_cmp_ge_u32 s43, s41
	s_cbranch_scc0 .LBB58_12
.LBB58_6:                               ;   in Loop: Header=BB58_4 Depth=1
	s_add_co_i32 s43, s43, 1
	s_delay_alu instid0(SALU_CYCLE_1)
	s_cmp_ge_u32 s43, s41
	s_cbranch_scc0 .LBB58_13
.LBB58_7:                               ;   in Loop: Header=BB58_4 Depth=1
	s_add_co_i32 s43, s43, 1
	s_delay_alu instid0(SALU_CYCLE_1)
	s_cmp_ge_u32 s43, s41
	s_cbranch_scc1 .LBB58_9
.LBB58_8:                               ;   in Loop: Header=BB58_4 Depth=1
	s_load_b32 s38, s[38:39], 0xc
	s_add_co_i32 s31, s11, s31
	s_wait_kmcnt 0x0
	s_add_co_i32 s30, s38, s30
.LBB58_9:                               ;   in Loop: Header=BB58_4 Depth=1
	s_add_co_i32 s8, s8, s29
	s_add_nc_u64 s[6:7], s[6:7], 16
	s_add_co_i32 s8, s8, s9
	s_add_co_i32 s9, s43, 4
	;; [unrolled: 1-line block ×3, first 2 shown]
	s_add_nc_u64 s[34:35], s[34:35], 16
	s_add_co_i32 s29, s8, s11
	s_add_co_i32 s8, s43, 1
	s_cmp_ge_u32 s9, s14
	s_cbranch_scc1 .LBB58_15
; %bb.10:                               ;   in Loop: Header=BB58_4 Depth=1
	s_mov_b32 s28, s8
	s_branch .LBB58_4
.LBB58_11:                              ;   in Loop: Header=BB58_4 Depth=1
	s_load_b32 s43, s[38:39], 0x0
	s_add_co_i32 s31, s8, s31
	s_wait_kmcnt 0x0
	s_add_co_i32 s30, s43, s30
	s_add_co_i32 s43, s28, 1
	s_delay_alu instid0(SALU_CYCLE_1)
	s_cmp_ge_u32 s43, s41
	s_cbranch_scc1 .LBB58_6
.LBB58_12:                              ;   in Loop: Header=BB58_4 Depth=1
	s_load_b32 s44, s[38:39], 0x4
	s_add_co_i32 s31, s9, s31
	s_wait_kmcnt 0x0
	s_add_co_i32 s30, s44, s30
	s_add_co_i32 s43, s43, 1
	s_delay_alu instid0(SALU_CYCLE_1)
	s_cmp_ge_u32 s43, s41
	s_cbranch_scc1 .LBB58_7
.LBB58_13:                              ;   in Loop: Header=BB58_4 Depth=1
	s_load_b32 s44, s[38:39], 0x8
	s_add_co_i32 s31, s10, s31
	s_wait_kmcnt 0x0
	s_add_co_i32 s30, s44, s30
	s_add_co_i32 s43, s43, 1
	s_delay_alu instid0(SALU_CYCLE_1)
	s_cmp_ge_u32 s43, s41
	s_cbranch_scc0 .LBB58_8
	s_branch .LBB58_9
.LBB58_14:
	s_mov_b64 s[30:31], 0
	s_add_nc_u64 s[6:7], s[6:7], s[36:37]
	s_wait_kmcnt 0x0
	s_add_nc_u64 s[8:9], s[34:35], s[36:37]
	s_mov_b32 s10, 0
	s_delay_alu instid0(SALU_CYCLE_1)
	s_cmp_ge_u32 s10, s14
	s_cbranch_scc0 .LBB58_38
	s_branch .LBB58_16
.LBB58_15:
	s_add_co_i32 s10, s28, 4
	s_add_nc_u64 s[8:9], s[34:35], s[36:37]
	s_add_nc_u64 s[6:7], s[6:7], s[36:37]
	s_cmp_ge_u32 s10, s14
	s_cbranch_scc0 .LBB58_38
.LBB58_16:
	v_dual_mov_b32 v2, s30 :: v_dual_mov_b32 v3, s29
	v_dual_mov_b32 v4, s31 :: v_dual_mov_b32 v5, 0
	ds_store_b96 v5, v[2:4] offset:1056
.LBB58_17:
	s_or_b32 exec_lo, exec_lo, s42
	s_mul_u64 s[6:7], s[16:17], s[26:27]
	s_mul_u64 s[34:35], s[16:17], s[4:5]
	s_clause 0x3
	s_load_b96 s[4:6], s[0:1], 0xd8
	s_load_b64 s[28:29], s[0:1], 0x1d0
	s_load_b64 s[10:11], s[0:1], 0xf0
	;; [unrolled: 1-line block ×3, first 2 shown]
	s_mul_u64 s[30:31], s[16:17], s[24:25]
	s_mul_i32 s17, s13, s41
	s_mov_b32 s25, 0
	s_lshl_b32 s17, s17, 8
	s_add_co_i32 s41, s41, 1
	s_wait_loadcnt_dscnt 0x0
	s_barrier_signal -1
	s_barrier_wait -1
	s_wait_kmcnt 0x0
	s_sub_co_i32 s24, s4, s17
	s_delay_alu instid0(SALU_CYCLE_1) | instskip(NEXT) | instid1(SALU_CYCLE_1)
	s_add_nc_u64 s[26:27], s[24:25], 0xff
	s_lshr_b64 s[26:27], s[26:27], 8
	s_cmp_lt_u32 s41, s14
	s_cselect_b32 s13, s13, s26
	s_delay_alu instid0(SALU_CYCLE_1)
	s_cmp_eq_u32 s13, 0
	s_cbranch_scc1 .LBB58_40
; %bb.18:
	s_mul_i32 s14, s35, s40
	s_add_co_i32 s24, s35, 1
	s_sub_co_i32 s14, s16, s14
	s_mul_i32 s26, s31, s33
	s_sub_co_i32 s27, s14, s40
	s_cmp_ge_u32 s14, s40
	v_dual_mov_b32 v7, 0 :: v_dual_lshrrev_b32 v6, 3, v0
	s_cselect_b32 s24, s24, s35
	s_cselect_b32 s14, s27, s14
	s_add_co_i32 s34, s24, 1
	s_cmp_ge_u32 s14, s40
	s_mul_i32 s30, s7, s15
	s_cselect_b32 s14, s34, s24
	s_sub_co_i32 s26, s16, s26
	s_mul_i32 s24, s14, s40
	s_mul_i32 s14, s14, s22
	s_sub_co_i32 s24, s16, s24
	s_add_co_i32 s34, s31, 1
	s_mul_i32 s24, s24, s23
	s_sub_co_i32 s22, s26, s33
	s_add_co_i32 s24, s14, s24
	s_cmp_ge_u32 s26, s33
	ds_load_b96 v[2:4], v7 offset:1056
	s_cselect_b32 s14, s34, s31
	s_cselect_b32 s22, s22, s26
	s_add_co_i32 s26, s14, 1
	s_cmp_ge_u32 s22, s33
	s_load_b32 s31, s[0:1], 0xe8
	s_cselect_b32 s14, s26, s14
	s_sub_co_i32 s22, s16, s30
	s_mul_i32 s26, s14, s33
	s_mul_i32 s14, s14, s20
	s_sub_co_i32 s26, s16, s26
	s_add_co_i32 s30, s7, 1
	s_mul_i32 s26, s26, s21
	s_sub_co_i32 s20, s22, s15
	s_add_co_i32 s26, s14, s26
	s_cmp_ge_u32 s22, s15
	s_mov_b32 s27, s25
	s_cselect_b32 s7, s30, s7
	s_cselect_b32 s14, s20, s22
	s_add_co_i32 s20, s7, 1
	s_cmp_ge_u32 s14, s15
	v_dual_add_nc_u32 v10, -1, v0 :: v_dual_bitop2_b32 v6, 28, v6 bitop3:0x40
	s_cselect_b32 s7, s20, s7
	s_wait_dscnt 0x0
	v_add_nc_u32_e32 v2, v2, v3
	s_mul_i32 s22, s7, s15
	s_lshl_b64 s[14:15], s[26:27], 1
	v_lshrrev_b32_e32 v8, 3, v10
	s_add_nc_u64 s[10:11], s[10:11], s[14:15]
	s_load_b32 s14, s[0:1], 0x1c8
	v_lshl_add_u32 v3, v0, 2, v6
	v_dual_add_nc_u32 v6, s17, v0 :: v_dual_lshlrev_b32 v13, 5, v0
	s_sub_co_i32 s16, s16, s22
	v_bfe_i32 v5, v1, 0, 16
	v_and_b32_e32 v11, 0xfc, v0
	s_wait_kmcnt 0x0
	v_mul_lo_u32 v9, s31, v6
	v_and_b32_e32 v12, 0x1ffffffc, v8
	v_mbcnt_lo_u32_b32 v8, -1, 0
	s_mul_i32 s7, s7, s18
	s_mul_i32 s16, s16, s19
	s_mov_b32 s23, s25
	s_add_co_i32 s22, s7, s16
	s_lshl_b64 s[20:21], s[24:25], 1
	s_lshl_b64 s[18:19], s[22:23], 3
	v_add_nc_u32_e32 v5, 0x8000, v5
	v_cmp_gt_u32_e64 s0, 32, v0
	v_lshl_add_u32 v0, v10, 2, v12
	v_dual_add_nc_u32 v10, v11, v13 :: v_dual_bitop2_b32 v11, 15, v8 bitop3:0x40
	v_bfe_i32 v12, v8, 4, 1
	v_add_nc_u32_e32 v13, -1, v8
	s_bitcmp1_b32 s6, 0
	s_add_nc_u64 s[8:9], s[8:9], s[20:21]
	s_add_nc_u64 s[6:7], s[28:29], s[18:19]
	s_cselect_b32 s1, -1, 0
	s_lshl_b32 s15, s31, 8
                                        ; implicit-def: $vgpr14
	s_branch .LBB58_21
.LBB58_19:                              ;   in Loop: Header=BB58_21 Depth=1
	s_wait_xcnt 0x0
	s_or_b32 exec_lo, exec_lo, s16
	v_add_nc_u32_e32 v2, v17, v2
.LBB58_20:                              ;   in Loop: Header=BB58_21 Depth=1
	v_dual_add_nc_u32 v4, v16, v4 :: v_dual_add_nc_u32 v9, s15, v9
	v_add_nc_u32_e32 v6, 0x100, v6
	s_add_co_i32 s13, s13, -1
	s_delay_alu instid0(SALU_CYCLE_1)
	s_cmp_lg_u32 s13, 0
	s_cbranch_scc0 .LBB58_40
.LBB58_21:                              ; =>This Inner Loop Header: Depth=1
	v_dual_mov_b32 v17, 0 :: v_dual_mov_b32 v15, 0
	s_mov_b32 s16, exec_lo
	v_cmpx_gt_u32_e64 s4, v6
	s_cbranch_execz .LBB58_23
; %bb.22:                               ;   in Loop: Header=BB58_21 Depth=1
	global_load_u16 v14, v9, s[8:9] scale_offset
	s_wait_loadcnt 0x0
	v_bfe_i32 v15, v14, 0, 16
	s_delay_alu instid0(VALU_DEP_1) | instskip(NEXT) | instid1(VALU_DEP_1)
	v_add_nc_u32_e32 v15, 0x8000, v15
	v_cmp_gt_u32_e32 vcc_lo, v15, v5
	v_cndmask_b32_e64 v16, 0, 1, vcc_lo
	v_cmp_lt_u32_e32 vcc_lo, v15, v5
	v_cndmask_b32_e64 v15, 0, 1, vcc_lo
	v_cmp_eq_u16_e32 vcc_lo, v14, v1
	s_delay_alu instid0(VALU_DEP_2) | instskip(NEXT) | instid1(VALU_DEP_1)
	v_cndmask_b32_e64 v15, v15, v16, s1
	v_and_b32_e32 v17, 1, v15
	v_cndmask_b32_e64 v15, 0, 1, vcc_lo
.LBB58_23:                              ;   in Loop: Header=BB58_21 Depth=1
	s_wait_xcnt 0x0
	s_or_b32 exec_lo, exec_lo, s16
	ds_store_b32 v3, v17
	s_wait_dscnt 0x0
	s_barrier_signal -1
	s_barrier_wait -1
	s_and_saveexec_b32 s16, s0
	s_cbranch_execz .LBB58_25
; %bb.24:                               ;   in Loop: Header=BB58_21 Depth=1
	ds_load_2addr_b32 v[18:19], v10 offset1:1
	ds_load_2addr_b32 v[20:21], v10 offset0:2 offset1:3
	ds_load_2addr_b32 v[22:23], v10 offset0:4 offset1:5
	;; [unrolled: 1-line block ×3, first 2 shown]
	v_cmp_ne_u32_e32 vcc_lo, 0, v11
	; wave barrier
	s_wait_dscnt 0x3
	v_add_nc_u32_e32 v16, v19, v18
	s_wait_dscnt 0x2
	s_delay_alu instid0(VALU_DEP_1) | instskip(SKIP_1) | instid1(VALU_DEP_1)
	v_add3_u32 v16, v16, v20, v21
	s_wait_dscnt 0x1
	v_add3_u32 v16, v16, v22, v23
	s_wait_dscnt 0x0
	s_delay_alu instid0(VALU_DEP_1) | instskip(NEXT) | instid1(VALU_DEP_1)
	v_add3_u32 v16, v16, v24, v25
	v_mov_b32_dpp v19, v16 row_shr:1 row_mask:0xf bank_mask:0xf
	s_delay_alu instid0(VALU_DEP_1) | instskip(SKIP_1) | instid1(VALU_DEP_2)
	v_cndmask_b32_e32 v19, 0, v19, vcc_lo
	v_cmp_lt_u32_e32 vcc_lo, 1, v11
	v_add_nc_u32_e32 v16, v19, v16
	s_delay_alu instid0(VALU_DEP_1) | instskip(NEXT) | instid1(VALU_DEP_1)
	v_mov_b32_dpp v19, v16 row_shr:2 row_mask:0xf bank_mask:0xf
	v_cndmask_b32_e32 v19, 0, v19, vcc_lo
	v_cmp_lt_u32_e32 vcc_lo, 3, v11
	s_delay_alu instid0(VALU_DEP_2) | instskip(NEXT) | instid1(VALU_DEP_1)
	v_add_nc_u32_e32 v16, v16, v19
	v_mov_b32_dpp v19, v16 row_shr:4 row_mask:0xf bank_mask:0xf
	s_delay_alu instid0(VALU_DEP_1) | instskip(SKIP_1) | instid1(VALU_DEP_2)
	v_cndmask_b32_e32 v19, 0, v19, vcc_lo
	v_cmp_lt_u32_e32 vcc_lo, 7, v11
	v_add_nc_u32_e32 v16, v16, v19
	s_delay_alu instid0(VALU_DEP_1) | instskip(NEXT) | instid1(VALU_DEP_1)
	v_mov_b32_dpp v19, v16 row_shr:8 row_mask:0xf bank_mask:0xf
	v_cndmask_b32_e32 v19, 0, v19, vcc_lo
	v_cmp_gt_i32_e32 vcc_lo, 0, v13
	s_delay_alu instid0(VALU_DEP_2) | instskip(SKIP_3) | instid1(VALU_DEP_1)
	v_dual_add_nc_u32 v16, v16, v19 :: v_dual_cndmask_b32 v20, v13, v8, vcc_lo
	ds_swizzle_b32 v19, v16 offset:swizzle(BROADCAST,32,15)
	s_wait_dscnt 0x0
	v_dual_lshlrev_b32 v20, 2, v20 :: v_dual_bitop2_b32 v19, v12, v19 bitop3:0x40
	v_add_nc_u32_e32 v16, v16, v19
	ds_bpermute_b32 v16, v20, v16
	s_wait_dscnt 0x0
	v_add_nc_u32_e32 v16, v16, v18
	s_delay_alu instid0(VALU_DEP_1)
	v_cndmask_b32_e64 v16, v16, v17, s3
	ds_store_b32 v10, v16
	; wave barrier
	ds_load_2addr_b32 v[18:19], v10 offset0:1 offset1:2
	ds_load_2addr_b32 v[20:21], v10 offset0:3 offset1:4
	;; [unrolled: 1-line block ×3, first 2 shown]
	ds_load_b32 v24, v10 offset:28
	s_wait_dscnt 0x3
	v_add_nc_u32_e32 v16, v18, v16
	s_delay_alu instid0(VALU_DEP_1) | instskip(SKIP_1) | instid1(VALU_DEP_1)
	v_add_nc_u32_e32 v18, v19, v16
	s_wait_dscnt 0x2
	v_add_nc_u32_e32 v19, v20, v18
	s_delay_alu instid0(VALU_DEP_1) | instskip(SKIP_1) | instid1(VALU_DEP_1)
	v_add_nc_u32_e32 v20, v21, v19
	;; [unrolled: 4-line block ×3, first 2 shown]
	s_wait_dscnt 0x0
	v_add_nc_u32_e32 v23, v24, v22
	ds_store_2addr_b32 v10, v16, v18 offset0:1 offset1:2
	ds_store_2addr_b32 v10, v19, v20 offset0:3 offset1:4
	;; [unrolled: 1-line block ×3, first 2 shown]
	ds_store_b32 v10, v23 offset:28
.LBB58_25:                              ;   in Loop: Header=BB58_21 Depth=1
	s_or_b32 exec_lo, exec_lo, s16
	v_mov_b32_e32 v18, 0
	s_wait_dscnt 0x0
	s_barrier_signal -1
	s_barrier_wait -1
	s_and_saveexec_b32 s16, s2
; %bb.26:                               ;   in Loop: Header=BB58_21 Depth=1
	ds_load_b32 v18, v0
; %bb.27:                               ;   in Loop: Header=BB58_21 Depth=1
	s_or_b32 exec_lo, exec_lo, s16
	ds_load_b32 v16, v7 offset:1048
	s_mov_b32 s16, exec_lo
	s_wait_dscnt 0x0
	s_barrier_signal -1
	s_barrier_wait -1
	v_cmpx_ne_u32_e32 0, v17
	s_cbranch_execz .LBB58_29
; %bb.28:                               ;   in Loop: Header=BB58_21 Depth=1
	v_add_nc_u32_e32 v17, v18, v4
	s_delay_alu instid0(VALU_DEP_1)
	v_mul_lo_u32 v18, v17, s14
	v_mul_lo_u32 v17, v17, s12
	global_store_b16 v18, v14, s[10:11] scale_offset
	global_store_b64 v17, v[6:7], s[6:7] scale_offset
.LBB58_29:                              ;   in Loop: Header=BB58_21 Depth=1
	s_wait_xcnt 0x0
	s_or_b32 exec_lo, exec_lo, s16
	v_cmp_le_u32_e32 vcc_lo, s5, v2
	s_cbranch_vccnz .LBB58_20
; %bb.30:                               ;   in Loop: Header=BB58_21 Depth=1
	ds_store_b32 v3, v15
	s_wait_storecnt_dscnt 0x0
	s_barrier_signal -1
	s_barrier_wait -1
	s_and_saveexec_b32 s16, s0
	s_cbranch_execz .LBB58_32
; %bb.31:                               ;   in Loop: Header=BB58_21 Depth=1
	ds_load_2addr_b32 v[18:19], v10 offset1:1
	ds_load_2addr_b32 v[20:21], v10 offset0:2 offset1:3
	ds_load_2addr_b32 v[22:23], v10 offset0:4 offset1:5
	;; [unrolled: 1-line block ×3, first 2 shown]
	v_cmp_ne_u32_e32 vcc_lo, 0, v11
	; wave barrier
	s_wait_dscnt 0x3
	v_add_nc_u32_e32 v17, v19, v18
	s_wait_dscnt 0x2
	s_delay_alu instid0(VALU_DEP_1) | instskip(SKIP_1) | instid1(VALU_DEP_1)
	v_add3_u32 v17, v17, v20, v21
	s_wait_dscnt 0x1
	v_add3_u32 v17, v17, v22, v23
	s_wait_dscnt 0x0
	s_delay_alu instid0(VALU_DEP_1) | instskip(NEXT) | instid1(VALU_DEP_1)
	v_add3_u32 v17, v17, v24, v25
	v_mov_b32_dpp v19, v17 row_shr:1 row_mask:0xf bank_mask:0xf
	s_delay_alu instid0(VALU_DEP_1) | instskip(SKIP_1) | instid1(VALU_DEP_2)
	v_cndmask_b32_e32 v19, 0, v19, vcc_lo
	v_cmp_lt_u32_e32 vcc_lo, 1, v11
	v_add_nc_u32_e32 v17, v19, v17
	s_delay_alu instid0(VALU_DEP_1) | instskip(NEXT) | instid1(VALU_DEP_1)
	v_mov_b32_dpp v19, v17 row_shr:2 row_mask:0xf bank_mask:0xf
	v_cndmask_b32_e32 v19, 0, v19, vcc_lo
	v_cmp_lt_u32_e32 vcc_lo, 3, v11
	s_delay_alu instid0(VALU_DEP_2) | instskip(NEXT) | instid1(VALU_DEP_1)
	v_add_nc_u32_e32 v17, v17, v19
	v_mov_b32_dpp v19, v17 row_shr:4 row_mask:0xf bank_mask:0xf
	s_delay_alu instid0(VALU_DEP_1) | instskip(SKIP_1) | instid1(VALU_DEP_2)
	v_cndmask_b32_e32 v19, 0, v19, vcc_lo
	v_cmp_lt_u32_e32 vcc_lo, 7, v11
	v_add_nc_u32_e32 v17, v17, v19
	s_delay_alu instid0(VALU_DEP_1) | instskip(NEXT) | instid1(VALU_DEP_1)
	v_mov_b32_dpp v19, v17 row_shr:8 row_mask:0xf bank_mask:0xf
	v_cndmask_b32_e32 v19, 0, v19, vcc_lo
	v_cmp_gt_i32_e32 vcc_lo, 0, v13
	s_delay_alu instid0(VALU_DEP_2) | instskip(SKIP_4) | instid1(VALU_DEP_1)
	v_add_nc_u32_e32 v17, v17, v19
	v_cndmask_b32_e32 v20, v13, v8, vcc_lo
	ds_swizzle_b32 v19, v17 offset:swizzle(BROADCAST,32,15)
	s_wait_dscnt 0x0
	v_dual_lshlrev_b32 v20, 2, v20 :: v_dual_bitop2_b32 v19, v12, v19 bitop3:0x40
	v_add_nc_u32_e32 v17, v17, v19
	ds_bpermute_b32 v17, v20, v17
	s_wait_dscnt 0x0
	v_add_nc_u32_e32 v17, v17, v18
	s_delay_alu instid0(VALU_DEP_1)
	v_cndmask_b32_e64 v17, v17, v15, s3
	ds_store_b32 v10, v17
	; wave barrier
	ds_load_2addr_b32 v[18:19], v10 offset0:1 offset1:2
	ds_load_2addr_b32 v[20:21], v10 offset0:3 offset1:4
	;; [unrolled: 1-line block ×3, first 2 shown]
	ds_load_b32 v24, v10 offset:28
	s_wait_dscnt 0x3
	v_add_nc_u32_e32 v17, v18, v17
	s_delay_alu instid0(VALU_DEP_1) | instskip(SKIP_1) | instid1(VALU_DEP_1)
	v_add_nc_u32_e32 v18, v19, v17
	s_wait_dscnt 0x2
	v_add_nc_u32_e32 v19, v20, v18
	s_delay_alu instid0(VALU_DEP_1) | instskip(SKIP_1) | instid1(VALU_DEP_1)
	v_add_nc_u32_e32 v20, v21, v19
	s_wait_dscnt 0x1
	v_add_nc_u32_e32 v21, v22, v20
	s_delay_alu instid0(VALU_DEP_1) | instskip(SKIP_1) | instid1(VALU_DEP_1)
	v_add_nc_u32_e32 v22, v23, v21
	s_wait_dscnt 0x0
	v_add_nc_u32_e32 v23, v24, v22
	ds_store_2addr_b32 v10, v17, v18 offset0:1 offset1:2
	ds_store_2addr_b32 v10, v19, v20 offset0:3 offset1:4
	;; [unrolled: 1-line block ×3, first 2 shown]
	ds_store_b32 v10, v23 offset:28
.LBB58_32:                              ;   in Loop: Header=BB58_21 Depth=1
	s_or_b32 exec_lo, exec_lo, s16
	v_mov_b32_e32 v18, 0
	s_wait_dscnt 0x0
	s_barrier_signal -1
	s_barrier_wait -1
	s_and_saveexec_b32 s16, s2
; %bb.33:                               ;   in Loop: Header=BB58_21 Depth=1
	ds_load_b32 v18, v0
; %bb.34:                               ;   in Loop: Header=BB58_21 Depth=1
	s_or_b32 exec_lo, exec_lo, s16
	ds_load_b32 v17, v7 offset:1048
	s_mov_b32 s16, exec_lo
	s_wait_dscnt 0x0
	s_barrier_signal -1
	s_barrier_wait -1
	v_cmpx_ne_u32_e32 0, v15
	s_cbranch_execz .LBB58_19
; %bb.35:                               ;   in Loop: Header=BB58_21 Depth=1
	v_add_nc_u32_e32 v15, v18, v2
	s_delay_alu instid0(VALU_DEP_1)
	v_cmp_gt_u32_e32 vcc_lo, s5, v15
	s_and_b32 exec_lo, exec_lo, vcc_lo
	s_cbranch_execz .LBB58_19
; %bb.36:                               ;   in Loop: Header=BB58_21 Depth=1
	v_mul_lo_u32 v18, v15, s14
	v_mul_lo_u32 v15, v15, s12
	global_store_b16 v18, v14, s[10:11] scale_offset
	global_store_b64 v15, v[6:7], s[6:7] scale_offset
	s_branch .LBB58_19
.LBB58_37:                              ;   in Loop: Header=BB58_38 Depth=1
	s_add_co_i32 s10, s10, 1
	s_wait_kmcnt 0x0
	s_add_co_i32 s29, s11, s29
	s_add_nc_u64 s[6:7], s[6:7], 4
	s_cmp_lt_u32 s10, s14
	s_add_nc_u64 s[8:9], s[8:9], 4
	s_cbranch_scc0 .LBB58_16
.LBB58_38:                              ; =>This Inner Loop Header: Depth=1
	s_load_b32 s11, s[6:7], 0x0
	s_cmp_ge_u32 s10, s41
	s_cbranch_scc1 .LBB58_37
; %bb.39:                               ;   in Loop: Header=BB58_38 Depth=1
	s_load_b32 s28, s[8:9], 0x0
	s_wait_kmcnt 0x0
	s_add_co_i32 s31, s11, s31
	s_add_co_i32 s30, s28, s30
	s_branch .LBB58_37
.LBB58_40:
	s_endpgm
	.section	.rodata,"a",@progbits
	.p2align	6, 0x0
	.amdhsa_kernel _ZN2at6native6mbtopk10gatherTopKIsjLi2EEEvNS_4cuda6detail10TensorInfoIKT_T0_EES8_S8_bjS8_NS5_IS6_S8_EES8_NS5_IlS8_EES8_jjPS6_PjSD_j
		.amdhsa_group_segment_fixed_size 1068
		.amdhsa_private_segment_fixed_size 0
		.amdhsa_kernarg_size 984
		.amdhsa_user_sgpr_count 2
		.amdhsa_user_sgpr_dispatch_ptr 0
		.amdhsa_user_sgpr_queue_ptr 0
		.amdhsa_user_sgpr_kernarg_segment_ptr 1
		.amdhsa_user_sgpr_dispatch_id 0
		.amdhsa_user_sgpr_kernarg_preload_length 0
		.amdhsa_user_sgpr_kernarg_preload_offset 0
		.amdhsa_user_sgpr_private_segment_size 0
		.amdhsa_wavefront_size32 1
		.amdhsa_uses_dynamic_stack 0
		.amdhsa_enable_private_segment 0
		.amdhsa_system_sgpr_workgroup_id_x 1
		.amdhsa_system_sgpr_workgroup_id_y 1
		.amdhsa_system_sgpr_workgroup_id_z 1
		.amdhsa_system_sgpr_workgroup_info 0
		.amdhsa_system_vgpr_workitem_id 0
		.amdhsa_next_free_vgpr 26
		.amdhsa_next_free_sgpr 45
		.amdhsa_named_barrier_count 0
		.amdhsa_reserve_vcc 1
		.amdhsa_float_round_mode_32 0
		.amdhsa_float_round_mode_16_64 0
		.amdhsa_float_denorm_mode_32 3
		.amdhsa_float_denorm_mode_16_64 3
		.amdhsa_fp16_overflow 0
		.amdhsa_memory_ordered 1
		.amdhsa_forward_progress 1
		.amdhsa_inst_pref_size 22
		.amdhsa_round_robin_scheduling 0
		.amdhsa_exception_fp_ieee_invalid_op 0
		.amdhsa_exception_fp_denorm_src 0
		.amdhsa_exception_fp_ieee_div_zero 0
		.amdhsa_exception_fp_ieee_overflow 0
		.amdhsa_exception_fp_ieee_underflow 0
		.amdhsa_exception_fp_ieee_inexact 0
		.amdhsa_exception_int_div_zero 0
	.end_amdhsa_kernel
	.section	.text._ZN2at6native6mbtopk10gatherTopKIsjLi2EEEvNS_4cuda6detail10TensorInfoIKT_T0_EES8_S8_bjS8_NS5_IS6_S8_EES8_NS5_IlS8_EES8_jjPS6_PjSD_j,"axG",@progbits,_ZN2at6native6mbtopk10gatherTopKIsjLi2EEEvNS_4cuda6detail10TensorInfoIKT_T0_EES8_S8_bjS8_NS5_IS6_S8_EES8_NS5_IlS8_EES8_jjPS6_PjSD_j,comdat
.Lfunc_end58:
	.size	_ZN2at6native6mbtopk10gatherTopKIsjLi2EEEvNS_4cuda6detail10TensorInfoIKT_T0_EES8_S8_bjS8_NS5_IS6_S8_EES8_NS5_IlS8_EES8_jjPS6_PjSD_j, .Lfunc_end58-_ZN2at6native6mbtopk10gatherTopKIsjLi2EEEvNS_4cuda6detail10TensorInfoIKT_T0_EES8_S8_bjS8_NS5_IS6_S8_EES8_NS5_IlS8_EES8_jjPS6_PjSD_j
                                        ; -- End function
	.set _ZN2at6native6mbtopk10gatherTopKIsjLi2EEEvNS_4cuda6detail10TensorInfoIKT_T0_EES8_S8_bjS8_NS5_IS6_S8_EES8_NS5_IlS8_EES8_jjPS6_PjSD_j.num_vgpr, 26
	.set _ZN2at6native6mbtopk10gatherTopKIsjLi2EEEvNS_4cuda6detail10TensorInfoIKT_T0_EES8_S8_bjS8_NS5_IS6_S8_EES8_NS5_IlS8_EES8_jjPS6_PjSD_j.num_agpr, 0
	.set _ZN2at6native6mbtopk10gatherTopKIsjLi2EEEvNS_4cuda6detail10TensorInfoIKT_T0_EES8_S8_bjS8_NS5_IS6_S8_EES8_NS5_IlS8_EES8_jjPS6_PjSD_j.numbered_sgpr, 45
	.set _ZN2at6native6mbtopk10gatherTopKIsjLi2EEEvNS_4cuda6detail10TensorInfoIKT_T0_EES8_S8_bjS8_NS5_IS6_S8_EES8_NS5_IlS8_EES8_jjPS6_PjSD_j.num_named_barrier, 0
	.set _ZN2at6native6mbtopk10gatherTopKIsjLi2EEEvNS_4cuda6detail10TensorInfoIKT_T0_EES8_S8_bjS8_NS5_IS6_S8_EES8_NS5_IlS8_EES8_jjPS6_PjSD_j.private_seg_size, 0
	.set _ZN2at6native6mbtopk10gatherTopKIsjLi2EEEvNS_4cuda6detail10TensorInfoIKT_T0_EES8_S8_bjS8_NS5_IS6_S8_EES8_NS5_IlS8_EES8_jjPS6_PjSD_j.uses_vcc, 1
	.set _ZN2at6native6mbtopk10gatherTopKIsjLi2EEEvNS_4cuda6detail10TensorInfoIKT_T0_EES8_S8_bjS8_NS5_IS6_S8_EES8_NS5_IlS8_EES8_jjPS6_PjSD_j.uses_flat_scratch, 0
	.set _ZN2at6native6mbtopk10gatherTopKIsjLi2EEEvNS_4cuda6detail10TensorInfoIKT_T0_EES8_S8_bjS8_NS5_IS6_S8_EES8_NS5_IlS8_EES8_jjPS6_PjSD_j.has_dyn_sized_stack, 0
	.set _ZN2at6native6mbtopk10gatherTopKIsjLi2EEEvNS_4cuda6detail10TensorInfoIKT_T0_EES8_S8_bjS8_NS5_IS6_S8_EES8_NS5_IlS8_EES8_jjPS6_PjSD_j.has_recursion, 0
	.set _ZN2at6native6mbtopk10gatherTopKIsjLi2EEEvNS_4cuda6detail10TensorInfoIKT_T0_EES8_S8_bjS8_NS5_IS6_S8_EES8_NS5_IlS8_EES8_jjPS6_PjSD_j.has_indirect_call, 0
	.section	.AMDGPU.csdata,"",@progbits
; Kernel info:
; codeLenInByte = 2784
; TotalNumSgprs: 47
; NumVgprs: 26
; ScratchSize: 0
; MemoryBound: 0
; FloatMode: 240
; IeeeMode: 1
; LDSByteSize: 1068 bytes/workgroup (compile time only)
; SGPRBlocks: 0
; VGPRBlocks: 1
; NumSGPRsForWavesPerEU: 47
; NumVGPRsForWavesPerEU: 26
; NamedBarCnt: 0
; Occupancy: 16
; WaveLimiterHint : 1
; COMPUTE_PGM_RSRC2:SCRATCH_EN: 0
; COMPUTE_PGM_RSRC2:USER_SGPR: 2
; COMPUTE_PGM_RSRC2:TRAP_HANDLER: 0
; COMPUTE_PGM_RSRC2:TGID_X_EN: 1
; COMPUTE_PGM_RSRC2:TGID_Y_EN: 1
; COMPUTE_PGM_RSRC2:TGID_Z_EN: 1
; COMPUTE_PGM_RSRC2:TIDIG_COMP_CNT: 0
	.section	.text._ZN2at6native6sbtopk10gatherTopKIsjLi2ELb0EEEvNS_4cuda6detail10TensorInfoIKT_T0_EES8_S8_bS8_S8_NS5_IS6_S8_EES8_NS5_IlS8_EES8_PS6_,"axG",@progbits,_ZN2at6native6sbtopk10gatherTopKIsjLi2ELb0EEEvNS_4cuda6detail10TensorInfoIKT_T0_EES8_S8_bS8_S8_NS5_IS6_S8_EES8_NS5_IlS8_EES8_PS6_,comdat
	.protected	_ZN2at6native6sbtopk10gatherTopKIsjLi2ELb0EEEvNS_4cuda6detail10TensorInfoIKT_T0_EES8_S8_bS8_S8_NS5_IS6_S8_EES8_NS5_IlS8_EES8_PS6_ ; -- Begin function _ZN2at6native6sbtopk10gatherTopKIsjLi2ELb0EEEvNS_4cuda6detail10TensorInfoIKT_T0_EES8_S8_bS8_S8_NS5_IS6_S8_EES8_NS5_IlS8_EES8_PS6_
	.globl	_ZN2at6native6sbtopk10gatherTopKIsjLi2ELb0EEEvNS_4cuda6detail10TensorInfoIKT_T0_EES8_S8_bS8_S8_NS5_IS6_S8_EES8_NS5_IlS8_EES8_PS6_
	.p2align	8
	.type	_ZN2at6native6sbtopk10gatherTopKIsjLi2ELb0EEEvNS_4cuda6detail10TensorInfoIKT_T0_EES8_S8_bS8_S8_NS5_IS6_S8_EES8_NS5_IlS8_EES8_PS6_,@function
_ZN2at6native6sbtopk10gatherTopKIsjLi2ELb0EEEvNS_4cuda6detail10TensorInfoIKT_T0_EES8_S8_bS8_S8_NS5_IS6_S8_EES8_NS5_IlS8_EES8_PS6_: ; @_ZN2at6native6sbtopk10gatherTopKIsjLi2ELb0EEEvNS_4cuda6detail10TensorInfoIKT_T0_EES8_S8_bS8_S8_NS5_IS6_S8_EES8_NS5_IlS8_EES8_PS6_
; %bb.0:
	s_clause 0x1
	s_load_b128 s[36:39], s[0:1], 0xd8
	s_load_b64 s[8:9], s[0:1], 0x2b8
	s_bfe_u32 s2, ttmp6, 0x40010
	s_and_b32 s3, ttmp7, 0xffff
	s_add_co_i32 s2, s2, 1
	s_bfe_u32 s5, ttmp6, 0x4000c
	s_mul_i32 s2, s3, s2
	s_bfe_u32 s4, ttmp6, 0x40004
	s_add_co_i32 s5, s5, 1
	s_bfe_u32 s6, ttmp6, 0x40014
	s_add_co_i32 s4, s4, s2
	s_and_b32 s2, ttmp6, 15
	s_mul_i32 s5, ttmp9, s5
	s_lshr_b32 s7, ttmp7, 16
	s_add_co_i32 s6, s6, 1
	s_add_co_i32 s2, s2, s5
	s_mul_i32 s5, s7, s6
	s_bfe_u32 s6, ttmp6, 0x40008
	s_getreg_b32 s10, hwreg(HW_REG_IB_STS2, 6, 4)
	s_add_co_i32 s6, s6, s5
	s_cmp_eq_u32 s10, 0
	s_mov_b32 s41, 0
	s_cselect_b32 s5, s7, s6
	s_cselect_b32 s3, s3, s4
	s_wait_kmcnt 0x0
	s_mul_i32 s5, s9, s5
	s_cselect_b32 s9, ttmp9, s2
	s_add_co_i32 s2, s5, s3
	s_delay_alu instid0(SALU_CYCLE_1) | instskip(NEXT) | instid1(SALU_CYCLE_1)
	s_mul_i32 s2, s2, s8
	s_add_co_i32 s40, s2, s9
	s_delay_alu instid0(SALU_CYCLE_1)
	s_cmp_ge_u32 s40, s39
	s_cbranch_scc1 .LBB59_414
; %bb.1:
	s_clause 0x6
	s_load_b32 s4, s[0:1], 0xc
	s_load_b64 s[42:43], s[0:1], 0x23c
	s_load_b32 s64, s[0:1], 0xfc
	s_load_b32 s63, s[0:1], 0x1dc
	;; [unrolled: 1-line block ×3, first 2 shown]
	s_load_b64 s[12:13], s[0:1], 0x6c
	s_load_b64 s[10:11], s[0:1], 0x0
	s_add_nc_u64 s[14:15], s[0:1], 0x2b8
	v_mov_b32_e32 v17, 0
	s_wait_kmcnt 0x0
	s_cvt_f32_u32 s2, s4
	s_sub_co_i32 s5, 0, s64
	s_cvt_f32_u32 s3, s63
	s_delay_alu instid0(SALU_CYCLE_1) | instskip(SKIP_2) | instid1(TRANS32_DEP_1)
	v_rcp_iflag_f32_e32 v1, s2
	s_sub_co_i32 s2, 0, s4
	v_nop
	v_mul_f32_e32 v1, 0x4f7ffffe, v1
	s_delay_alu instid0(VALU_DEP_1) | instskip(NEXT) | instid1(VALU_DEP_1)
	v_cvt_u32_f32_e32 v1, v1
	v_mul_lo_u32 v2, s2, v1
	s_cvt_f32_u32 s2, s64
	s_delay_alu instid0(VALU_DEP_1) | instskip(NEXT) | instid1(VALU_DEP_1)
	v_mul_hi_u32 v2, v1, v2
	v_add_nc_u32_e32 v16, v1, v2
	s_delay_alu instid0(SALU_CYCLE_1) | instskip(NEXT) | instid1(VALU_DEP_1)
	v_rcp_iflag_f32_e32 v1, s2
	v_mul_u64_e32 v[2:3], s[40:41], v[16:17]
	v_rcp_iflag_f32_e32 v2, s3
	s_delay_alu instid0(TRANS32_DEP_2) | instskip(SKIP_1) | instid1(TRANS32_DEP_1)
	v_readfirstlane_b32 s2, v1
	s_mul_f32 s2, s2, 0x4f7ffffe
	v_readfirstlane_b32 s3, v2
	s_delay_alu instid0(SALU_CYCLE_2) | instskip(SKIP_1) | instid1(SALU_CYCLE_2)
	s_cvt_u32_f32 s2, s2
	s_mul_f32 s3, s3, 0x4f7ffffe
	s_mul_i32 s5, s5, s2
	s_delay_alu instid0(SALU_CYCLE_2) | instskip(SKIP_2) | instid1(SALU_CYCLE_1)
	s_cvt_u32_f32 s6, s3
	s_sub_co_i32 s3, 0, s63
	s_mul_hi_u32 s5, s2, s5
	s_mul_i32 s3, s3, s6
	s_add_co_i32 s2, s2, s5
	v_cmp_eq_u32_e64 s5, 0, v0
	s_mul_hi_u32 s7, s6, s3
	s_mov_b32 s3, s41
	s_add_co_i32 s6, s6, s7
	s_mov_b32 s7, s41
	s_and_saveexec_b32 s16, s5
; %bb.2:
	v_dual_mov_b32 v4, 0 :: v_dual_mov_b32 v5, s36
	s_delay_alu instid0(VALU_DEP_1)
	v_mov_b32_e32 v6, v4
	ds_store_b96 v4, v[4:6] offset:4096
; %bb.3:
	s_or_b32 exec_lo, exec_lo, s16
	v_mul_lo_u32 v1, v3, s4
	v_add_nc_u32_e32 v2, 1, v3
	s_clause 0x1
	s_load_b64 s[46:47], s[0:1], 0x1d0
	s_load_b64 s[48:49], s[0:1], 0xf0
	s_wait_dscnt 0x0
	s_barrier_signal -1
	s_barrier_wait -1
	s_load_b32 s16, s[14:15], 0xc
	v_mbcnt_lo_u32_b32 v11, -1, 0
	v_add_max_u32_e64 v7, v0, 2, s36
	v_dual_lshlrev_b32 v22, 1, v0 :: v_dual_sub_nc_u32 v4, s40, v1
	s_mul_u64 s[34:35], s[40:41], s[6:7]
	v_cmp_gt_u32_e64 s7, 32, v0
	s_bitcmp1_b32 s38, 0
	s_movk_i32 s17, 0x1f0
	v_subrev_nc_u32_e32 v5, s4, v4
	v_cmp_le_u32_e32 vcc_lo, s4, v4
	s_mul_u64 s[50:51], s[40:41], s[2:3]
	v_mul_lo_u32 v18, s62, v0
	v_cmp_gt_u32_e64 s3, s36, v0
	v_dual_cndmask_b32 v2, v3, v2 :: v_dual_lshlrev_b32 v1, 2, v0
	v_dual_cndmask_b32 v3, v4, v5, vcc_lo :: v_dual_lshrrev_b32 v5, 1, v0
	v_cmp_gt_u32_e64 s6, 2, v0
	s_delay_alu instid0(VALU_DEP_3) | instskip(NEXT) | instid1(VALU_DEP_4)
	v_mad_u32 v30, s62, v1, s62
	v_add_nc_u32_e32 v4, 1, v2
	s_delay_alu instid0(VALU_DEP_4)
	v_cmp_le_u32_e32 vcc_lo, s4, v3
	v_mov_b32_e32 v19, v17
	v_and_or_b32 v24, v5, s17, 0xc00
	v_cmp_eq_u32_e64 s2, 0, v11
	v_dual_mov_b32 v38, 0 :: v_dual_add_nc_u32 v23, 0xc00, v22
	v_cndmask_b32_e32 v4, v2, v4, vcc_lo
	v_lshlrev_b64_e64 v[2:3], v11, -1
	v_cmp_gt_i32_e32 vcc_lo, 4, v11
	v_lshl_or_b32 v36, v11, 2, 0xc00
	v_dual_mov_b32 v39, s37 :: v_dual_mov_b32 v29, 0
	v_mul_lo_u32 v6, v4, s4
	s_cselect_b32 s4, -1, 0
	s_wait_kmcnt 0x0
	s_and_b32 s41, s16, 0xffff
	v_mul_lo_u32 v4, v4, s12
	s_xor_b32 s65, s4, -1
	s_and_b32 s66, s7, vcc_lo
	s_lshl_b32 s67, s41, 2
	s_cmp_gt_u32 s36, 0x600
	s_cvt_f32_u32 s7, s67
	s_cselect_b32 s68, -1, 0
	s_cmp_gt_u32 s41, 31
	v_sub_nc_u32_e32 v3, s40, v6
	v_xad_u32 v6, v0, -1, v7
	s_cselect_b32 s69, -1, 0
	s_add_co_i32 s70, s41, -1
	v_not_b32_e32 v10, v2
	s_delay_alu instid0(VALU_DEP_2)
	v_dual_mov_b32 v37, 0 :: v_dual_add_nc_u32 v5, -4, v6
	v_mul_lo_u32 v3, v3, s13
	s_add_co_i32 s13, s70, s36
	s_cmp_lt_u32 s9, s8
	s_mov_b32 s39, 0
	s_cselect_b32 s38, 12, 18
	s_bfe_u32 s71, s16, 0xb0005
	v_lshrrev_b32_e32 v7, 2, v5
	s_mul_i32 s50, s62, s41
	s_mov_b32 s79, s62
	s_mov_b32 s80, s62
	;; [unrolled: 1-line block ×3, first 2 shown]
	v_add_nc_u32_e32 v16, v4, v3
	v_rcp_iflag_f32_e32 v4, s7
	s_add_co_i32 s7, s71, -2
	v_lshlrev_b32_e32 v35, 3, v0
	s_lshr_b32 s8, s7, 1
	v_lshlrev_b64_e32 v[2:3], 1, v[16:17]
	s_add_co_i32 s8, s8, 1
	s_cmp_gt_u32 s41, 63
	v_readfirstlane_b32 s9, v4
	s_cselect_b32 s72, -1, 0
	s_and_b32 s73, s71, 0x7fe
	s_and_b32 s74, s8, 7
	s_cmp_gt_u32 s7, 13
	s_mul_f32 s7, s9, 0x4f7ffffe
	s_cselect_b32 s75, -1, 0
	s_and_b32 s76, s8, -8
	s_cmp_lg_u32 s74, 0
	s_cvt_u32_f32 s8, s7
	s_cselect_b32 s77, -1, 0
	s_cmp_lg_u32 s73, s71
	s_cvt_f32_u32 s9, s41
	s_cselect_b32 s78, -1, 0
	s_sub_co_i32 s7, 0, s67
	v_add_nc_u64_e32 v[12:13], s[10:11], v[2:3]
	s_mul_i32 s7, s7, s8
	v_rcp_iflag_f32_e32 v3, s9
	s_mul_hi_u32 s10, s8, s7
	v_add_nc_u32_e32 v2, 1, v7
	s_add_co_i32 s52, s8, s10
	v_or_b32_e32 v4, 3, v1
	s_mul_hi_u32 s8, s36, s52
	v_lshl_add_u64 v[14:15], v[18:19], 1, v[12:13]
	s_mul_i32 s8, s8, s67
	v_readfirstlane_b32 s9, v3
	s_sub_co_i32 s8, s36, s8
	v_and_b32_e32 v19, -4, v6
	s_sub_co_i32 s10, s8, s67
	s_cmp_ge_u32 s8, s67
	s_mul_f32 s9, s9, 0x4f7ffffe
	s_cselect_b32 s8, s10, s8
	v_dual_add_nc_u32 v25, v0, v19 :: v_dual_bitop2_b32 v3, 3, v2 bitop3:0x40
	s_sub_co_i32 s10, s8, s67
	s_cmp_ge_u32 s8, s67
	s_cvt_u32_f32 s9, s9
	s_cselect_b32 s16, s10, s8
	s_sub_co_i32 s10, 0, s41
	s_sub_co_i32 s82, s36, s16
	s_mul_i32 s10, s10, s9
	v_dual_add_nc_u32 v26, s82, v0 :: v_dual_lshlrev_b32 v28, 3, v3
	s_mul_hi_u32 s10, s9, s10
	v_and_b32_e32 v27, 0x7ffffffc, v2
	s_add_co_i32 s54, s9, s10
	v_add3_u32 v2, s41, s36, v0
	s_mul_hi_u32 s10, s13, s54
	v_cmp_ne_u32_e64 s9, 0, v3
	s_mul_i32 s10, s10, s41
	v_mul_lo_u32 v16, v26, s62
	s_sub_co_i32 s11, s13, s10
	v_dual_lshlrev_b32 v33, 2, v18 :: v_dual_bitop2_b32 v3, 2, v1 bitop3:0x54
	s_sub_co_i32 s12, s11, s41
	s_cmp_ge_u32 s11, s41
	v_subrev_nc_u32_e32 v2, s16, v2
	s_cselect_b32 s17, s12, s11
	v_mul_lo_u32 v31, s62, v3
	s_sub_co_i32 s18, s17, s41
	s_cmp_ge_u32 s17, s41
	v_mul_lo_u32 v32, s62, v4
	v_mul_lo_u32 v34, s62, v2
	s_cselect_b32 s17, s18, s17
	v_cmp_lt_u32_e64 s7, 31, v6
	s_sub_co_i32 s83, s13, s17
	v_cmp_lt_u32_e64 s8, 11, v5
	v_cmp_ne_u32_e64 s10, v6, v19
	v_cmp_gt_u32_e64 s11, s82, v1
	v_cmp_gt_u32_e64 s12, s36, v26
	v_lshl_add_u64 v[20:21], v[16:17], 1, v[12:13]
	v_cmp_gt_u32_e64 s13, s83, v0
	s_mov_b32 s53, s39
	s_mov_b32 s55, s39
	s_lshl_b32 s84, s50, 2
	s_lshl_b32 s85, s41, 3
	;; [unrolled: 1-line block ×3, first 2 shown]
	s_mov_b32 s87, 14
	s_add_nc_u64 s[56:57], s[14:15], s[38:39]
	s_mov_b32 s88, 0
	s_mov_b32 s90, 0
                                        ; implicit-def: $sgpr89
                                        ; implicit-def: $sgpr93
                                        ; implicit-def: $sgpr92
                                        ; implicit-def: $sgpr94
                                        ; implicit-def: $sgpr91
                                        ; implicit-def: $sgpr98
                                        ; implicit-def: $sgpr99
                                        ; implicit-def: $sgpr95
                                        ; implicit-def: $sgpr97
                                        ; implicit-def: $sgpr96
	s_branch .LBB59_6
.LBB59_4:                               ;   in Loop: Header=BB59_6 Depth=1
	s_or_b32 exec_lo, exec_lo, s17
	v_mov_b32_e32 v39, v5
	s_and_not1_b32 s17, s96, exec_lo
	s_and_b32 s16, s16, exec_lo
	s_and_not1_b32 s97, s97, exec_lo
	s_or_b32 s96, s17, s16
	s_and_not1_b32 s95, s95, exec_lo
	s_and_not1_b32 s99, s99, exec_lo
	;; [unrolled: 1-line block ×3, first 2 shown]
	s_or_not1_b32 s17, s15, exec_lo
.LBB59_5:                               ;   in Loop: Header=BB59_6 Depth=1
	s_or_b32 exec_lo, exec_lo, s14
	s_delay_alu instid0(SALU_CYCLE_1) | instskip(NEXT) | instid1(SALU_CYCLE_1)
	s_and_b32 s14, exec_lo, s17
	s_or_b32 s88, s14, s88
	s_and_not1_b32 s14, s91, exec_lo
	s_and_b32 s15, s96, exec_lo
	s_and_not1_b32 s16, s94, exec_lo
	s_or_b32 s91, s14, s15
	s_and_b32 s14, s97, exec_lo
	s_and_not1_b32 s15, s92, exec_lo
	s_and_b32 s17, s95, exec_lo
	s_or_b32 s94, s16, s14
	s_or_b32 s92, s15, s17
	s_and_not1_b32 s14, s93, exec_lo
	s_and_b32 s15, s99, exec_lo
	s_and_not1_b32 s16, s89, exec_lo
	s_and_b32 s17, s98, exec_lo
	s_or_b32 s93, s14, s15
	s_or_b32 s89, s16, s17
	s_and_not1_b32 exec_lo, exec_lo, s88
	s_cbranch_execz .LBB59_410
.LBB59_6:                               ; =>This Loop Header: Depth=1
                                        ;     Child Loop BB59_11 Depth 2
                                        ;     Child Loop BB59_32 Depth 2
	;; [unrolled: 1-line block ×27, first 2 shown]
	ds_load_b64 v[2:3], v17 offset:4096
	s_wait_dscnt 0x0
	v_readfirstlane_b32 s38, v2
	s_cmp_lg_u32 s38, 0
	s_cbranch_scc1 .LBB59_51
; %bb.7:                                ;   in Loop: Header=BB59_6 Depth=1
	s_and_b32 vcc_lo, exec_lo, s68
	s_cbranch_vccz .LBB59_19
; %bb.8:                                ;   in Loop: Header=BB59_6 Depth=1
	v_cmp_gt_u32_e32 vcc_lo, 0x601, v3
	s_mov_b32 s16, 0
	s_mov_b32 s14, 0
	s_cbranch_vccz .LBB59_20
; %bb.9:                                ;   in Loop: Header=BB59_6 Depth=1
	global_load_u16 v3, v[14:15], off
	s_load_u16 s17, s[56:57], 0x0
	s_mov_b32 s18, 0
	s_wait_kmcnt 0x0
	v_dual_mov_b32 v4, v0 :: v_dual_add_nc_u32 v2, s17, v0
	s_mul_i32 s19, s62, s17
	s_delay_alu instid0(VALU_DEP_1)
	v_mul_lo_u32 v2, s62, v2
	s_branch .LBB59_11
.LBB59_10:                              ;   in Loop: Header=BB59_11 Depth=2
	s_or_b32 exec_lo, exec_lo, s15
	v_dual_mov_b32 v3, v5 :: v_dual_add_nc_u32 v2, s19, v2
	s_and_not1_b32 exec_lo, exec_lo, s18
	s_cbranch_execz .LBB59_26
.LBB59_11:                              ;   Parent Loop BB59_6 Depth=1
                                        ; =>  This Inner Loop Header: Depth=2
	s_wait_dscnt 0x0
	v_dual_add_nc_u32 v4, s17, v4 :: v_dual_mov_b32 v6, 0
	v_mov_b32_e32 v5, 0
	s_mov_b32 s15, exec_lo
	s_delay_alu instid0(VALU_DEP_2)
	v_cmp_le_u32_e32 vcc_lo, s36, v4
	v_cmpx_gt_u32_e64 s36, v4
	s_cbranch_execz .LBB59_13
; %bb.12:                               ;   in Loop: Header=BB59_11 Depth=2
	v_readfirstlane_b32 s20, v12
	v_readfirstlane_b32 s21, v13
	global_load_u16 v5, v2, s[20:21] scale_offset
.LBB59_13:                              ;   in Loop: Header=BB59_11 Depth=2
	s_wait_xcnt 0x0
	s_or_b32 exec_lo, exec_lo, s15
	s_wait_loadcnt 0x0
	v_bfe_i32 v7, v3, 0, 16
	s_delay_alu instid0(VALU_DEP_1) | instskip(NEXT) | instid1(VALU_DEP_1)
	v_add_nc_u32_e32 v7, 0x8000, v7
	v_and_b32_e32 v7, v7, v37
	s_delay_alu instid0(VALU_DEP_1) | instskip(SKIP_2) | instid1(SALU_CYCLE_1)
	v_cmp_eq_u32_e64 s14, v7, v29
	s_cmp_lg_u32 s14, 0
	s_cselect_b32 s15, -1, 0
	s_and_b32 s15, s2, s15
	s_delay_alu instid0(SALU_CYCLE_1)
	s_and_saveexec_b32 s20, s15
	s_cbranch_execz .LBB59_17
; %bb.14:                               ;   in Loop: Header=BB59_11 Depth=2
	s_mov_b32 s23, exec_lo
	s_bcnt1_i32_b32 s21, s14
	v_mbcnt_lo_u32_b32 v6, s23, 0
	s_mov_b32 s22, exec_lo
                                        ; implicit-def: $vgpr7
	s_delay_alu instid0(VALU_DEP_1)
	v_cmpx_eq_u32_e32 0, v6
; %bb.15:                               ;   in Loop: Header=BB59_11 Depth=2
	s_bcnt1_i32_b32 s15, s23
	s_delay_alu instid0(SALU_CYCLE_1) | instskip(NEXT) | instid1(SALU_CYCLE_1)
	s_mul_i32 s15, s21, s15
	v_mov_b32_e32 v7, s15
	ds_add_rtn_u32 v7, v17, v7 offset:4104
; %bb.16:                               ;   in Loop: Header=BB59_11 Depth=2
	s_or_b32 exec_lo, exec_lo, s22
	s_wait_dscnt 0x0
	v_readfirstlane_b32 s15, v7
	s_delay_alu instid0(VALU_DEP_1)
	v_mad_u32_u24 v6, s21, v6, s15
.LBB59_17:                              ;   in Loop: Header=BB59_11 Depth=2
	s_or_b32 exec_lo, exec_lo, s20
	ds_bpermute_b32 v6, v17, v6
	s_and_b32 s15, exec_lo, vcc_lo
	s_delay_alu instid0(SALU_CYCLE_1)
	s_or_b32 s18, s15, s18
	s_and_saveexec_b32 s15, s14
	s_cbranch_execz .LBB59_10
; %bb.18:                               ;   in Loop: Header=BB59_11 Depth=2
	v_and_b32_e32 v7, s14, v10
	s_delay_alu instid0(VALU_DEP_1) | instskip(NEXT) | instid1(VALU_DEP_1)
	v_bcnt_u32_b32 v7, v7, 0
	v_lshlrev_b32_e32 v7, 1, v7
	s_wait_dscnt 0x0
	s_delay_alu instid0(VALU_DEP_1)
	v_lshl_add_u32 v6, v6, 1, v7
	ds_store_b16 v6, v3
	s_branch .LBB59_10
.LBB59_19:                              ;   in Loop: Header=BB59_6 Depth=1
	s_mov_b32 s16, -1
	s_mov_b32 s14, 0
.LBB59_20:                              ;   in Loop: Header=BB59_6 Depth=1
	s_and_b32 vcc_lo, exec_lo, s16
	s_cbranch_vccz .LBB59_49
.LBB59_21:                              ;   in Loop: Header=BB59_6 Depth=1
	s_and_saveexec_b32 s15, s3
	s_cbranch_execz .LBB59_46
; %bb.22:                               ;   in Loop: Header=BB59_6 Depth=1
	global_load_u16 v16, v[14:15], off
	s_load_u16 s17, s[56:57], 0x0
	s_mov_b32 s16, exec_lo
	s_wait_kmcnt 0x0
	v_dual_mov_b32 v4, v0 :: v_dual_add_nc_u32 v2, s17, v0
	s_delay_alu instid0(VALU_DEP_1)
	v_cmpx_gt_u32_e64 s36, v2
	s_cbranch_execz .LBB59_45
; %bb.23:                               ;   in Loop: Header=BB59_6 Depth=1
	s_mov_b32 s14, 0
	s_mul_i32 s18, s62, s17
                                        ; implicit-def: $vgpr4
                                        ; implicit-def: $vgpr6
                                        ; implicit-def: $vgpr3
                                        ; implicit-def: $vgpr5
	s_and_saveexec_b32 s19, s7
	s_delay_alu instid0(SALU_CYCLE_1)
	s_xor_b32 s19, exec_lo, s19
	s_cbranch_execnz .LBB59_29
; %bb.24:                               ;   in Loop: Header=BB59_6 Depth=1
	s_and_not1_saveexec_b32 s19, s19
	s_cbranch_execnz .LBB59_40
.LBB59_25:                              ;   in Loop: Header=BB59_6 Depth=1
	s_or_b32 exec_lo, exec_lo, s19
	s_and_saveexec_b32 s18, s14
	s_cbranch_execnz .LBB59_41
	s_branch .LBB59_44
.LBB59_26:                              ;   in Loop: Header=BB59_6 Depth=1
	s_or_b32 exec_lo, exec_lo, s18
	s_wait_dscnt 0x0
	s_barrier_signal -1
	s_barrier_wait -1
	s_and_saveexec_b32 s14, s5
	s_cbranch_execz .LBB59_28
; %bb.27:                               ;   in Loop: Header=BB59_6 Depth=1
	ds_load_b32 v2, v17 offset:4104
	s_wait_dscnt 0x0
	ds_store_b32 v17, v2 offset:4096
.LBB59_28:                              ;   in Loop: Header=BB59_6 Depth=1
	s_or_b32 exec_lo, exec_lo, s14
	s_wait_dscnt 0x0
	s_barrier_signal -1
	s_mov_b32 s14, -1
	s_barrier_wait -1
	s_and_b32 vcc_lo, exec_lo, s16
	s_cbranch_vccnz .LBB59_21
	s_branch .LBB59_49
.LBB59_29:                              ;   in Loop: Header=BB59_6 Depth=1
	s_cvt_f32_u32 s14, s17
	v_add_max_u32_e64 v3, v2, s17, s36
	s_delay_alu instid0(SALU_CYCLE_2) | instskip(SKIP_1) | instid1(VALU_DEP_1)
	v_rcp_iflag_f32_e32 v4, s14
	s_lshl_b32 s14, s17, 1
	v_sub_nc_u32_e32 v3, v3, v0
	s_delay_alu instid0(VALU_DEP_1) | instskip(NEXT) | instid1(TRANS32_DEP_1)
	v_cmp_ne_u32_e32 vcc_lo, s14, v3
	v_readfirstlane_b32 s20, v4
	v_cndmask_b32_e64 v4, 0, 1, vcc_lo
	s_mul_f32 s20, s20, 0x4f7ffffe
	s_delay_alu instid0(VALU_DEP_1) | instskip(NEXT) | instid1(SALU_CYCLE_2)
	v_or_b32_e32 v4, s14, v4
	s_cvt_u32_f32 s14, s20
	s_sub_co_i32 s20, 0, s17
	s_delay_alu instid0(SALU_CYCLE_2) | instskip(NEXT) | instid1(VALU_DEP_1)
	s_mul_i32 s20, s20, s14
	v_sub_nc_u32_e32 v3, v3, v4
	s_mul_hi_u32 s20, s14, s20
	s_delay_alu instid0(SALU_CYCLE_1)
	s_add_co_i32 s14, s14, s20
	s_delay_alu instid0(VALU_DEP_1) | instid1(SALU_CYCLE_1)
	v_mul_hi_u32 v4, v3, s14
	s_delay_alu instid0(VALU_DEP_1) | instskip(NEXT) | instid1(VALU_DEP_1)
	v_mul_lo_u32 v5, v4, s17
	v_dual_sub_nc_u32 v3, v3, v5 :: v_dual_add_nc_u32 v5, 1, v4
	s_delay_alu instid0(VALU_DEP_1) | instskip(SKIP_1) | instid1(VALU_DEP_1)
	v_subrev_nc_u32_e32 v6, s17, v3
	v_cmp_le_u32_e64 s14, s17, v3
	v_dual_cndmask_b32 v4, v4, v5, s14 :: v_dual_cndmask_b32 v3, v3, v6, s14
	s_delay_alu instid0(VALU_DEP_1) | instskip(NEXT) | instid1(VALU_DEP_2)
	v_add_nc_u32_e32 v5, 1, v4
	v_cmp_le_u32_e64 s14, s17, v3
	s_delay_alu instid0(VALU_DEP_1) | instskip(SKIP_2) | instid1(VALU_DEP_2)
	v_cndmask_b32_e64 v3, v4, v5, s14
	v_mul_lo_u32 v4, s62, v2
	s_abs_i32 s14, s18
	v_add_co_ci_u32_e64 v3, null, 0, v3, vcc_lo
	s_delay_alu instid0(VALU_DEP_1) | instskip(SKIP_2) | instid1(SALU_CYCLE_1)
	v_mul_hi_u32 v5, s14, v3
	v_mul_lo_u32 v3, s14, v3
	s_not_b32 s14, s18
	s_ashr_i32 s14, s14, 31
	s_cmp_eq_u32 s17, 1
	s_delay_alu instid0(VALU_DEP_4) | instskip(SKIP_1) | instid1(VALU_DEP_3)
	v_xor_b32_e32 v4, s14, v4
	s_cselect_b32 s20, -1, 0
	v_cmp_eq_u32_e32 vcc_lo, 0, v5
	s_delay_alu instid0(VALU_DEP_2) | instskip(SKIP_2) | instid1(SALU_CYCLE_1)
	v_cmp_le_u32_e64 s14, v3, v4
	v_mov_b32_e32 v3, v0
                                        ; implicit-def: $vgpr4
	s_and_b32 s20, vcc_lo, s20
	s_and_b32 s21, s20, s14
	s_mov_b32 s20, -1
	s_and_saveexec_b32 s14, s21
	s_cbranch_execz .LBB59_39
; %bb.30:                               ;   in Loop: Header=BB59_6 Depth=1
	v_dual_add_nc_u32 v5, 3, v2 :: v_dual_add_nc_u32 v4, 2, v2
	s_wait_loadcnt 0x0
	v_dual_add_nc_u32 v3, 1, v2 :: v_dual_lshlrev_b32 v40, 16, v16
	v_mov_b32_e32 v43, 0
                                        ; implicit-def: $vgpr16
	s_delay_alu instid0(VALU_DEP_3) | instskip(NEXT) | instid1(VALU_DEP_3)
	v_mov_b64_e32 v[8:9], v[4:5]
	v_mov_b64_e32 v[6:7], v[2:3]
	s_and_saveexec_b32 s20, s8
	s_cbranch_execz .LBB59_34
; %bb.31:                               ;   in Loop: Header=BB59_6 Depth=1
	v_mov_b64_e32 v[8:9], v[4:5]
	v_mov_b64_e32 v[6:7], v[2:3]
	v_dual_mov_b32 v41, v27 :: v_dual_mov_b32 v42, v22
	s_mov_b32 s21, 0
	s_mov_b32 s22, 0
.LBB59_32:                              ;   Parent Loop BB59_6 Depth=1
                                        ; =>  This Inner Loop Header: Depth=2
	s_delay_alu instid0(VALU_DEP_2) | instskip(SKIP_1) | instid1(VALU_DEP_4)
	v_mul_lo_u32 v16, v6, s62
	v_dual_mov_b32 v5, v17 :: v_dual_add_nc_u32 v3, 4, v6
	v_dual_add_nc_u32 v43, 4, v7 :: v_dual_add_nc_u32 v48, 4, v8
	v_dual_mov_b32 v49, v17 :: v_dual_add_nc_u32 v50, 4, v9
	v_mul_lo_u32 v46, v7, s79
	v_dual_mov_b32 v47, v17 :: v_dual_mov_b32 v45, v17
	s_delay_alu instid0(VALU_DEP_3)
	v_mul_lo_u32 v52, v50, s81
	v_mul_lo_u32 v50, v48, s80
	;; [unrolled: 1-line block ×3, first 2 shown]
	v_lshl_add_u64 v[66:67], v[16:17], 1, v[12:13]
	v_mul_lo_u32 v16, v3, s62
	v_dual_add_nc_u32 v68, 8, v6 :: v_dual_add_nc_u32 v54, 8, v7
	v_dual_add_nc_u32 v60, 12, v7 :: v_dual_add_nc_u32 v62, 12, v8
	v_lshl_add_u64 v[46:47], v[46:47], 1, v[12:13]
	s_clause 0x1
	global_load_u16 v3, v[66:67], off
	global_load_u16 v70, v[46:47], off
	s_wait_xcnt 0x0
	v_lshl_add_u64 v[46:47], v[48:49], 1, v[12:13]
	v_lshl_add_u64 v[48:49], v[16:17], 1, v[12:13]
	v_mul_lo_u32 v16, v68, s62
	v_mul_lo_u32 v44, v8, s80
	v_dual_add_nc_u32 v56, 8, v8 :: v_dual_add_nc_u32 v58, 8, v9
	v_dual_mov_b32 v59, v17 :: v_dual_add_nc_u32 v69, 12, v6
	v_mul_lo_u32 v4, v9, s81
	v_dual_mov_b32 v61, v17 :: v_dual_add_nc_u32 v64, 12, v9
	v_mul_lo_u32 v62, v62, s80
	v_mul_lo_u32 v54, v54, s79
	;; [unrolled: 1-line block ×5, first 2 shown]
	v_lshl_add_u64 v[66:67], v[16:17], 1, v[12:13]
	v_mul_lo_u32 v16, v69, s62
	v_mul_lo_u32 v64, v64, s81
	v_dual_mov_b32 v63, v17 :: v_dual_mov_b32 v65, v17
	v_dual_mov_b32 v51, v17 :: v_dual_mov_b32 v53, v17
	;; [unrolled: 1-line block ×3, first 2 shown]
	v_lshl_add_u64 v[44:45], v[44:45], 1, v[12:13]
	v_lshl_add_u64 v[4:5], v[4:5], 1, v[12:13]
	;; [unrolled: 1-line block ×9, first 2 shown]
	s_clause 0x8
	global_load_u16 v44, v[44:45], off
	global_load_u16 v68, v[4:5], off
	;; [unrolled: 1-line block ×9, first 2 shown]
	v_lshl_add_u64 v[4:5], v[16:17], 1, v[12:13]
	v_lshl_add_u64 v[64:65], v[64:65], 1, v[12:13]
	s_clause 0x4
	global_load_u16 v55, v[62:63], off
	global_load_u16 v48, v[48:49], off
	global_load_u16 v56, v[66:67], off
	global_load_u16 v4, v[4:5], off
	global_load_u16 v16, v[64:65], off
	s_add_co_i32 s22, s22, 16
	s_delay_alu instid0(SALU_CYCLE_1) | instskip(SKIP_2) | instid1(VALU_DEP_3)
	v_dual_add_nc_u32 v41, -4, v41 :: v_dual_mov_b32 v43, s22
	v_dual_add_nc_u32 v9, 16, v9 :: v_dual_add_nc_u32 v8, 16, v8
	v_dual_add_nc_u32 v7, 16, v7 :: v_dual_add_nc_u32 v6, 16, v6
	v_cmp_eq_u32_e32 vcc_lo, 0, v41
	s_or_b32 s21, vcc_lo, s21
	s_wait_loadcnt 0xd
	v_perm_b32 v45, v44, v70, 0x5040100
	v_alignbit_b32 v44, v3, v40, 16
	s_wait_loadcnt 0xa
	v_perm_b32 v47, v47, v46, 0x5040100
	s_wait_loadcnt 0x7
	s_wait_xcnt 0x3
	v_perm_b32 v49, v52, v51, 0x5040100
	s_wait_loadcnt 0x3
	v_perm_b32 v46, v48, v68, 0x5040100
	v_perm_b32 v51, v55, v54, 0x5040100
	s_wait_loadcnt 0x2
	v_perm_b32 v48, v56, v50, 0x5040100
	s_wait_loadcnt 0x1
	;; [unrolled: 2-line block ×3, first 2 shown]
	v_perm_b32 v40, v16, v55, 0x5040100
	ds_store_b128 v42, v[44:47]
	ds_store_b128 v42, v[48:51] offset:16
	v_add_nc_u32_e32 v42, 32, v42
	s_wait_xcnt 0x0
	s_and_not1_b32 exec_lo, exec_lo, s21
	s_cbranch_execnz .LBB59_32
; %bb.33:                               ;   in Loop: Header=BB59_6 Depth=1
	s_or_b32 exec_lo, exec_lo, s21
.LBB59_34:                              ;   in Loop: Header=BB59_6 Depth=1
	s_delay_alu instid0(SALU_CYCLE_1)
	s_or_b32 exec_lo, exec_lo, s20
	s_and_saveexec_b32 s20, s9
	s_cbranch_execz .LBB59_38
; %bb.35:                               ;   in Loop: Header=BB59_6 Depth=1
	v_lshl_add_u32 v3, v43, 1, v22
	v_mov_b32_e32 v4, v28
	s_mov_b32 s21, 0
.LBB59_36:                              ;   Parent Loop BB59_6 Depth=1
                                        ; =>  This Inner Loop Header: Depth=2
	v_mul_lo_u32 v42, v7, s79
	v_mul_lo_u32 v44, v8, s80
	;; [unrolled: 1-line block ×4, first 2 shown]
	v_dual_mov_b32 v43, v17 :: v_dual_mov_b32 v45, v17
	v_dual_mov_b32 v47, v17 :: v_dual_add_nc_u32 v9, 4, v9
	v_dual_add_nc_u32 v4, -8, v4 :: v_dual_add_nc_u32 v6, 4, v6
	v_dual_add_nc_u32 v8, 4, v8 :: v_dual_add_nc_u32 v7, 4, v7
	s_delay_alu instid0(VALU_DEP_4)
	v_lshl_add_u64 v[42:43], v[42:43], 1, v[12:13]
	v_lshl_add_u64 v[44:45], v[44:45], 1, v[12:13]
	;; [unrolled: 1-line block ×4, first 2 shown]
	s_clause 0x3
	global_load_u16 v5, v[42:43], off
	global_load_u16 v42, v[44:45], off
	;; [unrolled: 1-line block ×4, first 2 shown]
	v_cmp_eq_u32_e32 vcc_lo, 0, v4
	s_or_b32 s21, vcc_lo, s21
	s_wait_loadcnt 0x2
	v_perm_b32 v41, v42, v5, 0x5040100
	s_wait_loadcnt 0x1
	v_alignbit_b32 v40, v43, v40, 16
	s_wait_loadcnt 0x0
	v_perm_b32 v5, v16, v42, 0x5040100
	ds_store_b64 v3, v[40:41]
	v_dual_mov_b32 v40, v5 :: v_dual_add_nc_u32 v3, 8, v3
	s_and_not1_b32 exec_lo, exec_lo, s21
	s_cbranch_execnz .LBB59_36
; %bb.37:                               ;   in Loop: Header=BB59_6 Depth=1
	s_or_b32 exec_lo, exec_lo, s21
.LBB59_38:                              ;   in Loop: Header=BB59_6 Depth=1
	s_delay_alu instid0(SALU_CYCLE_1) | instskip(SKIP_2) | instid1(VALU_DEP_1)
	s_or_b32 exec_lo, exec_lo, s20
	v_dual_mov_b32 v3, v25 :: v_dual_add_nc_u32 v2, v2, v19
	s_or_not1_b32 s20, s10, exec_lo
	v_add_nc_u32_e32 v4, -1, v2
.LBB59_39:                              ;   in Loop: Header=BB59_6 Depth=1
	s_or_b32 exec_lo, exec_lo, s14
	s_wait_loadcnt 0x0
	v_dual_mov_b32 v5, s18 :: v_dual_mov_b32 v6, v16
	s_and_b32 s14, s20, exec_lo
	s_and_not1_saveexec_b32 s19, s19
	s_cbranch_execz .LBB59_25
.LBB59_40:                              ;   in Loop: Header=BB59_6 Depth=1
	s_wait_loadcnt 0x0
	v_dual_mov_b32 v5, s18 :: v_dual_mov_b32 v6, v16
	v_mov_b32_e32 v3, v0
	s_or_b32 s14, s14, exec_lo
	s_or_b32 exec_lo, exec_lo, s19
	s_and_saveexec_b32 s18, s14
	s_cbranch_execz .LBB59_44
.LBB59_41:                              ;   in Loop: Header=BB59_6 Depth=1
	v_mul_lo_u32 v4, s62, v2
	s_mov_b32 s19, 0
	s_sub_co_i32 s14, 0, s17
.LBB59_42:                              ;   Parent Loop BB59_6 Depth=1
                                        ; =>  This Inner Loop Header: Depth=2
	v_readfirstlane_b32 s20, v12
	v_readfirstlane_b32 s21, v13
	v_dual_mov_b32 v7, v2 :: v_dual_lshlrev_b32 v3, 1, v3
	s_wait_loadcnt 0x0
	global_load_u16 v16, v4, s[20:21] scale_offset
	s_wait_xcnt 0x0
	v_dual_add_nc_u32 v2, s17, v7 :: v_dual_add_nc_u32 v4, v4, v5
	ds_store_b16 v3, v6
	v_mov_b32_e32 v3, v7
	v_cmp_le_u32_e32 vcc_lo, s36, v2
	s_or_b32 s19, vcc_lo, s19
	s_wait_loadcnt 0x0
	v_mov_b32_e32 v6, v16
	s_and_not1_b32 exec_lo, exec_lo, s19
	s_cbranch_execnz .LBB59_42
; %bb.43:                               ;   in Loop: Header=BB59_6 Depth=1
	s_or_b32 exec_lo, exec_lo, s19
	v_add_nc_u32_e32 v4, s14, v2
.LBB59_44:                              ;   in Loop: Header=BB59_6 Depth=1
	s_or_b32 exec_lo, exec_lo, s18
.LBB59_45:                              ;   in Loop: Header=BB59_6 Depth=1
	s_delay_alu instid0(SALU_CYCLE_1) | instskip(NEXT) | instid1(VALU_DEP_1)
	s_or_b32 exec_lo, exec_lo, s16
	v_lshlrev_b32_e32 v2, 1, v4
	s_wait_loadcnt 0x0
	ds_store_b16 v2, v16
.LBB59_46:                              ;   in Loop: Header=BB59_6 Depth=1
	s_or_b32 exec_lo, exec_lo, s15
	s_wait_dscnt 0x0
	s_barrier_signal -1
	s_barrier_wait -1
	s_and_saveexec_b32 s14, s5
; %bb.47:                               ;   in Loop: Header=BB59_6 Depth=1
	v_mov_b32_e32 v2, s36
	ds_store_b32 v17, v2 offset:4096
; %bb.48:                               ;   in Loop: Header=BB59_6 Depth=1
	s_or_b32 exec_lo, exec_lo, s14
	s_mov_b32 s14, -1
	s_wait_dscnt 0x0
	s_barrier_signal -1
	s_barrier_wait -1
.LBB59_49:                              ;   in Loop: Header=BB59_6 Depth=1
	s_and_b32 vcc_lo, exec_lo, s14
	s_mov_b32 s38, 0
	s_cbranch_vccz .LBB59_51
; %bb.50:                               ;   in Loop: Header=BB59_6 Depth=1
	ds_load_b32 v2, v17 offset:4096
	s_wait_dscnt 0x0
	v_readfirstlane_b32 s38, v2
.LBB59_51:                              ;   in Loop: Header=BB59_6 Depth=1
	s_delay_alu instid0(VALU_DEP_1)
	s_cmp_lt_i32 s38, 1
	s_mov_b32 s14, -1
                                        ; implicit-def: $vgpr4_vgpr5
	s_cbranch_scc1 .LBB59_64
; %bb.52:                               ;   in Loop: Header=BB59_6 Depth=1
	s_and_b32 vcc_lo, exec_lo, s14
	s_cbranch_vccnz .LBB59_75
.LBB59_53:                              ;   in Loop: Header=BB59_6 Depth=1
	s_lshl_b32 s16, s90, 7
	s_and_saveexec_b32 s14, s2
.LBB59_54:                              ;   in Loop: Header=BB59_6 Depth=1
	v_lshl_add_u32 v6, s16, 2, v24
	ds_store_b128 v6, v[2:5]
.LBB59_55:                              ;   in Loop: Header=BB59_6 Depth=1
	s_or_b32 exec_lo, exec_lo, s14
	s_wait_dscnt 0x0
	s_barrier_signal -1
	s_barrier_wait -1
	s_and_saveexec_b32 s17, s66
	s_cbranch_execz .LBB59_88
; %bb.56:                               ;   in Loop: Header=BB59_6 Depth=1
	v_dual_add_nc_u32 v4, s16, v11 :: v_dual_mov_b32 v2, 0
	s_and_not1_b32 vcc_lo, exec_lo, s69
	s_cbranch_vccnz .LBB59_87
; %bb.57:                               ;   in Loop: Header=BB59_6 Depth=1
	s_and_not1_b32 vcc_lo, exec_lo, s72
	s_cbranch_vccnz .LBB59_84
; %bb.58:                               ;   in Loop: Header=BB59_6 Depth=1
	v_lshl_add_u32 v5, v4, 2, 0xc00
	s_and_not1_b32 vcc_lo, exec_lo, s75
	s_cbranch_vccnz .LBB59_112
; %bb.59:                               ;   in Loop: Header=BB59_6 Depth=1
	v_dual_mov_b32 v2, 0 :: v_dual_mov_b32 v3, 0
	s_mov_b32 s15, 1
	s_mov_b32 s14, 0
	;; [unrolled: 1-line block ×3, first 2 shown]
.LBB59_60:                              ;   Parent Loop BB59_6 Depth=1
                                        ; =>  This Inner Loop Header: Depth=2
	v_lshl_add_u32 v16, s15, 4, v5
	v_lshl_add_u32 v50, s14, 4, v5
	s_add_co_i32 s18, s18, -8
	s_add_co_i32 s15, s15, 16
	s_add_co_i32 s14, s14, 16
	ds_load_2addr_b32 v[6:7], v16 offset1:8
	ds_load_2addr_b32 v[8:9], v50 offset1:8
	ds_load_2addr_b32 v[40:41], v16 offset0:16 offset1:24
	ds_load_2addr_b32 v[42:43], v50 offset0:16 offset1:24
	;; [unrolled: 1-line block ×6, first 2 shown]
	s_cmp_lg_u32 s18, 0
	s_wait_dscnt 0x7
	v_add3_u32 v3, v6, v3, v7
	s_wait_dscnt 0x6
	v_add3_u32 v2, v8, v2, v9
	s_wait_dscnt 0x5
	s_delay_alu instid0(VALU_DEP_2) | instskip(SKIP_1) | instid1(VALU_DEP_2)
	v_add3_u32 v3, v40, v3, v41
	s_wait_dscnt 0x4
	v_add3_u32 v2, v42, v2, v43
	s_wait_dscnt 0x3
	s_delay_alu instid0(VALU_DEP_2) | instskip(SKIP_1) | instid1(VALU_DEP_2)
	;; [unrolled: 5-line block ×3, first 2 shown]
	v_add3_u32 v3, v48, v3, v49
	s_wait_dscnt 0x0
	v_add3_u32 v2, v50, v2, v51
	s_cbranch_scc1 .LBB59_60
; %bb.61:                               ;   in Loop: Header=BB59_6 Depth=1
	s_and_not1_b32 vcc_lo, exec_lo, s77
	s_mov_b32 s18, s74
	s_cbranch_vccnz .LBB59_63
.LBB59_62:                              ;   Parent Loop BB59_6 Depth=1
                                        ; =>  This Inner Loop Header: Depth=2
	v_lshl_add_u32 v6, s15, 4, v5
	v_lshl_add_u32 v7, s14, 4, v5
	s_add_co_i32 s18, s18, -1
	s_add_co_i32 s15, s15, 2
	s_add_co_i32 s14, s14, 2
	ds_load_b32 v6, v6
	ds_load_b32 v7, v7
	s_cmp_lg_u32 s18, 0
	s_wait_dscnt 0x0
	v_dual_add_nc_u32 v3, v6, v3 :: v_dual_add_nc_u32 v2, v7, v2
	s_cbranch_scc1 .LBB59_62
.LBB59_63:                              ;   in Loop: Header=BB59_6 Depth=1
	s_delay_alu instid0(VALU_DEP_1) | instskip(SKIP_2) | instid1(SALU_CYCLE_1)
	v_add_nc_u32_e32 v2, v2, v3
	s_mov_b32 s14, s73
	s_mov_b32 s15, s78
	s_and_b32 vcc_lo, exec_lo, s15
	s_cbranch_vccnz .LBB59_85
	s_branch .LBB59_87
.LBB59_64:                              ;   in Loop: Header=BB59_6 Depth=1
	v_mov_b64_e32 v[4:5], 0
	v_mov_b64_e32 v[2:3], 0
	s_and_saveexec_b32 s100, s11
	s_cbranch_execz .LBB59_68
; %bb.65:                               ;   in Loop: Header=BB59_6 Depth=1
	v_mov_b32_e32 v6, v1
	s_mov_b32 s101, 0
	s_mov_b32 s102, 0
	;; [unrolled: 1-line block ×6, first 2 shown]
.LBB59_66:                              ;   Parent Loop BB59_6 Depth=1
                                        ; =>  This Inner Loop Header: Depth=2
	v_dual_add_nc_u32 v2, s102, v33 :: v_dual_add_nc_u32 v3, s102, v30
	v_readfirstlane_b32 s14, v12
	v_readfirstlane_b32 s15, v13
	v_dual_add_nc_u32 v4, s102, v31 :: v_dual_add_nc_u32 v5, s102, v32
	s_clause 0x3
	global_load_i16 v2, v2, s[14:15] scale_offset
	global_load_i16 v3, v3, s[14:15] scale_offset
	;; [unrolled: 1-line block ×4, first 2 shown]
	s_add_co_i32 s102, s102, s84
	s_wait_loadcnt 0x3
	s_wait_xcnt 0x3
	v_add_nc_u32_e32 v2, 0x8000, v2
	s_wait_loadcnt 0x2
	s_wait_xcnt 0x2
	v_add_nc_u32_e32 v3, 0x8000, v3
	;; [unrolled: 3-line block ×3, first 2 shown]
	v_add_nc_u32_e32 v6, s67, v6
	s_wait_loadcnt 0x0
	v_add_nc_u32_e32 v5, 0x8000, v5
	v_and_b32_e32 v7, v2, v37
	v_bfe_u32 v2, v2, s87, 2
	v_and_b32_e32 v8, v3, v37
	v_bfe_u32 v3, v3, s87, 2
	;; [unrolled: 2-line block ×3, first 2 shown]
	v_cmp_eq_u32_e64 s14, v7, v29
	v_cmp_eq_u32_e64 s18, 0, v2
	v_and_b32_e32 v16, v5, v37
	v_bfe_u32 v5, v5, s87, 2
	v_cmp_eq_u32_e64 s15, v8, v29
	v_cmp_eq_u32_e64 s19, 0, v3
	;; [unrolled: 1-line block ×4, first 2 shown]
	s_and_b32 s18, s14, s18
	v_cmp_eq_u32_e64 s17, v16, v29
	v_cmp_eq_u32_e64 s21, 0, v5
	;; [unrolled: 1-line block ×5, first 2 shown]
	v_cndmask_b32_e64 v2, 0, 1, s18
	s_and_b32 s18, s15, s19
	v_cmp_eq_u32_e64 s23, 1, v3
	v_cmp_eq_u32_e64 s27, 2, v3
	v_cmp_eq_u32_e64 s31, 3, v3
	v_cndmask_b32_e64 v3, 0, 1, s18
	s_and_b32 s18, s16, s20
	v_cmp_eq_u32_e64 s24, 1, v4
	v_cmp_eq_u32_e64 s28, 2, v4
	v_cmp_eq_u32_e64 s33, 3, v4
	;; [unrolled: 5-line block ×3, first 2 shown]
	v_cndmask_b32_e64 v5, 0, 1, s18
	s_and_b32 s18, s14, s22
	v_cmp_le_u32_e32 vcc_lo, s82, v6
	v_cndmask_b32_e64 v7, 0, 1, s18
	s_and_b32 s18, s15, s23
	s_delay_alu instid0(SALU_CYCLE_1) | instskip(SKIP_1) | instid1(SALU_CYCLE_1)
	v_cndmask_b32_e64 v8, 0, 1, s18
	s_and_b32 s18, s16, s24
	v_cndmask_b32_e64 v9, 0, 1, s18
	s_and_b32 s18, s17, s25
	s_delay_alu instid0(VALU_DEP_2)
	v_cmp_ne_u32_e64 s19, 0, v8
	v_cndmask_b32_e64 v16, 0, 1, s18
	s_and_b32 s18, s14, s26
	s_and_b32 s14, s14, s30
	v_cndmask_b32_e64 v40, 0, 1, s18
	s_and_b32 s18, s15, s27
	v_cndmask_b32_e64 v44, 0, 1, s14
	;; [unrolled: 2-line block ×7, first 2 shown]
	v_cndmask_b32_e64 v47, 0, 1, s14
	v_cmp_ne_u32_e64 s14, 0, v2
	v_cmp_ne_u32_e64 s18, 0, v7
	;; [unrolled: 1-line block ×11, first 2 shown]
	s_bcnt1_i32_b32 s14, s14
	s_bcnt1_i32_b32 s18, s18
	;; [unrolled: 1-line block ×4, first 2 shown]
	v_cmp_ne_u32_e64 s17, 0, v5
	v_cmp_ne_u32_e64 s21, 0, v16
	;; [unrolled: 1-line block ×4, first 2 shown]
	s_bcnt1_i32_b32 s15, s15
	s_bcnt1_i32_b32 s19, s19
	s_bcnt1_i32_b32 s23, s23
	s_bcnt1_i32_b32 s27, s27
	s_add_co_i32 s14, s14, s58
	s_add_co_i32 s18, s18, s59
	s_add_co_i32 s22, s22, s60
	s_add_co_i32 s26, s26, s61
	s_bcnt1_i32_b32 s16, s16
	s_bcnt1_i32_b32 s20, s20
	s_bcnt1_i32_b32 s24, s24
	s_bcnt1_i32_b32 s28, s28
	s_add_co_i32 s18, s18, s19
	s_add_co_i32 s14, s14, s15
	s_add_co_i32 s15, s26, s27
	s_add_co_i32 s19, s22, s23
	;; [unrolled: 8-line block ×3, first 2 shown]
	s_add_co_i32 s59, s16, s21
	s_add_co_i32 s58, s14, s17
	;; [unrolled: 1-line block ×4, first 2 shown]
	v_mov_b64_e32 v[2:3], s[58:59]
	v_mov_b64_e32 v[4:5], s[60:61]
	s_or_b32 s101, vcc_lo, s101
	s_delay_alu instid0(SALU_CYCLE_1)
	s_and_not1_b32 exec_lo, exec_lo, s101
	s_cbranch_execnz .LBB59_66
; %bb.67:                               ;   in Loop: Header=BB59_6 Depth=1
	s_or_b32 exec_lo, exec_lo, s101
.LBB59_68:                              ;   in Loop: Header=BB59_6 Depth=1
	s_delay_alu instid0(SALU_CYCLE_1)
	s_or_b32 exec_lo, exec_lo, s100
	s_and_saveexec_b32 s18, s12
	s_cbranch_execz .LBB59_74
; %bb.69:                               ;   in Loop: Header=BB59_6 Depth=1
	global_load_u16 v9, v[20:21], off
	v_dual_mov_b32 v6, v34 :: v_dual_mov_b32 v7, v26
	s_mov_b32 s19, 0
	s_branch .LBB59_71
.LBB59_70:                              ;   in Loop: Header=BB59_71 Depth=2
	s_wait_xcnt 0x0
	s_or_b32 exec_lo, exec_lo, s15
	s_wait_loadcnt 0x0
	v_bfe_i32 v9, v9, 0, 16
	s_and_b32 s15, exec_lo, vcc_lo
	v_add_nc_u32_e32 v6, s50, v6
	s_or_b32 s19, s15, s19
	s_delay_alu instid0(VALU_DEP_2) | instskip(NEXT) | instid1(VALU_DEP_1)
	v_add_nc_u32_e32 v9, 0x8000, v9
	v_and_b32_e32 v16, v9, v37
	v_bfe_u32 v9, v9, s87, 2
	s_delay_alu instid0(VALU_DEP_2) | instskip(NEXT) | instid1(VALU_DEP_2)
	v_cmp_eq_u32_e32 vcc_lo, v16, v29
	v_cmp_eq_u32_e64 s14, 0, v9
	v_cmp_eq_u32_e64 s15, 1, v9
	;; [unrolled: 1-line block ×4, first 2 shown]
	s_and_b32 s14, vcc_lo, s14
	s_delay_alu instid0(SALU_CYCLE_1) | instskip(SKIP_1) | instid1(SALU_CYCLE_1)
	v_cndmask_b32_e64 v9, 0, 1, s14
	s_and_b32 s14, vcc_lo, s15
	v_cndmask_b32_e64 v16, 0, 1, s14
	s_and_b32 s14, vcc_lo, s16
	s_delay_alu instid0(SALU_CYCLE_1)
	v_cndmask_b32_e64 v40, 0, 1, s14
	s_and_b32 s14, vcc_lo, s17
	v_cmp_ne_u32_e32 vcc_lo, 0, v9
	v_cndmask_b32_e64 v41, 0, 1, s14
	v_cmp_ne_u32_e64 s14, 0, v16
	v_cmp_ne_u32_e64 s15, 0, v40
	v_mov_b32_e32 v9, v8
	s_bcnt1_i32_b32 s17, vcc_lo
	v_cmp_ne_u32_e64 s16, 0, v41
	s_bcnt1_i32_b32 s14, s14
	s_bcnt1_i32_b32 s15, s15
	v_dual_add_nc_u32 v3, s14, v3 :: v_dual_add_nc_u32 v2, s17, v2
	s_bcnt1_i32_b32 s16, s16
	s_delay_alu instid0(SALU_CYCLE_1)
	v_dual_add_nc_u32 v4, s15, v4 :: v_dual_add_nc_u32 v5, s16, v5
	s_and_not1_b32 exec_lo, exec_lo, s19
	s_cbranch_execz .LBB59_73
.LBB59_71:                              ;   Parent Loop BB59_6 Depth=1
                                        ; =>  This Inner Loop Header: Depth=2
	s_delay_alu instid0(VALU_DEP_1) | instskip(SKIP_1) | instid1(VALU_DEP_1)
	v_dual_mov_b32 v8, 0 :: v_dual_add_nc_u32 v7, s41, v7
	s_mov_b32 s15, exec_lo
	v_cmp_le_u32_e32 vcc_lo, s36, v7
	s_wait_xcnt 0x0
	v_cmpx_gt_u32_e64 s36, v7
	s_cbranch_execz .LBB59_70
; %bb.72:                               ;   in Loop: Header=BB59_71 Depth=2
	v_readfirstlane_b32 s16, v12
	v_readfirstlane_b32 s17, v13
	global_load_u16 v8, v6, s[16:17] scale_offset
	s_branch .LBB59_70
.LBB59_73:                              ;   in Loop: Header=BB59_6 Depth=1
	s_or_b32 exec_lo, exec_lo, s19
.LBB59_74:                              ;   in Loop: Header=BB59_6 Depth=1
	s_delay_alu instid0(SALU_CYCLE_1)
	s_or_b32 exec_lo, exec_lo, s18
	s_branch .LBB59_53
.LBB59_75:                              ;   in Loop: Header=BB59_6 Depth=1
	s_mul_u64 s[14:15], s[38:39], s[52:53]
	v_mov_b64_e32 v[4:5], 0
	s_mul_i32 s14, s15, s67
	v_mov_b64_e32 v[2:3], 0
	s_sub_co_i32 s14, s38, s14
	s_mov_b32 s101, exec_lo
	s_sub_co_i32 s15, s14, s67
	s_cmp_ge_u32 s14, s67
	s_cselect_b32 s14, s15, s14
	s_delay_alu instid0(SALU_CYCLE_1) | instskip(SKIP_2) | instid1(SALU_CYCLE_1)
	s_sub_co_i32 s15, s14, s67
	s_cmp_ge_u32 s14, s67
	s_cselect_b32 s14, s15, s14
	s_sub_co_i32 s100, s38, s14
	s_delay_alu instid0(SALU_CYCLE_1)
	v_cmpx_gt_u32_e64 s100, v1
	s_cbranch_execz .LBB59_79
; %bb.76:                               ;   in Loop: Header=BB59_6 Depth=1
	v_dual_mov_b32 v6, v35 :: v_dual_mov_b32 v7, v1
	s_mov_b32 s102, 0
	s_mov_b32 s58, 0
	;; [unrolled: 1-line block ×5, first 2 shown]
.LBB59_77:                              ;   Parent Loop BB59_6 Depth=1
                                        ; =>  This Inner Loop Header: Depth=2
	ds_load_b64 v[2:3], v6
	v_dual_add_nc_u32 v7, s67, v7 :: v_dual_add_nc_u32 v6, s85, v6
	s_delay_alu instid0(VALU_DEP_1)
	v_cmp_le_u32_e32 vcc_lo, s100, v7
	s_wait_dscnt 0x0
	v_bfe_i32 v4, v2, 0, 16
	v_ashrrev_i32_e32 v2, 16, v2
	v_bfe_i32 v5, v3, 0, 16
	v_ashrrev_i32_e32 v3, 16, v3
	s_delay_alu instid0(VALU_DEP_4) | instskip(NEXT) | instid1(VALU_DEP_4)
	v_add_nc_u32_e32 v4, 0x8000, v4
	v_add_nc_u32_e32 v2, 0x8000, v2
	s_delay_alu instid0(VALU_DEP_4) | instskip(NEXT) | instid1(VALU_DEP_4)
	v_add_nc_u32_e32 v5, 0x8000, v5
	v_add_nc_u32_e32 v3, 0x8000, v3
	s_delay_alu instid0(VALU_DEP_4)
	v_and_b32_e32 v8, v4, v37
	v_bfe_u32 v4, v4, s87, 2
	v_and_b32_e32 v9, v2, v37
	v_bfe_u32 v2, v2, s87, 2
	;; [unrolled: 2-line block ×3, first 2 shown]
	v_cmp_eq_u32_e64 s14, v8, v29
	v_cmp_eq_u32_e64 s18, 0, v4
	v_and_b32_e32 v40, v3, v37
	v_bfe_u32 v3, v3, s87, 2
	v_cmp_eq_u32_e64 s15, v9, v29
	v_cmp_eq_u32_e64 s19, 0, v2
	;; [unrolled: 1-line block ×4, first 2 shown]
	s_and_b32 s18, s14, s18
	v_cmp_eq_u32_e64 s17, v40, v29
	v_cmp_eq_u32_e64 s21, 0, v3
	;; [unrolled: 1-line block ×5, first 2 shown]
	v_cndmask_b32_e64 v2, 0, 1, s18
	s_and_b32 s18, s15, s19
	v_cmp_eq_u32_e64 s22, 1, v4
	v_cmp_eq_u32_e64 s25, 1, v3
	;; [unrolled: 1-line block ×4, first 2 shown]
	v_cndmask_b32_e64 v3, 0, 1, s18
	s_and_b32 s18, s16, s20
	v_cmp_eq_u32_e64 s26, 2, v4
	v_cmp_eq_u32_e64 s30, 3, v4
	v_cndmask_b32_e64 v4, 0, 1, s18
	s_and_b32 s18, s17, s21
	v_cmp_eq_u32_e64 s24, 1, v5
	v_cmp_eq_u32_e64 s28, 2, v5
	;; [unrolled: 1-line block ×3, first 2 shown]
	v_cndmask_b32_e64 v5, 0, 1, s18
	s_and_b32 s18, s14, s22
	s_delay_alu instid0(SALU_CYCLE_1) | instskip(SKIP_1) | instid1(SALU_CYCLE_1)
	v_cndmask_b32_e64 v8, 0, 1, s18
	s_and_b32 s18, s15, s23
	v_cndmask_b32_e64 v9, 0, 1, s18
	s_and_b32 s18, s16, s24
	s_delay_alu instid0(SALU_CYCLE_1) | instskip(SKIP_1) | instid1(VALU_DEP_2)
	v_cndmask_b32_e64 v16, 0, 1, s18
	s_and_b32 s18, s17, s25
	v_cmp_ne_u32_e64 s19, 0, v9
	v_cndmask_b32_e64 v40, 0, 1, s18
	s_and_b32 s18, s14, s26
	s_and_b32 s14, s14, s30
	v_cndmask_b32_e64 v41, 0, 1, s18
	s_and_b32 s18, s15, s27
	v_cndmask_b32_e64 v45, 0, 1, s14
	;; [unrolled: 2-line block ×7, first 2 shown]
	v_cndmask_b32_e64 v48, 0, 1, s14
	v_cmp_ne_u32_e64 s14, 0, v2
	v_cmp_ne_u32_e64 s18, 0, v8
	;; [unrolled: 1-line block ×11, first 2 shown]
	s_bcnt1_i32_b32 s14, s14
	s_bcnt1_i32_b32 s18, s18
	;; [unrolled: 1-line block ×4, first 2 shown]
	v_cmp_ne_u32_e64 s17, 0, v5
	v_cmp_ne_u32_e64 s21, 0, v40
	;; [unrolled: 1-line block ×4, first 2 shown]
	s_bcnt1_i32_b32 s15, s15
	s_bcnt1_i32_b32 s19, s19
	s_bcnt1_i32_b32 s23, s23
	s_bcnt1_i32_b32 s27, s27
	s_add_co_i32 s14, s14, s58
	s_add_co_i32 s18, s18, s59
	s_add_co_i32 s22, s22, s60
	s_add_co_i32 s26, s26, s61
	s_bcnt1_i32_b32 s16, s16
	s_bcnt1_i32_b32 s20, s20
	s_bcnt1_i32_b32 s24, s24
	s_bcnt1_i32_b32 s28, s28
	s_add_co_i32 s18, s18, s19
	s_add_co_i32 s14, s14, s15
	s_add_co_i32 s15, s26, s27
	s_add_co_i32 s19, s22, s23
	;; [unrolled: 8-line block ×3, first 2 shown]
	s_add_co_i32 s59, s16, s21
	s_add_co_i32 s58, s14, s17
	;; [unrolled: 1-line block ×4, first 2 shown]
	v_mov_b64_e32 v[2:3], s[58:59]
	v_mov_b64_e32 v[4:5], s[60:61]
	s_or_b32 s102, vcc_lo, s102
	s_delay_alu instid0(SALU_CYCLE_1)
	s_and_not1_b32 exec_lo, exec_lo, s102
	s_cbranch_execnz .LBB59_77
; %bb.78:                               ;   in Loop: Header=BB59_6 Depth=1
	s_or_b32 exec_lo, exec_lo, s102
.LBB59_79:                              ;   in Loop: Header=BB59_6 Depth=1
	s_delay_alu instid0(SALU_CYCLE_1) | instskip(SKIP_2) | instid1(VALU_DEP_1)
	s_or_b32 exec_lo, exec_lo, s101
	v_add_nc_u32_e32 v6, s100, v0
	s_mov_b32 s19, exec_lo
	v_cmpx_gt_u32_e64 s38, v6
	s_cbranch_execz .LBB59_83
; %bb.80:                               ;   in Loop: Header=BB59_6 Depth=1
	v_lshlrev_b32_e32 v7, 1, v6
	s_mov_b32 s20, 0
.LBB59_81:                              ;   Parent Loop BB59_6 Depth=1
                                        ; =>  This Inner Loop Header: Depth=2
	ds_load_i16 v8, v7
	v_dual_add_nc_u32 v6, s41, v6 :: v_dual_add_nc_u32 v7, s86, v7
	s_delay_alu instid0(VALU_DEP_1) | instskip(SKIP_2) | instid1(VALU_DEP_1)
	v_cmp_le_u32_e32 vcc_lo, s38, v6
	s_wait_dscnt 0x0
	v_add_nc_u32_e32 v8, 0x8000, v8
	v_and_b32_e32 v9, v8, v37
	v_bfe_u32 v8, v8, s87, 2
	s_delay_alu instid0(VALU_DEP_2) | instskip(NEXT) | instid1(VALU_DEP_2)
	v_cmp_eq_u32_e64 s14, v9, v29
	v_cmp_eq_u32_e64 s15, 0, v8
	;; [unrolled: 1-line block ×5, first 2 shown]
	s_and_b32 s15, s14, s15
	s_delay_alu instid0(SALU_CYCLE_1) | instskip(SKIP_1) | instid1(SALU_CYCLE_1)
	v_cndmask_b32_e64 v8, 0, 1, s15
	s_and_b32 s15, s14, s16
	v_cndmask_b32_e64 v9, 0, 1, s15
	s_and_b32 s15, s14, s17
	s_and_b32 s14, s14, s18
	v_cndmask_b32_e64 v16, 0, 1, s15
	v_cndmask_b32_e64 v40, 0, 1, s14
	v_cmp_ne_u32_e64 s14, 0, v8
	v_cmp_ne_u32_e64 s15, 0, v9
	s_delay_alu instid0(VALU_DEP_4) | instskip(NEXT) | instid1(VALU_DEP_4)
	v_cmp_ne_u32_e64 s16, 0, v16
	v_cmp_ne_u32_e64 s17, 0, v40
	s_bcnt1_i32_b32 s14, s14
	s_bcnt1_i32_b32 s15, s15
	;; [unrolled: 1-line block ×4, first 2 shown]
	v_dual_add_nc_u32 v3, s15, v3 :: v_dual_add_nc_u32 v2, s14, v2
	v_dual_add_nc_u32 v5, s17, v5 :: v_dual_add_nc_u32 v4, s16, v4
	s_or_b32 s20, vcc_lo, s20
	s_delay_alu instid0(SALU_CYCLE_1)
	s_and_not1_b32 exec_lo, exec_lo, s20
	s_cbranch_execnz .LBB59_81
; %bb.82:                               ;   in Loop: Header=BB59_6 Depth=1
	s_or_b32 exec_lo, exec_lo, s20
.LBB59_83:                              ;   in Loop: Header=BB59_6 Depth=1
	s_delay_alu instid0(SALU_CYCLE_1)
	s_or_b32 exec_lo, exec_lo, s19
	s_lshl_b32 s16, s90, 7
	s_and_saveexec_b32 s14, s2
	s_cbranch_execnz .LBB59_54
	s_branch .LBB59_55
.LBB59_84:                              ;   in Loop: Header=BB59_6 Depth=1
	v_mov_b32_e32 v2, 0
	s_mov_b32 s14, 0
	s_cbranch_execz .LBB59_87
.LBB59_85:                              ;   in Loop: Header=BB59_6 Depth=1
	s_lshl_b32 s15, s90, 9
	s_lshl_b32 s18, s14, 4
	s_sub_co_i32 s14, s71, s14
	v_add3_u32 v3, s15, s18, v36
.LBB59_86:                              ;   Parent Loop BB59_6 Depth=1
                                        ; =>  This Inner Loop Header: Depth=2
	ds_load_b32 v5, v3
	v_add_nc_u32_e32 v3, 16, v3
	s_add_co_i32 s14, s14, -1
	s_delay_alu instid0(SALU_CYCLE_1)
	s_cmp_eq_u32 s14, 0
	s_wait_dscnt 0x0
	v_add_nc_u32_e32 v2, v5, v2
	s_cbranch_scc0 .LBB59_86
.LBB59_87:                              ;   in Loop: Header=BB59_6 Depth=1
	s_delay_alu instid0(VALU_DEP_1)
	v_lshlrev_b32_e32 v3, 2, v4
	ds_store_b32 v3, v2 offset:3072
.LBB59_88:                              ;   in Loop: Header=BB59_6 Depth=1
	s_or_b32 exec_lo, exec_lo, s17
	s_lshl_b32 s14, s16, 2
	s_wait_dscnt 0x0
	v_mov_b32_e32 v2, s14
	s_barrier_signal -1
	s_barrier_wait -1
	v_cmp_eq_u32_e64 s14, 1, v39
	ds_load_b128 v[2:5], v2 offset:3072
	s_lshl_b32 s18, 3, s87
	s_mov_b32 s26, -1
	s_not_b32 s19, s18
	s_mov_b32 s16, 0
	s_and_not1_b32 vcc_lo, exec_lo, s65
	s_mov_b32 s23, 0
	s_mov_b32 s15, 0
                                        ; implicit-def: $sgpr24
                                        ; implicit-def: $sgpr25
                                        ; implicit-def: $vgpr6
	s_wait_dscnt 0x0
	v_readfirstlane_b32 s17, v2
	v_readfirstlane_b32 s20, v3
	v_readfirstlane_b32 s21, v4
	v_readfirstlane_b32 s22, v5
                                        ; implicit-def: $vgpr5
                                        ; implicit-def: $vgpr2
                                        ; implicit-def: $vgpr3
                                        ; implicit-def: $vgpr4
	s_cbranch_vccnz .LBB59_247
; %bb.89:                               ;   in Loop: Header=BB59_6 Depth=1
	s_cmp_eq_u32 s17, 1
	v_dual_mov_b32 v3, v29 :: v_dual_mov_b32 v4, v37
	v_mov_b32_e32 v6, v38
	s_cselect_b32 s15, -1, 0
	s_mov_b32 s29, -1
	s_and_b32 s28, s15, s14
                                        ; implicit-def: $sgpr25
                                        ; implicit-def: $sgpr24
	s_delay_alu instid0(SALU_CYCLE_1)
	s_and_saveexec_b32 s15, s28
	s_cbranch_execz .LBB59_116
; %bb.90:                               ;   in Loop: Header=BB59_6 Depth=1
	ds_load_b32 v2, v17 offset:4096
	s_wait_dscnt 0x0
	s_barrier_signal -1
	s_barrier_wait -1
	v_readfirstlane_b32 s26, v2
	s_and_saveexec_b32 s23, s6
; %bb.91:                               ;   in Loop: Header=BB59_6 Depth=1
	ds_store_b16 v23, v17
; %bb.92:                               ;   in Loop: Header=BB59_6 Depth=1
	s_or_b32 exec_lo, exec_lo, s23
	v_and_b32_e32 v3, s19, v29
	v_or_b32_e32 v4, s18, v37
	s_mov_b32 s24, -1
	s_mov_b32 s25, 0
	s_cmp_eq_u32 s26, 0
	s_mov_b32 s23, 0
	s_mov_b32 s27, -1
	s_wait_dscnt 0x0
	s_barrier_signal -1
	s_barrier_wait -1
                                        ; implicit-def: $vgpr6
	s_cbranch_scc1 .LBB59_103
; %bb.93:                               ;   in Loop: Header=BB59_6 Depth=1
	s_add_co_i32 s38, s26, s70
	s_mov_b32 s29, exec_lo
	s_mul_u64 s[30:31], s[38:39], s[54:55]
                                        ; implicit-def: $vgpr6
	s_delay_alu instid0(SALU_CYCLE_1) | instskip(NEXT) | instid1(SALU_CYCLE_1)
	s_mul_i32 s23, s31, s41
	s_sub_co_i32 s23, s38, s23
	s_delay_alu instid0(SALU_CYCLE_1) | instskip(SKIP_2) | instid1(SALU_CYCLE_1)
	s_sub_co_i32 s27, s23, s41
	s_cmp_ge_u32 s23, s41
	s_cselect_b32 s23, s27, s23
	s_sub_co_i32 s27, s23, s41
	s_cmp_ge_u32 s23, s41
	s_cselect_b32 s23, s27, s23
	s_mov_b32 s27, 0
	s_sub_co_i32 s30, s38, s23
	s_mov_b32 s23, 0
	v_cmpx_gt_u32_e64 s30, v0
	s_cbranch_execz .LBB59_102
; %bb.94:                               ;   in Loop: Header=BB59_6 Depth=1
	v_dual_mov_b32 v2, v22 :: v_dual_mov_b32 v5, v0
                                        ; implicit-def: $sgpr31
	s_branch .LBB59_97
.LBB59_95:                              ;   in Loop: Header=BB59_97 Depth=2
	s_or_b32 exec_lo, exec_lo, s33
	s_wait_dscnt 0x0
	s_barrier_signal -1
	s_barrier_wait -1
	ds_load_b32 v6, v17 offset:3072
	s_mov_b32 s33, -1
	s_mov_b32 s34, -1
	s_wait_dscnt 0x0
	s_barrier_signal -1
	s_barrier_wait -1
	v_and_b32_e32 v7, 0xffff, v6
	s_delay_alu instid0(VALU_DEP_1)
	v_cmp_ne_u32_e32 vcc_lo, 0, v7
	s_cbranch_vccz .LBB59_100
.LBB59_96:                              ;   in Loop: Header=BB59_97 Depth=2
	s_and_b32 s33, exec_lo, s33
	s_delay_alu instid0(SALU_CYCLE_1) | instskip(SKIP_2) | instid1(SALU_CYCLE_1)
	s_or_b32 s23, s33, s23
	s_and_not1_b32 s31, s31, exec_lo
	s_and_b32 s33, s34, exec_lo
	s_or_b32 s31, s31, s33
	s_and_not1_b32 exec_lo, exec_lo, s23
	s_cbranch_execz .LBB59_101
.LBB59_97:                              ;   Parent Loop BB59_6 Depth=1
                                        ; =>  This Inner Loop Header: Depth=2
	s_mov_b32 s33, exec_lo
	s_delay_alu instid0(VALU_DEP_1)
	v_cmpx_gt_u32_e64 s26, v5
	s_cbranch_execz .LBB59_95
; %bb.98:                               ;   in Loop: Header=BB59_97 Depth=2
	ds_load_u16 v6, v2
	s_wait_dscnt 0x0
	v_bfe_i32 v7, v6, 0, 16
	s_delay_alu instid0(VALU_DEP_1) | instskip(NEXT) | instid1(VALU_DEP_1)
	v_add_nc_u32_e32 v7, 0x8000, v7
	v_and_b32_e32 v7, v7, v4
	s_delay_alu instid0(VALU_DEP_1)
	v_cmp_eq_u32_e32 vcc_lo, v7, v3
	s_and_b32 exec_lo, exec_lo, vcc_lo
	s_cbranch_execz .LBB59_95
; %bb.99:                               ;   in Loop: Header=BB59_97 Depth=2
	v_perm_b32 v6, v6, 1, 0x5040100
	ds_store_b32 v17, v6 offset:3072
	s_branch .LBB59_95
.LBB59_100:                             ;   in Loop: Header=BB59_97 Depth=2
	v_dual_add_nc_u32 v5, s41, v5 :: v_dual_add_nc_u32 v2, s86, v2
	s_mov_b32 s34, 0
	s_delay_alu instid0(VALU_DEP_1)
	v_cmp_le_u32_e32 vcc_lo, s30, v5
	s_or_not1_b32 s33, vcc_lo, exec_lo
	s_branch .LBB59_96
.LBB59_101:                             ;   in Loop: Header=BB59_6 Depth=1
	s_or_b32 exec_lo, exec_lo, s23
	v_lshrrev_b32_e32 v6, 16, v6
	s_and_b32 s23, s31, exec_lo
.LBB59_102:                             ;   in Loop: Header=BB59_6 Depth=1
	s_or_b32 exec_lo, exec_lo, s29
.LBB59_103:                             ;   in Loop: Header=BB59_6 Depth=1
	s_delay_alu instid0(SALU_CYCLE_1)
	s_and_b32 vcc_lo, exec_lo, s27
	s_cbranch_vccz .LBB59_115
; %bb.104:                              ;   in Loop: Header=BB59_6 Depth=1
                                        ; implicit-def: $vgpr6
	s_and_saveexec_b32 s24, s13
	s_cbranch_execz .LBB59_114
; %bb.105:                              ;   in Loop: Header=BB59_6 Depth=1
	v_dual_mov_b32 v2, v18 :: v_dual_mov_b32 v5, v0
	s_mov_b32 s25, 0
                                        ; implicit-def: $sgpr26
	s_branch .LBB59_108
.LBB59_106:                             ;   in Loop: Header=BB59_108 Depth=2
	s_or_b32 exec_lo, exec_lo, s27
	s_wait_dscnt 0x0
	s_barrier_signal -1
	s_barrier_wait -1
	ds_load_b32 v6, v17 offset:3072
	s_mov_b32 s27, -1
	s_mov_b32 s29, -1
	s_wait_dscnt 0x0
	s_barrier_signal -1
	s_barrier_wait -1
	v_and_b32_e32 v7, 0xffff, v6
	s_delay_alu instid0(VALU_DEP_1)
	v_cmp_ne_u32_e32 vcc_lo, 0, v7
	s_cbranch_vccz .LBB59_111
.LBB59_107:                             ;   in Loop: Header=BB59_108 Depth=2
	s_and_b32 s27, exec_lo, s27
	s_delay_alu instid0(SALU_CYCLE_1) | instskip(SKIP_2) | instid1(SALU_CYCLE_1)
	s_or_b32 s25, s27, s25
	s_and_not1_b32 s26, s26, exec_lo
	s_and_b32 s27, s29, exec_lo
	s_or_b32 s26, s26, s27
	s_and_not1_b32 exec_lo, exec_lo, s25
	s_cbranch_execz .LBB59_113
.LBB59_108:                             ;   Parent Loop BB59_6 Depth=1
                                        ; =>  This Inner Loop Header: Depth=2
	s_mov_b32 s27, exec_lo
	s_delay_alu instid0(VALU_DEP_1)
	v_cmpx_gt_u32_e64 s36, v5
	s_cbranch_execz .LBB59_106
; %bb.109:                              ;   in Loop: Header=BB59_108 Depth=2
	v_readfirstlane_b32 s30, v12
	v_readfirstlane_b32 s31, v13
	global_load_u16 v6, v2, s[30:31] scale_offset
	s_wait_loadcnt 0x0
	v_bfe_i32 v7, v6, 0, 16
	s_delay_alu instid0(VALU_DEP_1) | instskip(NEXT) | instid1(VALU_DEP_1)
	v_add_nc_u32_e32 v7, 0x8000, v7
	v_and_b32_e32 v7, v7, v4
	s_delay_alu instid0(VALU_DEP_1)
	v_cmp_eq_u32_e32 vcc_lo, v7, v3
	s_and_b32 exec_lo, exec_lo, vcc_lo
	s_cbranch_execz .LBB59_106
; %bb.110:                              ;   in Loop: Header=BB59_108 Depth=2
	v_perm_b32 v6, v6, 1, 0x5040100
	ds_store_b32 v17, v6 offset:3072
	s_branch .LBB59_106
.LBB59_111:                             ;   in Loop: Header=BB59_108 Depth=2
	v_dual_add_nc_u32 v5, s41, v5 :: v_dual_add_nc_u32 v2, s50, v2
	s_mov_b32 s29, 0
	s_delay_alu instid0(VALU_DEP_1)
	v_cmp_le_u32_e32 vcc_lo, s83, v5
	s_or_not1_b32 s27, vcc_lo, exec_lo
	s_branch .LBB59_107
.LBB59_112:                             ;   in Loop: Header=BB59_6 Depth=1
	s_mov_b64 s[14:15], 0x100000000
	v_mov_b64_e32 v[2:3], 0
	s_and_not1_b32 vcc_lo, exec_lo, s77
	s_mov_b32 s18, s74
	s_cbranch_vccz .LBB59_62
	s_branch .LBB59_63
.LBB59_113:                             ;   in Loop: Header=BB59_6 Depth=1
	s_or_b32 exec_lo, exec_lo, s25
	v_lshrrev_b32_e32 v6, 16, v6
	s_and_not1_b32 s23, s23, exec_lo
	s_and_b32 s25, s26, exec_lo
	s_delay_alu instid0(SALU_CYCLE_1)
	s_or_b32 s23, s23, s25
.LBB59_114:                             ;   in Loop: Header=BB59_6 Depth=1
	s_or_b32 exec_lo, exec_lo, s24
	s_mov_b32 s24, 0
	s_mov_b32 s25, -1
.LBB59_115:                             ;   in Loop: Header=BB59_6 Depth=1
	s_or_not1_b32 s29, s23, exec_lo
.LBB59_116:                             ;   in Loop: Header=BB59_6 Depth=1
	s_or_b32 exec_lo, exec_lo, s15
	s_mov_b32 s26, 0
	s_mov_b32 s23, 0
	;; [unrolled: 1-line block ×3, first 2 shown]
                                        ; implicit-def: $vgpr5
                                        ; implicit-def: $vgpr2
	s_and_saveexec_b32 s27, s29
	s_cbranch_execz .LBB59_246
; %bb.117:                              ;   in Loop: Header=BB59_6 Depth=1
	v_dual_mov_b32 v5, 1 :: v_dual_mov_b32 v2, 1
	s_xor_b32 s23, s28, -1
	s_mov_b32 s30, 0
	s_and_saveexec_b32 s15, s23
	s_cbranch_execz .LBB59_126
; %bb.118:                              ;   in Loop: Header=BB59_6 Depth=1
	s_mov_b32 s23, exec_lo
	v_cmpx_ge_u32_e64 s17, v39
	s_xor_b32 s23, exec_lo, s23
	s_cbranch_execz .LBB59_123
; %bb.119:                              ;   in Loop: Header=BB59_6 Depth=1
	ds_load_b32 v2, v17 offset:4096
	v_and_b32_e32 v3, s19, v3
	v_or_b32_e32 v4, s18, v4
	s_wait_dscnt 0x0
	v_cmp_ne_u32_e32 vcc_lo, 0, v2
	s_cbranch_vccnz .LBB59_123
; %bb.120:                              ;   in Loop: Header=BB59_6 Depth=1
	s_and_saveexec_b32 s28, s5
; %bb.121:                              ;   in Loop: Header=BB59_6 Depth=1
	v_mov_b32_e32 v2, s17
	ds_store_b32 v17, v2 offset:4100
; %bb.122:                              ;   in Loop: Header=BB59_6 Depth=1
	s_or_b32 exec_lo, exec_lo, s28
	s_wait_dscnt 0x0
	s_barrier_signal -1
	s_barrier_wait -1
.LBB59_123:                             ;   in Loop: Header=BB59_6 Depth=1
	s_or_saveexec_b32 s23, s23
	v_dual_mov_b32 v2, 8 :: v_dual_mov_b32 v5, v39
	s_mov_b32 s28, 0
	s_xor_b32 exec_lo, exec_lo, s23
; %bb.124:                              ;   in Loop: Header=BB59_6 Depth=1
	v_subrev_nc_u32_e32 v5, s17, v39
	v_mov_b32_e32 v2, 0
	s_mov_b32 s28, exec_lo
; %bb.125:                              ;   in Loop: Header=BB59_6 Depth=1
	s_or_b32 exec_lo, exec_lo, s23
	s_delay_alu instid0(SALU_CYCLE_1)
	s_and_b32 s30, s28, exec_lo
.LBB59_126:                             ;   in Loop: Header=BB59_6 Depth=1
	s_or_b32 exec_lo, exec_lo, s15
	s_mov_b32 s29, -1
                                        ; implicit-def: $sgpr23
                                        ; implicit-def: $sgpr28
	s_and_saveexec_b32 s15, s30
	s_delay_alu instid0(SALU_CYCLE_1)
	s_xor_b32 s15, exec_lo, s15
	s_cbranch_execz .LBB59_243
; %bb.127:                              ;   in Loop: Header=BB59_6 Depth=1
	v_cmp_eq_u32_e32 vcc_lo, 1, v5
	s_cmp_eq_u32 s20, 1
	s_mov_b32 s31, -1
	s_cselect_b32 s23, -1, 0
                                        ; implicit-def: $sgpr28
	s_delay_alu instid0(SALU_CYCLE_1) | instskip(NEXT) | instid1(SALU_CYCLE_1)
	s_and_b32 s30, s23, vcc_lo
                                        ; implicit-def: $sgpr23
	s_and_saveexec_b32 s29, s30
	s_cbranch_execz .LBB59_153
; %bb.128:                              ;   in Loop: Header=BB59_6 Depth=1
	ds_load_b32 v6, v17 offset:4096
	s_wait_dscnt 0x0
	s_barrier_signal -1
	s_barrier_wait -1
	v_readfirstlane_b32 s33, v6
	s_and_saveexec_b32 s23, s6
; %bb.129:                              ;   in Loop: Header=BB59_6 Depth=1
	ds_store_b16 v23, v17
; %bb.130:                              ;   in Loop: Header=BB59_6 Depth=1
	s_or_b32 exec_lo, exec_lo, s23
	s_lshl_b32 s23, 1, s87
	v_or_b32_e32 v4, s18, v4
	v_and_or_b32 v3, v3, s19, s23
	s_mov_b32 s23, -1
	s_mov_b32 s28, 0
	s_cmp_eq_u32 s33, 0
	s_mov_b32 s31, 0
	s_mov_b32 s34, -1
	s_wait_dscnt 0x0
	s_barrier_signal -1
	s_barrier_wait -1
                                        ; implicit-def: $vgpr6
	s_cbranch_scc1 .LBB59_141
; %bb.131:                              ;   in Loop: Header=BB59_6 Depth=1
	s_add_co_i32 s38, s33, s70
                                        ; implicit-def: $vgpr6
	s_delay_alu instid0(SALU_CYCLE_1) | instskip(NEXT) | instid1(SALU_CYCLE_1)
	s_mul_u64 s[44:45], s[38:39], s[54:55]
	s_mul_i32 s31, s45, s41
	s_delay_alu instid0(SALU_CYCLE_1) | instskip(NEXT) | instid1(SALU_CYCLE_1)
	s_sub_co_i32 s31, s38, s31
	s_sub_co_i32 s34, s31, s41
	s_cmp_ge_u32 s31, s41
	s_cselect_b32 s31, s34, s31
	s_delay_alu instid0(SALU_CYCLE_1)
	s_sub_co_i32 s34, s31, s41
	s_cmp_ge_u32 s31, s41
	s_cselect_b32 s31, s34, s31
	s_mov_b32 s34, 0
	s_sub_co_i32 s58, s38, s31
	s_mov_b32 s31, 0
	s_mov_b32 s38, exec_lo
	v_cmpx_gt_u32_e64 s58, v0
	s_cbranch_execz .LBB59_140
; %bb.132:                              ;   in Loop: Header=BB59_6 Depth=1
	v_dual_mov_b32 v6, v22 :: v_dual_mov_b32 v7, v0
                                        ; implicit-def: $sgpr59
	s_branch .LBB59_135
.LBB59_133:                             ;   in Loop: Header=BB59_135 Depth=2
	s_or_b32 exec_lo, exec_lo, s60
	s_wait_dscnt 0x0
	s_barrier_signal -1
	s_barrier_wait -1
	ds_load_b32 v8, v17 offset:3072
	s_mov_b32 s44, -1
	s_mov_b32 s45, -1
	s_wait_dscnt 0x0
	s_barrier_signal -1
	s_barrier_wait -1
	v_and_b32_e32 v9, 0xffff, v8
	s_delay_alu instid0(VALU_DEP_1)
	v_cmp_ne_u32_e32 vcc_lo, 0, v9
	s_cbranch_vccz .LBB59_138
.LBB59_134:                             ;   in Loop: Header=BB59_135 Depth=2
	s_and_b32 s44, exec_lo, s44
	s_delay_alu instid0(SALU_CYCLE_1) | instskip(SKIP_2) | instid1(SALU_CYCLE_1)
	s_or_b32 s31, s44, s31
	s_and_not1_b32 s44, s59, exec_lo
	s_and_b32 s45, s45, exec_lo
	s_or_b32 s59, s44, s45
	s_and_not1_b32 exec_lo, exec_lo, s31
	s_cbranch_execz .LBB59_139
.LBB59_135:                             ;   Parent Loop BB59_6 Depth=1
                                        ; =>  This Inner Loop Header: Depth=2
	s_mov_b32 s60, exec_lo
	s_delay_alu instid0(VALU_DEP_1)
	v_cmpx_gt_u32_e64 s33, v7
	s_cbranch_execz .LBB59_133
; %bb.136:                              ;   in Loop: Header=BB59_135 Depth=2
	ds_load_u16 v8, v6
	s_wait_dscnt 0x0
	v_bfe_i32 v9, v8, 0, 16
	s_delay_alu instid0(VALU_DEP_1) | instskip(NEXT) | instid1(VALU_DEP_1)
	v_add_nc_u32_e32 v9, 0x8000, v9
	v_and_b32_e32 v9, v9, v4
	s_delay_alu instid0(VALU_DEP_1)
	v_cmp_eq_u32_e32 vcc_lo, v9, v3
	s_and_b32 exec_lo, exec_lo, vcc_lo
	s_cbranch_execz .LBB59_133
; %bb.137:                              ;   in Loop: Header=BB59_135 Depth=2
	v_perm_b32 v8, v8, 1, 0x5040100
	ds_store_b32 v17, v8 offset:3072
	s_branch .LBB59_133
.LBB59_138:                             ;   in Loop: Header=BB59_135 Depth=2
	v_dual_add_nc_u32 v7, s41, v7 :: v_dual_add_nc_u32 v6, s86, v6
	s_mov_b32 s45, 0
	s_delay_alu instid0(VALU_DEP_1)
	v_cmp_le_u32_e32 vcc_lo, s58, v7
	s_or_not1_b32 s44, vcc_lo, exec_lo
	s_branch .LBB59_134
.LBB59_139:                             ;   in Loop: Header=BB59_6 Depth=1
	s_or_b32 exec_lo, exec_lo, s31
	v_lshrrev_b32_e32 v6, 16, v8
	s_and_b32 s31, s59, exec_lo
.LBB59_140:                             ;   in Loop: Header=BB59_6 Depth=1
	s_or_b32 exec_lo, exec_lo, s38
.LBB59_141:                             ;   in Loop: Header=BB59_6 Depth=1
	s_delay_alu instid0(SALU_CYCLE_1)
	s_and_b32 vcc_lo, exec_lo, s34
	s_cbranch_vccz .LBB59_152
; %bb.142:                              ;   in Loop: Header=BB59_6 Depth=1
                                        ; implicit-def: $vgpr6
	s_and_saveexec_b32 s23, s13
	s_cbranch_execz .LBB59_151
; %bb.143:                              ;   in Loop: Header=BB59_6 Depth=1
	v_dual_mov_b32 v6, v18 :: v_dual_mov_b32 v7, v0
	s_mov_b32 s28, 0
                                        ; implicit-def: $sgpr33
	s_branch .LBB59_146
.LBB59_144:                             ;   in Loop: Header=BB59_146 Depth=2
	s_or_b32 exec_lo, exec_lo, s34
	s_wait_dscnt 0x0
	s_barrier_signal -1
	s_barrier_wait -1
	ds_load_b32 v8, v17 offset:3072
	s_mov_b32 s34, -1
	s_mov_b32 s38, -1
	s_wait_dscnt 0x0
	s_barrier_signal -1
	s_barrier_wait -1
	v_and_b32_e32 v9, 0xffff, v8
	s_delay_alu instid0(VALU_DEP_1)
	v_cmp_eq_u32_e32 vcc_lo, 0, v9
	s_cbranch_vccnz .LBB59_149
.LBB59_145:                             ;   in Loop: Header=BB59_146 Depth=2
	s_and_b32 s34, exec_lo, s34
	s_delay_alu instid0(SALU_CYCLE_1) | instskip(SKIP_2) | instid1(SALU_CYCLE_1)
	s_or_b32 s28, s34, s28
	s_and_not1_b32 s33, s33, exec_lo
	s_and_b32 s34, s38, exec_lo
	s_or_b32 s33, s33, s34
	s_and_not1_b32 exec_lo, exec_lo, s28
	s_cbranch_execz .LBB59_150
.LBB59_146:                             ;   Parent Loop BB59_6 Depth=1
                                        ; =>  This Inner Loop Header: Depth=2
	s_mov_b32 s34, exec_lo
	s_delay_alu instid0(VALU_DEP_1)
	v_cmpx_gt_u32_e64 s36, v7
	s_cbranch_execz .LBB59_144
; %bb.147:                              ;   in Loop: Header=BB59_146 Depth=2
	v_readfirstlane_b32 s44, v12
	v_readfirstlane_b32 s45, v13
	global_load_u16 v8, v6, s[44:45] scale_offset
	s_wait_loadcnt 0x0
	v_bfe_i32 v9, v8, 0, 16
	s_delay_alu instid0(VALU_DEP_1) | instskip(NEXT) | instid1(VALU_DEP_1)
	v_add_nc_u32_e32 v9, 0x8000, v9
	v_and_b32_e32 v9, v9, v4
	s_delay_alu instid0(VALU_DEP_1)
	v_cmp_eq_u32_e32 vcc_lo, v9, v3
	s_and_b32 exec_lo, exec_lo, vcc_lo
	s_cbranch_execz .LBB59_144
; %bb.148:                              ;   in Loop: Header=BB59_146 Depth=2
	v_perm_b32 v8, v8, 1, 0x5040100
	ds_store_b32 v17, v8 offset:3072
	s_branch .LBB59_144
.LBB59_149:                             ;   in Loop: Header=BB59_146 Depth=2
	v_dual_add_nc_u32 v7, s41, v7 :: v_dual_add_nc_u32 v6, s50, v6
	s_mov_b32 s38, 0
	s_delay_alu instid0(VALU_DEP_1)
	v_cmp_le_u32_e32 vcc_lo, s83, v7
	s_or_not1_b32 s34, vcc_lo, exec_lo
	s_branch .LBB59_145
.LBB59_150:                             ;   in Loop: Header=BB59_6 Depth=1
	s_or_b32 exec_lo, exec_lo, s28
	v_lshrrev_b32_e32 v6, 16, v8
	s_and_not1_b32 s28, s31, exec_lo
	s_and_b32 s31, s33, exec_lo
	s_delay_alu instid0(SALU_CYCLE_1)
	s_or_b32 s31, s28, s31
.LBB59_151:                             ;   in Loop: Header=BB59_6 Depth=1
	s_or_b32 exec_lo, exec_lo, s23
	s_mov_b32 s23, 0
	s_mov_b32 s28, -1
.LBB59_152:                             ;   in Loop: Header=BB59_6 Depth=1
	s_or_not1_b32 s31, s31, exec_lo
.LBB59_153:                             ;   in Loop: Header=BB59_6 Depth=1
	s_or_b32 exec_lo, exec_lo, s29
	s_mov_b32 s33, 0
	s_and_saveexec_b32 s29, s31
	s_cbranch_execz .LBB59_242
; %bb.154:                              ;   in Loop: Header=BB59_6 Depth=1
	v_dual_mov_b32 v7, 1 :: v_dual_mov_b32 v2, 1
	s_xor_b32 s31, s30, -1
	s_mov_b32 s38, 0
	s_and_saveexec_b32 s30, s31
	s_cbranch_execz .LBB59_163
; %bb.155:                              ;   in Loop: Header=BB59_6 Depth=1
	s_mov_b32 s31, exec_lo
	v_cmpx_ge_u32_e64 s20, v5
	s_xor_b32 s31, exec_lo, s31
	s_cbranch_execz .LBB59_160
; %bb.156:                              ;   in Loop: Header=BB59_6 Depth=1
	ds_load_b32 v2, v17 offset:4096
	s_lshl_b32 s33, 1, s87
	v_or_b32_e32 v4, s18, v4
	v_and_or_b32 v3, v3, s19, s33
	s_wait_dscnt 0x0
	v_cmp_ne_u32_e32 vcc_lo, 0, v2
	s_cbranch_vccnz .LBB59_160
; %bb.157:                              ;   in Loop: Header=BB59_6 Depth=1
	s_and_saveexec_b32 s33, s5
; %bb.158:                              ;   in Loop: Header=BB59_6 Depth=1
	v_mov_b32_e32 v2, s20
	ds_store_b32 v17, v2 offset:4100
; %bb.159:                              ;   in Loop: Header=BB59_6 Depth=1
	s_or_b32 exec_lo, exec_lo, s33
	s_wait_dscnt 0x0
	s_barrier_signal -1
	s_barrier_wait -1
.LBB59_160:                             ;   in Loop: Header=BB59_6 Depth=1
	s_or_saveexec_b32 s31, s31
	v_mov_b32_e32 v2, 8
	s_mov_b32 s33, 0
	s_xor_b32 exec_lo, exec_lo, s31
; %bb.161:                              ;   in Loop: Header=BB59_6 Depth=1
	v_subrev_nc_u32_e32 v5, s20, v5
	v_mov_b32_e32 v2, 0
	s_mov_b32 s33, exec_lo
; %bb.162:                              ;   in Loop: Header=BB59_6 Depth=1
	s_or_b32 exec_lo, exec_lo, s31
	s_delay_alu instid0(VALU_DEP_2)
	v_mov_b32_e32 v7, v5
	s_and_b32 s38, s33, exec_lo
.LBB59_163:                             ;   in Loop: Header=BB59_6 Depth=1
	s_or_b32 exec_lo, exec_lo, s30
	s_mov_b32 s34, -1
                                        ; implicit-def: $sgpr31
                                        ; implicit-def: $sgpr33
	s_and_saveexec_b32 s30, s38
	s_cbranch_execz .LBB59_241
; %bb.164:                              ;   in Loop: Header=BB59_6 Depth=1
	v_cmp_eq_u32_e32 vcc_lo, 1, v7
	s_cmp_eq_u32 s21, 1
	s_mov_b32 s38, -1
	s_cselect_b32 s31, -1, 0
                                        ; implicit-def: $sgpr33
	s_delay_alu instid0(SALU_CYCLE_1) | instskip(NEXT) | instid1(SALU_CYCLE_1)
	s_and_b32 s58, s31, vcc_lo
                                        ; implicit-def: $sgpr31
	s_and_saveexec_b32 s34, s58
	s_cbranch_execz .LBB59_190
; %bb.165:                              ;   in Loop: Header=BB59_6 Depth=1
	ds_load_b32 v5, v17 offset:4096
	s_wait_dscnt 0x0
	s_barrier_signal -1
	s_barrier_wait -1
	v_readfirstlane_b32 s59, v5
	s_and_saveexec_b32 s31, s6
; %bb.166:                              ;   in Loop: Header=BB59_6 Depth=1
	ds_store_b16 v23, v17
; %bb.167:                              ;   in Loop: Header=BB59_6 Depth=1
	s_or_b32 exec_lo, exec_lo, s31
	s_lshl_b32 s31, 2, s87
	v_or_b32_e32 v4, s18, v4
	v_and_or_b32 v3, v3, s19, s31
	s_mov_b32 s31, -1
	s_mov_b32 s33, 0
	s_cmp_eq_u32 s59, 0
	s_mov_b32 s38, 0
	s_mov_b32 s60, -1
	s_wait_dscnt 0x0
	s_barrier_signal -1
	s_barrier_wait -1
                                        ; implicit-def: $vgpr6
	s_cbranch_scc1 .LBB59_178
; %bb.168:                              ;   in Loop: Header=BB59_6 Depth=1
	s_add_co_i32 s38, s59, s70
	s_mov_b32 s60, 0
	s_mul_u64 s[44:45], s[38:39], s[54:55]
	s_mov_b32 s61, exec_lo
	s_mul_i32 s44, s45, s41
                                        ; implicit-def: $vgpr6
	s_delay_alu instid0(SALU_CYCLE_1) | instskip(NEXT) | instid1(SALU_CYCLE_1)
	s_sub_co_i32 s44, s38, s44
	s_sub_co_i32 s45, s44, s41
	s_cmp_ge_u32 s44, s41
	s_cselect_b32 s44, s45, s44
	s_delay_alu instid0(SALU_CYCLE_1) | instskip(SKIP_2) | instid1(SALU_CYCLE_1)
	s_sub_co_i32 s45, s44, s41
	s_cmp_ge_u32 s44, s41
	s_cselect_b32 s44, s45, s44
	s_sub_co_i32 s100, s38, s44
	s_mov_b32 s38, 0
	v_cmpx_gt_u32_e64 s100, v0
	s_cbranch_execz .LBB59_177
; %bb.169:                              ;   in Loop: Header=BB59_6 Depth=1
	v_dual_mov_b32 v5, v22 :: v_dual_mov_b32 v6, v0
                                        ; implicit-def: $sgpr101
	s_branch .LBB59_172
.LBB59_170:                             ;   in Loop: Header=BB59_172 Depth=2
	s_or_b32 exec_lo, exec_lo, s102
	s_wait_dscnt 0x0
	s_barrier_signal -1
	s_barrier_wait -1
	ds_load_b32 v8, v17 offset:3072
	s_mov_b32 s44, -1
	s_mov_b32 s45, -1
	s_wait_dscnt 0x0
	s_barrier_signal -1
	s_barrier_wait -1
	v_and_b32_e32 v9, 0xffff, v8
	s_delay_alu instid0(VALU_DEP_1)
	v_cmp_ne_u32_e32 vcc_lo, 0, v9
	s_cbranch_vccz .LBB59_175
.LBB59_171:                             ;   in Loop: Header=BB59_172 Depth=2
	s_and_b32 s44, exec_lo, s44
	s_delay_alu instid0(SALU_CYCLE_1) | instskip(SKIP_2) | instid1(SALU_CYCLE_1)
	s_or_b32 s38, s44, s38
	s_and_not1_b32 s44, s101, exec_lo
	s_and_b32 s45, s45, exec_lo
	s_or_b32 s101, s44, s45
	s_and_not1_b32 exec_lo, exec_lo, s38
	s_cbranch_execz .LBB59_176
.LBB59_172:                             ;   Parent Loop BB59_6 Depth=1
                                        ; =>  This Inner Loop Header: Depth=2
	s_mov_b32 s102, exec_lo
	s_delay_alu instid0(VALU_DEP_1)
	v_cmpx_gt_u32_e64 s59, v6
	s_cbranch_execz .LBB59_170
; %bb.173:                              ;   in Loop: Header=BB59_172 Depth=2
	ds_load_u16 v8, v5
	s_wait_dscnt 0x0
	v_bfe_i32 v9, v8, 0, 16
	s_delay_alu instid0(VALU_DEP_1) | instskip(NEXT) | instid1(VALU_DEP_1)
	v_add_nc_u32_e32 v9, 0x8000, v9
	v_and_b32_e32 v9, v9, v4
	s_delay_alu instid0(VALU_DEP_1)
	v_cmp_eq_u32_e32 vcc_lo, v9, v3
	s_and_b32 exec_lo, exec_lo, vcc_lo
	s_cbranch_execz .LBB59_170
; %bb.174:                              ;   in Loop: Header=BB59_172 Depth=2
	v_perm_b32 v8, v8, 1, 0x5040100
	ds_store_b32 v17, v8 offset:3072
	s_branch .LBB59_170
.LBB59_175:                             ;   in Loop: Header=BB59_172 Depth=2
	v_dual_add_nc_u32 v6, s41, v6 :: v_dual_add_nc_u32 v5, s86, v5
	s_mov_b32 s45, 0
	s_delay_alu instid0(VALU_DEP_1)
	v_cmp_le_u32_e32 vcc_lo, s100, v6
	s_or_not1_b32 s44, vcc_lo, exec_lo
	s_branch .LBB59_171
.LBB59_176:                             ;   in Loop: Header=BB59_6 Depth=1
	s_or_b32 exec_lo, exec_lo, s38
	v_lshrrev_b32_e32 v6, 16, v8
	s_and_b32 s38, s101, exec_lo
.LBB59_177:                             ;   in Loop: Header=BB59_6 Depth=1
	s_or_b32 exec_lo, exec_lo, s61
.LBB59_178:                             ;   in Loop: Header=BB59_6 Depth=1
	s_delay_alu instid0(SALU_CYCLE_1)
	s_and_b32 vcc_lo, exec_lo, s60
	s_cbranch_vccz .LBB59_189
; %bb.179:                              ;   in Loop: Header=BB59_6 Depth=1
                                        ; implicit-def: $vgpr6
	s_and_saveexec_b32 s31, s13
	s_cbranch_execz .LBB59_188
; %bb.180:                              ;   in Loop: Header=BB59_6 Depth=1
	v_dual_mov_b32 v5, v18 :: v_dual_mov_b32 v6, v0
	s_mov_b32 s33, 0
                                        ; implicit-def: $sgpr59
	s_branch .LBB59_183
.LBB59_181:                             ;   in Loop: Header=BB59_183 Depth=2
	s_or_b32 exec_lo, exec_lo, s60
	s_wait_dscnt 0x0
	s_barrier_signal -1
	s_barrier_wait -1
	ds_load_b32 v8, v17 offset:3072
	s_mov_b32 s44, -1
	s_mov_b32 s45, -1
	s_wait_dscnt 0x0
	s_barrier_signal -1
	s_barrier_wait -1
	v_and_b32_e32 v9, 0xffff, v8
	s_delay_alu instid0(VALU_DEP_1)
	v_cmp_eq_u32_e32 vcc_lo, 0, v9
	s_cbranch_vccnz .LBB59_186
.LBB59_182:                             ;   in Loop: Header=BB59_183 Depth=2
	s_and_b32 s44, exec_lo, s44
	s_delay_alu instid0(SALU_CYCLE_1) | instskip(SKIP_2) | instid1(SALU_CYCLE_1)
	s_or_b32 s33, s44, s33
	s_and_not1_b32 s44, s59, exec_lo
	s_and_b32 s45, s45, exec_lo
	s_or_b32 s59, s44, s45
	s_and_not1_b32 exec_lo, exec_lo, s33
	s_cbranch_execz .LBB59_187
.LBB59_183:                             ;   Parent Loop BB59_6 Depth=1
                                        ; =>  This Inner Loop Header: Depth=2
	s_mov_b32 s60, exec_lo
	s_delay_alu instid0(VALU_DEP_1)
	v_cmpx_gt_u32_e64 s36, v6
	s_cbranch_execz .LBB59_181
; %bb.184:                              ;   in Loop: Header=BB59_183 Depth=2
	v_readfirstlane_b32 s44, v12
	v_readfirstlane_b32 s45, v13
	global_load_u16 v8, v5, s[44:45] scale_offset
	s_wait_loadcnt 0x0
	v_bfe_i32 v9, v8, 0, 16
	s_delay_alu instid0(VALU_DEP_1) | instskip(NEXT) | instid1(VALU_DEP_1)
	v_add_nc_u32_e32 v9, 0x8000, v9
	v_and_b32_e32 v9, v9, v4
	s_delay_alu instid0(VALU_DEP_1)
	v_cmp_eq_u32_e32 vcc_lo, v9, v3
	s_and_b32 exec_lo, exec_lo, vcc_lo
	s_cbranch_execz .LBB59_181
; %bb.185:                              ;   in Loop: Header=BB59_183 Depth=2
	v_perm_b32 v8, v8, 1, 0x5040100
	ds_store_b32 v17, v8 offset:3072
	s_branch .LBB59_181
.LBB59_186:                             ;   in Loop: Header=BB59_183 Depth=2
	v_dual_add_nc_u32 v6, s41, v6 :: v_dual_add_nc_u32 v5, s50, v5
	s_mov_b32 s45, 0
	s_delay_alu instid0(VALU_DEP_1)
	v_cmp_le_u32_e32 vcc_lo, s83, v6
	s_or_not1_b32 s44, vcc_lo, exec_lo
	s_branch .LBB59_182
.LBB59_187:                             ;   in Loop: Header=BB59_6 Depth=1
	s_or_b32 exec_lo, exec_lo, s33
	v_lshrrev_b32_e32 v6, 16, v8
	s_and_not1_b32 s33, s38, exec_lo
	s_and_b32 s38, s59, exec_lo
	s_delay_alu instid0(SALU_CYCLE_1)
	s_or_b32 s38, s33, s38
.LBB59_188:                             ;   in Loop: Header=BB59_6 Depth=1
	s_or_b32 exec_lo, exec_lo, s31
	s_mov_b32 s31, 0
	s_mov_b32 s33, -1
.LBB59_189:                             ;   in Loop: Header=BB59_6 Depth=1
	s_or_not1_b32 s38, s38, exec_lo
.LBB59_190:                             ;   in Loop: Header=BB59_6 Depth=1
	s_or_b32 exec_lo, exec_lo, s34
	s_mov_b32 s59, 0
	s_and_saveexec_b32 s34, s38
	s_cbranch_execz .LBB59_240
; %bb.191:                              ;   in Loop: Header=BB59_6 Depth=1
	v_dual_mov_b32 v5, 1 :: v_dual_mov_b32 v2, 1
	s_xor_b32 s44, s58, -1
	s_delay_alu instid0(SALU_CYCLE_1)
	s_and_saveexec_b32 s38, s44
	s_cbranch_execz .LBB59_200
; %bb.192:                              ;   in Loop: Header=BB59_6 Depth=1
	s_mov_b32 s44, exec_lo
	v_cmpx_ge_u32_e64 s21, v7
	s_xor_b32 s58, exec_lo, s44
	s_cbranch_execz .LBB59_197
; %bb.193:                              ;   in Loop: Header=BB59_6 Depth=1
	ds_load_b32 v2, v17 offset:4096
	s_lshl_b32 s44, 2, s87
	v_or_b32_e32 v4, s18, v4
	v_and_or_b32 v3, v3, s19, s44
	s_wait_dscnt 0x0
	v_cmp_ne_u32_e32 vcc_lo, 0, v2
	s_cbranch_vccnz .LBB59_197
; %bb.194:                              ;   in Loop: Header=BB59_6 Depth=1
	s_and_saveexec_b32 s44, s5
; %bb.195:                              ;   in Loop: Header=BB59_6 Depth=1
	v_mov_b32_e32 v2, s21
	ds_store_b32 v17, v2 offset:4100
; %bb.196:                              ;   in Loop: Header=BB59_6 Depth=1
	s_or_b32 exec_lo, exec_lo, s44
	s_wait_dscnt 0x0
	s_barrier_signal -1
	s_barrier_wait -1
.LBB59_197:                             ;   in Loop: Header=BB59_6 Depth=1
	s_or_saveexec_b32 s58, s58
	v_mov_b32_e32 v2, 8
	s_xor_b32 exec_lo, exec_lo, s58
; %bb.198:                              ;   in Loop: Header=BB59_6 Depth=1
	v_subrev_nc_u32_e32 v7, s21, v7
	v_mov_b32_e32 v2, 0
	s_mov_b32 s59, exec_lo
; %bb.199:                              ;   in Loop: Header=BB59_6 Depth=1
	s_or_b32 exec_lo, exec_lo, s58
	s_delay_alu instid0(VALU_DEP_2)
	v_mov_b32_e32 v5, v7
	s_and_b32 s59, s59, exec_lo
.LBB59_200:                             ;   in Loop: Header=BB59_6 Depth=1
	s_or_b32 exec_lo, exec_lo, s38
	s_mov_b32 s38, -1
                                        ; implicit-def: $sgpr61
                                        ; implicit-def: $sgpr60
	s_and_saveexec_b32 s58, s59
	s_cbranch_execz .LBB59_239
; %bb.201:                              ;   in Loop: Header=BB59_6 Depth=1
	v_cmp_eq_u32_e32 vcc_lo, 1, v5
	s_cmp_eq_u32 s22, 1
	s_mov_b32 s101, -1
	s_cselect_b32 s38, -1, 0
                                        ; implicit-def: $sgpr61
                                        ; implicit-def: $sgpr60
	s_delay_alu instid0(SALU_CYCLE_1) | instskip(NEXT) | instid1(SALU_CYCLE_1)
	s_and_b32 s59, s38, vcc_lo
	s_and_saveexec_b32 s100, s59
	s_cbranch_execz .LBB59_227
; %bb.202:                              ;   in Loop: Header=BB59_6 Depth=1
	ds_load_b32 v6, v17 offset:4096
	s_wait_dscnt 0x0
	s_barrier_signal -1
	s_barrier_wait -1
	v_readfirstlane_b32 s101, v6
	s_and_saveexec_b32 s38, s6
; %bb.203:                              ;   in Loop: Header=BB59_6 Depth=1
	ds_store_b16 v23, v17
; %bb.204:                              ;   in Loop: Header=BB59_6 Depth=1
	s_or_b32 exec_lo, exec_lo, s38
	v_or_b32_e32 v3, s18, v3
	v_or_b32_e32 v4, s18, v4
	s_mov_b32 s60, -1
	s_mov_b32 s61, 0
	s_cmp_eq_u32 s101, 0
	s_mov_b32 s38, 0
	s_mov_b32 s102, -1
	s_wait_dscnt 0x0
	s_barrier_signal -1
	s_barrier_wait -1
                                        ; implicit-def: $vgpr6
	s_cbranch_scc1 .LBB59_215
; %bb.205:                              ;   in Loop: Header=BB59_6 Depth=1
	s_add_co_i32 s38, s101, s70
	s_mov_b32 s102, 0
	s_mul_u64 s[44:45], s[38:39], s[54:55]
	s_mov_b32 s103, exec_lo
	s_mul_i32 s44, s45, s41
                                        ; implicit-def: $vgpr6
	s_delay_alu instid0(SALU_CYCLE_1) | instskip(NEXT) | instid1(SALU_CYCLE_1)
	s_sub_co_i32 s44, s38, s44
	s_sub_co_i32 s45, s44, s41
	s_cmp_ge_u32 s44, s41
	s_cselect_b32 s44, s45, s44
	s_delay_alu instid0(SALU_CYCLE_1) | instskip(SKIP_2) | instid1(SALU_CYCLE_1)
	s_sub_co_i32 s45, s44, s41
	s_cmp_ge_u32 s44, s41
	s_cselect_b32 s44, s45, s44
	s_sub_co_i32 s104, s38, s44
	s_mov_b32 s38, 0
	v_cmpx_gt_u32_e64 s104, v0
	s_cbranch_execz .LBB59_214
; %bb.206:                              ;   in Loop: Header=BB59_6 Depth=1
	v_dual_mov_b32 v6, v22 :: v_dual_mov_b32 v7, v0
                                        ; implicit-def: $vcc_hi
	s_branch .LBB59_209
.LBB59_207:                             ;   in Loop: Header=BB59_209 Depth=2
	s_or_b32 exec_lo, exec_lo, s44
	s_wait_dscnt 0x0
	s_barrier_signal -1
	s_barrier_wait -1
	ds_load_b32 v8, v17 offset:3072
	s_mov_b32 s44, -1
	s_mov_b32 s45, -1
	s_wait_dscnt 0x0
	s_barrier_signal -1
	s_barrier_wait -1
	v_and_b32_e32 v9, 0xffff, v8
	s_delay_alu instid0(VALU_DEP_1)
	v_cmp_ne_u32_e32 vcc_lo, 0, v9
	s_cbranch_vccz .LBB59_212
.LBB59_208:                             ;   in Loop: Header=BB59_209 Depth=2
	s_and_b32 s44, exec_lo, s44
	s_delay_alu instid0(SALU_CYCLE_1) | instskip(SKIP_2) | instid1(SALU_CYCLE_1)
	s_or_b32 s38, s44, s38
	s_and_not1_b32 s44, vcc_hi, exec_lo
	s_and_b32 s45, s45, exec_lo
	s_or_b32 vcc_hi, s44, s45
	s_and_not1_b32 exec_lo, exec_lo, s38
	s_cbranch_execz .LBB59_213
.LBB59_209:                             ;   Parent Loop BB59_6 Depth=1
                                        ; =>  This Inner Loop Header: Depth=2
	s_mov_b32 s44, exec_lo
	s_delay_alu instid0(VALU_DEP_1)
	v_cmpx_gt_u32_e64 s101, v7
	s_cbranch_execz .LBB59_207
; %bb.210:                              ;   in Loop: Header=BB59_209 Depth=2
	ds_load_u16 v8, v6
	s_wait_dscnt 0x0
	v_bfe_i32 v9, v8, 0, 16
	s_delay_alu instid0(VALU_DEP_1) | instskip(NEXT) | instid1(VALU_DEP_1)
	v_add_nc_u32_e32 v9, 0x8000, v9
	v_and_b32_e32 v9, v9, v4
	s_delay_alu instid0(VALU_DEP_1)
	v_cmp_eq_u32_e32 vcc_lo, v9, v3
	s_and_b32 exec_lo, exec_lo, vcc_lo
	s_cbranch_execz .LBB59_207
; %bb.211:                              ;   in Loop: Header=BB59_209 Depth=2
	v_perm_b32 v8, v8, 1, 0x5040100
	ds_store_b32 v17, v8 offset:3072
	s_branch .LBB59_207
.LBB59_212:                             ;   in Loop: Header=BB59_209 Depth=2
	v_dual_add_nc_u32 v7, s41, v7 :: v_dual_add_nc_u32 v6, s86, v6
	s_mov_b32 s45, 0
	s_delay_alu instid0(VALU_DEP_1)
	v_cmp_le_u32_e32 vcc_lo, s104, v7
	s_or_not1_b32 s44, vcc_lo, exec_lo
	s_branch .LBB59_208
.LBB59_213:                             ;   in Loop: Header=BB59_6 Depth=1
	s_or_b32 exec_lo, exec_lo, s38
	v_lshrrev_b32_e32 v6, 16, v8
	s_and_b32 s38, vcc_hi, exec_lo
.LBB59_214:                             ;   in Loop: Header=BB59_6 Depth=1
	s_or_b32 exec_lo, exec_lo, s103
.LBB59_215:                             ;   in Loop: Header=BB59_6 Depth=1
	s_delay_alu instid0(SALU_CYCLE_1)
	s_and_b32 vcc_lo, exec_lo, s102
	s_cbranch_vccz .LBB59_226
; %bb.216:                              ;   in Loop: Header=BB59_6 Depth=1
                                        ; implicit-def: $vgpr6
	s_and_saveexec_b32 s60, s13
	s_cbranch_execz .LBB59_225
; %bb.217:                              ;   in Loop: Header=BB59_6 Depth=1
	v_dual_mov_b32 v6, v18 :: v_dual_mov_b32 v7, v0
	s_mov_b32 s61, 0
                                        ; implicit-def: $sgpr101
	s_branch .LBB59_220
.LBB59_218:                             ;   in Loop: Header=BB59_220 Depth=2
	s_or_b32 exec_lo, exec_lo, s102
	s_wait_dscnt 0x0
	s_barrier_signal -1
	s_barrier_wait -1
	ds_load_b32 v8, v17 offset:3072
	s_mov_b32 s44, -1
	s_mov_b32 s45, -1
	s_wait_dscnt 0x0
	s_barrier_signal -1
	s_barrier_wait -1
	v_and_b32_e32 v9, 0xffff, v8
	s_delay_alu instid0(VALU_DEP_1)
	v_cmp_eq_u32_e32 vcc_lo, 0, v9
	s_cbranch_vccnz .LBB59_223
.LBB59_219:                             ;   in Loop: Header=BB59_220 Depth=2
	s_and_b32 s44, exec_lo, s44
	s_delay_alu instid0(SALU_CYCLE_1) | instskip(SKIP_2) | instid1(SALU_CYCLE_1)
	s_or_b32 s61, s44, s61
	s_and_not1_b32 s44, s101, exec_lo
	s_and_b32 s45, s45, exec_lo
	s_or_b32 s101, s44, s45
	s_and_not1_b32 exec_lo, exec_lo, s61
	s_cbranch_execz .LBB59_224
.LBB59_220:                             ;   Parent Loop BB59_6 Depth=1
                                        ; =>  This Inner Loop Header: Depth=2
	s_mov_b32 s102, exec_lo
	s_delay_alu instid0(VALU_DEP_1)
	v_cmpx_gt_u32_e64 s36, v7
	s_cbranch_execz .LBB59_218
; %bb.221:                              ;   in Loop: Header=BB59_220 Depth=2
	v_readfirstlane_b32 s44, v12
	v_readfirstlane_b32 s45, v13
	global_load_u16 v8, v6, s[44:45] scale_offset
	s_wait_loadcnt 0x0
	v_bfe_i32 v9, v8, 0, 16
	s_delay_alu instid0(VALU_DEP_1) | instskip(NEXT) | instid1(VALU_DEP_1)
	v_add_nc_u32_e32 v9, 0x8000, v9
	v_and_b32_e32 v9, v9, v4
	s_delay_alu instid0(VALU_DEP_1)
	v_cmp_eq_u32_e32 vcc_lo, v9, v3
	s_and_b32 exec_lo, exec_lo, vcc_lo
	s_cbranch_execz .LBB59_218
; %bb.222:                              ;   in Loop: Header=BB59_220 Depth=2
	v_perm_b32 v8, v8, 1, 0x5040100
	ds_store_b32 v17, v8 offset:3072
	s_branch .LBB59_218
.LBB59_223:                             ;   in Loop: Header=BB59_220 Depth=2
	v_dual_add_nc_u32 v7, s41, v7 :: v_dual_add_nc_u32 v6, s50, v6
	s_mov_b32 s45, 0
	s_delay_alu instid0(VALU_DEP_1)
	v_cmp_le_u32_e32 vcc_lo, s83, v7
	s_or_not1_b32 s44, vcc_lo, exec_lo
	s_branch .LBB59_219
.LBB59_224:                             ;   in Loop: Header=BB59_6 Depth=1
	s_or_b32 exec_lo, exec_lo, s61
	v_lshrrev_b32_e32 v6, 16, v8
	s_and_not1_b32 s38, s38, exec_lo
	s_and_b32 s44, s101, exec_lo
	s_delay_alu instid0(SALU_CYCLE_1)
	s_or_b32 s38, s38, s44
.LBB59_225:                             ;   in Loop: Header=BB59_6 Depth=1
	s_or_b32 exec_lo, exec_lo, s60
	s_mov_b32 s60, 0
	s_mov_b32 s61, -1
.LBB59_226:                             ;   in Loop: Header=BB59_6 Depth=1
	s_or_not1_b32 s101, s38, exec_lo
.LBB59_227:                             ;   in Loop: Header=BB59_6 Depth=1
	s_or_b32 exec_lo, exec_lo, s100
	s_mov_b32 s100, 0
	s_and_saveexec_b32 s38, s101
	s_cbranch_execz .LBB59_238
; %bb.228:                              ;   in Loop: Header=BB59_6 Depth=1
	v_dual_mov_b32 v2, 1 :: v_dual_mov_b32 v7, 1
	s_xor_b32 s44, s59, -1
	s_delay_alu instid0(SALU_CYCLE_1)
	s_and_saveexec_b32 s59, s44
	s_cbranch_execz .LBB59_237
; %bb.229:                              ;   in Loop: Header=BB59_6 Depth=1
	s_mov_b32 s44, exec_lo
	v_cmpx_ge_u32_e64 s22, v5
	s_xor_b32 s100, exec_lo, s44
	s_cbranch_execz .LBB59_234
; %bb.230:                              ;   in Loop: Header=BB59_6 Depth=1
	ds_load_b32 v2, v17 offset:4096
	v_or_b32_e32 v3, s18, v3
	v_or_b32_e32 v4, s18, v4
	s_wait_dscnt 0x0
	v_cmp_ne_u32_e32 vcc_lo, 0, v2
	s_cbranch_vccnz .LBB59_234
; %bb.231:                              ;   in Loop: Header=BB59_6 Depth=1
	s_and_saveexec_b32 s44, s5
; %bb.232:                              ;   in Loop: Header=BB59_6 Depth=1
	v_mov_b32_e32 v2, s22
	ds_store_b32 v17, v2 offset:4100
; %bb.233:                              ;   in Loop: Header=BB59_6 Depth=1
	s_or_b32 exec_lo, exec_lo, s44
	s_wait_dscnt 0x0
	s_barrier_signal -1
	s_barrier_wait -1
.LBB59_234:                             ;   in Loop: Header=BB59_6 Depth=1
	s_and_not1_saveexec_b32 s44, s100
; %bb.235:                              ;   in Loop: Header=BB59_6 Depth=1
	v_subrev_nc_u32_e32 v5, s22, v5
; %bb.236:                              ;   in Loop: Header=BB59_6 Depth=1
	s_or_b32 exec_lo, exec_lo, s44
	s_delay_alu instid0(VALU_DEP_1)
	v_dual_mov_b32 v2, 8 :: v_dual_mov_b32 v7, v5
.LBB59_237:                             ;   in Loop: Header=BB59_6 Depth=1
	s_or_b32 exec_lo, exec_lo, s59
	s_delay_alu instid0(VALU_DEP_1)
	v_mov_b32_e32 v5, v7
	s_mov_b32 s100, exec_lo
.LBB59_238:                             ;   in Loop: Header=BB59_6 Depth=1
	s_or_b32 exec_lo, exec_lo, s38
	s_delay_alu instid0(SALU_CYCLE_1)
	s_or_not1_b32 s38, s100, exec_lo
.LBB59_239:                             ;   in Loop: Header=BB59_6 Depth=1
	s_or_b32 exec_lo, exec_lo, s58
	v_mov_b32_e32 v7, v5
	s_and_not1_b32 s33, s33, exec_lo
	s_and_b32 s44, s61, exec_lo
	s_and_not1_b32 s31, s31, exec_lo
	s_and_b32 s45, s60, exec_lo
	s_or_b32 s33, s33, s44
	s_or_b32 s31, s31, s45
	s_and_b32 s59, s38, exec_lo
.LBB59_240:                             ;   in Loop: Header=BB59_6 Depth=1
	s_or_b32 exec_lo, exec_lo, s34
	s_delay_alu instid0(SALU_CYCLE_1)
	s_or_not1_b32 s34, s59, exec_lo
.LBB59_241:                             ;   in Loop: Header=BB59_6 Depth=1
	s_or_b32 exec_lo, exec_lo, s30
	v_mov_b32_e32 v5, v7
	s_and_not1_b32 s28, s28, exec_lo
	s_and_b32 s30, s33, exec_lo
	s_and_not1_b32 s23, s23, exec_lo
	s_and_b32 s31, s31, exec_lo
	s_or_b32 s28, s28, s30
	s_or_b32 s23, s23, s31
	s_and_b32 s33, s34, exec_lo
.LBB59_242:                             ;   in Loop: Header=BB59_6 Depth=1
	s_or_b32 exec_lo, exec_lo, s29
	s_delay_alu instid0(SALU_CYCLE_1)
	s_or_not1_b32 s29, s33, exec_lo
.LBB59_243:                             ;   in Loop: Header=BB59_6 Depth=1
	s_or_b32 exec_lo, exec_lo, s15
	s_mov_b32 s30, 0
	s_mov_b32 s31, 0
	s_and_saveexec_b32 s15, s29
	s_delay_alu instid0(SALU_CYCLE_1)
	s_xor_b32 s29, exec_lo, s15
; %bb.244:                              ;   in Loop: Header=BB59_6 Depth=1
	v_cmp_ne_u32_e32 vcc_lo, 8, v2
	v_cmp_eq_u32_e64 s15, 8, v2
	s_and_b32 s31, vcc_lo, exec_lo
	s_and_b32 s30, s15, exec_lo
; %bb.245:                              ;   in Loop: Header=BB59_6 Depth=1
	s_or_b32 exec_lo, exec_lo, s29
	s_delay_alu instid0(SALU_CYCLE_1)
	s_and_not1_b32 s15, s25, exec_lo
	s_and_b32 s25, s28, exec_lo
	s_and_not1_b32 s24, s24, exec_lo
	s_and_b32 s23, s23, exec_lo
	s_or_b32 s25, s15, s25
	s_or_b32 s24, s24, s23
	s_and_b32 s15, s31, exec_lo
	s_and_b32 s23, s30, exec_lo
.LBB59_246:                             ;   in Loop: Header=BB59_6 Depth=1
	s_or_b32 exec_lo, exec_lo, s27
.LBB59_247:                             ;   in Loop: Header=BB59_6 Depth=1
	s_delay_alu instid0(SALU_CYCLE_1)
	s_and_b32 vcc_lo, exec_lo, s26
	s_cbranch_vccz .LBB59_260
; %bb.248:                              ;   in Loop: Header=BB59_6 Depth=1
	s_cmp_eq_u32 s22, 1
	s_mov_b32 s25, -1
	s_cselect_b32 s16, -1, 0
                                        ; implicit-def: $sgpr26
	s_delay_alu instid0(SALU_CYCLE_1) | instskip(NEXT) | instid1(SALU_CYCLE_1)
	s_and_b32 s14, s16, s14
                                        ; implicit-def: $sgpr16
	s_and_saveexec_b32 s24, s14
	s_cbranch_execz .LBB59_275
; %bb.249:                              ;   in Loop: Header=BB59_6 Depth=1
	ds_load_b32 v2, v17 offset:4096
	s_wait_dscnt 0x0
	s_barrier_signal -1
	s_barrier_wait -1
	v_readfirstlane_b32 s27, v2
	s_and_saveexec_b32 s16, s6
; %bb.250:                              ;   in Loop: Header=BB59_6 Depth=1
	ds_store_b16 v23, v17
; %bb.251:                              ;   in Loop: Header=BB59_6 Depth=1
	s_or_b32 exec_lo, exec_lo, s16
	v_or_b32_e32 v29, s18, v29
	v_or_b32_e32 v37, s18, v37
	s_mov_b32 s16, -1
	s_mov_b32 s26, 0
	s_cmp_eq_u32 s27, 0
	s_mov_b32 s25, 0
	s_mov_b32 s28, -1
	s_wait_dscnt 0x0
	s_barrier_signal -1
	s_barrier_wait -1
                                        ; implicit-def: $vgpr38
	s_cbranch_scc1 .LBB59_263
; %bb.252:                              ;   in Loop: Header=BB59_6 Depth=1
	s_add_co_i32 s38, s27, s70
                                        ; implicit-def: $vgpr38
	s_delay_alu instid0(SALU_CYCLE_1) | instskip(NEXT) | instid1(SALU_CYCLE_1)
	s_mul_u64 s[28:29], s[38:39], s[54:55]
	s_mul_i32 s25, s29, s41
	s_mov_b32 s29, exec_lo
	s_sub_co_i32 s25, s38, s25
	s_delay_alu instid0(SALU_CYCLE_1) | instskip(SKIP_2) | instid1(SALU_CYCLE_1)
	s_sub_co_i32 s28, s25, s41
	s_cmp_ge_u32 s25, s41
	s_cselect_b32 s25, s28, s25
	s_sub_co_i32 s28, s25, s41
	s_cmp_ge_u32 s25, s41
	s_cselect_b32 s25, s28, s25
	s_mov_b32 s28, 0
	s_sub_co_i32 s30, s38, s25
	s_mov_b32 s25, 0
	v_cmpx_gt_u32_e64 s30, v0
	s_cbranch_execz .LBB59_262
; %bb.253:                              ;   in Loop: Header=BB59_6 Depth=1
	v_dual_mov_b32 v2, v22 :: v_dual_mov_b32 v3, v0
                                        ; implicit-def: $sgpr31
	s_branch .LBB59_256
.LBB59_254:                             ;   in Loop: Header=BB59_256 Depth=2
	s_or_b32 exec_lo, exec_lo, s33
	s_wait_dscnt 0x0
	s_barrier_signal -1
	s_barrier_wait -1
	ds_load_b32 v4, v17 offset:3072
	s_mov_b32 s33, -1
	s_mov_b32 s34, -1
	s_wait_dscnt 0x0
	s_barrier_signal -1
	s_barrier_wait -1
	v_and_b32_e32 v5, 0xffff, v4
	s_delay_alu instid0(VALU_DEP_1)
	v_cmp_ne_u32_e32 vcc_lo, 0, v5
	s_cbranch_vccz .LBB59_259
.LBB59_255:                             ;   in Loop: Header=BB59_256 Depth=2
	s_and_b32 s33, exec_lo, s33
	s_delay_alu instid0(SALU_CYCLE_1) | instskip(SKIP_2) | instid1(SALU_CYCLE_1)
	s_or_b32 s25, s33, s25
	s_and_not1_b32 s31, s31, exec_lo
	s_and_b32 s33, s34, exec_lo
	s_or_b32 s31, s31, s33
	s_and_not1_b32 exec_lo, exec_lo, s25
	s_cbranch_execz .LBB59_261
.LBB59_256:                             ;   Parent Loop BB59_6 Depth=1
                                        ; =>  This Inner Loop Header: Depth=2
	s_mov_b32 s33, exec_lo
	s_delay_alu instid0(VALU_DEP_1)
	v_cmpx_gt_u32_e64 s27, v3
	s_cbranch_execz .LBB59_254
; %bb.257:                              ;   in Loop: Header=BB59_256 Depth=2
	ds_load_u16 v4, v2
	s_wait_dscnt 0x0
	v_bfe_i32 v5, v4, 0, 16
	s_delay_alu instid0(VALU_DEP_1) | instskip(NEXT) | instid1(VALU_DEP_1)
	v_add_nc_u32_e32 v5, 0x8000, v5
	v_and_b32_e32 v5, v5, v37
	s_delay_alu instid0(VALU_DEP_1)
	v_cmp_eq_u32_e32 vcc_lo, v5, v29
	s_and_b32 exec_lo, exec_lo, vcc_lo
	s_cbranch_execz .LBB59_254
; %bb.258:                              ;   in Loop: Header=BB59_256 Depth=2
	v_perm_b32 v4, v4, 1, 0x5040100
	ds_store_b32 v17, v4 offset:3072
	s_branch .LBB59_254
.LBB59_259:                             ;   in Loop: Header=BB59_256 Depth=2
	v_dual_add_nc_u32 v3, s41, v3 :: v_dual_add_nc_u32 v2, s86, v2
	s_mov_b32 s34, 0
	s_delay_alu instid0(VALU_DEP_1)
	v_cmp_le_u32_e32 vcc_lo, s30, v3
	s_or_not1_b32 s33, vcc_lo, exec_lo
	s_branch .LBB59_255
.LBB59_260:                             ;   in Loop: Header=BB59_6 Depth=1
	v_dual_mov_b32 v29, v3 :: v_dual_mov_b32 v37, v4
	v_mov_b32_e32 v38, v6
	s_mov_b32 s26, 0
	s_and_saveexec_b32 s14, s23
	s_cbranch_execnz .LBB59_406
	s_branch .LBB59_407
.LBB59_261:                             ;   in Loop: Header=BB59_6 Depth=1
	s_or_b32 exec_lo, exec_lo, s25
	v_lshrrev_b32_e32 v38, 16, v4
	s_and_b32 s25, s31, exec_lo
.LBB59_262:                             ;   in Loop: Header=BB59_6 Depth=1
	s_or_b32 exec_lo, exec_lo, s29
.LBB59_263:                             ;   in Loop: Header=BB59_6 Depth=1
	s_delay_alu instid0(SALU_CYCLE_1)
	s_and_b32 vcc_lo, exec_lo, s28
	s_cbranch_vccz .LBB59_274
; %bb.264:                              ;   in Loop: Header=BB59_6 Depth=1
                                        ; implicit-def: $vgpr38
	s_and_saveexec_b32 s16, s13
	s_cbranch_execz .LBB59_273
; %bb.265:                              ;   in Loop: Header=BB59_6 Depth=1
	v_dual_mov_b32 v2, v18 :: v_dual_mov_b32 v3, v0
	s_mov_b32 s26, 0
                                        ; implicit-def: $sgpr27
	s_branch .LBB59_268
.LBB59_266:                             ;   in Loop: Header=BB59_268 Depth=2
	s_or_b32 exec_lo, exec_lo, s28
	s_wait_dscnt 0x0
	s_barrier_signal -1
	s_barrier_wait -1
	ds_load_b32 v4, v17 offset:3072
	s_mov_b32 s28, -1
	s_mov_b32 s29, -1
	s_wait_dscnt 0x0
	s_barrier_signal -1
	s_barrier_wait -1
	v_and_b32_e32 v5, 0xffff, v4
	s_delay_alu instid0(VALU_DEP_1)
	v_cmp_ne_u32_e32 vcc_lo, 0, v5
	s_cbranch_vccz .LBB59_271
.LBB59_267:                             ;   in Loop: Header=BB59_268 Depth=2
	s_and_b32 s28, exec_lo, s28
	s_delay_alu instid0(SALU_CYCLE_1) | instskip(SKIP_2) | instid1(SALU_CYCLE_1)
	s_or_b32 s26, s28, s26
	s_and_not1_b32 s27, s27, exec_lo
	s_and_b32 s28, s29, exec_lo
	s_or_b32 s27, s27, s28
	s_and_not1_b32 exec_lo, exec_lo, s26
	s_cbranch_execz .LBB59_272
.LBB59_268:                             ;   Parent Loop BB59_6 Depth=1
                                        ; =>  This Inner Loop Header: Depth=2
	s_mov_b32 s28, exec_lo
	s_delay_alu instid0(VALU_DEP_1)
	v_cmpx_gt_u32_e64 s36, v3
	s_cbranch_execz .LBB59_266
; %bb.269:                              ;   in Loop: Header=BB59_268 Depth=2
	v_readfirstlane_b32 s30, v12
	v_readfirstlane_b32 s31, v13
	global_load_u16 v4, v2, s[30:31] scale_offset
	s_wait_loadcnt 0x0
	v_bfe_i32 v5, v4, 0, 16
	s_delay_alu instid0(VALU_DEP_1) | instskip(NEXT) | instid1(VALU_DEP_1)
	v_add_nc_u32_e32 v5, 0x8000, v5
	v_and_b32_e32 v5, v5, v37
	s_delay_alu instid0(VALU_DEP_1)
	v_cmp_eq_u32_e32 vcc_lo, v5, v29
	s_and_b32 exec_lo, exec_lo, vcc_lo
	s_cbranch_execz .LBB59_266
; %bb.270:                              ;   in Loop: Header=BB59_268 Depth=2
	v_perm_b32 v4, v4, 1, 0x5040100
	ds_store_b32 v17, v4 offset:3072
	s_branch .LBB59_266
.LBB59_271:                             ;   in Loop: Header=BB59_268 Depth=2
	v_dual_add_nc_u32 v3, s41, v3 :: v_dual_add_nc_u32 v2, s50, v2
	s_mov_b32 s29, 0
	s_delay_alu instid0(VALU_DEP_1)
	v_cmp_le_u32_e32 vcc_lo, s83, v3
	s_or_not1_b32 s28, vcc_lo, exec_lo
	s_branch .LBB59_267
.LBB59_272:                             ;   in Loop: Header=BB59_6 Depth=1
	s_or_b32 exec_lo, exec_lo, s26
	v_lshrrev_b32_e32 v38, 16, v4
	s_and_not1_b32 s25, s25, exec_lo
	s_and_b32 s26, s27, exec_lo
	s_delay_alu instid0(SALU_CYCLE_1)
	s_or_b32 s25, s25, s26
.LBB59_273:                             ;   in Loop: Header=BB59_6 Depth=1
	s_or_b32 exec_lo, exec_lo, s16
	s_mov_b32 s16, 0
	s_mov_b32 s26, -1
.LBB59_274:                             ;   in Loop: Header=BB59_6 Depth=1
	s_or_not1_b32 s25, s25, exec_lo
.LBB59_275:                             ;   in Loop: Header=BB59_6 Depth=1
	s_or_b32 exec_lo, exec_lo, s24
                                        ; implicit-def: $vgpr5
                                        ; implicit-def: $vgpr2
	s_and_saveexec_b32 s24, s25
	s_cbranch_execz .LBB59_405
; %bb.276:                              ;   in Loop: Header=BB59_6 Depth=1
	v_dual_mov_b32 v5, 1 :: v_dual_mov_b32 v2, 1
	s_xor_b32 s25, s14, -1
	s_mov_b32 s28, 0
	s_and_saveexec_b32 s14, s25
	s_cbranch_execz .LBB59_285
; %bb.277:                              ;   in Loop: Header=BB59_6 Depth=1
	s_mov_b32 s25, exec_lo
	v_cmpx_ge_u32_e64 s22, v39
	s_xor_b32 s25, exec_lo, s25
	s_cbranch_execz .LBB59_282
; %bb.278:                              ;   in Loop: Header=BB59_6 Depth=1
	ds_load_b32 v2, v17 offset:4096
	v_or_b32_e32 v29, s18, v29
	v_or_b32_e32 v37, s18, v37
	s_wait_dscnt 0x0
	v_cmp_ne_u32_e32 vcc_lo, 0, v2
	s_cbranch_vccnz .LBB59_282
; %bb.279:                              ;   in Loop: Header=BB59_6 Depth=1
	s_and_saveexec_b32 s27, s5
; %bb.280:                              ;   in Loop: Header=BB59_6 Depth=1
	v_mov_b32_e32 v2, s22
	ds_store_b32 v17, v2 offset:4100
; %bb.281:                              ;   in Loop: Header=BB59_6 Depth=1
	s_or_b32 exec_lo, exec_lo, s27
	s_wait_dscnt 0x0
	s_barrier_signal -1
	s_barrier_wait -1
.LBB59_282:                             ;   in Loop: Header=BB59_6 Depth=1
	s_or_saveexec_b32 s25, s25
	v_mov_b32_e32 v2, 5
	s_mov_b32 s27, 0
	s_xor_b32 exec_lo, exec_lo, s25
; %bb.283:                              ;   in Loop: Header=BB59_6 Depth=1
	v_subrev_nc_u32_e32 v39, s22, v39
	v_mov_b32_e32 v2, 0
	s_mov_b32 s27, exec_lo
; %bb.284:                              ;   in Loop: Header=BB59_6 Depth=1
	s_or_b32 exec_lo, exec_lo, s25
	s_delay_alu instid0(VALU_DEP_2)
	v_mov_b32_e32 v5, v39
	s_and_b32 s28, s27, exec_lo
.LBB59_285:                             ;   in Loop: Header=BB59_6 Depth=1
	s_or_b32 exec_lo, exec_lo, s14
	s_mov_b32 s27, -1
                                        ; implicit-def: $sgpr22
                                        ; implicit-def: $sgpr25
	s_and_saveexec_b32 s14, s28
	s_delay_alu instid0(SALU_CYCLE_1)
	s_xor_b32 s14, exec_lo, s14
	s_cbranch_execz .LBB59_402
; %bb.286:                              ;   in Loop: Header=BB59_6 Depth=1
	v_cmp_eq_u32_e32 vcc_lo, 1, v5
	s_cmp_eq_u32 s21, 1
	s_mov_b32 s29, -1
	s_cselect_b32 s22, -1, 0
                                        ; implicit-def: $sgpr25
	s_delay_alu instid0(SALU_CYCLE_1) | instskip(NEXT) | instid1(SALU_CYCLE_1)
	s_and_b32 s28, s22, vcc_lo
                                        ; implicit-def: $sgpr22
	s_and_saveexec_b32 s27, s28
	s_cbranch_execz .LBB59_312
; %bb.287:                              ;   in Loop: Header=BB59_6 Depth=1
	ds_load_b32 v3, v17 offset:4096
	s_wait_dscnt 0x0
	s_barrier_signal -1
	s_barrier_wait -1
	v_readfirstlane_b32 s30, v3
	s_and_saveexec_b32 s22, s6
; %bb.288:                              ;   in Loop: Header=BB59_6 Depth=1
	ds_store_b16 v23, v17
; %bb.289:                              ;   in Loop: Header=BB59_6 Depth=1
	s_or_b32 exec_lo, exec_lo, s22
	s_lshl_b32 s22, 2, s87
	v_or_b32_e32 v37, s18, v37
	v_and_or_b32 v29, v29, s19, s22
	s_mov_b32 s22, -1
	s_mov_b32 s25, 0
	s_cmp_eq_u32 s30, 0
	s_mov_b32 s29, 0
	s_mov_b32 s31, -1
	s_wait_dscnt 0x0
	s_barrier_signal -1
	s_barrier_wait -1
                                        ; implicit-def: $vgpr38
	s_cbranch_scc1 .LBB59_300
; %bb.290:                              ;   in Loop: Header=BB59_6 Depth=1
	s_add_co_i32 s38, s30, s70
	s_mov_b32 s33, exec_lo
	s_mul_u64 s[44:45], s[38:39], s[54:55]
                                        ; implicit-def: $vgpr38
	s_delay_alu instid0(SALU_CYCLE_1) | instskip(NEXT) | instid1(SALU_CYCLE_1)
	s_mul_i32 s29, s45, s41
	s_sub_co_i32 s29, s38, s29
	s_delay_alu instid0(SALU_CYCLE_1) | instskip(SKIP_2) | instid1(SALU_CYCLE_1)
	s_sub_co_i32 s31, s29, s41
	s_cmp_ge_u32 s29, s41
	s_cselect_b32 s29, s31, s29
	s_sub_co_i32 s31, s29, s41
	s_cmp_ge_u32 s29, s41
	s_cselect_b32 s29, s31, s29
	s_mov_b32 s31, 0
	s_sub_co_i32 s34, s38, s29
	s_mov_b32 s29, 0
	v_cmpx_gt_u32_e64 s34, v0
	s_cbranch_execz .LBB59_299
; %bb.291:                              ;   in Loop: Header=BB59_6 Depth=1
	v_dual_mov_b32 v3, v22 :: v_dual_mov_b32 v4, v0
                                        ; implicit-def: $sgpr38
	s_branch .LBB59_294
.LBB59_292:                             ;   in Loop: Header=BB59_294 Depth=2
	s_or_b32 exec_lo, exec_lo, s58
	s_wait_dscnt 0x0
	s_barrier_signal -1
	s_barrier_wait -1
	ds_load_b32 v6, v17 offset:3072
	s_mov_b32 s44, -1
	s_mov_b32 s45, -1
	s_wait_dscnt 0x0
	s_barrier_signal -1
	s_barrier_wait -1
	v_and_b32_e32 v7, 0xffff, v6
	s_delay_alu instid0(VALU_DEP_1)
	v_cmp_ne_u32_e32 vcc_lo, 0, v7
	s_cbranch_vccz .LBB59_297
.LBB59_293:                             ;   in Loop: Header=BB59_294 Depth=2
	s_and_b32 s44, exec_lo, s44
	s_delay_alu instid0(SALU_CYCLE_1) | instskip(SKIP_2) | instid1(SALU_CYCLE_1)
	s_or_b32 s29, s44, s29
	s_and_not1_b32 s38, s38, exec_lo
	s_and_b32 s44, s45, exec_lo
	s_or_b32 s38, s38, s44
	s_and_not1_b32 exec_lo, exec_lo, s29
	s_cbranch_execz .LBB59_298
.LBB59_294:                             ;   Parent Loop BB59_6 Depth=1
                                        ; =>  This Inner Loop Header: Depth=2
	s_mov_b32 s58, exec_lo
	s_delay_alu instid0(VALU_DEP_1)
	v_cmpx_gt_u32_e64 s30, v4
	s_cbranch_execz .LBB59_292
; %bb.295:                              ;   in Loop: Header=BB59_294 Depth=2
	ds_load_u16 v6, v3
	s_wait_dscnt 0x0
	v_bfe_i32 v7, v6, 0, 16
	s_delay_alu instid0(VALU_DEP_1) | instskip(NEXT) | instid1(VALU_DEP_1)
	v_add_nc_u32_e32 v7, 0x8000, v7
	v_and_b32_e32 v7, v7, v37
	s_delay_alu instid0(VALU_DEP_1)
	v_cmp_eq_u32_e32 vcc_lo, v7, v29
	s_and_b32 exec_lo, exec_lo, vcc_lo
	s_cbranch_execz .LBB59_292
; %bb.296:                              ;   in Loop: Header=BB59_294 Depth=2
	v_perm_b32 v6, v6, 1, 0x5040100
	ds_store_b32 v17, v6 offset:3072
	s_branch .LBB59_292
.LBB59_297:                             ;   in Loop: Header=BB59_294 Depth=2
	v_dual_add_nc_u32 v4, s41, v4 :: v_dual_add_nc_u32 v3, s86, v3
	s_mov_b32 s45, 0
	s_delay_alu instid0(VALU_DEP_1)
	v_cmp_le_u32_e32 vcc_lo, s34, v4
	s_or_not1_b32 s44, vcc_lo, exec_lo
	s_branch .LBB59_293
.LBB59_298:                             ;   in Loop: Header=BB59_6 Depth=1
	s_or_b32 exec_lo, exec_lo, s29
	v_lshrrev_b32_e32 v38, 16, v6
	s_and_b32 s29, s38, exec_lo
.LBB59_299:                             ;   in Loop: Header=BB59_6 Depth=1
	s_or_b32 exec_lo, exec_lo, s33
.LBB59_300:                             ;   in Loop: Header=BB59_6 Depth=1
	s_delay_alu instid0(SALU_CYCLE_1)
	s_and_b32 vcc_lo, exec_lo, s31
	s_cbranch_vccz .LBB59_311
; %bb.301:                              ;   in Loop: Header=BB59_6 Depth=1
                                        ; implicit-def: $vgpr38
	s_and_saveexec_b32 s22, s13
	s_cbranch_execz .LBB59_310
; %bb.302:                              ;   in Loop: Header=BB59_6 Depth=1
	v_dual_mov_b32 v3, v18 :: v_dual_mov_b32 v4, v0
	s_mov_b32 s25, 0
                                        ; implicit-def: $sgpr30
	s_branch .LBB59_305
.LBB59_303:                             ;   in Loop: Header=BB59_305 Depth=2
	s_or_b32 exec_lo, exec_lo, s31
	s_wait_dscnt 0x0
	s_barrier_signal -1
	s_barrier_wait -1
	ds_load_b32 v6, v17 offset:3072
	s_mov_b32 s31, -1
	s_mov_b32 s33, -1
	s_wait_dscnt 0x0
	s_barrier_signal -1
	s_barrier_wait -1
	v_and_b32_e32 v7, 0xffff, v6
	s_delay_alu instid0(VALU_DEP_1)
	v_cmp_eq_u32_e32 vcc_lo, 0, v7
	s_cbranch_vccnz .LBB59_308
.LBB59_304:                             ;   in Loop: Header=BB59_305 Depth=2
	s_and_b32 s31, exec_lo, s31
	s_delay_alu instid0(SALU_CYCLE_1) | instskip(SKIP_2) | instid1(SALU_CYCLE_1)
	s_or_b32 s25, s31, s25
	s_and_not1_b32 s30, s30, exec_lo
	s_and_b32 s31, s33, exec_lo
	s_or_b32 s30, s30, s31
	s_and_not1_b32 exec_lo, exec_lo, s25
	s_cbranch_execz .LBB59_309
.LBB59_305:                             ;   Parent Loop BB59_6 Depth=1
                                        ; =>  This Inner Loop Header: Depth=2
	s_mov_b32 s31, exec_lo
	s_delay_alu instid0(VALU_DEP_1)
	v_cmpx_gt_u32_e64 s36, v4
	s_cbranch_execz .LBB59_303
; %bb.306:                              ;   in Loop: Header=BB59_305 Depth=2
	v_readfirstlane_b32 s44, v12
	v_readfirstlane_b32 s45, v13
	global_load_u16 v6, v3, s[44:45] scale_offset
	s_wait_loadcnt 0x0
	v_bfe_i32 v7, v6, 0, 16
	s_delay_alu instid0(VALU_DEP_1) | instskip(NEXT) | instid1(VALU_DEP_1)
	v_add_nc_u32_e32 v7, 0x8000, v7
	v_and_b32_e32 v7, v7, v37
	s_delay_alu instid0(VALU_DEP_1)
	v_cmp_eq_u32_e32 vcc_lo, v7, v29
	s_and_b32 exec_lo, exec_lo, vcc_lo
	s_cbranch_execz .LBB59_303
; %bb.307:                              ;   in Loop: Header=BB59_305 Depth=2
	v_perm_b32 v6, v6, 1, 0x5040100
	ds_store_b32 v17, v6 offset:3072
	s_branch .LBB59_303
.LBB59_308:                             ;   in Loop: Header=BB59_305 Depth=2
	v_dual_add_nc_u32 v4, s41, v4 :: v_dual_add_nc_u32 v3, s50, v3
	s_mov_b32 s33, 0
	s_delay_alu instid0(VALU_DEP_1)
	v_cmp_le_u32_e32 vcc_lo, s83, v4
	s_or_not1_b32 s31, vcc_lo, exec_lo
	s_branch .LBB59_304
.LBB59_309:                             ;   in Loop: Header=BB59_6 Depth=1
	s_or_b32 exec_lo, exec_lo, s25
	v_lshrrev_b32_e32 v38, 16, v6
	s_and_not1_b32 s25, s29, exec_lo
	s_and_b32 s29, s30, exec_lo
	s_delay_alu instid0(SALU_CYCLE_1)
	s_or_b32 s29, s25, s29
.LBB59_310:                             ;   in Loop: Header=BB59_6 Depth=1
	s_or_b32 exec_lo, exec_lo, s22
	s_mov_b32 s22, 0
	s_mov_b32 s25, -1
.LBB59_311:                             ;   in Loop: Header=BB59_6 Depth=1
	s_or_not1_b32 s29, s29, exec_lo
.LBB59_312:                             ;   in Loop: Header=BB59_6 Depth=1
	s_or_b32 exec_lo, exec_lo, s27
	s_mov_b32 s30, 0
	s_and_saveexec_b32 s27, s29
	s_cbranch_execz .LBB59_401
; %bb.313:                              ;   in Loop: Header=BB59_6 Depth=1
	v_dual_mov_b32 v3, 1 :: v_dual_mov_b32 v2, 1
	s_xor_b32 s29, s28, -1
	s_mov_b32 s31, 0
	s_and_saveexec_b32 s28, s29
	s_cbranch_execz .LBB59_322
; %bb.314:                              ;   in Loop: Header=BB59_6 Depth=1
	s_mov_b32 s29, exec_lo
	v_cmpx_ge_u32_e64 s21, v5
	s_xor_b32 s29, exec_lo, s29
	s_cbranch_execz .LBB59_319
; %bb.315:                              ;   in Loop: Header=BB59_6 Depth=1
	ds_load_b32 v2, v17 offset:4096
	s_lshl_b32 s30, 2, s87
	v_or_b32_e32 v37, s18, v37
	v_and_or_b32 v29, v29, s19, s30
	s_wait_dscnt 0x0
	v_cmp_ne_u32_e32 vcc_lo, 0, v2
	s_cbranch_vccnz .LBB59_319
; %bb.316:                              ;   in Loop: Header=BB59_6 Depth=1
	s_and_saveexec_b32 s30, s5
; %bb.317:                              ;   in Loop: Header=BB59_6 Depth=1
	v_mov_b32_e32 v2, s21
	ds_store_b32 v17, v2 offset:4100
; %bb.318:                              ;   in Loop: Header=BB59_6 Depth=1
	s_or_b32 exec_lo, exec_lo, s30
	s_wait_dscnt 0x0
	s_barrier_signal -1
	s_barrier_wait -1
.LBB59_319:                             ;   in Loop: Header=BB59_6 Depth=1
	s_or_saveexec_b32 s29, s29
	v_mov_b32_e32 v2, 5
	s_mov_b32 s30, 0
	s_xor_b32 exec_lo, exec_lo, s29
; %bb.320:                              ;   in Loop: Header=BB59_6 Depth=1
	v_subrev_nc_u32_e32 v5, s21, v5
	v_mov_b32_e32 v2, 0
	s_mov_b32 s30, exec_lo
; %bb.321:                              ;   in Loop: Header=BB59_6 Depth=1
	s_or_b32 exec_lo, exec_lo, s29
	s_delay_alu instid0(VALU_DEP_2)
	v_mov_b32_e32 v3, v5
	s_and_b32 s31, s30, exec_lo
.LBB59_322:                             ;   in Loop: Header=BB59_6 Depth=1
	s_or_b32 exec_lo, exec_lo, s28
	s_mov_b32 s30, -1
                                        ; implicit-def: $sgpr28
                                        ; implicit-def: $sgpr29
	s_and_saveexec_b32 s21, s31
	s_cbranch_execz .LBB59_400
; %bb.323:                              ;   in Loop: Header=BB59_6 Depth=1
	v_cmp_eq_u32_e32 vcc_lo, 1, v3
	s_cmp_eq_u32 s20, 1
	s_mov_b32 s33, -1
	s_cselect_b32 s28, -1, 0
                                        ; implicit-def: $sgpr29
	s_delay_alu instid0(SALU_CYCLE_1) | instskip(NEXT) | instid1(SALU_CYCLE_1)
	s_and_b32 s31, s28, vcc_lo
                                        ; implicit-def: $sgpr28
	s_and_saveexec_b32 s30, s31
	s_cbranch_execz .LBB59_349
; %bb.324:                              ;   in Loop: Header=BB59_6 Depth=1
	ds_load_b32 v4, v17 offset:4096
	s_wait_dscnt 0x0
	s_barrier_signal -1
	s_barrier_wait -1
	v_readfirstlane_b32 s34, v4
	s_and_saveexec_b32 s28, s6
; %bb.325:                              ;   in Loop: Header=BB59_6 Depth=1
	ds_store_b16 v23, v17
; %bb.326:                              ;   in Loop: Header=BB59_6 Depth=1
	s_or_b32 exec_lo, exec_lo, s28
	s_lshl_b32 s28, 1, s87
	v_or_b32_e32 v37, s18, v37
	v_and_or_b32 v29, v29, s19, s28
	s_mov_b32 s28, -1
	s_mov_b32 s29, 0
	s_cmp_eq_u32 s34, 0
	s_mov_b32 s33, 0
	s_mov_b32 s38, -1
	s_wait_dscnt 0x0
	s_barrier_signal -1
	s_barrier_wait -1
                                        ; implicit-def: $vgpr38
	s_cbranch_scc1 .LBB59_337
; %bb.327:                              ;   in Loop: Header=BB59_6 Depth=1
	s_add_co_i32 s38, s34, s70
	s_mov_b32 s58, exec_lo
	s_mul_u64 s[44:45], s[38:39], s[54:55]
                                        ; implicit-def: $vgpr38
	s_delay_alu instid0(SALU_CYCLE_1) | instskip(NEXT) | instid1(SALU_CYCLE_1)
	s_mul_i32 s33, s45, s41
	s_sub_co_i32 s33, s38, s33
	s_delay_alu instid0(SALU_CYCLE_1) | instskip(SKIP_2) | instid1(SALU_CYCLE_1)
	s_sub_co_i32 s44, s33, s41
	s_cmp_ge_u32 s33, s41
	s_cselect_b32 s33, s44, s33
	s_sub_co_i32 s44, s33, s41
	s_cmp_ge_u32 s33, s41
	s_cselect_b32 s33, s44, s33
	s_delay_alu instid0(SALU_CYCLE_1)
	s_sub_co_i32 s59, s38, s33
	s_mov_b32 s38, 0
	s_mov_b32 s33, 0
	v_cmpx_gt_u32_e64 s59, v0
	s_cbranch_execz .LBB59_336
; %bb.328:                              ;   in Loop: Header=BB59_6 Depth=1
	v_dual_mov_b32 v4, v22 :: v_dual_mov_b32 v5, v0
                                        ; implicit-def: $sgpr60
	s_branch .LBB59_331
.LBB59_329:                             ;   in Loop: Header=BB59_331 Depth=2
	s_or_b32 exec_lo, exec_lo, s61
	s_wait_dscnt 0x0
	s_barrier_signal -1
	s_barrier_wait -1
	ds_load_b32 v6, v17 offset:3072
	s_mov_b32 s44, -1
	s_mov_b32 s45, -1
	s_wait_dscnt 0x0
	s_barrier_signal -1
	s_barrier_wait -1
	v_and_b32_e32 v7, 0xffff, v6
	s_delay_alu instid0(VALU_DEP_1)
	v_cmp_ne_u32_e32 vcc_lo, 0, v7
	s_cbranch_vccz .LBB59_334
.LBB59_330:                             ;   in Loop: Header=BB59_331 Depth=2
	s_and_b32 s44, exec_lo, s44
	s_delay_alu instid0(SALU_CYCLE_1) | instskip(SKIP_2) | instid1(SALU_CYCLE_1)
	s_or_b32 s33, s44, s33
	s_and_not1_b32 s44, s60, exec_lo
	s_and_b32 s45, s45, exec_lo
	s_or_b32 s60, s44, s45
	s_and_not1_b32 exec_lo, exec_lo, s33
	s_cbranch_execz .LBB59_335
.LBB59_331:                             ;   Parent Loop BB59_6 Depth=1
                                        ; =>  This Inner Loop Header: Depth=2
	s_mov_b32 s61, exec_lo
	s_delay_alu instid0(VALU_DEP_1)
	v_cmpx_gt_u32_e64 s34, v5
	s_cbranch_execz .LBB59_329
; %bb.332:                              ;   in Loop: Header=BB59_331 Depth=2
	ds_load_u16 v6, v4
	s_wait_dscnt 0x0
	v_bfe_i32 v7, v6, 0, 16
	s_delay_alu instid0(VALU_DEP_1) | instskip(NEXT) | instid1(VALU_DEP_1)
	v_add_nc_u32_e32 v7, 0x8000, v7
	v_and_b32_e32 v7, v7, v37
	s_delay_alu instid0(VALU_DEP_1)
	v_cmp_eq_u32_e32 vcc_lo, v7, v29
	s_and_b32 exec_lo, exec_lo, vcc_lo
	s_cbranch_execz .LBB59_329
; %bb.333:                              ;   in Loop: Header=BB59_331 Depth=2
	v_perm_b32 v6, v6, 1, 0x5040100
	ds_store_b32 v17, v6 offset:3072
	s_branch .LBB59_329
.LBB59_334:                             ;   in Loop: Header=BB59_331 Depth=2
	v_dual_add_nc_u32 v5, s41, v5 :: v_dual_add_nc_u32 v4, s86, v4
	s_mov_b32 s45, 0
	s_delay_alu instid0(VALU_DEP_1)
	v_cmp_le_u32_e32 vcc_lo, s59, v5
	s_or_not1_b32 s44, vcc_lo, exec_lo
	s_branch .LBB59_330
.LBB59_335:                             ;   in Loop: Header=BB59_6 Depth=1
	s_or_b32 exec_lo, exec_lo, s33
	v_lshrrev_b32_e32 v38, 16, v6
	s_and_b32 s33, s60, exec_lo
.LBB59_336:                             ;   in Loop: Header=BB59_6 Depth=1
	s_or_b32 exec_lo, exec_lo, s58
.LBB59_337:                             ;   in Loop: Header=BB59_6 Depth=1
	s_delay_alu instid0(SALU_CYCLE_1)
	s_and_b32 vcc_lo, exec_lo, s38
	s_cbranch_vccz .LBB59_348
; %bb.338:                              ;   in Loop: Header=BB59_6 Depth=1
                                        ; implicit-def: $vgpr38
	s_and_saveexec_b32 s28, s13
	s_cbranch_execz .LBB59_347
; %bb.339:                              ;   in Loop: Header=BB59_6 Depth=1
	v_dual_mov_b32 v4, v18 :: v_dual_mov_b32 v5, v0
	s_mov_b32 s29, 0
                                        ; implicit-def: $sgpr34
	s_branch .LBB59_342
.LBB59_340:                             ;   in Loop: Header=BB59_342 Depth=2
	s_or_b32 exec_lo, exec_lo, s38
	s_wait_dscnt 0x0
	s_barrier_signal -1
	s_barrier_wait -1
	ds_load_b32 v6, v17 offset:3072
	s_mov_b32 s38, -1
	s_mov_b32 s44, -1
	s_wait_dscnt 0x0
	s_barrier_signal -1
	s_barrier_wait -1
	v_and_b32_e32 v7, 0xffff, v6
	s_delay_alu instid0(VALU_DEP_1)
	v_cmp_eq_u32_e32 vcc_lo, 0, v7
	s_cbranch_vccnz .LBB59_345
.LBB59_341:                             ;   in Loop: Header=BB59_342 Depth=2
	s_and_b32 s38, exec_lo, s38
	s_delay_alu instid0(SALU_CYCLE_1) | instskip(SKIP_2) | instid1(SALU_CYCLE_1)
	s_or_b32 s29, s38, s29
	s_and_not1_b32 s34, s34, exec_lo
	s_and_b32 s38, s44, exec_lo
	s_or_b32 s34, s34, s38
	s_and_not1_b32 exec_lo, exec_lo, s29
	s_cbranch_execz .LBB59_346
.LBB59_342:                             ;   Parent Loop BB59_6 Depth=1
                                        ; =>  This Inner Loop Header: Depth=2
	s_mov_b32 s38, exec_lo
	s_delay_alu instid0(VALU_DEP_1)
	v_cmpx_gt_u32_e64 s36, v5
	s_cbranch_execz .LBB59_340
; %bb.343:                              ;   in Loop: Header=BB59_342 Depth=2
	v_readfirstlane_b32 s44, v12
	v_readfirstlane_b32 s45, v13
	global_load_u16 v6, v4, s[44:45] scale_offset
	s_wait_loadcnt 0x0
	v_bfe_i32 v7, v6, 0, 16
	s_delay_alu instid0(VALU_DEP_1) | instskip(NEXT) | instid1(VALU_DEP_1)
	v_add_nc_u32_e32 v7, 0x8000, v7
	v_and_b32_e32 v7, v7, v37
	s_delay_alu instid0(VALU_DEP_1)
	v_cmp_eq_u32_e32 vcc_lo, v7, v29
	s_and_b32 exec_lo, exec_lo, vcc_lo
	s_cbranch_execz .LBB59_340
; %bb.344:                              ;   in Loop: Header=BB59_342 Depth=2
	v_perm_b32 v6, v6, 1, 0x5040100
	ds_store_b32 v17, v6 offset:3072
	s_branch .LBB59_340
.LBB59_345:                             ;   in Loop: Header=BB59_342 Depth=2
	v_dual_add_nc_u32 v5, s41, v5 :: v_dual_add_nc_u32 v4, s50, v4
	s_mov_b32 s44, 0
	s_delay_alu instid0(VALU_DEP_1)
	v_cmp_le_u32_e32 vcc_lo, s83, v5
	s_or_not1_b32 s38, vcc_lo, exec_lo
	s_branch .LBB59_341
.LBB59_346:                             ;   in Loop: Header=BB59_6 Depth=1
	s_or_b32 exec_lo, exec_lo, s29
	v_lshrrev_b32_e32 v38, 16, v6
	s_and_not1_b32 s29, s33, exec_lo
	s_and_b32 s33, s34, exec_lo
	s_delay_alu instid0(SALU_CYCLE_1)
	s_or_b32 s33, s29, s33
.LBB59_347:                             ;   in Loop: Header=BB59_6 Depth=1
	s_or_b32 exec_lo, exec_lo, s28
	s_mov_b32 s28, 0
	s_mov_b32 s29, -1
.LBB59_348:                             ;   in Loop: Header=BB59_6 Depth=1
	s_or_not1_b32 s33, s33, exec_lo
.LBB59_349:                             ;   in Loop: Header=BB59_6 Depth=1
	s_or_b32 exec_lo, exec_lo, s30
	s_mov_b32 s34, 0
	s_and_saveexec_b32 s30, s33
	s_cbranch_execz .LBB59_399
; %bb.350:                              ;   in Loop: Header=BB59_6 Depth=1
	v_dual_mov_b32 v4, 1 :: v_dual_mov_b32 v2, 1
	s_xor_b32 s33, s31, -1
	s_mov_b32 s38, 0
	s_and_saveexec_b32 s31, s33
	s_cbranch_execz .LBB59_359
; %bb.351:                              ;   in Loop: Header=BB59_6 Depth=1
	s_mov_b32 s33, exec_lo
	v_cmpx_ge_u32_e64 s20, v3
	s_xor_b32 s33, exec_lo, s33
	s_cbranch_execz .LBB59_356
; %bb.352:                              ;   in Loop: Header=BB59_6 Depth=1
	ds_load_b32 v2, v17 offset:4096
	s_lshl_b32 s34, 1, s87
	v_or_b32_e32 v37, s18, v37
	v_and_or_b32 v29, v29, s19, s34
	s_wait_dscnt 0x0
	v_cmp_ne_u32_e32 vcc_lo, 0, v2
	s_cbranch_vccnz .LBB59_356
; %bb.353:                              ;   in Loop: Header=BB59_6 Depth=1
	s_and_saveexec_b32 s34, s5
; %bb.354:                              ;   in Loop: Header=BB59_6 Depth=1
	v_mov_b32_e32 v2, s20
	ds_store_b32 v17, v2 offset:4100
; %bb.355:                              ;   in Loop: Header=BB59_6 Depth=1
	s_or_b32 exec_lo, exec_lo, s34
	s_wait_dscnt 0x0
	s_barrier_signal -1
	s_barrier_wait -1
.LBB59_356:                             ;   in Loop: Header=BB59_6 Depth=1
	s_or_saveexec_b32 s33, s33
	v_mov_b32_e32 v2, 5
	s_mov_b32 s34, 0
	s_xor_b32 exec_lo, exec_lo, s33
; %bb.357:                              ;   in Loop: Header=BB59_6 Depth=1
	v_subrev_nc_u32_e32 v3, s20, v3
	v_mov_b32_e32 v2, 0
	s_mov_b32 s34, exec_lo
; %bb.358:                              ;   in Loop: Header=BB59_6 Depth=1
	s_or_b32 exec_lo, exec_lo, s33
	s_delay_alu instid0(VALU_DEP_2)
	v_mov_b32_e32 v4, v3
	s_and_b32 s38, s34, exec_lo
.LBB59_359:                             ;   in Loop: Header=BB59_6 Depth=1
	s_or_b32 exec_lo, exec_lo, s31
	s_mov_b32 s31, -1
                                        ; implicit-def: $sgpr34
                                        ; implicit-def: $sgpr33
	s_and_saveexec_b32 s20, s38
	s_cbranch_execz .LBB59_398
; %bb.360:                              ;   in Loop: Header=BB59_6 Depth=1
	v_cmp_eq_u32_e32 vcc_lo, 1, v4
	s_cmp_eq_u32 s17, 1
	s_mov_b32 s59, -1
	s_cselect_b32 s31, -1, 0
                                        ; implicit-def: $sgpr34
                                        ; implicit-def: $sgpr33
	s_delay_alu instid0(SALU_CYCLE_1) | instskip(NEXT) | instid1(SALU_CYCLE_1)
	s_and_b32 s31, s31, vcc_lo
	s_and_saveexec_b32 s58, s31
	s_cbranch_execz .LBB59_386
; %bb.361:                              ;   in Loop: Header=BB59_6 Depth=1
	ds_load_b32 v3, v17 offset:4096
	s_wait_dscnt 0x0
	s_barrier_signal -1
	s_barrier_wait -1
	v_readfirstlane_b32 s59, v3
	s_and_saveexec_b32 s33, s6
; %bb.362:                              ;   in Loop: Header=BB59_6 Depth=1
	ds_store_b16 v23, v17
; %bb.363:                              ;   in Loop: Header=BB59_6 Depth=1
	s_or_b32 exec_lo, exec_lo, s33
	v_and_b32_e32 v29, s19, v29
	v_or_b32_e32 v37, s18, v37
	s_mov_b32 s33, -1
	s_mov_b32 s34, 0
	s_cmp_eq_u32 s59, 0
	s_mov_b32 s38, 0
	s_mov_b32 s60, -1
	s_wait_dscnt 0x0
	s_barrier_signal -1
	s_barrier_wait -1
                                        ; implicit-def: $vgpr38
	s_cbranch_scc1 .LBB59_374
; %bb.364:                              ;   in Loop: Header=BB59_6 Depth=1
	s_add_co_i32 s38, s59, s70
	s_mov_b32 s60, 0
	s_mul_u64 s[44:45], s[38:39], s[54:55]
	s_mov_b32 s61, exec_lo
	s_mul_i32 s44, s45, s41
                                        ; implicit-def: $vgpr38
	s_delay_alu instid0(SALU_CYCLE_1) | instskip(NEXT) | instid1(SALU_CYCLE_1)
	s_sub_co_i32 s44, s38, s44
	s_sub_co_i32 s45, s44, s41
	s_cmp_ge_u32 s44, s41
	s_cselect_b32 s44, s45, s44
	s_delay_alu instid0(SALU_CYCLE_1) | instskip(SKIP_2) | instid1(SALU_CYCLE_1)
	s_sub_co_i32 s45, s44, s41
	s_cmp_ge_u32 s44, s41
	s_cselect_b32 s44, s45, s44
	s_sub_co_i32 s100, s38, s44
	s_mov_b32 s38, 0
	v_cmpx_gt_u32_e64 s100, v0
	s_cbranch_execz .LBB59_373
; %bb.365:                              ;   in Loop: Header=BB59_6 Depth=1
	v_dual_mov_b32 v3, v22 :: v_dual_mov_b32 v5, v0
                                        ; implicit-def: $sgpr101
	s_branch .LBB59_368
.LBB59_366:                             ;   in Loop: Header=BB59_368 Depth=2
	s_or_b32 exec_lo, exec_lo, s102
	s_wait_dscnt 0x0
	s_barrier_signal -1
	s_barrier_wait -1
	ds_load_b32 v6, v17 offset:3072
	s_mov_b32 s44, -1
	s_mov_b32 s45, -1
	s_wait_dscnt 0x0
	s_barrier_signal -1
	s_barrier_wait -1
	v_and_b32_e32 v7, 0xffff, v6
	s_delay_alu instid0(VALU_DEP_1)
	v_cmp_ne_u32_e32 vcc_lo, 0, v7
	s_cbranch_vccz .LBB59_371
.LBB59_367:                             ;   in Loop: Header=BB59_368 Depth=2
	s_and_b32 s44, exec_lo, s44
	s_delay_alu instid0(SALU_CYCLE_1) | instskip(SKIP_2) | instid1(SALU_CYCLE_1)
	s_or_b32 s38, s44, s38
	s_and_not1_b32 s44, s101, exec_lo
	s_and_b32 s45, s45, exec_lo
	s_or_b32 s101, s44, s45
	s_and_not1_b32 exec_lo, exec_lo, s38
	s_cbranch_execz .LBB59_372
.LBB59_368:                             ;   Parent Loop BB59_6 Depth=1
                                        ; =>  This Inner Loop Header: Depth=2
	s_mov_b32 s102, exec_lo
	s_delay_alu instid0(VALU_DEP_1)
	v_cmpx_gt_u32_e64 s59, v5
	s_cbranch_execz .LBB59_366
; %bb.369:                              ;   in Loop: Header=BB59_368 Depth=2
	ds_load_u16 v6, v3
	s_wait_dscnt 0x0
	v_bfe_i32 v7, v6, 0, 16
	s_delay_alu instid0(VALU_DEP_1) | instskip(NEXT) | instid1(VALU_DEP_1)
	v_add_nc_u32_e32 v7, 0x8000, v7
	v_and_b32_e32 v7, v7, v37
	s_delay_alu instid0(VALU_DEP_1)
	v_cmp_eq_u32_e32 vcc_lo, v7, v29
	s_and_b32 exec_lo, exec_lo, vcc_lo
	s_cbranch_execz .LBB59_366
; %bb.370:                              ;   in Loop: Header=BB59_368 Depth=2
	v_perm_b32 v6, v6, 1, 0x5040100
	ds_store_b32 v17, v6 offset:3072
	s_branch .LBB59_366
.LBB59_371:                             ;   in Loop: Header=BB59_368 Depth=2
	v_dual_add_nc_u32 v5, s41, v5 :: v_dual_add_nc_u32 v3, s86, v3
	s_mov_b32 s45, 0
	s_delay_alu instid0(VALU_DEP_1)
	v_cmp_le_u32_e32 vcc_lo, s100, v5
	s_or_not1_b32 s44, vcc_lo, exec_lo
	s_branch .LBB59_367
.LBB59_372:                             ;   in Loop: Header=BB59_6 Depth=1
	s_or_b32 exec_lo, exec_lo, s38
	v_lshrrev_b32_e32 v38, 16, v6
	s_and_b32 s38, s101, exec_lo
.LBB59_373:                             ;   in Loop: Header=BB59_6 Depth=1
	s_or_b32 exec_lo, exec_lo, s61
.LBB59_374:                             ;   in Loop: Header=BB59_6 Depth=1
	s_delay_alu instid0(SALU_CYCLE_1)
	s_and_b32 vcc_lo, exec_lo, s60
	s_cbranch_vccz .LBB59_385
; %bb.375:                              ;   in Loop: Header=BB59_6 Depth=1
                                        ; implicit-def: $vgpr38
	s_and_saveexec_b32 s33, s13
	s_cbranch_execz .LBB59_384
; %bb.376:                              ;   in Loop: Header=BB59_6 Depth=1
	v_dual_mov_b32 v3, v18 :: v_dual_mov_b32 v5, v0
	s_mov_b32 s34, 0
                                        ; implicit-def: $sgpr59
	s_branch .LBB59_379
.LBB59_377:                             ;   in Loop: Header=BB59_379 Depth=2
	s_or_b32 exec_lo, exec_lo, s60
	s_wait_dscnt 0x0
	s_barrier_signal -1
	s_barrier_wait -1
	ds_load_b32 v6, v17 offset:3072
	s_mov_b32 s44, -1
	s_mov_b32 s45, -1
	s_wait_dscnt 0x0
	s_barrier_signal -1
	s_barrier_wait -1
	v_and_b32_e32 v7, 0xffff, v6
	s_delay_alu instid0(VALU_DEP_1)
	v_cmp_eq_u32_e32 vcc_lo, 0, v7
	s_cbranch_vccnz .LBB59_382
.LBB59_378:                             ;   in Loop: Header=BB59_379 Depth=2
	s_and_b32 s44, exec_lo, s44
	s_delay_alu instid0(SALU_CYCLE_1) | instskip(SKIP_2) | instid1(SALU_CYCLE_1)
	s_or_b32 s34, s44, s34
	s_and_not1_b32 s44, s59, exec_lo
	s_and_b32 s45, s45, exec_lo
	s_or_b32 s59, s44, s45
	s_and_not1_b32 exec_lo, exec_lo, s34
	s_cbranch_execz .LBB59_383
.LBB59_379:                             ;   Parent Loop BB59_6 Depth=1
                                        ; =>  This Inner Loop Header: Depth=2
	s_mov_b32 s60, exec_lo
	s_delay_alu instid0(VALU_DEP_1)
	v_cmpx_gt_u32_e64 s36, v5
	s_cbranch_execz .LBB59_377
; %bb.380:                              ;   in Loop: Header=BB59_379 Depth=2
	v_readfirstlane_b32 s44, v12
	v_readfirstlane_b32 s45, v13
	global_load_u16 v6, v3, s[44:45] scale_offset
	s_wait_loadcnt 0x0
	v_bfe_i32 v7, v6, 0, 16
	s_delay_alu instid0(VALU_DEP_1) | instskip(NEXT) | instid1(VALU_DEP_1)
	v_add_nc_u32_e32 v7, 0x8000, v7
	v_and_b32_e32 v7, v7, v37
	s_delay_alu instid0(VALU_DEP_1)
	v_cmp_eq_u32_e32 vcc_lo, v7, v29
	s_and_b32 exec_lo, exec_lo, vcc_lo
	s_cbranch_execz .LBB59_377
; %bb.381:                              ;   in Loop: Header=BB59_379 Depth=2
	v_perm_b32 v6, v6, 1, 0x5040100
	ds_store_b32 v17, v6 offset:3072
	s_branch .LBB59_377
.LBB59_382:                             ;   in Loop: Header=BB59_379 Depth=2
	v_dual_add_nc_u32 v5, s41, v5 :: v_dual_add_nc_u32 v3, s50, v3
	s_mov_b32 s45, 0
	s_delay_alu instid0(VALU_DEP_1)
	v_cmp_le_u32_e32 vcc_lo, s83, v5
	s_or_not1_b32 s44, vcc_lo, exec_lo
	s_branch .LBB59_378
.LBB59_383:                             ;   in Loop: Header=BB59_6 Depth=1
	s_or_b32 exec_lo, exec_lo, s34
	v_lshrrev_b32_e32 v38, 16, v6
	s_and_not1_b32 s34, s38, exec_lo
	s_and_b32 s38, s59, exec_lo
	s_delay_alu instid0(SALU_CYCLE_1)
	s_or_b32 s38, s34, s38
.LBB59_384:                             ;   in Loop: Header=BB59_6 Depth=1
	s_or_b32 exec_lo, exec_lo, s33
	s_mov_b32 s33, 0
	s_mov_b32 s34, -1
.LBB59_385:                             ;   in Loop: Header=BB59_6 Depth=1
	s_or_not1_b32 s59, s38, exec_lo
.LBB59_386:                             ;   in Loop: Header=BB59_6 Depth=1
	s_or_b32 exec_lo, exec_lo, s58
	s_mov_b32 s58, 0
	s_and_saveexec_b32 s38, s59
	s_cbranch_execz .LBB59_397
; %bb.387:                              ;   in Loop: Header=BB59_6 Depth=1
	v_dual_mov_b32 v2, 1 :: v_dual_mov_b32 v3, 1
	s_xor_b32 s44, s31, -1
	s_delay_alu instid0(SALU_CYCLE_1)
	s_and_saveexec_b32 s31, s44
	s_cbranch_execz .LBB59_396
; %bb.388:                              ;   in Loop: Header=BB59_6 Depth=1
	s_mov_b32 s44, exec_lo
	v_cmpx_ge_u32_e64 s17, v4
	s_xor_b32 s58, exec_lo, s44
	s_cbranch_execz .LBB59_393
; %bb.389:                              ;   in Loop: Header=BB59_6 Depth=1
	ds_load_b32 v2, v17 offset:4096
	v_and_b32_e32 v29, s19, v29
	v_or_b32_e32 v37, s18, v37
	s_wait_dscnt 0x0
	v_cmp_ne_u32_e32 vcc_lo, 0, v2
	s_cbranch_vccnz .LBB59_393
; %bb.390:                              ;   in Loop: Header=BB59_6 Depth=1
	s_and_saveexec_b32 s18, s5
; %bb.391:                              ;   in Loop: Header=BB59_6 Depth=1
	v_mov_b32_e32 v2, s17
	ds_store_b32 v17, v2 offset:4100
; %bb.392:                              ;   in Loop: Header=BB59_6 Depth=1
	s_or_b32 exec_lo, exec_lo, s18
	s_wait_dscnt 0x0
	s_barrier_signal -1
	s_barrier_wait -1
.LBB59_393:                             ;   in Loop: Header=BB59_6 Depth=1
	s_and_not1_saveexec_b32 s18, s58
; %bb.394:                              ;   in Loop: Header=BB59_6 Depth=1
	v_subrev_nc_u32_e32 v4, s17, v4
; %bb.395:                              ;   in Loop: Header=BB59_6 Depth=1
	s_or_b32 exec_lo, exec_lo, s18
	s_delay_alu instid0(VALU_DEP_1)
	v_dual_mov_b32 v2, 5 :: v_dual_mov_b32 v3, v4
.LBB59_396:                             ;   in Loop: Header=BB59_6 Depth=1
	s_or_b32 exec_lo, exec_lo, s31
	s_delay_alu instid0(VALU_DEP_1)
	v_mov_b32_e32 v4, v3
	s_mov_b32 s58, exec_lo
.LBB59_397:                             ;   in Loop: Header=BB59_6 Depth=1
	s_or_b32 exec_lo, exec_lo, s38
	s_delay_alu instid0(SALU_CYCLE_1)
	s_or_not1_b32 s31, s58, exec_lo
.LBB59_398:                             ;   in Loop: Header=BB59_6 Depth=1
	s_or_b32 exec_lo, exec_lo, s20
	v_mov_b32_e32 v3, v4
	s_and_not1_b32 s17, s29, exec_lo
	s_and_b32 s18, s34, exec_lo
	s_and_not1_b32 s19, s28, exec_lo
	s_and_b32 s20, s33, exec_lo
	s_or_b32 s29, s17, s18
	s_or_b32 s28, s19, s20
	s_and_b32 s34, s31, exec_lo
.LBB59_399:                             ;   in Loop: Header=BB59_6 Depth=1
	s_or_b32 exec_lo, exec_lo, s30
	s_delay_alu instid0(SALU_CYCLE_1)
	s_or_not1_b32 s30, s34, exec_lo
.LBB59_400:                             ;   in Loop: Header=BB59_6 Depth=1
	s_or_b32 exec_lo, exec_lo, s21
	v_mov_b32_e32 v5, v3
	s_and_not1_b32 s17, s25, exec_lo
	s_and_b32 s18, s29, exec_lo
	s_and_not1_b32 s19, s22, exec_lo
	s_and_b32 s20, s28, exec_lo
	s_or_b32 s25, s17, s18
	s_or_b32 s22, s19, s20
	s_and_b32 s30, s30, exec_lo
.LBB59_401:                             ;   in Loop: Header=BB59_6 Depth=1
	s_or_b32 exec_lo, exec_lo, s27
	s_delay_alu instid0(SALU_CYCLE_1)
	s_or_not1_b32 s27, s30, exec_lo
.LBB59_402:                             ;   in Loop: Header=BB59_6 Depth=1
	s_or_b32 exec_lo, exec_lo, s14
	s_mov_b32 s14, s23
	s_mov_b32 s17, s15
	s_and_saveexec_b32 s18, s27
; %bb.403:                              ;   in Loop: Header=BB59_6 Depth=1
	v_cmp_ne_u32_e32 vcc_lo, 5, v2
	v_cmp_eq_u32_e64 s14, 5, v2
	s_and_not1_b32 s17, s15, exec_lo
	s_and_not1_b32 s19, s23, exec_lo
	s_and_b32 s20, vcc_lo, exec_lo
	s_and_b32 s14, s14, exec_lo
	s_or_b32 s17, s17, s20
	s_or_b32 s14, s19, s14
; %bb.404:                              ;   in Loop: Header=BB59_6 Depth=1
	s_or_b32 exec_lo, exec_lo, s18
	s_delay_alu instid0(SALU_CYCLE_1)
	s_and_not1_b32 s18, s26, exec_lo
	s_and_b32 s19, s25, exec_lo
	s_and_not1_b32 s16, s16, exec_lo
	s_and_b32 s20, s22, exec_lo
	s_or_b32 s26, s18, s19
	s_and_not1_b32 s15, s15, exec_lo
	s_and_b32 s17, s17, exec_lo
	s_and_not1_b32 s18, s23, exec_lo
	s_and_b32 s14, s14, exec_lo
	s_or_b32 s16, s16, s20
	s_or_b32 s15, s15, s17
	;; [unrolled: 1-line block ×3, first 2 shown]
.LBB59_405:                             ;   in Loop: Header=BB59_6 Depth=1
	s_or_b32 exec_lo, exec_lo, s24
	s_mov_b32 s24, 0
	s_mov_b32 s25, 0
	s_and_saveexec_b32 s14, s23
.LBB59_406:                             ;   in Loop: Header=BB59_6 Depth=1
	v_mov_b32_e32 v2, 0
	s_or_b32 s15, s15, exec_lo
.LBB59_407:                             ;   in Loop: Header=BB59_6 Depth=1
	s_or_b32 exec_lo, exec_lo, s14
	s_delay_alu instid0(SALU_CYCLE_1)
	s_and_not1_b32 s14, s97, exec_lo
	s_and_b32 s18, s26, exec_lo
	s_and_not1_b32 s19, s95, exec_lo
	s_and_b32 s16, s16, exec_lo
	v_mov_b32_e32 v39, v5
	s_or_b32 s97, s14, s18
	s_or_b32 s95, s19, s16
	s_and_not1_b32 s14, s99, exec_lo
	s_and_b32 s16, s25, exec_lo
	s_and_not1_b32 s18, s98, exec_lo
	s_and_b32 s19, s24, exec_lo
	s_mov_b32 s17, -1
	s_and_not1_b32 s96, s96, exec_lo
	s_or_b32 s99, s14, s16
	s_or_b32 s98, s18, s19
	s_and_saveexec_b32 s14, s15
	s_delay_alu instid0(SALU_CYCLE_1)
	s_xor_b32 s14, exec_lo, s14
	s_cbranch_execz .LBB59_5
; %bb.408:                              ;   in Loop: Header=BB59_6 Depth=1
	s_mov_b32 s15, -1
	s_mov_b32 s16, -1
	s_mov_b32 s17, exec_lo
	v_cmpx_eq_u32_e32 0, v2
	s_cbranch_execz .LBB59_4
; %bb.409:                              ;   in Loop: Header=BB59_6 Depth=1
	s_xor_b32 s90, s90, 1
	s_add_co_i32 s18, s87, -2
	s_cmp_eq_u32 s87, 0
	s_mov_b32 s87, s18
	s_cselect_b32 s15, -1, 0
	s_xor_b32 s16, exec_lo, -1
	s_or_not1_b32 s15, s15, exec_lo
	s_branch .LBB59_4
.LBB59_410:
	s_or_b32 exec_lo, exec_lo, s88
	s_xor_b32 s7, s94, -1
	s_xor_b32 s9, s92, -1
	;; [unrolled: 1-line block ×5, first 2 shown]
	s_mov_b32 s8, 0
	s_and_saveexec_b32 s12, s11
	s_delay_alu instid0(SALU_CYCLE_1)
	s_xor_b32 s12, exec_lo, s12
	s_cbranch_execnz .LBB59_415
; %bb.411:
	s_and_not1_saveexec_b32 s0, s12
	s_cbranch_execnz .LBB59_434
.LBB59_412:
	s_or_b32 exec_lo, exec_lo, s0
	s_and_saveexec_b32 s0, s8
.LBB59_413:
	; divergent unreachable
.LBB59_414:
	s_sendmsg sendmsg(MSG_DEALLOC_VGPRS)
	s_endpgm
.LBB59_415:
	s_and_saveexec_b32 s11, s10
	s_delay_alu instid0(SALU_CYCLE_1)
	s_xor_b32 s13, exec_lo, s11
	s_cbranch_execz .LBB59_432
; %bb.416:
	s_and_saveexec_b32 s10, s9
	s_delay_alu instid0(SALU_CYCLE_1)
	s_xor_b32 s14, exec_lo, s10
	s_cbranch_execz .LBB59_430
; %bb.417:
	;; [unrolled: 5-line block ×3, first 2 shown]
	s_and_saveexec_b32 s7, s6
	s_delay_alu instid0(SALU_CYCLE_1)
	s_xor_b32 s6, exec_lo, s7
; %bb.419:
	v_xor_b32_e32 v38, 0xffff8000, v29
; %bb.420:
	s_or_b32 exec_lo, exec_lo, s6
	s_and_saveexec_b32 s6, s5
; %bb.421:
	v_mov_b32_e32 v1, 0
	ds_store_b32 v1, v1 offset:4108
; %bb.422:
	s_or_b32 exec_lo, exec_lo, s6
	v_mov_b32_e32 v1, 0
	s_wait_dscnt 0x0
	s_barrier_signal -1
	s_barrier_wait -1
	s_and_saveexec_b32 s5, s3
	s_cbranch_execz .LBB59_424
; %bb.423:
	global_load_u16 v1, v[14:15], off
.LBB59_424:
	s_wait_xcnt 0x0
	s_or_b32 exec_lo, exec_lo, s5
	s_load_b64 s[10:11], s[0:1], 0x15c
	s_mul_i32 s6, s51, s64
	s_add_co_i32 s5, s36, 31
	s_sub_co_i32 s6, s40, s6
	s_and_not1_b32 s5, s5, 31
	s_add_co_i32 s7, s51, 1
	s_sub_co_i32 s8, s6, s64
	s_cmp_ge_u32 s6, s64
	s_clause 0x1
	s_load_b32 s16, s[0:1], 0x1c8
	s_load_b32 s17, s[0:1], 0x2a8
	s_cselect_b32 s7, s7, s51
	s_cselect_b32 s6, s8, s6
	s_add_co_i32 s8, s7, 1
	s_cmp_ge_u32 s6, s64
	s_mul_i32 s6, s35, s63
	s_cselect_b32 s7, s8, s7
	s_sub_co_i32 s6, s40, s6
	s_mul_i32 s8, s7, s64
	s_add_co_i32 s9, s35, 1
	s_sub_co_i32 s8, s40, s8
	v_cmp_gt_u32_e32 vcc_lo, s5, v0
	s_wait_kmcnt 0x0
	s_mul_i32 s7, s7, s10
	s_mul_i32 s8, s8, s11
	s_sub_co_i32 s11, s6, s63
	s_add_co_i32 s10, s7, s8
	s_cmp_ge_u32 s6, s63
	s_cselect_b32 s7, s9, s35
	s_cselect_b32 s6, s11, s6
	s_add_co_i32 s0, s7, 1
	s_cmp_ge_u32 s6, s63
	s_mov_b32 s11, 0
	s_cselect_b32 s0, s0, s7
	s_mov_b32 s1, s11
	s_mul_i32 s6, s0, s63
	s_mul_i32 s0, s0, s42
	s_sub_co_i32 s6, s40, s6
	s_delay_alu instid0(SALU_CYCLE_1) | instskip(NEXT) | instid1(SALU_CYCLE_1)
	s_mul_i32 s6, s6, s43
	s_add_co_i32 s0, s0, s6
	s_lshl_b64 s[6:7], s[10:11], 1
	s_lshl_b64 s[0:1], s[0:1], 3
	s_add_nc_u64 s[6:7], s[48:49], s[6:7]
	s_add_nc_u64 s[8:9], s[46:47], s[0:1]
	s_mov_b32 s0, -1
	s_mov_b32 s1, 0
	s_and_saveexec_b32 s10, vcc_lo
	s_cbranch_execnz .LBB59_435
; %bb.425:
	s_or_b32 exec_lo, exec_lo, s10
	s_and_saveexec_b32 s4, s0
	s_cbranch_execnz .LBB59_450
.LBB59_426:
	s_or_b32 exec_lo, exec_lo, s4
	s_and_saveexec_b32 s0, s1
	s_delay_alu instid0(SALU_CYCLE_1)
	s_xor_b32 s0, exec_lo, s0
	s_cbranch_execnz .LBB59_473
.LBB59_427:
	s_or_b32 exec_lo, exec_lo, s0
	s_delay_alu instid0(SALU_CYCLE_1)
	s_and_b32 s8, s11, exec_lo
.LBB59_428:
	s_and_not1_saveexec_b32 s0, s15
	s_cbranch_execnz .LBB59_475
.LBB59_429:
	s_or_b32 exec_lo, exec_lo, s0
	s_delay_alu instid0(SALU_CYCLE_1)
	s_and_b32 s8, s8, exec_lo
.LBB59_430:
	s_and_not1_saveexec_b32 s0, s14
	s_cbranch_execnz .LBB59_474
.LBB59_431:
	s_or_b32 exec_lo, exec_lo, s0
	s_delay_alu instid0(SALU_CYCLE_1)
	s_and_b32 s8, s8, exec_lo
.LBB59_432:
	s_and_not1_saveexec_b32 s0, s13
	s_cbranch_execnz .LBB59_469
.LBB59_433:
	s_or_b32 exec_lo, exec_lo, s0
	s_delay_alu instid0(SALU_CYCLE_1)
	s_and_b32 s8, s8, exec_lo
	s_and_not1_saveexec_b32 s0, s12
	s_cbranch_execz .LBB59_412
.LBB59_434:
	s_or_b32 s8, s8, exec_lo
	s_trap 2
	s_or_b32 exec_lo, exec_lo, s0
	s_and_saveexec_b32 s0, s8
	s_cbranch_execnz .LBB59_413
	s_branch .LBB59_414
.LBB59_435:
	v_add_nc_u32_e32 v2, s41, v0
	v_bfe_i32 v3, v38, 0, 16
	s_mov_b32 s18, 0
                                        ; implicit-def: $sgpr19
                                        ; implicit-def: $vgpr7
	s_delay_alu instid0(VALU_DEP_1)
	v_add_nc_u32_e32 v5, 0x8000, v3
	v_mov_b32_e32 v3, 0
	v_mul_lo_u32 v4, s62, v2
	v_mov_b32_e32 v2, v0
	s_branch .LBB59_437
.LBB59_436:                             ;   in Loop: Header=BB59_437 Depth=1
	s_or_b32 exec_lo, exec_lo, s21
	s_xor_b32 s0, s20, -1
	s_and_b32 s1, exec_lo, s1
	v_dual_mov_b32 v1, v8 :: v_dual_mov_b32 v2, v6
	s_or_b32 s18, s1, s18
	s_and_not1_b32 s1, s19, exec_lo
	s_and_b32 s0, s0, exec_lo
	s_delay_alu instid0(SALU_CYCLE_1)
	s_or_b32 s19, s1, s0
	s_and_not1_b32 exec_lo, exec_lo, s18
	s_cbranch_execz .LBB59_449
.LBB59_437:                             ; =>This Inner Loop Header: Depth=1
	s_delay_alu instid0(VALU_DEP_1) | instskip(SKIP_1) | instid1(VALU_DEP_1)
	v_dual_add_nc_u32 v6, s41, v2 :: v_dual_mov_b32 v8, 0
	s_mov_b32 s1, exec_lo
	v_cmpx_gt_u32_e64 s36, v6
	s_cbranch_execz .LBB59_439
; %bb.438:                              ;   in Loop: Header=BB59_437 Depth=1
	v_readfirstlane_b32 s20, v12
	v_readfirstlane_b32 s21, v13
	global_load_u16 v8, v4, s[20:21] scale_offset
.LBB59_439:                             ;   in Loop: Header=BB59_437 Depth=1
	s_wait_xcnt 0x0
	s_or_b32 exec_lo, exec_lo, s1
	s_wait_loadcnt 0x0
	v_bfe_i32 v9, v1, 0, 16
	s_delay_alu instid0(VALU_DEP_1) | instskip(NEXT) | instid1(VALU_DEP_1)
	v_add_nc_u32_e32 v9, 0x8000, v9
	v_cmp_gt_u32_e64 s0, v9, v5
	s_delay_alu instid0(VALU_DEP_1) | instskip(SKIP_1) | instid1(VALU_DEP_1)
	v_cndmask_b32_e64 v11, 0, 1, s0
	v_cmp_lt_u32_e64 s0, v9, v5
	v_cndmask_b32_e64 v9, 0, 1, s0
	v_cmp_gt_u32_e64 s0, s36, v2
	s_delay_alu instid0(VALU_DEP_2) | instskip(NEXT) | instid1(VALU_DEP_1)
	v_cndmask_b32_e64 v9, v9, v11, s4
	v_and_b32_e32 v9, 1, v9
	s_delay_alu instid0(VALU_DEP_1) | instskip(SKIP_1) | instid1(SALU_CYCLE_1)
	v_cmp_eq_u32_e64 s1, 1, v9
	s_and_b32 s20, s0, s1
	v_cndmask_b32_e64 v9, 0, 1, s20
	s_delay_alu instid0(VALU_DEP_1) | instskip(SKIP_2) | instid1(SALU_CYCLE_1)
	v_cmp_ne_u32_e64 s0, 0, v9
	s_cmp_lg_u32 s0, 0
	s_cselect_b32 s1, -1, 0
	s_and_b32 s1, s2, s1
	s_delay_alu instid0(SALU_CYCLE_1)
	s_and_saveexec_b32 s21, s1
	s_cbranch_execz .LBB59_443
; %bb.440:                              ;   in Loop: Header=BB59_437 Depth=1
	s_mov_b32 s24, exec_lo
	s_bcnt1_i32_b32 s22, s0
	s_wait_dscnt 0x0
	v_mbcnt_lo_u32_b32 v7, s24, 0
	s_mov_b32 s23, exec_lo
                                        ; implicit-def: $vgpr9
	s_delay_alu instid0(VALU_DEP_1)
	v_cmpx_eq_u32_e32 0, v7
; %bb.441:                              ;   in Loop: Header=BB59_437 Depth=1
	s_bcnt1_i32_b32 s1, s24
	s_delay_alu instid0(SALU_CYCLE_1) | instskip(NEXT) | instid1(SALU_CYCLE_1)
	s_mul_i32 s1, s22, s1
	v_mov_b32_e32 v9, s1
	ds_add_rtn_u32 v9, v3, v9 offset:4108
; %bb.442:                              ;   in Loop: Header=BB59_437 Depth=1
	s_or_b32 exec_lo, exec_lo, s23
	s_wait_dscnt 0x0
	v_readfirstlane_b32 s1, v9
	s_delay_alu instid0(VALU_DEP_1)
	v_mad_u32_u24 v7, s22, v7, s1
.LBB59_443:                             ;   in Loop: Header=BB59_437 Depth=1
	s_or_b32 exec_lo, exec_lo, s21
	s_wait_dscnt 0x0
	ds_bpermute_b32 v7, v3, v7
	s_mov_b32 s1, -1
	s_mov_b32 s22, -1
	s_and_saveexec_b32 s21, s20
	s_cbranch_execz .LBB59_447
; %bb.444:                              ;   in Loop: Header=BB59_437 Depth=1
	v_and_b32_e32 v9, s0, v10
	s_mov_b32 s20, 0
	s_mov_b32 s22, exec_lo
	s_wait_dscnt 0x0
	s_delay_alu instid0(VALU_DEP_1) | instskip(NEXT) | instid1(VALU_DEP_1)
	v_bcnt_u32_b32 v9, v9, v7
	v_cmpx_gt_u32_e64 s37, v9
; %bb.445:                              ;   in Loop: Header=BB59_437 Depth=1
	v_mul_lo_u32 v11, v9, s16
	v_mul_lo_u32 v9, v9, s17
	s_mov_b32 s20, exec_lo
	global_store_b16 v11, v1, s[6:7] scale_offset
	global_store_b64 v9, v[2:3], s[8:9] scale_offset
; %bb.446:                              ;   in Loop: Header=BB59_437 Depth=1
	s_wait_xcnt 0x0
	s_or_b32 exec_lo, exec_lo, s22
	s_delay_alu instid0(SALU_CYCLE_1)
	s_or_not1_b32 s22, s20, exec_lo
.LBB59_447:                             ;   in Loop: Header=BB59_437 Depth=1
	s_or_b32 exec_lo, exec_lo, s21
	s_mov_b32 s20, -1
	s_and_saveexec_b32 s21, s22
	s_cbranch_execz .LBB59_436
; %bb.448:                              ;   in Loop: Header=BB59_437 Depth=1
	v_cmp_le_u32_e64 s0, s5, v6
	v_add_nc_u32_e32 v4, s50, v4
	s_xor_b32 s20, exec_lo, -1
	s_or_not1_b32 s1, s0, exec_lo
	s_branch .LBB59_436
.LBB59_449:
	s_or_b32 exec_lo, exec_lo, s18
	s_delay_alu instid0(SALU_CYCLE_1)
	s_mov_b32 s1, exec_lo
	s_or_not1_b32 s0, s19, exec_lo
	s_or_b32 exec_lo, exec_lo, s10
	s_and_saveexec_b32 s4, s0
	s_cbranch_execz .LBB59_426
.LBB59_450:
	v_mov_b32_e32 v6, 0
	s_wait_storecnt 0x0
	s_wait_loadcnt_dscnt 0x0
	s_barrier_signal -1
	s_barrier_wait -1
	s_and_saveexec_b32 s0, s3
	s_cbranch_execz .LBB59_452
; %bb.451:
	global_load_u16 v6, v[14:15], off
.LBB59_452:
	s_wait_xcnt 0x0
	s_or_b32 exec_lo, exec_lo, s0
	s_mov_b32 s0, 0
	s_and_saveexec_b32 s3, vcc_lo
	s_cbranch_execz .LBB59_472
; %bb.453:
	v_add_nc_u32_e32 v1, s41, v0
	s_mov_b32 s10, 0
                                        ; implicit-def: $sgpr11
                                        ; implicit-def: $vgpr5
	s_delay_alu instid0(VALU_DEP_1)
	v_mul_lo_u32 v2, s62, v1
	v_mov_b32_e32 v1, 0
	s_branch .LBB59_456
.LBB59_454:                             ;   in Loop: Header=BB59_456 Depth=1
	s_or_b32 exec_lo, exec_lo, s20
	s_delay_alu instid0(SALU_CYCLE_1)
	s_or_not1_b32 s20, s18, exec_lo
	s_or_not1_b32 s19, s19, exec_lo
.LBB59_455:                             ;   in Loop: Header=BB59_456 Depth=1
	s_or_b32 exec_lo, exec_lo, s0
	s_xor_b32 s0, s20, -1
	s_and_b32 s18, exec_lo, s19
	v_dual_mov_b32 v0, v3 :: v_dual_mov_b32 v6, v4
	s_or_b32 s10, s18, s10
	s_and_not1_b32 s11, s11, exec_lo
	s_and_b32 s0, s0, exec_lo
	s_delay_alu instid0(SALU_CYCLE_1)
	s_or_b32 s11, s11, s0
	s_and_not1_b32 exec_lo, exec_lo, s10
	s_cbranch_execz .LBB59_470
.LBB59_456:                             ; =>This Inner Loop Header: Depth=1
	v_dual_mov_b32 v4, 0 :: v_dual_add_nc_u32 v3, s41, v0
	s_mov_b32 s0, exec_lo
	s_delay_alu instid0(VALU_DEP_1)
	v_cmpx_gt_u32_e64 s36, v3
	s_cbranch_execz .LBB59_458
; %bb.457:                              ;   in Loop: Header=BB59_456 Depth=1
	v_readfirstlane_b32 s18, v12
	v_readfirstlane_b32 s19, v13
	global_load_u16 v4, v2, s[18:19] scale_offset
.LBB59_458:                             ;   in Loop: Header=BB59_456 Depth=1
	s_wait_xcnt 0x0
	s_or_b32 exec_lo, exec_lo, s0
	v_cmp_gt_u32_e32 vcc_lo, s36, v0
	s_wait_loadcnt 0x0
	v_cmp_eq_u16_e64 s0, v6, v38
	s_and_b32 s18, vcc_lo, s0
	s_delay_alu instid0(SALU_CYCLE_1) | instskip(NEXT) | instid1(VALU_DEP_1)
	v_cndmask_b32_e64 v6, 0, 1, s18
	v_cmp_ne_u32_e32 vcc_lo, 0, v6
	s_cmp_lg_u32 vcc_lo, 0
	s_cselect_b32 s0, -1, 0
	s_delay_alu instid0(SALU_CYCLE_1) | instskip(NEXT) | instid1(SALU_CYCLE_1)
	s_and_b32 s0, s2, s0
	s_and_saveexec_b32 s19, s0
	s_cbranch_execz .LBB59_462
; %bb.459:                              ;   in Loop: Header=BB59_456 Depth=1
	s_mov_b32 s22, exec_lo
	s_bcnt1_i32_b32 s20, vcc_lo
	v_mbcnt_lo_u32_b32 v5, s22, 0
	s_mov_b32 s21, exec_lo
                                        ; implicit-def: $vgpr6
	s_delay_alu instid0(VALU_DEP_1)
	v_cmpx_eq_u32_e32 0, v5
; %bb.460:                              ;   in Loop: Header=BB59_456 Depth=1
	s_bcnt1_i32_b32 s0, s22
	s_delay_alu instid0(SALU_CYCLE_1) | instskip(NEXT) | instid1(SALU_CYCLE_1)
	s_mul_i32 s0, s20, s0
	v_mov_b32_e32 v6, s0
	ds_add_rtn_u32 v6, v1, v6 offset:4108
; %bb.461:                              ;   in Loop: Header=BB59_456 Depth=1
	s_or_b32 exec_lo, exec_lo, s21
	s_wait_dscnt 0x0
	v_readfirstlane_b32 s0, v6
	s_delay_alu instid0(VALU_DEP_1)
	v_mad_u32_u24 v5, s20, v5, s0
.LBB59_462:                             ;   in Loop: Header=BB59_456 Depth=1
	s_or_b32 exec_lo, exec_lo, s19
	ds_bpermute_b32 v5, v1, v5
	s_cmp_eq_u32 vcc_lo, 0
	s_mov_b32 s19, -1
	s_cselect_b32 s20, -1, 0
	s_wait_dscnt 0x0
	v_cmp_gt_u32_e64 s0, s37, v5
	s_or_b32 s21, s20, s0
	s_mov_b32 s20, -1
	s_and_saveexec_b32 s0, s21
	s_cbranch_execz .LBB59_455
; %bb.463:                              ;   in Loop: Header=BB59_456 Depth=1
	v_dual_sub_nc_u32 v7, s37, v5 :: v_dual_bitop2_b32 v6, vcc_lo, v10 bitop3:0x40
	s_mov_b32 s21, -1
	s_delay_alu instid0(VALU_DEP_1) | instskip(NEXT) | instid1(VALU_DEP_1)
	v_bcnt_u32_b32 v6, v6, 0
	v_bcnt_u32_b32 v6, 0, v6
	s_delay_alu instid0(VALU_DEP_1)
	v_cmp_gt_u32_e32 vcc_lo, v7, v6
	s_and_b32 s22, s18, vcc_lo
	s_mov_b32 s18, -1
	s_and_saveexec_b32 s20, s22
	s_cbranch_execz .LBB59_467
; %bb.464:                              ;   in Loop: Header=BB59_456 Depth=1
	v_add_nc_u32_e32 v6, v5, v6
	s_mov_b32 s21, 0
	s_mov_b32 s18, exec_lo
	s_delay_alu instid0(VALU_DEP_1)
	v_cmpx_gt_u32_e64 s37, v6
; %bb.465:                              ;   in Loop: Header=BB59_456 Depth=1
	v_mul_lo_u32 v7, v6, s16
	v_mul_lo_u32 v6, v6, s17
	s_mov_b32 s21, exec_lo
	global_store_b16 v7, v38, s[6:7] scale_offset
	global_store_b64 v6, v[0:1], s[8:9] scale_offset
; %bb.466:                              ;   in Loop: Header=BB59_456 Depth=1
	s_wait_xcnt 0x0
	s_or_b32 exec_lo, exec_lo, s18
	s_delay_alu instid0(SALU_CYCLE_1)
	s_xor_b32 s18, exec_lo, -1
	s_or_not1_b32 s21, s21, exec_lo
.LBB59_467:                             ;   in Loop: Header=BB59_456 Depth=1
	s_or_b32 exec_lo, exec_lo, s20
	s_and_saveexec_b32 s20, s21
	s_cbranch_execz .LBB59_454
; %bb.468:                              ;   in Loop: Header=BB59_456 Depth=1
	v_cmp_le_u32_e32 vcc_lo, s5, v3
	v_add_nc_u32_e32 v2, s50, v2
	s_or_b32 s18, s18, exec_lo
	s_or_not1_b32 s19, vcc_lo, exec_lo
	s_branch .LBB59_454
.LBB59_469:
	s_or_b32 s8, s8, exec_lo
	s_trap 2
	s_branch .LBB59_433
.LBB59_470:
	s_or_b32 exec_lo, exec_lo, s10
	s_mov_b32 s0, 0
	s_and_saveexec_b32 s2, s11
	s_delay_alu instid0(SALU_CYCLE_1)
	s_xor_b32 s2, exec_lo, s2
	s_cbranch_execnz .LBB59_476
.LBB59_471:
	s_or_b32 exec_lo, exec_lo, s2
	s_delay_alu instid0(SALU_CYCLE_1)
	s_and_b32 s0, s0, exec_lo
.LBB59_472:
	s_or_b32 exec_lo, exec_lo, s3
	s_delay_alu instid0(SALU_CYCLE_1) | instskip(SKIP_3) | instid1(SALU_CYCLE_1)
	s_and_b32 s11, s0, exec_lo
	s_and_not1_b32 s1, s1, exec_lo
	s_or_b32 exec_lo, exec_lo, s4
	s_and_saveexec_b32 s0, s1
	s_xor_b32 s0, exec_lo, s0
	s_cbranch_execz .LBB59_427
.LBB59_473:
	s_or_b32 s11, s11, exec_lo
	s_trap 2
	s_branch .LBB59_427
.LBB59_474:
	s_or_b32 s8, s8, exec_lo
	s_trap 2
	s_branch .LBB59_431
.LBB59_475:
	s_or_b32 s8, s8, exec_lo
	s_trap 2
	s_branch .LBB59_429
.LBB59_476:
	s_mov_b32 s0, exec_lo
	s_trap 2
	s_branch .LBB59_471
	.section	.rodata,"a",@progbits
	.p2align	6, 0x0
	.amdhsa_kernel _ZN2at6native6sbtopk10gatherTopKIsjLi2ELb0EEEvNS_4cuda6detail10TensorInfoIKT_T0_EES8_S8_bS8_S8_NS5_IS6_S8_EES8_NS5_IlS8_EES8_PS6_
		.amdhsa_group_segment_fixed_size 4112
		.amdhsa_private_segment_fixed_size 0
		.amdhsa_kernarg_size 952
		.amdhsa_user_sgpr_count 2
		.amdhsa_user_sgpr_dispatch_ptr 0
		.amdhsa_user_sgpr_queue_ptr 0
		.amdhsa_user_sgpr_kernarg_segment_ptr 1
		.amdhsa_user_sgpr_dispatch_id 0
		.amdhsa_user_sgpr_kernarg_preload_length 0
		.amdhsa_user_sgpr_kernarg_preload_offset 0
		.amdhsa_user_sgpr_private_segment_size 0
		.amdhsa_wavefront_size32 1
		.amdhsa_uses_dynamic_stack 0
		.amdhsa_enable_private_segment 0
		.amdhsa_system_sgpr_workgroup_id_x 1
		.amdhsa_system_sgpr_workgroup_id_y 1
		.amdhsa_system_sgpr_workgroup_id_z 1
		.amdhsa_system_sgpr_workgroup_info 0
		.amdhsa_system_vgpr_workitem_id 0
		.amdhsa_next_free_vgpr 71
		.amdhsa_next_free_sgpr 105
		.amdhsa_named_barrier_count 0
		.amdhsa_reserve_vcc 1
		.amdhsa_float_round_mode_32 0
		.amdhsa_float_round_mode_16_64 0
		.amdhsa_float_denorm_mode_32 3
		.amdhsa_float_denorm_mode_16_64 3
		.amdhsa_fp16_overflow 0
		.amdhsa_memory_ordered 1
		.amdhsa_forward_progress 1
		.amdhsa_inst_pref_size 133
		.amdhsa_round_robin_scheduling 0
		.amdhsa_exception_fp_ieee_invalid_op 0
		.amdhsa_exception_fp_denorm_src 0
		.amdhsa_exception_fp_ieee_div_zero 0
		.amdhsa_exception_fp_ieee_overflow 0
		.amdhsa_exception_fp_ieee_underflow 0
		.amdhsa_exception_fp_ieee_inexact 0
		.amdhsa_exception_int_div_zero 0
	.end_amdhsa_kernel
	.section	.text._ZN2at6native6sbtopk10gatherTopKIsjLi2ELb0EEEvNS_4cuda6detail10TensorInfoIKT_T0_EES8_S8_bS8_S8_NS5_IS6_S8_EES8_NS5_IlS8_EES8_PS6_,"axG",@progbits,_ZN2at6native6sbtopk10gatherTopKIsjLi2ELb0EEEvNS_4cuda6detail10TensorInfoIKT_T0_EES8_S8_bS8_S8_NS5_IS6_S8_EES8_NS5_IlS8_EES8_PS6_,comdat
.Lfunc_end59:
	.size	_ZN2at6native6sbtopk10gatherTopKIsjLi2ELb0EEEvNS_4cuda6detail10TensorInfoIKT_T0_EES8_S8_bS8_S8_NS5_IS6_S8_EES8_NS5_IlS8_EES8_PS6_, .Lfunc_end59-_ZN2at6native6sbtopk10gatherTopKIsjLi2ELb0EEEvNS_4cuda6detail10TensorInfoIKT_T0_EES8_S8_bS8_S8_NS5_IS6_S8_EES8_NS5_IlS8_EES8_PS6_
                                        ; -- End function
	.set _ZN2at6native6sbtopk10gatherTopKIsjLi2ELb0EEEvNS_4cuda6detail10TensorInfoIKT_T0_EES8_S8_bS8_S8_NS5_IS6_S8_EES8_NS5_IlS8_EES8_PS6_.num_vgpr, 71
	.set _ZN2at6native6sbtopk10gatherTopKIsjLi2ELb0EEEvNS_4cuda6detail10TensorInfoIKT_T0_EES8_S8_bS8_S8_NS5_IS6_S8_EES8_NS5_IlS8_EES8_PS6_.num_agpr, 0
	.set _ZN2at6native6sbtopk10gatherTopKIsjLi2ELb0EEEvNS_4cuda6detail10TensorInfoIKT_T0_EES8_S8_bS8_S8_NS5_IS6_S8_EES8_NS5_IlS8_EES8_PS6_.numbered_sgpr, 105
	.set _ZN2at6native6sbtopk10gatherTopKIsjLi2ELb0EEEvNS_4cuda6detail10TensorInfoIKT_T0_EES8_S8_bS8_S8_NS5_IS6_S8_EES8_NS5_IlS8_EES8_PS6_.num_named_barrier, 0
	.set _ZN2at6native6sbtopk10gatherTopKIsjLi2ELb0EEEvNS_4cuda6detail10TensorInfoIKT_T0_EES8_S8_bS8_S8_NS5_IS6_S8_EES8_NS5_IlS8_EES8_PS6_.private_seg_size, 0
	.set _ZN2at6native6sbtopk10gatherTopKIsjLi2ELb0EEEvNS_4cuda6detail10TensorInfoIKT_T0_EES8_S8_bS8_S8_NS5_IS6_S8_EES8_NS5_IlS8_EES8_PS6_.uses_vcc, 1
	.set _ZN2at6native6sbtopk10gatherTopKIsjLi2ELb0EEEvNS_4cuda6detail10TensorInfoIKT_T0_EES8_S8_bS8_S8_NS5_IS6_S8_EES8_NS5_IlS8_EES8_PS6_.uses_flat_scratch, 0
	.set _ZN2at6native6sbtopk10gatherTopKIsjLi2ELb0EEEvNS_4cuda6detail10TensorInfoIKT_T0_EES8_S8_bS8_S8_NS5_IS6_S8_EES8_NS5_IlS8_EES8_PS6_.has_dyn_sized_stack, 0
	.set _ZN2at6native6sbtopk10gatherTopKIsjLi2ELb0EEEvNS_4cuda6detail10TensorInfoIKT_T0_EES8_S8_bS8_S8_NS5_IS6_S8_EES8_NS5_IlS8_EES8_PS6_.has_recursion, 0
	.set _ZN2at6native6sbtopk10gatherTopKIsjLi2ELb0EEEvNS_4cuda6detail10TensorInfoIKT_T0_EES8_S8_bS8_S8_NS5_IS6_S8_EES8_NS5_IlS8_EES8_PS6_.has_indirect_call, 0
	.section	.AMDGPU.csdata,"",@progbits
; Kernel info:
; codeLenInByte = 16956
; TotalNumSgprs: 107
; NumVgprs: 71
; ScratchSize: 0
; MemoryBound: 0
; FloatMode: 240
; IeeeMode: 1
; LDSByteSize: 4112 bytes/workgroup (compile time only)
; SGPRBlocks: 0
; VGPRBlocks: 4
; NumSGPRsForWavesPerEU: 107
; NumVGPRsForWavesPerEU: 71
; NamedBarCnt: 0
; Occupancy: 12
; WaveLimiterHint : 1
; COMPUTE_PGM_RSRC2:SCRATCH_EN: 0
; COMPUTE_PGM_RSRC2:USER_SGPR: 2
; COMPUTE_PGM_RSRC2:TRAP_HANDLER: 0
; COMPUTE_PGM_RSRC2:TGID_X_EN: 1
; COMPUTE_PGM_RSRC2:TGID_Y_EN: 1
; COMPUTE_PGM_RSRC2:TGID_Z_EN: 1
; COMPUTE_PGM_RSRC2:TIDIG_COMP_CNT: 0
	.section	.text._ZN2at6native6mbtopk23computeBlockDigitCountsIsjjLi3EEEvNS_4cuda6detail10TensorInfoIKT_T0_EEjPjjS8_iijT1_PSB_Ps,"axG",@progbits,_ZN2at6native6mbtopk23computeBlockDigitCountsIsjjLi3EEEvNS_4cuda6detail10TensorInfoIKT_T0_EEjPjjS8_iijT1_PSB_Ps,comdat
	.protected	_ZN2at6native6mbtopk23computeBlockDigitCountsIsjjLi3EEEvNS_4cuda6detail10TensorInfoIKT_T0_EEjPjjS8_iijT1_PSB_Ps ; -- Begin function _ZN2at6native6mbtopk23computeBlockDigitCountsIsjjLi3EEEvNS_4cuda6detail10TensorInfoIKT_T0_EEjPjjS8_iijT1_PSB_Ps
	.globl	_ZN2at6native6mbtopk23computeBlockDigitCountsIsjjLi3EEEvNS_4cuda6detail10TensorInfoIKT_T0_EEjPjjS8_iijT1_PSB_Ps
	.p2align	8
	.type	_ZN2at6native6mbtopk23computeBlockDigitCountsIsjjLi3EEEvNS_4cuda6detail10TensorInfoIKT_T0_EEjPjjS8_iijT1_PSB_Ps,@function
_ZN2at6native6mbtopk23computeBlockDigitCountsIsjjLi3EEEvNS_4cuda6detail10TensorInfoIKT_T0_EEjPjjS8_iijT1_PSB_Ps: ; @_ZN2at6native6mbtopk23computeBlockDigitCountsIsjjLi3EEEvNS_4cuda6detail10TensorInfoIKT_T0_EEjPjjS8_iijT1_PSB_Ps
; %bb.0:
	s_load_b64 s[2:3], s[0:1], 0xf8
	s_bfe_u32 s4, ttmp6, 0x40010
	s_and_b32 s10, ttmp7, 0xffff
	s_add_co_i32 s4, s4, 1
	s_bfe_u32 s5, ttmp6, 0x40004
	s_mul_i32 s4, s10, s4
	s_load_b64 s[8:9], s[0:1], 0x110
	s_add_co_i32 s11, s5, s4
	s_bfe_u32 s6, ttmp6, 0x4000c
	s_bfe_u32 s7, ttmp6, 0x40014
	s_add_co_i32 s6, s6, 1
	s_and_b32 s5, ttmp6, 15
	s_mul_i32 s6, ttmp9, s6
	s_add_co_i32 s7, s7, 1
	s_add_co_i32 s12, s5, s6
	s_bfe_u32 s6, ttmp6, 0x40008
	s_mov_b32 s15, 0
	s_wait_kmcnt 0x0
	s_cvt_f32_u32 s4, s2
	s_delay_alu instid0(SALU_CYCLE_3) | instskip(SKIP_1) | instid1(SALU_CYCLE_1)
	v_rcp_iflag_f32_e32 v1, s4
	s_lshr_b32 s4, ttmp7, 16
	s_mul_i32 s5, s4, s7
	s_getreg_b32 s7, hwreg(HW_REG_IB_STS2, 6, 4)
	s_add_co_i32 s6, s6, s5
	s_cmp_eq_u32 s7, 0
	v_nop
	v_readfirstlane_b32 s13, v1
	s_cselect_b32 s14, s4, s6
	s_load_b128 s[4:7], s[0:1], 0xe8
	s_mul_i32 s9, s9, s14
	s_cselect_b32 s12, ttmp9, s12
	s_mul_f32 s13, s13, 0x4f7ffffe
	s_cselect_b32 s10, s10, s11
	s_sub_co_i32 s11, 0, s2
	s_add_co_i32 s9, s9, s10
	s_cvt_u32_f32 s13, s13
	s_mul_i32 s18, s9, s8
	s_delay_alu instid0(SALU_CYCLE_1) | instskip(NEXT) | instid1(SALU_CYCLE_1)
	s_add_co_i32 s18, s18, s12
	s_mul_i32 s11, s11, s13
	s_delay_alu instid0(SALU_CYCLE_1) | instskip(NEXT) | instid1(SALU_CYCLE_1)
	s_mul_hi_u32 s8, s13, s11
	s_add_co_i32 s13, s13, s8
	s_delay_alu instid0(SALU_CYCLE_1) | instskip(NEXT) | instid1(SALU_CYCLE_1)
	s_mul_hi_u32 s8, s18, s13
	s_mul_i32 s9, s8, s2
	s_add_co_i32 s10, s8, 1
	s_sub_co_i32 s9, s18, s9
	s_delay_alu instid0(SALU_CYCLE_1)
	s_sub_co_i32 s11, s9, s2
	s_cmp_ge_u32 s9, s2
	s_cselect_b32 s8, s10, s8
	s_cselect_b32 s9, s11, s9
	s_add_co_i32 s10, s8, 1
	s_cmp_ge_u32 s9, s2
	s_cselect_b32 s20, s10, s8
	s_wait_kmcnt 0x0
	s_cmp_ge_u32 s20, s4
	s_cbranch_scc1 .LBB60_27
; %bb.1:
	s_load_b64 s[16:17], s[0:1], 0xc
	v_cmp_gt_u32_e32 vcc_lo, 0x100, v0
	s_wait_kmcnt 0x0
	s_cvt_f32_u32 s4, s17
	s_sub_co_i32 s8, 0, s17
	s_cvt_f32_u32 s9, s16
	s_delay_alu instid0(SALU_CYCLE_1) | instskip(SKIP_1) | instid1(TRANS32_DEP_1)
	v_rcp_iflag_f32_e32 v1, s4
	v_nop
	v_readfirstlane_b32 s4, v1
	v_rcp_iflag_f32_e32 v1, s9
	s_mul_f32 s4, s4, 0x4f7ffffe
	v_nop
	s_delay_alu instid0(TRANS32_DEP_1) | instskip(NEXT) | instid1(SALU_CYCLE_1)
	v_readfirstlane_b32 s21, v1
	s_cvt_u32_f32 s4, s4
	v_lshlrev_b32_e32 v1, 2, v0
	s_delay_alu instid0(SALU_CYCLE_2) | instskip(NEXT) | instid1(SALU_CYCLE_1)
	s_mul_i32 s8, s8, s4
	s_mul_hi_u32 s8, s4, s8
	s_delay_alu instid0(SALU_CYCLE_1) | instskip(NEXT) | instid1(SALU_CYCLE_1)
	s_add_co_i32 s4, s4, s8
	s_mul_hi_u32 s4, s20, s4
	s_delay_alu instid0(SALU_CYCLE_1) | instskip(SKIP_2) | instid1(SALU_CYCLE_1)
	s_mul_i32 s8, s4, s17
	s_add_co_i32 s9, s4, 1
	s_sub_co_i32 s8, s20, s8
	s_sub_co_i32 s10, s8, s17
	s_cmp_ge_u32 s8, s17
	s_cselect_b32 s4, s9, s4
	s_cselect_b32 s8, s10, s8
	s_add_co_i32 s9, s4, 1
	s_cmp_ge_u32 s8, s17
	s_cselect_b32 s14, s9, s4
	s_and_saveexec_b32 s4, vcc_lo
; %bb.2:
	v_mov_b32_e32 v2, 0
	ds_store_b32 v1, v2
; %bb.3:
	s_or_b32 exec_lo, exec_lo, s4
	s_clause 0x1
	s_load_b32 s4, s[0:1], 0xd8
	s_load_b128 s[8:11], s[0:1], 0x100
	s_mul_i32 s12, s20, s2
	s_mov_b32 s13, 0
	s_sub_co_i32 s24, s18, s12
	s_wait_dscnt 0x0
	s_mul_i32 s12, s7, s24
	s_add_co_i32 s24, s24, 1
	s_lshl_b32 s19, s12, 8
	s_barrier_signal -1
	s_barrier_wait -1
	s_wait_kmcnt 0x0
	s_sub_co_i32 s12, s4, s19
	s_delay_alu instid0(SALU_CYCLE_1) | instskip(NEXT) | instid1(SALU_CYCLE_1)
	s_add_nc_u64 s[22:23], s[12:13], 0xff
	s_lshr_b64 s[22:23], s[22:23], 8
	s_cmp_lt_u32 s24, s2
	s_cselect_b32 s2, s7, s22
	s_delay_alu instid0(SALU_CYCLE_1)
	s_cmp_lt_i32 s2, 1
	s_cbranch_scc1 .LBB60_25
; %bb.4:
	s_mul_f32 s7, s21, 0x4f7ffffe
	s_sub_co_i32 s12, 0, s16
	s_mov_b32 s23, s15
	s_clause 0x1
	s_load_b96 s[24:26], s[0:1], 0x6c
	s_load_b64 s[28:29], s[0:1], 0x0
	s_cvt_u32_f32 s7, s7
	s_wait_xcnt 0x0
	s_mul_i32 s0, s14, s17
	s_delay_alu instid0(SALU_CYCLE_1) | instskip(SKIP_1) | instid1(SALU_CYCLE_1)
	s_sub_co_i32 s0, s20, s0
	s_mul_i32 s12, s12, s7
	s_mul_hi_u32 s12, s7, s12
	s_delay_alu instid0(SALU_CYCLE_1) | instskip(NEXT) | instid1(SALU_CYCLE_1)
	s_add_co_i32 s22, s7, s12
	s_mul_u64 s[22:23], s[14:15], s[22:23]
	s_delay_alu instid0(SALU_CYCLE_1)
	s_mul_i32 s1, s23, s16
	s_add_co_i32 s12, s23, 1
	s_sub_co_i32 s7, s14, s1
	s_load_b32 s1, s[8:9], s20 offset:0x0 scale_offset
	s_sub_co_i32 s15, s7, s16
	s_cmp_ge_u32 s7, s16
	s_wait_kmcnt 0x0
	s_mul_i32 s0, s0, s26
	s_cselect_b32 s8, s12, s23
	s_cselect_b32 s7, s15, s7
	s_add_co_i32 s9, s8, 1
	s_cmp_ge_u32 s7, s16
	s_cselect_b32 s7, s9, s8
	s_delay_alu instid0(SALU_CYCLE_1) | instskip(SKIP_2) | instid1(SALU_CYCLE_1)
	s_mul_i32 s8, s7, s16
	s_mul_i32 s7, s7, s24
	s_sub_co_i32 s8, s14, s8
	s_mul_i32 s8, s8, s25
	s_delay_alu instid0(SALU_CYCLE_1) | instskip(SKIP_2) | instid1(SALU_CYCLE_1)
	s_add_co_i32 s0, s8, s0
	s_and_b32 s8, s6, 0xff
	s_add_co_i32 s12, s0, s7
	s_lshl_b64 s[14:15], s[12:13], 1
	s_cmp_lt_u32 s2, 4
	s_add_nc_u64 s[6:7], s[28:29], s[14:15]
	s_cbranch_scc1 .LBB60_19
; %bb.5:
	v_dual_mov_b32 v7, 1 :: v_dual_add_nc_u32 v6, s19, v0
	s_and_b32 s13, s2, 0x7ffffffc
	s_lshl_b32 s9, s5, 10
	s_mov_b32 s12, 0
	s_delay_alu instid0(VALU_DEP_1)
	v_add_nc_u32_e32 v2, 0x300, v6
	v_add_nc_u32_e32 v4, 0x200, v6
	;; [unrolled: 1-line block ×3, first 2 shown]
	v_mul_lo_u32 v6, s5, v6
	s_mov_b32 s14, 0
	v_mul_lo_u32 v3, s5, v2
	v_mul_lo_u32 v4, s5, v4
	;; [unrolled: 1-line block ×3, first 2 shown]
	s_branch .LBB60_7
.LBB60_6:                               ;   in Loop: Header=BB60_7 Depth=1
	s_or_b32 exec_lo, exec_lo, s15
	v_add_nc_u32_e32 v2, 0x400, v2
	s_add_co_i32 s14, s14, 4
	s_add_co_i32 s12, s12, s9
	s_cmp_eq_u32 s13, s14
	s_cbranch_scc1 .LBB60_19
.LBB60_7:                               ; =>This Inner Loop Header: Depth=1
	v_add_nc_u32_e32 v8, 0xfffffd00, v2
	s_mov_b32 s15, exec_lo
	s_delay_alu instid0(VALU_DEP_1)
	v_cmpx_gt_u32_e64 s4, v8
	s_cbranch_execz .LBB60_10
; %bb.8:                                ;   in Loop: Header=BB60_7 Depth=1
	v_add_nc_u32_e32 v8, s12, v6
	global_load_i16 v8, v8, s[6:7] scale_offset
	s_wait_loadcnt 0x0
	s_wait_xcnt 0x0
	v_add_nc_u32_e32 v8, 0x8000, v8
	s_delay_alu instid0(VALU_DEP_1) | instskip(NEXT) | instid1(VALU_DEP_1)
	v_bitop3_b32 v9, v8, s3, s1 bitop3:0x48
	v_cmp_eq_u32_e64 s0, 0, v9
	s_and_b32 exec_lo, exec_lo, s0
; %bb.9:                                ;   in Loop: Header=BB60_7 Depth=1
	v_bfe_u32 v8, v8, s8, 8
	s_delay_alu instid0(VALU_DEP_1)
	v_lshlrev_b32_e32 v8, 2, v8
	ds_add_u32 v8, v7
.LBB60_10:                              ;   in Loop: Header=BB60_7 Depth=1
	s_or_b32 exec_lo, exec_lo, s15
	v_add_nc_u32_e32 v8, 0xfffffe00, v2
	s_mov_b32 s15, exec_lo
	s_delay_alu instid0(VALU_DEP_1)
	v_cmpx_gt_u32_e64 s4, v8
	s_cbranch_execz .LBB60_13
; %bb.11:                               ;   in Loop: Header=BB60_7 Depth=1
	v_add_nc_u32_e32 v8, s12, v5
	global_load_i16 v8, v8, s[6:7] scale_offset
	s_wait_loadcnt 0x0
	v_add_nc_u32_e32 v8, 0x8000, v8
	s_delay_alu instid0(VALU_DEP_1) | instskip(NEXT) | instid1(VALU_DEP_1)
	v_bitop3_b32 v9, v8, s3, s1 bitop3:0x48
	v_cmp_eq_u32_e64 s0, 0, v9
	s_and_b32 exec_lo, exec_lo, s0
; %bb.12:                               ;   in Loop: Header=BB60_7 Depth=1
	v_bfe_u32 v8, v8, s8, 8
	s_delay_alu instid0(VALU_DEP_1)
	v_lshlrev_b32_e32 v8, 2, v8
	ds_add_u32 v8, v7
.LBB60_13:                              ;   in Loop: Header=BB60_7 Depth=1
	s_or_b32 exec_lo, exec_lo, s15
	v_add_nc_u32_e32 v8, 0xffffff00, v2
	s_mov_b32 s15, exec_lo
	s_delay_alu instid0(VALU_DEP_1)
	v_cmpx_gt_u32_e64 s4, v8
	s_cbranch_execz .LBB60_16
; %bb.14:                               ;   in Loop: Header=BB60_7 Depth=1
	v_add_nc_u32_e32 v8, s12, v4
	global_load_i16 v8, v8, s[6:7] scale_offset
	s_wait_loadcnt 0x0
	v_add_nc_u32_e32 v8, 0x8000, v8
	s_delay_alu instid0(VALU_DEP_1) | instskip(NEXT) | instid1(VALU_DEP_1)
	v_bitop3_b32 v9, v8, s3, s1 bitop3:0x48
	v_cmp_eq_u32_e64 s0, 0, v9
	s_and_b32 exec_lo, exec_lo, s0
; %bb.15:                               ;   in Loop: Header=BB60_7 Depth=1
	v_bfe_u32 v8, v8, s8, 8
	s_delay_alu instid0(VALU_DEP_1)
	v_lshlrev_b32_e32 v8, 2, v8
	ds_add_u32 v8, v7
.LBB60_16:                              ;   in Loop: Header=BB60_7 Depth=1
	s_or_b32 exec_lo, exec_lo, s15
	s_delay_alu instid0(SALU_CYCLE_1)
	s_mov_b32 s15, exec_lo
	v_cmpx_gt_u32_e64 s4, v2
	s_cbranch_execz .LBB60_6
; %bb.17:                               ;   in Loop: Header=BB60_7 Depth=1
	v_add_nc_u32_e32 v8, s12, v3
	global_load_i16 v8, v8, s[6:7] scale_offset
	s_wait_loadcnt 0x0
	v_add_nc_u32_e32 v8, 0x8000, v8
	s_delay_alu instid0(VALU_DEP_1) | instskip(NEXT) | instid1(VALU_DEP_1)
	v_bitop3_b32 v9, v8, s3, s1 bitop3:0x48
	v_cmp_eq_u32_e64 s0, 0, v9
	s_and_b32 exec_lo, exec_lo, s0
	s_cbranch_execz .LBB60_6
; %bb.18:                               ;   in Loop: Header=BB60_7 Depth=1
	v_bfe_u32 v8, v8, s8, 8
	s_delay_alu instid0(VALU_DEP_1)
	v_lshlrev_b32_e32 v8, 2, v8
	ds_add_u32 v8, v7
	s_branch .LBB60_6
.LBB60_19:
	s_and_b32 s2, s2, 3
	s_delay_alu instid0(SALU_CYCLE_1)
	s_cmp_eq_u32 s2, 0
	s_cbranch_scc1 .LBB60_25
; %bb.20:
	s_lshl_b32 s0, s13, 8
	v_mov_b32_e32 v4, 1
	v_add3_u32 v2, s0, s19, v0
	s_delay_alu instid0(VALU_DEP_1)
	v_mul_lo_u32 v3, s5, v2
	s_lshl_b32 s5, s5, 8
	s_branch .LBB60_22
.LBB60_21:                              ;   in Loop: Header=BB60_22 Depth=1
	s_or_b32 exec_lo, exec_lo, s9
	s_delay_alu instid0(VALU_DEP_2) | instskip(SKIP_2) | instid1(SALU_CYCLE_1)
	v_add_nc_u32_e32 v3, s5, v3
	v_add_nc_u32_e32 v2, 0x100, v2
	s_add_co_i32 s2, s2, -1
	s_cmp_lg_u32 s2, 0
	s_cbranch_scc0 .LBB60_25
.LBB60_22:                              ; =>This Inner Loop Header: Depth=1
	s_mov_b32 s9, exec_lo
	v_cmpx_gt_u32_e64 s4, v2
	s_cbranch_execz .LBB60_21
; %bb.23:                               ;   in Loop: Header=BB60_22 Depth=1
	global_load_i16 v5, v3, s[6:7] scale_offset
	s_wait_loadcnt 0x0
	v_add_nc_u32_e32 v5, 0x8000, v5
	s_delay_alu instid0(VALU_DEP_1) | instskip(NEXT) | instid1(VALU_DEP_1)
	v_bitop3_b32 v6, v5, s3, s1 bitop3:0x48
	v_cmp_eq_u32_e64 s0, 0, v6
	s_and_b32 exec_lo, exec_lo, s0
	s_cbranch_execz .LBB60_21
; %bb.24:                               ;   in Loop: Header=BB60_22 Depth=1
	v_bfe_u32 v5, v5, s8, 8
	s_delay_alu instid0(VALU_DEP_1)
	v_lshlrev_b32_e32 v5, 2, v5
	ds_add_u32 v5, v4
	s_branch .LBB60_21
.LBB60_25:
	s_wait_dscnt 0x0
	s_barrier_signal -1
	s_barrier_wait -1
	s_and_saveexec_b32 s0, vcc_lo
	s_cbranch_execz .LBB60_27
; %bb.26:
	ds_load_b32 v1, v1
	v_lshl_or_b32 v0, s18, 8, v0
	s_wait_dscnt 0x0
	global_store_b16 v0, v1, s[10:11] scale_offset
.LBB60_27:
	s_endpgm
	.section	.rodata,"a",@progbits
	.p2align	6, 0x0
	.amdhsa_kernel _ZN2at6native6mbtopk23computeBlockDigitCountsIsjjLi3EEEvNS_4cuda6detail10TensorInfoIKT_T0_EEjPjjS8_iijT1_PSB_Ps
		.amdhsa_group_segment_fixed_size 1024
		.amdhsa_private_segment_fixed_size 0
		.amdhsa_kernarg_size 528
		.amdhsa_user_sgpr_count 2
		.amdhsa_user_sgpr_dispatch_ptr 0
		.amdhsa_user_sgpr_queue_ptr 0
		.amdhsa_user_sgpr_kernarg_segment_ptr 1
		.amdhsa_user_sgpr_dispatch_id 0
		.amdhsa_user_sgpr_kernarg_preload_length 0
		.amdhsa_user_sgpr_kernarg_preload_offset 0
		.amdhsa_user_sgpr_private_segment_size 0
		.amdhsa_wavefront_size32 1
		.amdhsa_uses_dynamic_stack 0
		.amdhsa_enable_private_segment 0
		.amdhsa_system_sgpr_workgroup_id_x 1
		.amdhsa_system_sgpr_workgroup_id_y 1
		.amdhsa_system_sgpr_workgroup_id_z 1
		.amdhsa_system_sgpr_workgroup_info 0
		.amdhsa_system_vgpr_workitem_id 0
		.amdhsa_next_free_vgpr 10
		.amdhsa_next_free_sgpr 30
		.amdhsa_named_barrier_count 0
		.amdhsa_reserve_vcc 1
		.amdhsa_float_round_mode_32 0
		.amdhsa_float_round_mode_16_64 0
		.amdhsa_float_denorm_mode_32 3
		.amdhsa_float_denorm_mode_16_64 3
		.amdhsa_fp16_overflow 0
		.amdhsa_memory_ordered 1
		.amdhsa_forward_progress 1
		.amdhsa_inst_pref_size 12
		.amdhsa_round_robin_scheduling 0
		.amdhsa_exception_fp_ieee_invalid_op 0
		.amdhsa_exception_fp_denorm_src 0
		.amdhsa_exception_fp_ieee_div_zero 0
		.amdhsa_exception_fp_ieee_overflow 0
		.amdhsa_exception_fp_ieee_underflow 0
		.amdhsa_exception_fp_ieee_inexact 0
		.amdhsa_exception_int_div_zero 0
	.end_amdhsa_kernel
	.section	.text._ZN2at6native6mbtopk23computeBlockDigitCountsIsjjLi3EEEvNS_4cuda6detail10TensorInfoIKT_T0_EEjPjjS8_iijT1_PSB_Ps,"axG",@progbits,_ZN2at6native6mbtopk23computeBlockDigitCountsIsjjLi3EEEvNS_4cuda6detail10TensorInfoIKT_T0_EEjPjjS8_iijT1_PSB_Ps,comdat
.Lfunc_end60:
	.size	_ZN2at6native6mbtopk23computeBlockDigitCountsIsjjLi3EEEvNS_4cuda6detail10TensorInfoIKT_T0_EEjPjjS8_iijT1_PSB_Ps, .Lfunc_end60-_ZN2at6native6mbtopk23computeBlockDigitCountsIsjjLi3EEEvNS_4cuda6detail10TensorInfoIKT_T0_EEjPjjS8_iijT1_PSB_Ps
                                        ; -- End function
	.set _ZN2at6native6mbtopk23computeBlockDigitCountsIsjjLi3EEEvNS_4cuda6detail10TensorInfoIKT_T0_EEjPjjS8_iijT1_PSB_Ps.num_vgpr, 10
	.set _ZN2at6native6mbtopk23computeBlockDigitCountsIsjjLi3EEEvNS_4cuda6detail10TensorInfoIKT_T0_EEjPjjS8_iijT1_PSB_Ps.num_agpr, 0
	.set _ZN2at6native6mbtopk23computeBlockDigitCountsIsjjLi3EEEvNS_4cuda6detail10TensorInfoIKT_T0_EEjPjjS8_iijT1_PSB_Ps.numbered_sgpr, 30
	.set _ZN2at6native6mbtopk23computeBlockDigitCountsIsjjLi3EEEvNS_4cuda6detail10TensorInfoIKT_T0_EEjPjjS8_iijT1_PSB_Ps.num_named_barrier, 0
	.set _ZN2at6native6mbtopk23computeBlockDigitCountsIsjjLi3EEEvNS_4cuda6detail10TensorInfoIKT_T0_EEjPjjS8_iijT1_PSB_Ps.private_seg_size, 0
	.set _ZN2at6native6mbtopk23computeBlockDigitCountsIsjjLi3EEEvNS_4cuda6detail10TensorInfoIKT_T0_EEjPjjS8_iijT1_PSB_Ps.uses_vcc, 1
	.set _ZN2at6native6mbtopk23computeBlockDigitCountsIsjjLi3EEEvNS_4cuda6detail10TensorInfoIKT_T0_EEjPjjS8_iijT1_PSB_Ps.uses_flat_scratch, 0
	.set _ZN2at6native6mbtopk23computeBlockDigitCountsIsjjLi3EEEvNS_4cuda6detail10TensorInfoIKT_T0_EEjPjjS8_iijT1_PSB_Ps.has_dyn_sized_stack, 0
	.set _ZN2at6native6mbtopk23computeBlockDigitCountsIsjjLi3EEEvNS_4cuda6detail10TensorInfoIKT_T0_EEjPjjS8_iijT1_PSB_Ps.has_recursion, 0
	.set _ZN2at6native6mbtopk23computeBlockDigitCountsIsjjLi3EEEvNS_4cuda6detail10TensorInfoIKT_T0_EEjPjjS8_iijT1_PSB_Ps.has_indirect_call, 0
	.section	.AMDGPU.csdata,"",@progbits
; Kernel info:
; codeLenInByte = 1528
; TotalNumSgprs: 32
; NumVgprs: 10
; ScratchSize: 0
; MemoryBound: 0
; FloatMode: 240
; IeeeMode: 1
; LDSByteSize: 1024 bytes/workgroup (compile time only)
; SGPRBlocks: 0
; VGPRBlocks: 0
; NumSGPRsForWavesPerEU: 32
; NumVGPRsForWavesPerEU: 10
; NamedBarCnt: 0
; Occupancy: 16
; WaveLimiterHint : 1
; COMPUTE_PGM_RSRC2:SCRATCH_EN: 0
; COMPUTE_PGM_RSRC2:USER_SGPR: 2
; COMPUTE_PGM_RSRC2:TRAP_HANDLER: 0
; COMPUTE_PGM_RSRC2:TGID_X_EN: 1
; COMPUTE_PGM_RSRC2:TGID_Y_EN: 1
; COMPUTE_PGM_RSRC2:TGID_Z_EN: 1
; COMPUTE_PGM_RSRC2:TIDIG_COMP_CNT: 0
	.section	.text._ZN2at6native6mbtopk10gatherTopKIsjLi3EEEvNS_4cuda6detail10TensorInfoIKT_T0_EES8_S8_bjS8_NS5_IS6_S8_EES8_NS5_IlS8_EES8_jjPS6_PjSD_j,"axG",@progbits,_ZN2at6native6mbtopk10gatherTopKIsjLi3EEEvNS_4cuda6detail10TensorInfoIKT_T0_EES8_S8_bjS8_NS5_IS6_S8_EES8_NS5_IlS8_EES8_jjPS6_PjSD_j,comdat
	.protected	_ZN2at6native6mbtopk10gatherTopKIsjLi3EEEvNS_4cuda6detail10TensorInfoIKT_T0_EES8_S8_bjS8_NS5_IS6_S8_EES8_NS5_IlS8_EES8_jjPS6_PjSD_j ; -- Begin function _ZN2at6native6mbtopk10gatherTopKIsjLi3EEEvNS_4cuda6detail10TensorInfoIKT_T0_EES8_S8_bjS8_NS5_IS6_S8_EES8_NS5_IlS8_EES8_jjPS6_PjSD_j
	.globl	_ZN2at6native6mbtopk10gatherTopKIsjLi3EEEvNS_4cuda6detail10TensorInfoIKT_T0_EES8_S8_bjS8_NS5_IS6_S8_EES8_NS5_IlS8_EES8_jjPS6_PjSD_j
	.p2align	8
	.type	_ZN2at6native6mbtopk10gatherTopKIsjLi3EEEvNS_4cuda6detail10TensorInfoIKT_T0_EES8_S8_bjS8_NS5_IS6_S8_EES8_NS5_IlS8_EES8_jjPS6_PjSD_j,@function
_ZN2at6native6mbtopk10gatherTopKIsjLi3EEEvNS_4cuda6detail10TensorInfoIKT_T0_EES8_S8_bjS8_NS5_IS6_S8_EES8_NS5_IlS8_EES8_jjPS6_PjSD_j: ; @_ZN2at6native6mbtopk10gatherTopKIsjLi3EEEvNS_4cuda6detail10TensorInfoIKT_T0_EES8_S8_bjS8_NS5_IS6_S8_EES8_NS5_IlS8_EES8_jjPS6_PjSD_j
; %bb.0:
	s_bfe_u32 s2, ttmp6, 0x40010
	s_and_b32 s4, ttmp7, 0xffff
	s_add_co_i32 s5, s2, 1
	s_clause 0x1
	s_load_b32 s6, s[0:1], 0x2d0
	s_load_b64 s[2:3], s[0:1], 0x2d8
	s_bfe_u32 s8, ttmp6, 0x4000c
	s_mul_i32 s5, s4, s5
	s_bfe_u32 s7, ttmp6, 0x40004
	s_add_co_i32 s8, s8, 1
	s_bfe_u32 s9, ttmp6, 0x40014
	s_add_co_i32 s7, s7, s5
	s_and_b32 s5, ttmp6, 15
	s_mul_i32 s8, ttmp9, s8
	s_lshr_b32 s10, ttmp7, 16
	s_add_co_i32 s9, s9, 1
	s_add_co_i32 s5, s5, s8
	s_mul_i32 s8, s10, s9
	s_bfe_u32 s9, ttmp6, 0x40008
	s_getreg_b32 s11, hwreg(HW_REG_IB_STS2, 6, 4)
	s_add_co_i32 s9, s9, s8
	s_cmp_eq_u32 s11, 0
	s_mov_b32 s25, 0
	s_cselect_b32 s8, s10, s9
	s_cselect_b32 s4, s4, s7
	s_wait_kmcnt 0x0
	s_mul_i32 s3, s3, s8
	s_cselect_b32 s5, ttmp9, s5
	s_add_co_i32 s3, s3, s4
	s_delay_alu instid0(SALU_CYCLE_1) | instskip(NEXT) | instid1(SALU_CYCLE_1)
	s_mul_i32 s2, s3, s2
	s_add_co_i32 s2, s2, s5
	s_delay_alu instid0(SALU_CYCLE_1)
	s_cmp_ge_u32 s2, s6
	s_cbranch_scc1 .LBB61_40
; %bb.1:
	s_clause 0x4
	s_load_b96 s[12:14], s[0:1], 0x2a8
	s_load_b128 s[4:7], s[0:1], 0x2b8
	s_load_b64 s[30:31], s[0:1], 0xc
	s_load_b64 s[28:29], s[0:1], 0xfc
	;; [unrolled: 1-line block ×3, first 2 shown]
	s_mov_b32 s39, s25
	s_mov_b32 s37, s25
	;; [unrolled: 1-line block ×5, first 2 shown]
	s_wait_kmcnt 0x0
	s_cvt_f32_u32 s3, s14
	s_sub_co_i32 s8, 0, s14
	s_delay_alu instid0(SALU_CYCLE_2) | instskip(SKIP_1) | instid1(TRANS32_DEP_1)
	v_rcp_iflag_f32_e32 v1, s3
	v_nop
	v_readfirstlane_b32 s3, v1
	s_mul_f32 s3, s3, 0x4f7ffffe
	s_delay_alu instid0(SALU_CYCLE_3) | instskip(NEXT) | instid1(SALU_CYCLE_3)
	s_cvt_u32_f32 s3, s3
	s_mul_i32 s8, s8, s3
	s_delay_alu instid0(SALU_CYCLE_1) | instskip(NEXT) | instid1(SALU_CYCLE_1)
	s_mul_hi_u32 s8, s3, s8
	s_add_co_i32 s3, s3, s8
	s_delay_alu instid0(SALU_CYCLE_1) | instskip(NEXT) | instid1(SALU_CYCLE_1)
	s_mul_hi_u32 s3, s2, s3
	s_mul_i32 s8, s3, s14
	s_add_co_i32 s9, s3, 1
	s_sub_co_i32 s8, s2, s8
	s_delay_alu instid0(SALU_CYCLE_1)
	s_sub_co_i32 s10, s8, s14
	s_cmp_ge_u32 s8, s14
	s_cselect_b32 s3, s9, s3
	s_cselect_b32 s8, s10, s8
	s_add_co_i32 s9, s3, 1
	s_cmp_ge_u32 s8, s14
	s_cvt_f32_u32 s10, s28
	s_cselect_b32 s15, s9, s3
	s_cvt_f32_u32 s3, s31
	v_mov_b32_e32 v1, s15
	s_cvt_f32_u32 s9, s30
	s_delay_alu instid0(SALU_CYCLE_1) | instskip(NEXT) | instid1(SALU_CYCLE_2)
	v_rcp_iflag_f32_e32 v2, s3
	v_rcp_iflag_f32_e32 v3, s9
	global_load_u16 v1, v1, s[4:5] scale_offset
	s_wait_xcnt 0x0
	s_sub_co_i32 s4, 0, s31
	s_cvt_f32_u32 s5, s29
	v_readfirstlane_b32 s3, v2
	s_delay_alu instid0(SALU_CYCLE_2) | instskip(SKIP_2) | instid1(TRANS32_DEP_1)
	v_rcp_iflag_f32_e32 v2, s5
	s_mul_f32 s3, s3, 0x4f7ffffe
	v_nop
	v_readfirstlane_b32 s9, v2
	s_delay_alu instid0(SALU_CYCLE_1) | instskip(SKIP_1) | instid1(SALU_CYCLE_2)
	s_cvt_u32_f32 s3, s3
	s_mul_f32 s9, s9, 0x4f7ffffe
	s_mul_i32 s4, s4, s3
	s_delay_alu instid0(SALU_CYCLE_1) | instskip(NEXT) | instid1(SALU_CYCLE_1)
	s_mul_hi_u32 s4, s3, s4
	s_add_co_i32 s3, s3, s4
	s_mul_i32 s4, s15, s14
	s_mul_hi_u32 s3, s15, s3
	s_sub_co_i32 s33, s2, s4
	s_mul_i32 s8, s3, s31
	s_add_co_i32 s5, s3, 1
	s_sub_co_i32 s2, s15, s8
	s_delay_alu instid0(SALU_CYCLE_1)
	s_sub_co_i32 s8, s2, s31
	s_cmp_ge_u32 s2, s31
	s_cselect_b32 s3, s5, s3
	s_cselect_b32 s2, s8, s2
	v_readfirstlane_b32 s8, v3
	s_add_co_i32 s5, s3, 1
	s_cmp_ge_u32 s2, s31
	s_cvt_u32_f32 s2, s9
	s_cselect_b32 s24, s5, s3
	s_mul_f32 s3, s8, 0x4f7ffffe
	s_sub_co_i32 s5, 0, s29
	s_sub_co_i32 s8, 0, s30
	s_mul_i32 s5, s5, s2
	s_cvt_u32_f32 s3, s3
	s_mul_hi_u32 s5, s2, s5
	s_cvt_f32_u32 s9, s27
	s_add_co_i32 s2, s2, s5
	s_mul_i32 s8, s8, s3
	s_mul_hi_u32 s2, s15, s2
	s_mul_hi_u32 s5, s3, s8
	s_mul_i32 s8, s2, s29
	v_rcp_iflag_f32_e32 v2, s9
	s_add_co_i32 s38, s3, s5
	s_sub_co_i32 s3, s15, s8
	v_rcp_iflag_f32_e32 v3, s10
	s_add_co_i32 s5, s2, 1
	s_sub_co_i32 s8, s3, s29
	s_cmp_ge_u32 s3, s29
	s_cselect_b32 s2, s5, s2
	v_readfirstlane_b32 s5, v2
	s_delay_alu instid0(TRANS32_DEP_1)
	v_readfirstlane_b32 s9, v3
	s_cselect_b32 s3, s8, s3
	s_add_co_i32 s8, s2, 1
	s_cmp_ge_u32 s3, s29
	s_mul_f32 s3, s5, 0x4f7ffffe
	s_mul_f32 s5, s9, 0x4f7ffffe
	s_cselect_b32 s36, s8, s2
	s_cvt_f32_u32 s9, s26
	s_cvt_u32_f32 s2, s3
	s_cvt_u32_f32 s3, s5
	s_sub_co_i32 s5, 0, s27
	v_rcp_iflag_f32_e32 v2, s9
	s_mul_i32 s5, s5, s2
	s_sub_co_i32 s8, 0, s28
	s_mul_hi_u32 s5, s2, s5
	s_mul_i32 s8, s8, s3
	s_add_co_i32 s2, s2, s5
	s_mul_hi_u32 s5, s3, s8
	s_mul_hi_u32 s2, s15, s2
	s_add_co_i32 s40, s3, s5
	s_mul_i32 s8, s2, s27
	s_add_co_i32 s5, s2, 1
	s_sub_co_i32 s3, s15, s8
	v_nop
	v_readfirstlane_b32 s8, v2
	s_sub_co_i32 s9, s3, s27
	s_cmp_ge_u32 s3, s27
	s_cselect_b32 s2, s5, s2
	s_mul_f32 s5, s8, 0x4f7ffffe
	s_cselect_b32 s3, s9, s3
	s_add_co_i32 s8, s2, 1
	s_cmp_ge_u32 s3, s27
	s_cvt_u32_f32 s5, s5
	s_cselect_b32 s34, s8, s2
	s_sub_co_i32 s2, 0, s26
	v_cmp_eq_u32_e64 s3, 0, v0
	s_mul_i32 s2, s2, s5
	s_delay_alu instid0(SALU_CYCLE_1)
	s_mul_hi_u32 s8, s5, s2
	v_cmp_ne_u32_e64 s2, 0, v0
	s_add_co_i32 s42, s5, s8
	s_and_saveexec_b32 s44, s3
	s_cbranch_execz .LBB61_17
; %bb.2:
	s_load_b64 s[18:19], s[0:1], 0x2c8
	s_mov_b32 s5, 0
	s_delay_alu instid0(SALU_CYCLE_1)
	s_lshl_b64 s[20:21], s[4:5], 2
	s_cmp_lt_u32 s14, 4
	s_cbranch_scc1 .LBB61_14
; %bb.3:
	s_mov_b64 s[16:17], 0
	s_mov_b32 s4, 0
.LBB61_4:                               ; =>This Inner Loop Header: Depth=1
	s_add_nc_u64 s[22:23], s[6:7], s[20:21]
	s_cmp_ge_u32 s4, s33
	s_load_b128 s[8:11], s[22:23], 0x0
	s_wait_kmcnt 0x0
	s_add_nc_u64 s[22:23], s[18:19], s[20:21]
	s_cbranch_scc0 .LBB61_11
; %bb.5:                                ;   in Loop: Header=BB61_4 Depth=1
	s_add_co_i32 s45, s4, 1
	s_delay_alu instid0(SALU_CYCLE_1)
	s_cmp_ge_u32 s45, s33
	s_cbranch_scc0 .LBB61_12
.LBB61_6:                               ;   in Loop: Header=BB61_4 Depth=1
	s_add_co_i32 s45, s45, 1
	s_delay_alu instid0(SALU_CYCLE_1)
	s_cmp_ge_u32 s45, s33
	s_cbranch_scc0 .LBB61_13
.LBB61_7:                               ;   in Loop: Header=BB61_4 Depth=1
	s_add_co_i32 s45, s45, 1
	s_delay_alu instid0(SALU_CYCLE_1)
	s_cmp_ge_u32 s45, s33
	s_cbranch_scc1 .LBB61_9
.LBB61_8:                               ;   in Loop: Header=BB61_4 Depth=1
	s_load_b32 s22, s[22:23], 0xc
	s_add_co_i32 s17, s11, s17
	s_wait_kmcnt 0x0
	s_add_co_i32 s16, s22, s16
.LBB61_9:                               ;   in Loop: Header=BB61_4 Depth=1
	s_add_co_i32 s5, s8, s5
	s_add_co_i32 s8, s45, 1
	;; [unrolled: 1-line block ×5, first 2 shown]
	s_add_nc_u64 s[6:7], s[6:7], 16
	s_add_co_i32 s5, s5, s11
	s_cmp_ge_u32 s9, s14
	s_add_nc_u64 s[18:19], s[18:19], 16
	s_cbranch_scc1 .LBB61_15
; %bb.10:                               ;   in Loop: Header=BB61_4 Depth=1
	s_mov_b32 s4, s8
	s_branch .LBB61_4
.LBB61_11:                              ;   in Loop: Header=BB61_4 Depth=1
	s_load_b32 s45, s[22:23], 0x0
	s_add_co_i32 s17, s8, s17
	s_wait_kmcnt 0x0
	s_add_co_i32 s16, s45, s16
	s_add_co_i32 s45, s4, 1
	s_delay_alu instid0(SALU_CYCLE_1)
	s_cmp_ge_u32 s45, s33
	s_cbranch_scc1 .LBB61_6
.LBB61_12:                              ;   in Loop: Header=BB61_4 Depth=1
	s_load_b32 s46, s[22:23], 0x4
	s_add_co_i32 s17, s9, s17
	s_wait_kmcnt 0x0
	s_add_co_i32 s16, s46, s16
	s_add_co_i32 s45, s45, 1
	s_delay_alu instid0(SALU_CYCLE_1)
	s_cmp_ge_u32 s45, s33
	s_cbranch_scc1 .LBB61_7
.LBB61_13:                              ;   in Loop: Header=BB61_4 Depth=1
	s_load_b32 s46, s[22:23], 0x8
	s_add_co_i32 s17, s10, s17
	s_wait_kmcnt 0x0
	s_add_co_i32 s16, s46, s16
	s_add_co_i32 s45, s45, 1
	s_delay_alu instid0(SALU_CYCLE_1)
	s_cmp_ge_u32 s45, s33
	s_cbranch_scc0 .LBB61_8
	s_branch .LBB61_9
.LBB61_14:
	s_mov_b64 s[16:17], 0
	s_add_nc_u64 s[6:7], s[6:7], s[20:21]
	s_wait_kmcnt 0x0
	s_add_nc_u64 s[8:9], s[18:19], s[20:21]
	s_mov_b32 s4, 0
	s_delay_alu instid0(SALU_CYCLE_1)
	s_cmp_ge_u32 s4, s14
	s_cbranch_scc0 .LBB61_38
	s_branch .LBB61_16
.LBB61_15:
	s_add_co_i32 s4, s4, 4
	s_add_nc_u64 s[8:9], s[18:19], s[20:21]
	s_add_nc_u64 s[6:7], s[6:7], s[20:21]
	s_cmp_ge_u32 s4, s14
	s_cbranch_scc0 .LBB61_38
.LBB61_16:
	v_dual_mov_b32 v2, s16 :: v_dual_mov_b32 v3, s5
	v_dual_mov_b32 v4, s17 :: v_dual_mov_b32 v5, 0
	ds_store_b96 v5, v[2:4] offset:1056
.LBB61_17:
	s_or_b32 exec_lo, exec_lo, s44
	s_mul_u64 s[6:7], s[34:35], s[42:43]
	s_clause 0x6
	s_load_b96 s[4:6], s[0:1], 0xd8
	s_load_b96 s[8:10], s[0:1], 0x23c
	s_load_b64 s[44:45], s[0:1], 0x1d0
	s_load_b96 s[16:18], s[0:1], 0x15c
	s_load_b64 s[46:47], s[0:1], 0xf0
	;; [unrolled: 2-line block ×3, first 2 shown]
	s_mul_i32 s11, s13, s33
	s_mul_u64 s[50:51], s[24:25], s[38:39]
	s_lshl_b32 s19, s11, 8
	s_mov_b32 s39, 0
	s_add_co_i32 s33, s33, 1
	s_mul_u64 s[40:41], s[36:37], s[40:41]
	s_wait_loadcnt_dscnt 0x0
	s_barrier_signal -1
	s_barrier_wait -1
	s_wait_kmcnt 0x0
	s_sub_co_i32 s38, s4, s19
	s_delay_alu instid0(SALU_CYCLE_1) | instskip(NEXT) | instid1(SALU_CYCLE_1)
	s_add_nc_u64 s[42:43], s[38:39], 0xff
	s_lshr_b64 s[42:43], s[42:43], 8
	s_cmp_lt_u32 s33, s14
	s_cselect_b32 s13, s13, s42
	s_delay_alu instid0(SALU_CYCLE_1)
	s_cmp_eq_u32 s13, 0
	s_cbranch_scc1 .LBB61_40
; %bb.18:
	s_mul_i32 s14, s51, s30
	s_mul_i32 s11, s24, s31
	s_sub_co_i32 s14, s24, s14
	s_sub_co_i32 s11, s15, s11
	s_add_co_i32 s23, s51, 1
	s_sub_co_i32 s25, s14, s30
	s_cmp_ge_u32 s14, s30
	s_mul_i32 s11, s11, s22
	s_cselect_b32 s23, s23, s51
	s_cselect_b32 s14, s25, s14
	s_add_co_i32 s25, s23, 1
	s_cmp_ge_u32 s14, s30
	s_mul_i32 s14, s36, s29
	s_cselect_b32 s23, s25, s23
	s_mul_i32 s25, s41, s28
	s_mul_i32 s29, s23, s30
	;; [unrolled: 1-line block ×3, first 2 shown]
	s_sub_co_i32 s22, s24, s29
	s_sub_co_i32 s20, s36, s25
	s_mul_i32 s21, s22, s21
	s_sub_co_i32 s14, s15, s14
	s_add_co_i32 s11, s21, s11
	s_sub_co_i32 s21, s20, s28
	s_add_co_i32 s38, s11, s23
	s_add_co_i32 s11, s41, 1
	s_cmp_ge_u32 s20, s28
	s_mul_i32 s14, s14, s18
	s_cselect_b32 s11, s11, s41
	s_cselect_b32 s20, s21, s20
	s_add_co_i32 s21, s11, 1
	s_cmp_ge_u32 s20, s28
	s_mul_i32 s22, s7, s26
	s_cselect_b32 s11, s21, s11
	v_dual_mov_b32 v7, 0 :: v_dual_lshrrev_b32 v6, 3, v0
	s_mul_i32 s21, s11, s28
	s_mul_i32 s11, s11, s16
	s_sub_co_i32 s21, s36, s21
	s_mul_i32 s20, s34, s27
	s_mul_i32 s17, s21, s17
	s_sub_co_i32 s15, s15, s20
	s_add_co_i32 s14, s17, s14
	s_add_co_i32 s16, s7, 1
	;; [unrolled: 1-line block ×3, first 2 shown]
	s_sub_co_i32 s11, s34, s22
	ds_load_b96 v[2:4], v7 offset:1056
	s_sub_co_i32 s17, s11, s26
	s_cmp_ge_u32 s11, s26
	s_load_b32 s18, s[0:1], 0xe8
	s_cselect_b32 s7, s16, s7
	s_cselect_b32 s11, s17, s11
	s_add_co_i32 s16, s7, 1
	s_cmp_ge_u32 s11, s26
	s_mul_i32 s15, s15, s10
	s_cselect_b32 s7, s16, s7
	v_dual_add_nc_u32 v10, -1, v0 :: v_dual_bitop2_b32 v6, 28, v6 bitop3:0x40
	s_mul_i32 s11, s7, s26
	s_mul_i32 s7, s7, s8
	s_sub_co_i32 s11, s34, s11
	s_delay_alu instid0(VALU_DEP_1)
	v_lshrrev_b32_e32 v8, 3, v10
	s_mul_i32 s9, s11, s9
	v_lshlrev_b32_e32 v13, 5, v0
	s_add_co_i32 s10, s9, s15
	s_mov_b32 s15, s39
	s_lshl_b64 s[8:9], s[38:39], 1
	s_add_co_i32 s38, s10, s7
	s_lshl_b64 s[10:11], s[14:15], 1
	s_load_b32 s14, s[0:1], 0x1c8
	s_wait_dscnt 0x0
	v_add_nc_u32_e32 v2, v2, v3
	v_lshl_add_u32 v3, v0, 2, v6
	v_add_nc_u32_e32 v6, s19, v0
	v_bfe_i32 v5, v1, 0, 16
	v_and_b32_e32 v11, 0xfc, v0
	v_and_b32_e32 v12, 0x1ffffffc, v8
	v_mbcnt_lo_u32_b32 v8, -1, 0
	s_wait_kmcnt 0x0
	v_mul_lo_u32 v9, s18, v6
	s_lshl_b64 s[16:17], s[38:39], 3
	v_add_nc_u32_e32 v5, 0x8000, v5
	v_cmp_gt_u32_e64 s0, 32, v0
	v_lshl_add_u32 v0, v10, 2, v12
	v_dual_add_nc_u32 v10, v11, v13 :: v_dual_bitop2_b32 v11, 15, v8 bitop3:0x40
	v_bfe_i32 v12, v8, 4, 1
	v_add_nc_u32_e32 v13, -1, v8
	s_bitcmp1_b32 s6, 0
	s_add_nc_u64 s[8:9], s[48:49], s[8:9]
	s_add_nc_u64 s[10:11], s[46:47], s[10:11]
	;; [unrolled: 1-line block ×3, first 2 shown]
	s_cselect_b32 s1, -1, 0
	s_lshl_b32 s15, s18, 8
                                        ; implicit-def: $vgpr14
	s_branch .LBB61_21
.LBB61_19:                              ;   in Loop: Header=BB61_21 Depth=1
	s_wait_xcnt 0x0
	s_or_b32 exec_lo, exec_lo, s16
	v_add_nc_u32_e32 v2, v17, v2
.LBB61_20:                              ;   in Loop: Header=BB61_21 Depth=1
	v_dual_add_nc_u32 v4, v16, v4 :: v_dual_add_nc_u32 v9, s15, v9
	v_add_nc_u32_e32 v6, 0x100, v6
	s_add_co_i32 s13, s13, -1
	s_delay_alu instid0(SALU_CYCLE_1)
	s_cmp_lg_u32 s13, 0
	s_cbranch_scc0 .LBB61_40
.LBB61_21:                              ; =>This Inner Loop Header: Depth=1
	v_dual_mov_b32 v17, 0 :: v_dual_mov_b32 v15, 0
	s_mov_b32 s16, exec_lo
	v_cmpx_gt_u32_e64 s4, v6
	s_cbranch_execz .LBB61_23
; %bb.22:                               ;   in Loop: Header=BB61_21 Depth=1
	global_load_u16 v14, v9, s[8:9] scale_offset
	s_wait_loadcnt 0x0
	v_bfe_i32 v15, v14, 0, 16
	s_delay_alu instid0(VALU_DEP_1) | instskip(NEXT) | instid1(VALU_DEP_1)
	v_add_nc_u32_e32 v15, 0x8000, v15
	v_cmp_gt_u32_e32 vcc_lo, v15, v5
	v_cndmask_b32_e64 v16, 0, 1, vcc_lo
	v_cmp_lt_u32_e32 vcc_lo, v15, v5
	v_cndmask_b32_e64 v15, 0, 1, vcc_lo
	v_cmp_eq_u16_e32 vcc_lo, v14, v1
	s_delay_alu instid0(VALU_DEP_2) | instskip(NEXT) | instid1(VALU_DEP_1)
	v_cndmask_b32_e64 v15, v15, v16, s1
	v_and_b32_e32 v17, 1, v15
	v_cndmask_b32_e64 v15, 0, 1, vcc_lo
.LBB61_23:                              ;   in Loop: Header=BB61_21 Depth=1
	s_wait_xcnt 0x0
	s_or_b32 exec_lo, exec_lo, s16
	ds_store_b32 v3, v17
	s_wait_dscnt 0x0
	s_barrier_signal -1
	s_barrier_wait -1
	s_and_saveexec_b32 s16, s0
	s_cbranch_execz .LBB61_25
; %bb.24:                               ;   in Loop: Header=BB61_21 Depth=1
	ds_load_2addr_b32 v[18:19], v10 offset1:1
	ds_load_2addr_b32 v[20:21], v10 offset0:2 offset1:3
	ds_load_2addr_b32 v[22:23], v10 offset0:4 offset1:5
	;; [unrolled: 1-line block ×3, first 2 shown]
	v_cmp_ne_u32_e32 vcc_lo, 0, v11
	; wave barrier
	s_wait_dscnt 0x3
	v_add_nc_u32_e32 v16, v19, v18
	s_wait_dscnt 0x2
	s_delay_alu instid0(VALU_DEP_1) | instskip(SKIP_1) | instid1(VALU_DEP_1)
	v_add3_u32 v16, v16, v20, v21
	s_wait_dscnt 0x1
	v_add3_u32 v16, v16, v22, v23
	s_wait_dscnt 0x0
	s_delay_alu instid0(VALU_DEP_1) | instskip(NEXT) | instid1(VALU_DEP_1)
	v_add3_u32 v16, v16, v24, v25
	v_mov_b32_dpp v19, v16 row_shr:1 row_mask:0xf bank_mask:0xf
	s_delay_alu instid0(VALU_DEP_1) | instskip(SKIP_1) | instid1(VALU_DEP_2)
	v_cndmask_b32_e32 v19, 0, v19, vcc_lo
	v_cmp_lt_u32_e32 vcc_lo, 1, v11
	v_add_nc_u32_e32 v16, v19, v16
	s_delay_alu instid0(VALU_DEP_1) | instskip(NEXT) | instid1(VALU_DEP_1)
	v_mov_b32_dpp v19, v16 row_shr:2 row_mask:0xf bank_mask:0xf
	v_cndmask_b32_e32 v19, 0, v19, vcc_lo
	v_cmp_lt_u32_e32 vcc_lo, 3, v11
	s_delay_alu instid0(VALU_DEP_2) | instskip(NEXT) | instid1(VALU_DEP_1)
	v_add_nc_u32_e32 v16, v16, v19
	v_mov_b32_dpp v19, v16 row_shr:4 row_mask:0xf bank_mask:0xf
	s_delay_alu instid0(VALU_DEP_1) | instskip(SKIP_1) | instid1(VALU_DEP_2)
	v_cndmask_b32_e32 v19, 0, v19, vcc_lo
	v_cmp_lt_u32_e32 vcc_lo, 7, v11
	v_add_nc_u32_e32 v16, v16, v19
	s_delay_alu instid0(VALU_DEP_1) | instskip(NEXT) | instid1(VALU_DEP_1)
	v_mov_b32_dpp v19, v16 row_shr:8 row_mask:0xf bank_mask:0xf
	v_cndmask_b32_e32 v19, 0, v19, vcc_lo
	v_cmp_gt_i32_e32 vcc_lo, 0, v13
	s_delay_alu instid0(VALU_DEP_2) | instskip(SKIP_3) | instid1(VALU_DEP_1)
	v_dual_add_nc_u32 v16, v16, v19 :: v_dual_cndmask_b32 v20, v13, v8, vcc_lo
	ds_swizzle_b32 v19, v16 offset:swizzle(BROADCAST,32,15)
	s_wait_dscnt 0x0
	v_dual_lshlrev_b32 v20, 2, v20 :: v_dual_bitop2_b32 v19, v12, v19 bitop3:0x40
	v_add_nc_u32_e32 v16, v16, v19
	ds_bpermute_b32 v16, v20, v16
	s_wait_dscnt 0x0
	v_add_nc_u32_e32 v16, v16, v18
	s_delay_alu instid0(VALU_DEP_1)
	v_cndmask_b32_e64 v16, v16, v17, s3
	ds_store_b32 v10, v16
	; wave barrier
	ds_load_2addr_b32 v[18:19], v10 offset0:1 offset1:2
	ds_load_2addr_b32 v[20:21], v10 offset0:3 offset1:4
	;; [unrolled: 1-line block ×3, first 2 shown]
	ds_load_b32 v24, v10 offset:28
	s_wait_dscnt 0x3
	v_add_nc_u32_e32 v16, v18, v16
	s_delay_alu instid0(VALU_DEP_1) | instskip(SKIP_1) | instid1(VALU_DEP_1)
	v_add_nc_u32_e32 v18, v19, v16
	s_wait_dscnt 0x2
	v_add_nc_u32_e32 v19, v20, v18
	s_delay_alu instid0(VALU_DEP_1) | instskip(SKIP_1) | instid1(VALU_DEP_1)
	v_add_nc_u32_e32 v20, v21, v19
	;; [unrolled: 4-line block ×3, first 2 shown]
	s_wait_dscnt 0x0
	v_add_nc_u32_e32 v23, v24, v22
	ds_store_2addr_b32 v10, v16, v18 offset0:1 offset1:2
	ds_store_2addr_b32 v10, v19, v20 offset0:3 offset1:4
	;; [unrolled: 1-line block ×3, first 2 shown]
	ds_store_b32 v10, v23 offset:28
.LBB61_25:                              ;   in Loop: Header=BB61_21 Depth=1
	s_or_b32 exec_lo, exec_lo, s16
	v_mov_b32_e32 v18, 0
	s_wait_dscnt 0x0
	s_barrier_signal -1
	s_barrier_wait -1
	s_and_saveexec_b32 s16, s2
; %bb.26:                               ;   in Loop: Header=BB61_21 Depth=1
	ds_load_b32 v18, v0
; %bb.27:                               ;   in Loop: Header=BB61_21 Depth=1
	s_or_b32 exec_lo, exec_lo, s16
	ds_load_b32 v16, v7 offset:1048
	s_mov_b32 s16, exec_lo
	s_wait_dscnt 0x0
	s_barrier_signal -1
	s_barrier_wait -1
	v_cmpx_ne_u32_e32 0, v17
	s_cbranch_execz .LBB61_29
; %bb.28:                               ;   in Loop: Header=BB61_21 Depth=1
	v_add_nc_u32_e32 v17, v18, v4
	s_delay_alu instid0(VALU_DEP_1)
	v_mul_lo_u32 v18, v17, s14
	v_mul_lo_u32 v17, v17, s12
	global_store_b16 v18, v14, s[10:11] scale_offset
	global_store_b64 v17, v[6:7], s[6:7] scale_offset
.LBB61_29:                              ;   in Loop: Header=BB61_21 Depth=1
	s_wait_xcnt 0x0
	s_or_b32 exec_lo, exec_lo, s16
	v_cmp_le_u32_e32 vcc_lo, s5, v2
	s_cbranch_vccnz .LBB61_20
; %bb.30:                               ;   in Loop: Header=BB61_21 Depth=1
	ds_store_b32 v3, v15
	s_wait_storecnt_dscnt 0x0
	s_barrier_signal -1
	s_barrier_wait -1
	s_and_saveexec_b32 s16, s0
	s_cbranch_execz .LBB61_32
; %bb.31:                               ;   in Loop: Header=BB61_21 Depth=1
	ds_load_2addr_b32 v[18:19], v10 offset1:1
	ds_load_2addr_b32 v[20:21], v10 offset0:2 offset1:3
	ds_load_2addr_b32 v[22:23], v10 offset0:4 offset1:5
	;; [unrolled: 1-line block ×3, first 2 shown]
	v_cmp_ne_u32_e32 vcc_lo, 0, v11
	; wave barrier
	s_wait_dscnt 0x3
	v_add_nc_u32_e32 v17, v19, v18
	s_wait_dscnt 0x2
	s_delay_alu instid0(VALU_DEP_1) | instskip(SKIP_1) | instid1(VALU_DEP_1)
	v_add3_u32 v17, v17, v20, v21
	s_wait_dscnt 0x1
	v_add3_u32 v17, v17, v22, v23
	s_wait_dscnt 0x0
	s_delay_alu instid0(VALU_DEP_1) | instskip(NEXT) | instid1(VALU_DEP_1)
	v_add3_u32 v17, v17, v24, v25
	v_mov_b32_dpp v19, v17 row_shr:1 row_mask:0xf bank_mask:0xf
	s_delay_alu instid0(VALU_DEP_1) | instskip(SKIP_1) | instid1(VALU_DEP_2)
	v_cndmask_b32_e32 v19, 0, v19, vcc_lo
	v_cmp_lt_u32_e32 vcc_lo, 1, v11
	v_add_nc_u32_e32 v17, v19, v17
	s_delay_alu instid0(VALU_DEP_1) | instskip(NEXT) | instid1(VALU_DEP_1)
	v_mov_b32_dpp v19, v17 row_shr:2 row_mask:0xf bank_mask:0xf
	v_cndmask_b32_e32 v19, 0, v19, vcc_lo
	v_cmp_lt_u32_e32 vcc_lo, 3, v11
	s_delay_alu instid0(VALU_DEP_2) | instskip(NEXT) | instid1(VALU_DEP_1)
	v_add_nc_u32_e32 v17, v17, v19
	v_mov_b32_dpp v19, v17 row_shr:4 row_mask:0xf bank_mask:0xf
	s_delay_alu instid0(VALU_DEP_1) | instskip(SKIP_1) | instid1(VALU_DEP_2)
	v_cndmask_b32_e32 v19, 0, v19, vcc_lo
	v_cmp_lt_u32_e32 vcc_lo, 7, v11
	v_add_nc_u32_e32 v17, v17, v19
	s_delay_alu instid0(VALU_DEP_1) | instskip(NEXT) | instid1(VALU_DEP_1)
	v_mov_b32_dpp v19, v17 row_shr:8 row_mask:0xf bank_mask:0xf
	v_cndmask_b32_e32 v19, 0, v19, vcc_lo
	v_cmp_gt_i32_e32 vcc_lo, 0, v13
	s_delay_alu instid0(VALU_DEP_2) | instskip(SKIP_4) | instid1(VALU_DEP_1)
	v_add_nc_u32_e32 v17, v17, v19
	v_cndmask_b32_e32 v20, v13, v8, vcc_lo
	ds_swizzle_b32 v19, v17 offset:swizzle(BROADCAST,32,15)
	s_wait_dscnt 0x0
	v_dual_lshlrev_b32 v20, 2, v20 :: v_dual_bitop2_b32 v19, v12, v19 bitop3:0x40
	v_add_nc_u32_e32 v17, v17, v19
	ds_bpermute_b32 v17, v20, v17
	s_wait_dscnt 0x0
	v_add_nc_u32_e32 v17, v17, v18
	s_delay_alu instid0(VALU_DEP_1)
	v_cndmask_b32_e64 v17, v17, v15, s3
	ds_store_b32 v10, v17
	; wave barrier
	ds_load_2addr_b32 v[18:19], v10 offset0:1 offset1:2
	ds_load_2addr_b32 v[20:21], v10 offset0:3 offset1:4
	;; [unrolled: 1-line block ×3, first 2 shown]
	ds_load_b32 v24, v10 offset:28
	s_wait_dscnt 0x3
	v_add_nc_u32_e32 v17, v18, v17
	s_delay_alu instid0(VALU_DEP_1) | instskip(SKIP_1) | instid1(VALU_DEP_1)
	v_add_nc_u32_e32 v18, v19, v17
	s_wait_dscnt 0x2
	v_add_nc_u32_e32 v19, v20, v18
	s_delay_alu instid0(VALU_DEP_1) | instskip(SKIP_1) | instid1(VALU_DEP_1)
	v_add_nc_u32_e32 v20, v21, v19
	;; [unrolled: 4-line block ×3, first 2 shown]
	s_wait_dscnt 0x0
	v_add_nc_u32_e32 v23, v24, v22
	ds_store_2addr_b32 v10, v17, v18 offset0:1 offset1:2
	ds_store_2addr_b32 v10, v19, v20 offset0:3 offset1:4
	ds_store_2addr_b32 v10, v21, v22 offset0:5 offset1:6
	ds_store_b32 v10, v23 offset:28
.LBB61_32:                              ;   in Loop: Header=BB61_21 Depth=1
	s_or_b32 exec_lo, exec_lo, s16
	v_mov_b32_e32 v18, 0
	s_wait_dscnt 0x0
	s_barrier_signal -1
	s_barrier_wait -1
	s_and_saveexec_b32 s16, s2
; %bb.33:                               ;   in Loop: Header=BB61_21 Depth=1
	ds_load_b32 v18, v0
; %bb.34:                               ;   in Loop: Header=BB61_21 Depth=1
	s_or_b32 exec_lo, exec_lo, s16
	ds_load_b32 v17, v7 offset:1048
	s_mov_b32 s16, exec_lo
	s_wait_dscnt 0x0
	s_barrier_signal -1
	s_barrier_wait -1
	v_cmpx_ne_u32_e32 0, v15
	s_cbranch_execz .LBB61_19
; %bb.35:                               ;   in Loop: Header=BB61_21 Depth=1
	v_add_nc_u32_e32 v15, v18, v2
	s_delay_alu instid0(VALU_DEP_1)
	v_cmp_gt_u32_e32 vcc_lo, s5, v15
	s_and_b32 exec_lo, exec_lo, vcc_lo
	s_cbranch_execz .LBB61_19
; %bb.36:                               ;   in Loop: Header=BB61_21 Depth=1
	v_mul_lo_u32 v18, v15, s14
	v_mul_lo_u32 v15, v15, s12
	global_store_b16 v18, v14, s[10:11] scale_offset
	global_store_b64 v15, v[6:7], s[6:7] scale_offset
	s_branch .LBB61_19
.LBB61_37:                              ;   in Loop: Header=BB61_38 Depth=1
	s_add_co_i32 s4, s4, 1
	s_wait_kmcnt 0x0
	s_add_co_i32 s5, s10, s5
	s_add_nc_u64 s[6:7], s[6:7], 4
	s_cmp_lt_u32 s4, s14
	s_add_nc_u64 s[8:9], s[8:9], 4
	s_cbranch_scc0 .LBB61_16
.LBB61_38:                              ; =>This Inner Loop Header: Depth=1
	s_load_b32 s10, s[6:7], 0x0
	s_cmp_ge_u32 s4, s33
	s_cbranch_scc1 .LBB61_37
; %bb.39:                               ;   in Loop: Header=BB61_38 Depth=1
	s_load_b32 s11, s[8:9], 0x0
	s_wait_kmcnt 0x0
	s_add_co_i32 s17, s10, s17
	s_add_co_i32 s16, s11, s16
	s_branch .LBB61_37
.LBB61_40:
	s_endpgm
	.section	.rodata,"a",@progbits
	.p2align	6, 0x0
	.amdhsa_kernel _ZN2at6native6mbtopk10gatherTopKIsjLi3EEEvNS_4cuda6detail10TensorInfoIKT_T0_EES8_S8_bjS8_NS5_IS6_S8_EES8_NS5_IlS8_EES8_jjPS6_PjSD_j
		.amdhsa_group_segment_fixed_size 1068
		.amdhsa_private_segment_fixed_size 0
		.amdhsa_kernarg_size 984
		.amdhsa_user_sgpr_count 2
		.amdhsa_user_sgpr_dispatch_ptr 0
		.amdhsa_user_sgpr_queue_ptr 0
		.amdhsa_user_sgpr_kernarg_segment_ptr 1
		.amdhsa_user_sgpr_dispatch_id 0
		.amdhsa_user_sgpr_kernarg_preload_length 0
		.amdhsa_user_sgpr_kernarg_preload_offset 0
		.amdhsa_user_sgpr_private_segment_size 0
		.amdhsa_wavefront_size32 1
		.amdhsa_uses_dynamic_stack 0
		.amdhsa_enable_private_segment 0
		.amdhsa_system_sgpr_workgroup_id_x 1
		.amdhsa_system_sgpr_workgroup_id_y 1
		.amdhsa_system_sgpr_workgroup_id_z 1
		.amdhsa_system_sgpr_workgroup_info 0
		.amdhsa_system_vgpr_workitem_id 0
		.amdhsa_next_free_vgpr 26
		.amdhsa_next_free_sgpr 52
		.amdhsa_named_barrier_count 0
		.amdhsa_reserve_vcc 1
		.amdhsa_float_round_mode_32 0
		.amdhsa_float_round_mode_16_64 0
		.amdhsa_float_denorm_mode_32 3
		.amdhsa_float_denorm_mode_16_64 3
		.amdhsa_fp16_overflow 0
		.amdhsa_memory_ordered 1
		.amdhsa_forward_progress 1
		.amdhsa_inst_pref_size 25
		.amdhsa_round_robin_scheduling 0
		.amdhsa_exception_fp_ieee_invalid_op 0
		.amdhsa_exception_fp_denorm_src 0
		.amdhsa_exception_fp_ieee_div_zero 0
		.amdhsa_exception_fp_ieee_overflow 0
		.amdhsa_exception_fp_ieee_underflow 0
		.amdhsa_exception_fp_ieee_inexact 0
		.amdhsa_exception_int_div_zero 0
	.end_amdhsa_kernel
	.section	.text._ZN2at6native6mbtopk10gatherTopKIsjLi3EEEvNS_4cuda6detail10TensorInfoIKT_T0_EES8_S8_bjS8_NS5_IS6_S8_EES8_NS5_IlS8_EES8_jjPS6_PjSD_j,"axG",@progbits,_ZN2at6native6mbtopk10gatherTopKIsjLi3EEEvNS_4cuda6detail10TensorInfoIKT_T0_EES8_S8_bjS8_NS5_IS6_S8_EES8_NS5_IlS8_EES8_jjPS6_PjSD_j,comdat
.Lfunc_end61:
	.size	_ZN2at6native6mbtopk10gatherTopKIsjLi3EEEvNS_4cuda6detail10TensorInfoIKT_T0_EES8_S8_bjS8_NS5_IS6_S8_EES8_NS5_IlS8_EES8_jjPS6_PjSD_j, .Lfunc_end61-_ZN2at6native6mbtopk10gatherTopKIsjLi3EEEvNS_4cuda6detail10TensorInfoIKT_T0_EES8_S8_bjS8_NS5_IS6_S8_EES8_NS5_IlS8_EES8_jjPS6_PjSD_j
                                        ; -- End function
	.set _ZN2at6native6mbtopk10gatherTopKIsjLi3EEEvNS_4cuda6detail10TensorInfoIKT_T0_EES8_S8_bjS8_NS5_IS6_S8_EES8_NS5_IlS8_EES8_jjPS6_PjSD_j.num_vgpr, 26
	.set _ZN2at6native6mbtopk10gatherTopKIsjLi3EEEvNS_4cuda6detail10TensorInfoIKT_T0_EES8_S8_bjS8_NS5_IS6_S8_EES8_NS5_IlS8_EES8_jjPS6_PjSD_j.num_agpr, 0
	.set _ZN2at6native6mbtopk10gatherTopKIsjLi3EEEvNS_4cuda6detail10TensorInfoIKT_T0_EES8_S8_bjS8_NS5_IS6_S8_EES8_NS5_IlS8_EES8_jjPS6_PjSD_j.numbered_sgpr, 52
	.set _ZN2at6native6mbtopk10gatherTopKIsjLi3EEEvNS_4cuda6detail10TensorInfoIKT_T0_EES8_S8_bjS8_NS5_IS6_S8_EES8_NS5_IlS8_EES8_jjPS6_PjSD_j.num_named_barrier, 0
	.set _ZN2at6native6mbtopk10gatherTopKIsjLi3EEEvNS_4cuda6detail10TensorInfoIKT_T0_EES8_S8_bjS8_NS5_IS6_S8_EES8_NS5_IlS8_EES8_jjPS6_PjSD_j.private_seg_size, 0
	.set _ZN2at6native6mbtopk10gatherTopKIsjLi3EEEvNS_4cuda6detail10TensorInfoIKT_T0_EES8_S8_bjS8_NS5_IS6_S8_EES8_NS5_IlS8_EES8_jjPS6_PjSD_j.uses_vcc, 1
	.set _ZN2at6native6mbtopk10gatherTopKIsjLi3EEEvNS_4cuda6detail10TensorInfoIKT_T0_EES8_S8_bjS8_NS5_IS6_S8_EES8_NS5_IlS8_EES8_jjPS6_PjSD_j.uses_flat_scratch, 0
	.set _ZN2at6native6mbtopk10gatherTopKIsjLi3EEEvNS_4cuda6detail10TensorInfoIKT_T0_EES8_S8_bjS8_NS5_IS6_S8_EES8_NS5_IlS8_EES8_jjPS6_PjSD_j.has_dyn_sized_stack, 0
	.set _ZN2at6native6mbtopk10gatherTopKIsjLi3EEEvNS_4cuda6detail10TensorInfoIKT_T0_EES8_S8_bjS8_NS5_IS6_S8_EES8_NS5_IlS8_EES8_jjPS6_PjSD_j.has_recursion, 0
	.set _ZN2at6native6mbtopk10gatherTopKIsjLi3EEEvNS_4cuda6detail10TensorInfoIKT_T0_EES8_S8_bjS8_NS5_IS6_S8_EES8_NS5_IlS8_EES8_jjPS6_PjSD_j.has_indirect_call, 0
	.section	.AMDGPU.csdata,"",@progbits
; Kernel info:
; codeLenInByte = 3096
; TotalNumSgprs: 54
; NumVgprs: 26
; ScratchSize: 0
; MemoryBound: 0
; FloatMode: 240
; IeeeMode: 1
; LDSByteSize: 1068 bytes/workgroup (compile time only)
; SGPRBlocks: 0
; VGPRBlocks: 1
; NumSGPRsForWavesPerEU: 54
; NumVGPRsForWavesPerEU: 26
; NamedBarCnt: 0
; Occupancy: 16
; WaveLimiterHint : 1
; COMPUTE_PGM_RSRC2:SCRATCH_EN: 0
; COMPUTE_PGM_RSRC2:USER_SGPR: 2
; COMPUTE_PGM_RSRC2:TRAP_HANDLER: 0
; COMPUTE_PGM_RSRC2:TGID_X_EN: 1
; COMPUTE_PGM_RSRC2:TGID_Y_EN: 1
; COMPUTE_PGM_RSRC2:TGID_Z_EN: 1
; COMPUTE_PGM_RSRC2:TIDIG_COMP_CNT: 0
	.section	.text._ZN2at6native6sbtopk10gatherTopKIsjLi3ELb0EEEvNS_4cuda6detail10TensorInfoIKT_T0_EES8_S8_bS8_S8_NS5_IS6_S8_EES8_NS5_IlS8_EES8_PS6_,"axG",@progbits,_ZN2at6native6sbtopk10gatherTopKIsjLi3ELb0EEEvNS_4cuda6detail10TensorInfoIKT_T0_EES8_S8_bS8_S8_NS5_IS6_S8_EES8_NS5_IlS8_EES8_PS6_,comdat
	.protected	_ZN2at6native6sbtopk10gatherTopKIsjLi3ELb0EEEvNS_4cuda6detail10TensorInfoIKT_T0_EES8_S8_bS8_S8_NS5_IS6_S8_EES8_NS5_IlS8_EES8_PS6_ ; -- Begin function _ZN2at6native6sbtopk10gatherTopKIsjLi3ELb0EEEvNS_4cuda6detail10TensorInfoIKT_T0_EES8_S8_bS8_S8_NS5_IS6_S8_EES8_NS5_IlS8_EES8_PS6_
	.globl	_ZN2at6native6sbtopk10gatherTopKIsjLi3ELb0EEEvNS_4cuda6detail10TensorInfoIKT_T0_EES8_S8_bS8_S8_NS5_IS6_S8_EES8_NS5_IlS8_EES8_PS6_
	.p2align	8
	.type	_ZN2at6native6sbtopk10gatherTopKIsjLi3ELb0EEEvNS_4cuda6detail10TensorInfoIKT_T0_EES8_S8_bS8_S8_NS5_IS6_S8_EES8_NS5_IlS8_EES8_PS6_,@function
_ZN2at6native6sbtopk10gatherTopKIsjLi3ELb0EEEvNS_4cuda6detail10TensorInfoIKT_T0_EES8_S8_bS8_S8_NS5_IS6_S8_EES8_NS5_IlS8_EES8_PS6_: ; @_ZN2at6native6sbtopk10gatherTopKIsjLi3ELb0EEEvNS_4cuda6detail10TensorInfoIKT_T0_EES8_S8_bS8_S8_NS5_IS6_S8_EES8_NS5_IlS8_EES8_PS6_
; %bb.0:
	s_clause 0x1
	s_load_b128 s[36:39], s[0:1], 0xd8
	s_load_b64 s[12:13], s[0:1], 0x2b8
	s_bfe_u32 s2, ttmp6, 0x40010
	s_and_b32 s3, ttmp7, 0xffff
	s_add_co_i32 s2, s2, 1
	s_bfe_u32 s5, ttmp6, 0x4000c
	s_mul_i32 s2, s3, s2
	s_bfe_u32 s4, ttmp6, 0x40004
	s_add_co_i32 s5, s5, 1
	s_bfe_u32 s6, ttmp6, 0x40014
	s_add_co_i32 s4, s4, s2
	s_and_b32 s2, ttmp6, 15
	s_mul_i32 s5, ttmp9, s5
	s_lshr_b32 s7, ttmp7, 16
	s_add_co_i32 s6, s6, 1
	s_add_co_i32 s2, s2, s5
	s_mul_i32 s5, s7, s6
	s_bfe_u32 s6, ttmp6, 0x40008
	s_getreg_b32 s8, hwreg(HW_REG_IB_STS2, 6, 4)
	s_add_co_i32 s6, s6, s5
	s_cmp_eq_u32 s8, 0
	s_mov_b32 s51, 0
	s_cselect_b32 s5, s7, s6
	s_cselect_b32 s3, s3, s4
	s_wait_kmcnt 0x0
	s_mul_i32 s5, s13, s5
	s_cselect_b32 s11, ttmp9, s2
	s_add_co_i32 s2, s5, s3
	s_delay_alu instid0(SALU_CYCLE_1) | instskip(NEXT) | instid1(SALU_CYCLE_1)
	s_mul_i32 s72, s2, s12
	s_add_co_i32 s72, s72, s11
	s_delay_alu instid0(SALU_CYCLE_1)
	s_cmp_ge_u32 s72, s39
	s_cbranch_scc1 .LBB62_414
; %bb.1:
	s_clause 0x5
	s_load_b64 s[18:19], s[0:1], 0xc
	s_load_b64 s[52:53], s[0:1], 0xfc
	s_load_b64 s[48:49], s[0:1], 0x1dc
	s_load_b64 s[16:17], s[0:1], 0x0
	s_load_b32 s43, s[0:1], 0xe8
	s_load_b96 s[8:10], s[0:1], 0x6c
	s_add_nc_u64 s[14:15], s[0:1], 0x2b8
	s_mov_b32 s55, s51
	s_wait_kmcnt 0x0
	s_cvt_f32_u32 s2, s19
	s_cvt_f32_u32 s3, s53
	s_delay_alu instid0(SALU_CYCLE_2) | instskip(SKIP_1) | instid1(SALU_CYCLE_1)
	v_rcp_iflag_f32_e32 v1, s2
	s_sub_co_i32 s2, 0, s19
	v_rcp_iflag_f32_e32 v4, s3
	s_cvt_f32_u32 s3, s49
	s_delay_alu instid0(SALU_CYCLE_3) | instskip(NEXT) | instid1(TRANS32_DEP_3)
	v_rcp_iflag_f32_e32 v5, s3
	v_mul_f32_e32 v1, 0x4f7ffffe, v1
	s_delay_alu instid0(TRANS32_DEP_2) | instskip(SKIP_2) | instid1(TRANS32_DEP_1)
	v_readfirstlane_b32 s4, v4
	s_sub_co_i32 s3, 0, s18
	v_cvt_u32_f32_e32 v1, v1
	v_readfirstlane_b32 s5, v5
	s_delay_alu instid0(VALU_DEP_2) | instskip(SKIP_2) | instid1(SALU_CYCLE_2)
	v_mul_lo_u32 v2, s2, v1
	s_cvt_f32_u32 s2, s18
	s_mul_f32 s5, s5, 0x4f7ffffe
	v_rcp_iflag_f32_e32 v3, s2
	s_cvt_f32_u32 s2, s52
	s_delay_alu instid0(SALU_CYCLE_1) | instskip(NEXT) | instid1(SALU_CYCLE_2)
	s_cvt_u32_f32 s5, s5
	v_rcp_iflag_f32_e32 v4, s2
	s_delay_alu instid0(VALU_DEP_1) | instskip(SKIP_2) | instid1(TRANS32_DEP_1)
	v_mul_hi_u32 v2, v1, v2
	v_mov_b32_e32 v17, 0
	s_mul_f32 s2, s4, 0x4f7ffffe
	v_readfirstlane_b32 s4, v4
	s_delay_alu instid0(SALU_CYCLE_2) | instskip(SKIP_2) | instid1(VALU_DEP_1)
	s_cvt_u32_f32 s2, s2
	s_mul_f32 s4, s4, 0x4f7ffffe
	v_dual_mul_f32 v2, 0x4f7ffffe, v3 :: v_dual_add_nc_u32 v1, v1, v2
	v_mul_hi_u32 v1, s72, v1
	s_delay_alu instid0(VALU_DEP_2) | instskip(NEXT) | instid1(VALU_DEP_1)
	v_cvt_u32_f32_e32 v2, v2
	v_mul_lo_u32 v4, s3, v2
	s_sub_co_i32 s3, 0, s53
	s_delay_alu instid0(SALU_CYCLE_1) | instskip(NEXT) | instid1(VALU_DEP_3)
	s_mul_i32 s3, s3, s2
	v_mul_lo_u32 v5, v1, s19
	v_mov_b32_e32 v3, v17
	s_mul_hi_u32 s3, s2, s3
	s_delay_alu instid0(SALU_CYCLE_1) | instskip(SKIP_1) | instid1(VALU_DEP_3)
	s_add_co_i32 s2, s2, s3
	s_cvt_u32_f32 s3, s4
	v_mul_hi_u32 v4, v2, v4
	s_mul_hi_u32 s2, s72, s2
	s_delay_alu instid0(SALU_CYCLE_1) | instskip(SKIP_1) | instid1(VALU_DEP_3)
	s_mul_i32 s4, s2, s53
	s_add_co_i32 s6, s2, 1
	v_sub_nc_u32_e32 v5, s72, v5
	s_sub_co_i32 s4, s72, s4
	s_delay_alu instid0(SALU_CYCLE_1) | instskip(SKIP_1) | instid1(VALU_DEP_1)
	s_sub_co_i32 s7, s4, s53
	s_cmp_ge_u32 s4, s53
	v_subrev_nc_u32_e32 v7, s19, v5
	v_cmp_le_u32_e32 vcc_lo, s19, v5
	s_delay_alu instid0(VALU_DEP_4) | instskip(SKIP_3) | instid1(VALU_DEP_2)
	v_dual_add_nc_u32 v6, 1, v1 :: v_dual_add_nc_u32 v2, v2, v4
	s_cselect_b32 s2, s6, s2
	s_cselect_b32 s4, s7, s4
	v_cndmask_b32_e32 v5, v5, v7, vcc_lo
	v_cndmask_b32_e32 v1, v1, v6, vcc_lo
	s_add_co_i32 s6, s2, 1
	s_cmp_ge_u32 s4, s53
	s_delay_alu instid0(VALU_DEP_2) | instskip(NEXT) | instid1(VALU_DEP_2)
	v_cmp_le_u32_e32 vcc_lo, s19, v5
	v_add_nc_u32_e32 v6, 1, v1
	s_cselect_b32 s50, s6, s2
	s_sub_co_i32 s2, 0, s49
	s_cvt_f32_u32 s6, s48
	s_mul_i32 s2, s2, s5
	v_cndmask_b32_e32 v16, v1, v6, vcc_lo
	s_mul_hi_u32 s2, s5, s2
	v_rcp_iflag_f32_e32 v1, s6
	s_sub_co_i32 s4, 0, s52
	s_add_co_i32 s5, s5, s2
	v_mul_u64_e32 v[2:3], v[16:17], v[2:3]
	s_mul_i32 s4, s4, s3
	s_mul_hi_u32 s5, s72, s5
	s_mul_hi_u32 s2, s3, s4
	s_mul_i32 s4, s5, s49
	s_add_co_i32 s2, s3, s2
	s_sub_co_i32 s3, s72, s4
	v_readfirstlane_b32 s6, v1
	s_add_co_i32 s4, s5, 1
	s_sub_co_i32 s7, s3, s49
	s_cmp_ge_u32 s3, s49
	s_cselect_b32 s4, s4, s5
	s_mul_f32 s5, s6, 0x4f7ffffe
	s_cselect_b32 s3, s7, s3
	s_add_co_i32 s6, s4, 1
	s_cmp_ge_u32 s3, s49
	s_cvt_u32_f32 s7, s5
	s_cselect_b32 s54, s6, s4
	s_sub_co_i32 s3, 0, s48
	v_cmp_eq_u32_e64 s5, 0, v0
	s_mul_i32 s4, s3, s7
	s_mov_b32 s3, s51
	s_mul_hi_u32 s4, s7, s4
	s_delay_alu instid0(SALU_CYCLE_1)
	s_add_co_i32 s6, s7, s4
	s_mov_b32 s7, s51
	s_and_saveexec_b32 s4, s5
; %bb.2:
	v_dual_mov_b32 v4, 0 :: v_dual_mov_b32 v5, s36
	s_delay_alu instid0(VALU_DEP_1)
	v_mov_b32_e32 v6, v4
	ds_store_b96 v4, v[4:6] offset:4096
; %bb.3:
	s_or_b32 exec_lo, exec_lo, s4
	v_mul_lo_u32 v1, v3, s18
	v_add_nc_u32_e32 v4, 1, v3
	s_mul_u64 s[60:61], s[50:51], s[2:3]
	v_mul_lo_u32 v2, v16, s19
	s_wait_dscnt 0x0
	s_barrier_signal -1
	s_barrier_wait -1
	s_load_b32 s13, s[14:15], 0xc
	v_mbcnt_lo_u32_b32 v11, -1, 0
	s_mul_u64 s[34:35], s[54:55], s[6:7]
	s_delay_alu instid0(VALU_DEP_4)
	v_sub_nc_u32_e32 v1, v16, v1
	s_bitcmp1_b32 s38, 0
	v_lshlrev_b32_e32 v22, 1, v0
	v_cmp_gt_i32_e64 s7, 4, v11
	s_cselect_b32 s4, -1, 0
	v_subrev_nc_u32_e32 v5, s18, v1
	v_cmp_le_u32_e32 vcc_lo, s18, v1
	v_add_max_u32_e64 v6, v0, 2, s36
	s_load_b96 s[20:22], s[0:1], 0x23c
	s_xor_b32 s55, s4, -1
                                        ; implicit-def: $vgpr71 : SGPR spill to VGPR lane
	v_mul_lo_u32 v18, s43, v0
	v_dual_cndmask_b32 v3, v3, v4 :: v_dual_cndmask_b32 v4, v1, v5
	v_cmp_gt_u32_e32 vcc_lo, 32, v0
	v_cmp_gt_u32_e64 s3, s36, v0
	s_delay_alu instid0(VALU_DEP_3) | instskip(NEXT) | instid1(VALU_DEP_4)
	v_dual_lshlrev_b32 v1, 2, v0 :: v_dual_add_nc_u32 v5, 1, v3
	v_cmp_le_u32_e64 s2, s18, v4
	s_wait_kmcnt 0x0
	s_and_b32 s47, s13, 0xffff
	s_and_b32 s60, vcc_lo, s7
	v_mov_b32_e32 v19, v17
	s_lshl_b32 s73, s47, 2
	v_dual_cndmask_b32 v4, v3, v5, s2 :: v_dual_lshrrev_b32 v5, 1, v0
	s_cmp_gt_u32 s36, 0x600
	s_cvt_f32_u32 s7, s73
	s_cselect_b32 s74, -1, 0
	s_delay_alu instid0(VALU_DEP_1)
	v_mul_lo_u32 v3, v4, s18
	v_sub_nc_u32_e32 v2, s72, v2
	s_movk_i32 s18, 0x1f0
	s_cmp_gt_u32 s47, 31
	v_and_or_b32 v24, v5, s18, 0xc00
	s_cselect_b32 s75, -1, 0
	s_add_co_i32 s76, s47, -1
	v_writelane_b32 v71, s20, 0
	s_add_co_i32 s18, s76, s36
	s_cmp_lt_u32 s11, s12
	v_mad_u32 v30, s43, v1, s43
	v_sub_nc_u32_e32 v3, v16, v3
	v_mul_lo_u32 v7, v2, s10
	s_cselect_b32 s38, 12, 18
	s_bfe_u32 s77, s13, 0xb0005
	v_writelane_b32 v71, s21, 1
	v_mul_lo_u32 v8, v3, s9
	v_lshlrev_b64_e64 v[2:3], v11, -1
	v_mul_lo_u32 v3, v4, s8
	v_xad_u32 v4, v0, -1, v6
	s_add_co_i32 s8, s77, -2
	v_writelane_b32 v71, s22, 2
	s_lshr_b32 s9, s8, 1
	s_load_b64 s[20:21], s[0:1], 0x1d0
	s_add_co_i32 s9, s9, 1
	v_add_nc_u32_e32 v6, -4, v4
	s_cmp_gt_u32 s47, 63
	v_add_nc_u32_e32 v5, v8, v7
	s_cselect_b32 s78, -1, 0
	s_and_b32 s79, s77, 0x7fe
	s_and_b32 s80, s9, 7
	s_cmp_gt_u32 s8, 13
	v_dual_add_nc_u32 v16, v5, v3 :: v_dual_lshrrev_b32 v7, 2, v6
	v_rcp_iflag_f32_e32 v5, s7
	s_cselect_b32 s81, -1, 0
	s_and_b32 s82, s9, -8
	s_cmp_lg_u32 s80, 0
	v_not_b32_e32 v10, v2
	v_lshlrev_b64_e32 v[2:3], 1, v[16:17]
	s_cselect_b32 s83, -1, 0
	v_readfirstlane_b32 s7, v5
	s_cmp_lg_u32 s79, s77
	s_cvt_f32_u32 s9, s47
	s_cselect_b32 s84, -1, 0
	s_wait_kmcnt 0x0
	v_writelane_b32 v71, s20, 3
	s_mul_f32 s7, s7, 0x4f7ffffe
	v_add_nc_u64_e32 v[12:13], s[16:17], v[2:3]
	v_rcp_iflag_f32_e32 v3, s9
	v_add_nc_u32_e32 v2, 1, v7
	s_cvt_u32_f32 s8, s7
	s_sub_co_i32 s7, 0, s73
	v_writelane_b32 v71, s21, 4
	s_load_b64 s[20:21], s[0:1], 0xf0
	s_mul_i32 s7, s7, s8
	v_readfirstlane_b32 s9, v3
	s_mul_hi_u32 s10, s8, s7
	v_lshl_add_u64 v[14:15], v[18:19], 1, v[12:13]
	s_add_co_i32 s62, s8, s10
	v_and_b32_e32 v19, -4, v4
	s_mul_hi_u32 s8, s36, s62
	s_mul_f32 s9, s9, 0x4f7ffffe
	s_mul_i32 s8, s8, s73
	s_delay_alu instid0(VALU_DEP_1)
	v_dual_add_nc_u32 v25, v0, v19 :: v_dual_bitop2_b32 v3, 3, v2 bitop3:0x40
	s_sub_co_i32 s8, s36, s8
	s_cvt_u32_f32 s9, s9
	s_sub_co_i32 s10, s8, s73
	s_cmp_ge_u32 s8, s73
	v_and_b32_e32 v27, 0x7ffffffc, v2
	s_cselect_b32 s8, s10, s8
	v_add3_u32 v2, s47, s36, v0
	s_sub_co_i32 s10, s8, s73
	s_cmp_ge_u32 s8, s73
	v_cmp_lt_u32_e64 s7, 31, v4
	s_cselect_b32 s16, s10, s8
	s_sub_co_i32 s10, 0, s47
	s_sub_co_i32 s88, s36, s16
	s_mul_i32 s10, s10, s9
	v_dual_add_nc_u32 v26, s88, v0 :: v_dual_lshlrev_b32 v28, 3, v3
	s_mul_hi_u32 s10, s9, s10
	v_subrev_nc_u32_e32 v2, s16, v2
	s_add_co_i32 s64, s9, s10
	v_cmp_ne_u32_e64 s9, 0, v3
	s_mul_hi_u32 s10, s18, s64
	v_mul_lo_u32 v16, v26, s43
	s_mul_i32 s10, s10, s47
	v_dual_lshlrev_b32 v33, 2, v18 :: v_dual_bitop2_b32 v3, 2, v1 bitop3:0x54
	s_sub_co_i32 s11, s18, s10
	v_cmp_ne_u32_e64 s10, v4, v19
	s_sub_co_i32 s12, s11, s47
	s_cmp_ge_u32 s11, s47
	v_dual_lshlrev_b32 v35, 3, v0 :: v_dual_bitop2_b32 v4, 3, v1 bitop3:0x54
	s_cselect_b32 s13, s12, s11
	v_mul_lo_u32 v31, s43, v3
	s_sub_co_i32 s17, s13, s47
	s_cmp_ge_u32 s13, s47
	v_mul_lo_u32 v32, s43, v4
	v_mul_lo_u32 v34, s43, v2
	s_cselect_b32 s13, s17, s13
	s_wait_kmcnt 0x0
	v_writelane_b32 v71, s20, 5
	s_sub_co_i32 s89, s18, s13
	v_cmp_gt_u32_e64 s6, 2, v0
	v_cmp_eq_u32_e64 s2, 0, v11
	v_dual_mov_b32 v38, 0 :: v_dual_add_nc_u32 v23, 0xc00, v22
	v_cmp_lt_u32_e64 s8, 11, v6
	v_cmp_gt_u32_e64 s11, s88, v1
	v_cmp_gt_u32_e64 s12, s36, v26
	v_lshl_add_u64 v[20:21], v[16:17], 1, v[12:13]
	v_cmp_gt_u32_e64 s13, s89, v0
	v_lshl_or_b32 v36, v11, 2, 0xc00
	v_dual_mov_b32 v39, s37 :: v_dual_mov_b32 v29, 0
	v_mov_b32_e32 v37, 0
	s_mov_b32 s39, 0
	s_mul_i32 s51, s43, s47
	s_mov_b32 s85, s43
	s_mov_b32 s86, s43
	s_mov_b32 s87, s43
	s_mov_b32 s63, s39
	s_mov_b32 s65, s39
	s_lshl_b32 s90, s51, 2
	s_lshl_b32 s91, s47, 3
	;; [unrolled: 1-line block ×3, first 2 shown]
	s_mov_b32 s93, 14
	s_add_nc_u64 s[66:67], s[14:15], s[38:39]
	s_mov_b32 s94, 0
	s_mov_b32 s96, 0
	v_writelane_b32 v71, s21, 6
                                        ; implicit-def: $sgpr95
                                        ; implicit-def: $sgpr99
                                        ; implicit-def: $sgpr98
                                        ; implicit-def: $sgpr100
                                        ; implicit-def: $sgpr97
                                        ; implicit-def: $sgpr104
                                        ; implicit-def: $vcc_hi
                                        ; implicit-def: $sgpr101
                                        ; implicit-def: $sgpr103
                                        ; implicit-def: $sgpr102
	s_branch .LBB62_6
.LBB62_4:                               ;   in Loop: Header=BB62_6 Depth=1
	s_or_b32 exec_lo, exec_lo, s17
	v_mov_b32_e32 v39, v5
	s_and_not1_b32 s17, s102, exec_lo
	s_and_b32 s16, s16, exec_lo
	s_and_not1_b32 s103, s103, exec_lo
	s_or_b32 s102, s17, s16
	s_and_not1_b32 s101, s101, exec_lo
	s_and_not1_b32 vcc_hi, vcc_hi, exec_lo
	s_and_not1_b32 s104, s104, exec_lo
	s_or_not1_b32 s17, s15, exec_lo
.LBB62_5:                               ;   in Loop: Header=BB62_6 Depth=1
	s_or_b32 exec_lo, exec_lo, s14
	s_delay_alu instid0(SALU_CYCLE_1) | instskip(NEXT) | instid1(SALU_CYCLE_1)
	s_and_b32 s14, exec_lo, s17
	s_or_b32 s94, s14, s94
	s_and_not1_b32 s14, s97, exec_lo
	s_and_b32 s15, s102, exec_lo
	s_and_not1_b32 s16, s100, exec_lo
	s_or_b32 s97, s14, s15
	s_and_b32 s14, s103, exec_lo
	s_and_not1_b32 s15, s98, exec_lo
	s_and_b32 s17, s101, exec_lo
	s_or_b32 s100, s16, s14
	s_or_b32 s98, s15, s17
	s_and_not1_b32 s14, s99, exec_lo
	s_and_b32 s15, vcc_hi, exec_lo
	s_and_not1_b32 s16, s95, exec_lo
	s_and_b32 s17, s104, exec_lo
	s_or_b32 s99, s14, s15
	s_or_b32 s95, s16, s17
	s_and_not1_b32 exec_lo, exec_lo, s94
	s_cbranch_execz .LBB62_410
.LBB62_6:                               ; =>This Loop Header: Depth=1
                                        ;     Child Loop BB62_11 Depth 2
                                        ;     Child Loop BB62_32 Depth 2
	;; [unrolled: 1-line block ×27, first 2 shown]
	ds_load_b64 v[2:3], v17 offset:4096
	s_wait_dscnt 0x0
	v_readfirstlane_b32 s38, v2
	s_cmp_lg_u32 s38, 0
	s_cbranch_scc1 .LBB62_51
; %bb.7:                                ;   in Loop: Header=BB62_6 Depth=1
	s_and_b32 vcc_lo, exec_lo, s74
	s_cbranch_vccz .LBB62_19
; %bb.8:                                ;   in Loop: Header=BB62_6 Depth=1
	v_cmp_gt_u32_e32 vcc_lo, 0x601, v3
	s_mov_b32 s16, 0
	s_mov_b32 s14, 0
	s_cbranch_vccz .LBB62_20
; %bb.9:                                ;   in Loop: Header=BB62_6 Depth=1
	global_load_u16 v3, v[14:15], off
	s_load_u16 s17, s[66:67], 0x0
	s_mov_b32 s18, 0
	s_wait_kmcnt 0x0
	v_dual_mov_b32 v4, v0 :: v_dual_add_nc_u32 v2, s17, v0
	s_mul_i32 s19, s43, s17
	s_delay_alu instid0(VALU_DEP_1)
	v_mul_lo_u32 v2, s43, v2
	s_branch .LBB62_11
.LBB62_10:                              ;   in Loop: Header=BB62_11 Depth=2
	s_or_b32 exec_lo, exec_lo, s15
	v_dual_mov_b32 v3, v5 :: v_dual_add_nc_u32 v2, s19, v2
	s_and_not1_b32 exec_lo, exec_lo, s18
	s_cbranch_execz .LBB62_26
.LBB62_11:                              ;   Parent Loop BB62_6 Depth=1
                                        ; =>  This Inner Loop Header: Depth=2
	s_wait_dscnt 0x0
	v_dual_add_nc_u32 v4, s17, v4 :: v_dual_mov_b32 v6, 0
	v_mov_b32_e32 v5, 0
	s_mov_b32 s15, exec_lo
	s_delay_alu instid0(VALU_DEP_2)
	v_cmp_le_u32_e32 vcc_lo, s36, v4
	v_cmpx_gt_u32_e64 s36, v4
	s_cbranch_execz .LBB62_13
; %bb.12:                               ;   in Loop: Header=BB62_11 Depth=2
	v_readfirstlane_b32 s20, v12
	v_readfirstlane_b32 s21, v13
	global_load_u16 v5, v2, s[20:21] scale_offset
.LBB62_13:                              ;   in Loop: Header=BB62_11 Depth=2
	s_wait_xcnt 0x0
	s_or_b32 exec_lo, exec_lo, s15
	s_wait_loadcnt 0x0
	v_bfe_i32 v7, v3, 0, 16
	s_delay_alu instid0(VALU_DEP_1) | instskip(NEXT) | instid1(VALU_DEP_1)
	v_add_nc_u32_e32 v7, 0x8000, v7
	v_and_b32_e32 v7, v7, v37
	s_delay_alu instid0(VALU_DEP_1) | instskip(SKIP_2) | instid1(SALU_CYCLE_1)
	v_cmp_eq_u32_e64 s14, v7, v29
	s_cmp_lg_u32 s14, 0
	s_cselect_b32 s15, -1, 0
	s_and_b32 s15, s2, s15
	s_delay_alu instid0(SALU_CYCLE_1)
	s_and_saveexec_b32 s20, s15
	s_cbranch_execz .LBB62_17
; %bb.14:                               ;   in Loop: Header=BB62_11 Depth=2
	s_mov_b32 s23, exec_lo
	s_bcnt1_i32_b32 s21, s14
	v_mbcnt_lo_u32_b32 v6, s23, 0
	s_mov_b32 s22, exec_lo
                                        ; implicit-def: $vgpr7
	s_delay_alu instid0(VALU_DEP_1)
	v_cmpx_eq_u32_e32 0, v6
; %bb.15:                               ;   in Loop: Header=BB62_11 Depth=2
	s_bcnt1_i32_b32 s15, s23
	s_delay_alu instid0(SALU_CYCLE_1) | instskip(NEXT) | instid1(SALU_CYCLE_1)
	s_mul_i32 s15, s21, s15
	v_mov_b32_e32 v7, s15
	ds_add_rtn_u32 v7, v17, v7 offset:4104
; %bb.16:                               ;   in Loop: Header=BB62_11 Depth=2
	s_or_b32 exec_lo, exec_lo, s22
	s_wait_dscnt 0x0
	v_readfirstlane_b32 s15, v7
	s_delay_alu instid0(VALU_DEP_1)
	v_mad_u32_u24 v6, s21, v6, s15
.LBB62_17:                              ;   in Loop: Header=BB62_11 Depth=2
	s_or_b32 exec_lo, exec_lo, s20
	ds_bpermute_b32 v6, v17, v6
	s_and_b32 s15, exec_lo, vcc_lo
	s_delay_alu instid0(SALU_CYCLE_1)
	s_or_b32 s18, s15, s18
	s_and_saveexec_b32 s15, s14
	s_cbranch_execz .LBB62_10
; %bb.18:                               ;   in Loop: Header=BB62_11 Depth=2
	v_and_b32_e32 v7, s14, v10
	s_delay_alu instid0(VALU_DEP_1) | instskip(NEXT) | instid1(VALU_DEP_1)
	v_bcnt_u32_b32 v7, v7, 0
	v_lshlrev_b32_e32 v7, 1, v7
	s_wait_dscnt 0x0
	s_delay_alu instid0(VALU_DEP_1)
	v_lshl_add_u32 v6, v6, 1, v7
	ds_store_b16 v6, v3
	s_branch .LBB62_10
.LBB62_19:                              ;   in Loop: Header=BB62_6 Depth=1
	s_mov_b32 s16, -1
	s_mov_b32 s14, 0
.LBB62_20:                              ;   in Loop: Header=BB62_6 Depth=1
	s_and_b32 vcc_lo, exec_lo, s16
	s_cbranch_vccz .LBB62_49
.LBB62_21:                              ;   in Loop: Header=BB62_6 Depth=1
	s_and_saveexec_b32 s15, s3
	s_cbranch_execz .LBB62_46
; %bb.22:                               ;   in Loop: Header=BB62_6 Depth=1
	global_load_u16 v16, v[14:15], off
	s_load_u16 s17, s[66:67], 0x0
	s_mov_b32 s16, exec_lo
	s_wait_kmcnt 0x0
	v_dual_mov_b32 v4, v0 :: v_dual_add_nc_u32 v2, s17, v0
	s_delay_alu instid0(VALU_DEP_1)
	v_cmpx_gt_u32_e64 s36, v2
	s_cbranch_execz .LBB62_45
; %bb.23:                               ;   in Loop: Header=BB62_6 Depth=1
	s_mov_b32 s14, 0
	s_mul_i32 s18, s43, s17
                                        ; implicit-def: $vgpr4
                                        ; implicit-def: $vgpr6
                                        ; implicit-def: $vgpr3
                                        ; implicit-def: $vgpr5
	s_and_saveexec_b32 s19, s7
	s_delay_alu instid0(SALU_CYCLE_1)
	s_xor_b32 s19, exec_lo, s19
	s_cbranch_execnz .LBB62_29
; %bb.24:                               ;   in Loop: Header=BB62_6 Depth=1
	s_and_not1_saveexec_b32 s19, s19
	s_cbranch_execnz .LBB62_40
.LBB62_25:                              ;   in Loop: Header=BB62_6 Depth=1
	s_or_b32 exec_lo, exec_lo, s19
	s_and_saveexec_b32 s18, s14
	s_cbranch_execnz .LBB62_41
	s_branch .LBB62_44
.LBB62_26:                              ;   in Loop: Header=BB62_6 Depth=1
	s_or_b32 exec_lo, exec_lo, s18
	s_wait_dscnt 0x0
	s_barrier_signal -1
	s_barrier_wait -1
	s_and_saveexec_b32 s14, s5
	s_cbranch_execz .LBB62_28
; %bb.27:                               ;   in Loop: Header=BB62_6 Depth=1
	ds_load_b32 v2, v17 offset:4104
	s_wait_dscnt 0x0
	ds_store_b32 v17, v2 offset:4096
.LBB62_28:                              ;   in Loop: Header=BB62_6 Depth=1
	s_or_b32 exec_lo, exec_lo, s14
	s_wait_dscnt 0x0
	s_barrier_signal -1
	s_mov_b32 s14, -1
	s_barrier_wait -1
	s_and_b32 vcc_lo, exec_lo, s16
	s_cbranch_vccnz .LBB62_21
	s_branch .LBB62_49
.LBB62_29:                              ;   in Loop: Header=BB62_6 Depth=1
	s_cvt_f32_u32 s14, s17
	v_add_max_u32_e64 v3, v2, s17, s36
	s_delay_alu instid0(SALU_CYCLE_2) | instskip(SKIP_1) | instid1(VALU_DEP_1)
	v_rcp_iflag_f32_e32 v4, s14
	s_lshl_b32 s14, s17, 1
	v_sub_nc_u32_e32 v3, v3, v0
	s_delay_alu instid0(VALU_DEP_1) | instskip(NEXT) | instid1(TRANS32_DEP_1)
	v_cmp_ne_u32_e32 vcc_lo, s14, v3
	v_readfirstlane_b32 s20, v4
	v_cndmask_b32_e64 v4, 0, 1, vcc_lo
	s_mul_f32 s20, s20, 0x4f7ffffe
	s_delay_alu instid0(VALU_DEP_1) | instskip(NEXT) | instid1(SALU_CYCLE_2)
	v_or_b32_e32 v4, s14, v4
	s_cvt_u32_f32 s14, s20
	s_sub_co_i32 s20, 0, s17
	s_delay_alu instid0(SALU_CYCLE_2) | instskip(NEXT) | instid1(VALU_DEP_1)
	s_mul_i32 s20, s20, s14
	v_sub_nc_u32_e32 v3, v3, v4
	s_mul_hi_u32 s20, s14, s20
	s_delay_alu instid0(SALU_CYCLE_1)
	s_add_co_i32 s14, s14, s20
	s_delay_alu instid0(VALU_DEP_1) | instid1(SALU_CYCLE_1)
	v_mul_hi_u32 v4, v3, s14
	s_delay_alu instid0(VALU_DEP_1) | instskip(NEXT) | instid1(VALU_DEP_1)
	v_mul_lo_u32 v5, v4, s17
	v_dual_sub_nc_u32 v3, v3, v5 :: v_dual_add_nc_u32 v5, 1, v4
	s_delay_alu instid0(VALU_DEP_1) | instskip(SKIP_1) | instid1(VALU_DEP_1)
	v_subrev_nc_u32_e32 v6, s17, v3
	v_cmp_le_u32_e64 s14, s17, v3
	v_dual_cndmask_b32 v4, v4, v5, s14 :: v_dual_cndmask_b32 v3, v3, v6, s14
	s_delay_alu instid0(VALU_DEP_1) | instskip(NEXT) | instid1(VALU_DEP_2)
	v_add_nc_u32_e32 v5, 1, v4
	v_cmp_le_u32_e64 s14, s17, v3
	s_delay_alu instid0(VALU_DEP_1) | instskip(SKIP_2) | instid1(VALU_DEP_2)
	v_cndmask_b32_e64 v3, v4, v5, s14
	v_mul_lo_u32 v4, s43, v2
	s_abs_i32 s14, s18
	v_add_co_ci_u32_e64 v3, null, 0, v3, vcc_lo
	s_delay_alu instid0(VALU_DEP_1) | instskip(SKIP_2) | instid1(SALU_CYCLE_1)
	v_mul_hi_u32 v5, s14, v3
	v_mul_lo_u32 v3, s14, v3
	s_not_b32 s14, s18
	s_ashr_i32 s14, s14, 31
	s_cmp_eq_u32 s17, 1
	s_delay_alu instid0(VALU_DEP_4) | instskip(SKIP_1) | instid1(VALU_DEP_3)
	v_xor_b32_e32 v4, s14, v4
	s_cselect_b32 s20, -1, 0
	v_cmp_eq_u32_e32 vcc_lo, 0, v5
	s_delay_alu instid0(VALU_DEP_2) | instskip(SKIP_2) | instid1(SALU_CYCLE_1)
	v_cmp_le_u32_e64 s14, v3, v4
	v_mov_b32_e32 v3, v0
                                        ; implicit-def: $vgpr4
	s_and_b32 s20, vcc_lo, s20
	s_and_b32 s21, s20, s14
	s_mov_b32 s20, -1
	s_and_saveexec_b32 s14, s21
	s_cbranch_execz .LBB62_39
; %bb.30:                               ;   in Loop: Header=BB62_6 Depth=1
	v_dual_add_nc_u32 v5, 3, v2 :: v_dual_add_nc_u32 v4, 2, v2
	s_wait_loadcnt 0x0
	v_dual_add_nc_u32 v3, 1, v2 :: v_dual_lshlrev_b32 v40, 16, v16
	v_mov_b32_e32 v43, 0
                                        ; implicit-def: $vgpr16
	s_delay_alu instid0(VALU_DEP_3) | instskip(NEXT) | instid1(VALU_DEP_3)
	v_mov_b64_e32 v[8:9], v[4:5]
	v_mov_b64_e32 v[6:7], v[2:3]
	s_and_saveexec_b32 s20, s8
	s_cbranch_execz .LBB62_34
; %bb.31:                               ;   in Loop: Header=BB62_6 Depth=1
	v_mov_b64_e32 v[8:9], v[4:5]
	v_mov_b64_e32 v[6:7], v[2:3]
	v_dual_mov_b32 v41, v27 :: v_dual_mov_b32 v42, v22
	s_mov_b32 s21, 0
	s_mov_b32 s22, 0
.LBB62_32:                              ;   Parent Loop BB62_6 Depth=1
                                        ; =>  This Inner Loop Header: Depth=2
	s_delay_alu instid0(VALU_DEP_2) | instskip(SKIP_1) | instid1(VALU_DEP_4)
	v_mul_lo_u32 v16, v6, s43
	v_dual_mov_b32 v5, v17 :: v_dual_add_nc_u32 v3, 4, v6
	v_dual_add_nc_u32 v43, 4, v7 :: v_dual_add_nc_u32 v48, 4, v8
	v_dual_mov_b32 v49, v17 :: v_dual_add_nc_u32 v50, 4, v9
	v_mul_lo_u32 v46, v7, s85
	v_dual_mov_b32 v47, v17 :: v_dual_mov_b32 v45, v17
	s_delay_alu instid0(VALU_DEP_3)
	v_mul_lo_u32 v52, v50, s87
	v_mul_lo_u32 v50, v48, s86
	v_mul_lo_u32 v48, v43, s85
	v_lshl_add_u64 v[66:67], v[16:17], 1, v[12:13]
	v_mul_lo_u32 v16, v3, s43
	v_dual_add_nc_u32 v68, 8, v6 :: v_dual_add_nc_u32 v54, 8, v7
	v_dual_add_nc_u32 v60, 12, v7 :: v_dual_add_nc_u32 v62, 12, v8
	v_lshl_add_u64 v[46:47], v[46:47], 1, v[12:13]
	s_clause 0x1
	global_load_u16 v3, v[66:67], off
	global_load_u16 v70, v[46:47], off
	s_wait_xcnt 0x0
	v_lshl_add_u64 v[46:47], v[48:49], 1, v[12:13]
	v_lshl_add_u64 v[48:49], v[16:17], 1, v[12:13]
	v_mul_lo_u32 v16, v68, s43
	v_mul_lo_u32 v44, v8, s86
	v_dual_add_nc_u32 v56, 8, v8 :: v_dual_add_nc_u32 v58, 8, v9
	v_dual_mov_b32 v59, v17 :: v_dual_add_nc_u32 v69, 12, v6
	v_mul_lo_u32 v4, v9, s87
	v_dual_mov_b32 v61, v17 :: v_dual_add_nc_u32 v64, 12, v9
	v_mul_lo_u32 v62, v62, s86
	v_mul_lo_u32 v54, v54, s85
	;; [unrolled: 1-line block ×5, first 2 shown]
	v_lshl_add_u64 v[66:67], v[16:17], 1, v[12:13]
	v_mul_lo_u32 v16, v69, s43
	v_mul_lo_u32 v64, v64, s87
	v_dual_mov_b32 v63, v17 :: v_dual_mov_b32 v65, v17
	v_dual_mov_b32 v51, v17 :: v_dual_mov_b32 v53, v17
	;; [unrolled: 1-line block ×3, first 2 shown]
	v_lshl_add_u64 v[44:45], v[44:45], 1, v[12:13]
	v_lshl_add_u64 v[4:5], v[4:5], 1, v[12:13]
	;; [unrolled: 1-line block ×9, first 2 shown]
	s_clause 0x8
	global_load_u16 v44, v[44:45], off
	global_load_u16 v68, v[4:5], off
	;; [unrolled: 1-line block ×9, first 2 shown]
	v_lshl_add_u64 v[4:5], v[16:17], 1, v[12:13]
	v_lshl_add_u64 v[64:65], v[64:65], 1, v[12:13]
	s_clause 0x4
	global_load_u16 v55, v[62:63], off
	global_load_u16 v48, v[48:49], off
	;; [unrolled: 1-line block ×5, first 2 shown]
	s_add_co_i32 s22, s22, 16
	s_delay_alu instid0(SALU_CYCLE_1) | instskip(SKIP_2) | instid1(VALU_DEP_3)
	v_dual_add_nc_u32 v41, -4, v41 :: v_dual_mov_b32 v43, s22
	v_dual_add_nc_u32 v9, 16, v9 :: v_dual_add_nc_u32 v8, 16, v8
	v_dual_add_nc_u32 v7, 16, v7 :: v_dual_add_nc_u32 v6, 16, v6
	v_cmp_eq_u32_e32 vcc_lo, 0, v41
	s_or_b32 s21, vcc_lo, s21
	s_wait_loadcnt 0xd
	v_perm_b32 v45, v44, v70, 0x5040100
	v_alignbit_b32 v44, v3, v40, 16
	s_wait_loadcnt 0xa
	v_perm_b32 v47, v47, v46, 0x5040100
	s_wait_loadcnt 0x7
	s_wait_xcnt 0x3
	v_perm_b32 v49, v52, v51, 0x5040100
	s_wait_loadcnt 0x3
	v_perm_b32 v46, v48, v68, 0x5040100
	v_perm_b32 v51, v55, v54, 0x5040100
	s_wait_loadcnt 0x2
	v_perm_b32 v48, v56, v50, 0x5040100
	s_wait_loadcnt 0x1
	;; [unrolled: 2-line block ×3, first 2 shown]
	v_perm_b32 v40, v16, v55, 0x5040100
	ds_store_b128 v42, v[44:47]
	ds_store_b128 v42, v[48:51] offset:16
	v_add_nc_u32_e32 v42, 32, v42
	s_wait_xcnt 0x0
	s_and_not1_b32 exec_lo, exec_lo, s21
	s_cbranch_execnz .LBB62_32
; %bb.33:                               ;   in Loop: Header=BB62_6 Depth=1
	s_or_b32 exec_lo, exec_lo, s21
.LBB62_34:                              ;   in Loop: Header=BB62_6 Depth=1
	s_delay_alu instid0(SALU_CYCLE_1)
	s_or_b32 exec_lo, exec_lo, s20
	s_and_saveexec_b32 s20, s9
	s_cbranch_execz .LBB62_38
; %bb.35:                               ;   in Loop: Header=BB62_6 Depth=1
	v_lshl_add_u32 v3, v43, 1, v22
	v_mov_b32_e32 v4, v28
	s_mov_b32 s21, 0
.LBB62_36:                              ;   Parent Loop BB62_6 Depth=1
                                        ; =>  This Inner Loop Header: Depth=2
	v_mul_lo_u32 v42, v7, s85
	v_mul_lo_u32 v44, v8, s86
	;; [unrolled: 1-line block ×4, first 2 shown]
	v_dual_mov_b32 v43, v17 :: v_dual_mov_b32 v45, v17
	v_dual_mov_b32 v47, v17 :: v_dual_add_nc_u32 v9, 4, v9
	v_dual_add_nc_u32 v4, -8, v4 :: v_dual_add_nc_u32 v6, 4, v6
	v_dual_add_nc_u32 v8, 4, v8 :: v_dual_add_nc_u32 v7, 4, v7
	s_delay_alu instid0(VALU_DEP_4)
	v_lshl_add_u64 v[42:43], v[42:43], 1, v[12:13]
	v_lshl_add_u64 v[44:45], v[44:45], 1, v[12:13]
	;; [unrolled: 1-line block ×4, first 2 shown]
	s_clause 0x3
	global_load_u16 v5, v[42:43], off
	global_load_u16 v42, v[44:45], off
	;; [unrolled: 1-line block ×4, first 2 shown]
	v_cmp_eq_u32_e32 vcc_lo, 0, v4
	s_or_b32 s21, vcc_lo, s21
	s_wait_loadcnt 0x2
	v_perm_b32 v41, v42, v5, 0x5040100
	s_wait_loadcnt 0x1
	v_alignbit_b32 v40, v43, v40, 16
	s_wait_loadcnt 0x0
	v_perm_b32 v5, v16, v42, 0x5040100
	ds_store_b64 v3, v[40:41]
	v_dual_mov_b32 v40, v5 :: v_dual_add_nc_u32 v3, 8, v3
	s_and_not1_b32 exec_lo, exec_lo, s21
	s_cbranch_execnz .LBB62_36
; %bb.37:                               ;   in Loop: Header=BB62_6 Depth=1
	s_or_b32 exec_lo, exec_lo, s21
.LBB62_38:                              ;   in Loop: Header=BB62_6 Depth=1
	s_delay_alu instid0(SALU_CYCLE_1) | instskip(SKIP_2) | instid1(VALU_DEP_1)
	s_or_b32 exec_lo, exec_lo, s20
	v_dual_mov_b32 v3, v25 :: v_dual_add_nc_u32 v2, v2, v19
	s_or_not1_b32 s20, s10, exec_lo
	v_add_nc_u32_e32 v4, -1, v2
.LBB62_39:                              ;   in Loop: Header=BB62_6 Depth=1
	s_or_b32 exec_lo, exec_lo, s14
	s_wait_loadcnt 0x0
	v_dual_mov_b32 v5, s18 :: v_dual_mov_b32 v6, v16
	s_and_b32 s14, s20, exec_lo
	s_and_not1_saveexec_b32 s19, s19
	s_cbranch_execz .LBB62_25
.LBB62_40:                              ;   in Loop: Header=BB62_6 Depth=1
	s_wait_loadcnt 0x0
	v_dual_mov_b32 v5, s18 :: v_dual_mov_b32 v6, v16
	v_mov_b32_e32 v3, v0
	s_or_b32 s14, s14, exec_lo
	s_or_b32 exec_lo, exec_lo, s19
	s_and_saveexec_b32 s18, s14
	s_cbranch_execz .LBB62_44
.LBB62_41:                              ;   in Loop: Header=BB62_6 Depth=1
	v_mul_lo_u32 v4, s43, v2
	s_mov_b32 s19, 0
	s_sub_co_i32 s14, 0, s17
.LBB62_42:                              ;   Parent Loop BB62_6 Depth=1
                                        ; =>  This Inner Loop Header: Depth=2
	v_readfirstlane_b32 s20, v12
	v_readfirstlane_b32 s21, v13
	v_dual_mov_b32 v7, v2 :: v_dual_lshlrev_b32 v3, 1, v3
	s_wait_loadcnt 0x0
	global_load_u16 v16, v4, s[20:21] scale_offset
	s_wait_xcnt 0x0
	v_dual_add_nc_u32 v2, s17, v7 :: v_dual_add_nc_u32 v4, v4, v5
	ds_store_b16 v3, v6
	v_mov_b32_e32 v3, v7
	v_cmp_le_u32_e32 vcc_lo, s36, v2
	s_or_b32 s19, vcc_lo, s19
	s_wait_loadcnt 0x0
	v_mov_b32_e32 v6, v16
	s_and_not1_b32 exec_lo, exec_lo, s19
	s_cbranch_execnz .LBB62_42
; %bb.43:                               ;   in Loop: Header=BB62_6 Depth=1
	s_or_b32 exec_lo, exec_lo, s19
	v_add_nc_u32_e32 v4, s14, v2
.LBB62_44:                              ;   in Loop: Header=BB62_6 Depth=1
	s_or_b32 exec_lo, exec_lo, s18
.LBB62_45:                              ;   in Loop: Header=BB62_6 Depth=1
	s_delay_alu instid0(SALU_CYCLE_1) | instskip(NEXT) | instid1(VALU_DEP_1)
	s_or_b32 exec_lo, exec_lo, s16
	v_lshlrev_b32_e32 v2, 1, v4
	s_wait_loadcnt 0x0
	ds_store_b16 v2, v16
.LBB62_46:                              ;   in Loop: Header=BB62_6 Depth=1
	s_or_b32 exec_lo, exec_lo, s15
	s_wait_dscnt 0x0
	s_barrier_signal -1
	s_barrier_wait -1
	s_and_saveexec_b32 s14, s5
; %bb.47:                               ;   in Loop: Header=BB62_6 Depth=1
	v_mov_b32_e32 v2, s36
	ds_store_b32 v17, v2 offset:4096
; %bb.48:                               ;   in Loop: Header=BB62_6 Depth=1
	s_or_b32 exec_lo, exec_lo, s14
	s_mov_b32 s14, -1
	s_wait_dscnt 0x0
	s_barrier_signal -1
	s_barrier_wait -1
.LBB62_49:                              ;   in Loop: Header=BB62_6 Depth=1
	s_and_b32 vcc_lo, exec_lo, s14
	s_mov_b32 s38, 0
	s_cbranch_vccz .LBB62_51
; %bb.50:                               ;   in Loop: Header=BB62_6 Depth=1
	ds_load_b32 v2, v17 offset:4096
	s_wait_dscnt 0x0
	v_readfirstlane_b32 s38, v2
.LBB62_51:                              ;   in Loop: Header=BB62_6 Depth=1
	s_delay_alu instid0(VALU_DEP_1)
	s_cmp_lt_i32 s38, 1
	s_mov_b32 s14, -1
                                        ; implicit-def: $vgpr4_vgpr5
	s_cbranch_scc1 .LBB62_64
; %bb.52:                               ;   in Loop: Header=BB62_6 Depth=1
	s_and_b32 vcc_lo, exec_lo, s14
	s_cbranch_vccnz .LBB62_75
.LBB62_53:                              ;   in Loop: Header=BB62_6 Depth=1
	s_lshl_b32 s16, s96, 7
	s_and_saveexec_b32 s14, s2
.LBB62_54:                              ;   in Loop: Header=BB62_6 Depth=1
	v_lshl_add_u32 v6, s16, 2, v24
	ds_store_b128 v6, v[2:5]
.LBB62_55:                              ;   in Loop: Header=BB62_6 Depth=1
	s_or_b32 exec_lo, exec_lo, s14
	s_wait_dscnt 0x0
	s_barrier_signal -1
	s_barrier_wait -1
	s_and_saveexec_b32 s17, s60
	s_cbranch_execz .LBB62_88
; %bb.56:                               ;   in Loop: Header=BB62_6 Depth=1
	v_dual_add_nc_u32 v4, s16, v11 :: v_dual_mov_b32 v2, 0
	s_and_not1_b32 vcc_lo, exec_lo, s75
	s_cbranch_vccnz .LBB62_87
; %bb.57:                               ;   in Loop: Header=BB62_6 Depth=1
	s_and_not1_b32 vcc_lo, exec_lo, s78
	s_cbranch_vccnz .LBB62_84
; %bb.58:                               ;   in Loop: Header=BB62_6 Depth=1
	v_lshl_add_u32 v5, v4, 2, 0xc00
	s_and_not1_b32 vcc_lo, exec_lo, s81
	s_cbranch_vccnz .LBB62_112
; %bb.59:                               ;   in Loop: Header=BB62_6 Depth=1
	v_dual_mov_b32 v2, 0 :: v_dual_mov_b32 v3, 0
	s_mov_b32 s15, 1
	s_mov_b32 s14, 0
	s_mov_b32 s18, s82
.LBB62_60:                              ;   Parent Loop BB62_6 Depth=1
                                        ; =>  This Inner Loop Header: Depth=2
	v_lshl_add_u32 v16, s15, 4, v5
	v_lshl_add_u32 v50, s14, 4, v5
	s_add_co_i32 s18, s18, -8
	s_add_co_i32 s15, s15, 16
	s_add_co_i32 s14, s14, 16
	ds_load_2addr_b32 v[6:7], v16 offset1:8
	ds_load_2addr_b32 v[8:9], v50 offset1:8
	ds_load_2addr_b32 v[40:41], v16 offset0:16 offset1:24
	ds_load_2addr_b32 v[42:43], v50 offset0:16 offset1:24
	;; [unrolled: 1-line block ×6, first 2 shown]
	s_cmp_lg_u32 s18, 0
	s_wait_dscnt 0x7
	v_add3_u32 v3, v6, v3, v7
	s_wait_dscnt 0x6
	v_add3_u32 v2, v8, v2, v9
	s_wait_dscnt 0x5
	s_delay_alu instid0(VALU_DEP_2) | instskip(SKIP_1) | instid1(VALU_DEP_2)
	v_add3_u32 v3, v40, v3, v41
	s_wait_dscnt 0x4
	v_add3_u32 v2, v42, v2, v43
	s_wait_dscnt 0x3
	s_delay_alu instid0(VALU_DEP_2) | instskip(SKIP_1) | instid1(VALU_DEP_2)
	;; [unrolled: 5-line block ×3, first 2 shown]
	v_add3_u32 v3, v48, v3, v49
	s_wait_dscnt 0x0
	v_add3_u32 v2, v50, v2, v51
	s_cbranch_scc1 .LBB62_60
; %bb.61:                               ;   in Loop: Header=BB62_6 Depth=1
	s_and_not1_b32 vcc_lo, exec_lo, s83
	s_mov_b32 s18, s80
	s_cbranch_vccnz .LBB62_63
.LBB62_62:                              ;   Parent Loop BB62_6 Depth=1
                                        ; =>  This Inner Loop Header: Depth=2
	v_lshl_add_u32 v6, s15, 4, v5
	v_lshl_add_u32 v7, s14, 4, v5
	s_add_co_i32 s18, s18, -1
	s_add_co_i32 s15, s15, 2
	s_add_co_i32 s14, s14, 2
	ds_load_b32 v6, v6
	ds_load_b32 v7, v7
	s_cmp_lg_u32 s18, 0
	s_wait_dscnt 0x0
	v_dual_add_nc_u32 v3, v6, v3 :: v_dual_add_nc_u32 v2, v7, v2
	s_cbranch_scc1 .LBB62_62
.LBB62_63:                              ;   in Loop: Header=BB62_6 Depth=1
	s_delay_alu instid0(VALU_DEP_1) | instskip(SKIP_2) | instid1(SALU_CYCLE_1)
	v_add_nc_u32_e32 v2, v2, v3
	s_mov_b32 s14, s79
	s_mov_b32 s15, s84
	s_and_b32 vcc_lo, exec_lo, s15
	s_cbranch_vccnz .LBB62_85
	s_branch .LBB62_87
.LBB62_64:                              ;   in Loop: Header=BB62_6 Depth=1
	v_mov_b64_e32 v[4:5], 0
	v_mov_b64_e32 v[2:3], 0
	s_and_saveexec_b32 s44, s11
	s_cbranch_execz .LBB62_68
; %bb.65:                               ;   in Loop: Header=BB62_6 Depth=1
	v_mov_b32_e32 v6, v1
	s_mov_b32 s45, 0
	s_mov_b32 s46, 0
	s_mov_b32 s68, 0
	s_mov_b32 s69, s45
	s_mov_b32 s70, 0
	s_mov_b32 s71, s45
.LBB62_66:                              ;   Parent Loop BB62_6 Depth=1
                                        ; =>  This Inner Loop Header: Depth=2
	v_dual_add_nc_u32 v2, s46, v33 :: v_dual_add_nc_u32 v3, s46, v30
	v_readfirstlane_b32 s14, v12
	v_readfirstlane_b32 s15, v13
	v_dual_add_nc_u32 v4, s46, v31 :: v_dual_add_nc_u32 v5, s46, v32
	s_clause 0x3
	global_load_i16 v2, v2, s[14:15] scale_offset
	global_load_i16 v3, v3, s[14:15] scale_offset
	;; [unrolled: 1-line block ×4, first 2 shown]
	s_add_co_i32 s46, s46, s90
	s_wait_loadcnt 0x3
	s_wait_xcnt 0x3
	v_add_nc_u32_e32 v2, 0x8000, v2
	s_wait_loadcnt 0x2
	s_wait_xcnt 0x2
	v_add_nc_u32_e32 v3, 0x8000, v3
	;; [unrolled: 3-line block ×3, first 2 shown]
	v_add_nc_u32_e32 v6, s73, v6
	s_wait_loadcnt 0x0
	v_add_nc_u32_e32 v5, 0x8000, v5
	v_and_b32_e32 v7, v2, v37
	v_bfe_u32 v2, v2, s93, 2
	v_and_b32_e32 v8, v3, v37
	v_bfe_u32 v3, v3, s93, 2
	;; [unrolled: 2-line block ×3, first 2 shown]
	v_cmp_eq_u32_e64 s14, v7, v29
	v_cmp_eq_u32_e64 s18, 0, v2
	v_and_b32_e32 v16, v5, v37
	v_bfe_u32 v5, v5, s93, 2
	v_cmp_eq_u32_e64 s15, v8, v29
	v_cmp_eq_u32_e64 s19, 0, v3
	;; [unrolled: 1-line block ×4, first 2 shown]
	s_and_b32 s18, s14, s18
	v_cmp_eq_u32_e64 s17, v16, v29
	v_cmp_eq_u32_e64 s21, 0, v5
	;; [unrolled: 1-line block ×5, first 2 shown]
	v_cndmask_b32_e64 v2, 0, 1, s18
	s_and_b32 s18, s15, s19
	v_cmp_eq_u32_e64 s23, 1, v3
	v_cmp_eq_u32_e64 s27, 2, v3
	v_cmp_eq_u32_e64 s31, 3, v3
	v_cndmask_b32_e64 v3, 0, 1, s18
	s_and_b32 s18, s16, s20
	v_cmp_eq_u32_e64 s24, 1, v4
	v_cmp_eq_u32_e64 s28, 2, v4
	v_cmp_eq_u32_e64 s33, 3, v4
	;; [unrolled: 5-line block ×3, first 2 shown]
	v_cndmask_b32_e64 v5, 0, 1, s18
	s_and_b32 s18, s14, s22
	v_cmp_le_u32_e32 vcc_lo, s88, v6
	v_cndmask_b32_e64 v7, 0, 1, s18
	s_and_b32 s18, s15, s23
	s_delay_alu instid0(SALU_CYCLE_1) | instskip(SKIP_1) | instid1(SALU_CYCLE_1)
	v_cndmask_b32_e64 v8, 0, 1, s18
	s_and_b32 s18, s16, s24
	v_cndmask_b32_e64 v9, 0, 1, s18
	s_and_b32 s18, s17, s25
	s_delay_alu instid0(VALU_DEP_2)
	v_cmp_ne_u32_e64 s19, 0, v8
	v_cndmask_b32_e64 v16, 0, 1, s18
	s_and_b32 s18, s14, s26
	s_and_b32 s14, s14, s30
	v_cndmask_b32_e64 v40, 0, 1, s18
	s_and_b32 s18, s15, s27
	v_cndmask_b32_e64 v44, 0, 1, s14
	;; [unrolled: 2-line block ×7, first 2 shown]
	v_cndmask_b32_e64 v47, 0, 1, s14
	v_cmp_ne_u32_e64 s14, 0, v2
	v_cmp_ne_u32_e64 s18, 0, v7
	;; [unrolled: 1-line block ×11, first 2 shown]
	s_bcnt1_i32_b32 s14, s14
	s_bcnt1_i32_b32 s18, s18
	;; [unrolled: 1-line block ×4, first 2 shown]
	v_cmp_ne_u32_e64 s17, 0, v5
	v_cmp_ne_u32_e64 s21, 0, v16
	v_cmp_ne_u32_e64 s25, 0, v43
	v_cmp_ne_u32_e64 s29, 0, v47
	s_bcnt1_i32_b32 s15, s15
	s_bcnt1_i32_b32 s19, s19
	s_bcnt1_i32_b32 s23, s23
	s_bcnt1_i32_b32 s27, s27
	s_add_co_i32 s14, s14, s68
	s_add_co_i32 s18, s18, s69
	s_add_co_i32 s22, s22, s70
	s_add_co_i32 s26, s26, s71
	s_bcnt1_i32_b32 s16, s16
	s_bcnt1_i32_b32 s20, s20
	s_bcnt1_i32_b32 s24, s24
	s_bcnt1_i32_b32 s28, s28
	s_add_co_i32 s18, s18, s19
	s_add_co_i32 s14, s14, s15
	s_add_co_i32 s15, s26, s27
	s_add_co_i32 s19, s22, s23
	;; [unrolled: 8-line block ×3, first 2 shown]
	s_add_co_i32 s69, s16, s21
	s_add_co_i32 s68, s14, s17
	;; [unrolled: 1-line block ×4, first 2 shown]
	v_mov_b64_e32 v[2:3], s[68:69]
	v_mov_b64_e32 v[4:5], s[70:71]
	s_or_b32 s45, vcc_lo, s45
	s_delay_alu instid0(SALU_CYCLE_1)
	s_and_not1_b32 exec_lo, exec_lo, s45
	s_cbranch_execnz .LBB62_66
; %bb.67:                               ;   in Loop: Header=BB62_6 Depth=1
	s_or_b32 exec_lo, exec_lo, s45
.LBB62_68:                              ;   in Loop: Header=BB62_6 Depth=1
	s_delay_alu instid0(SALU_CYCLE_1)
	s_or_b32 exec_lo, exec_lo, s44
	s_and_saveexec_b32 s18, s12
	s_cbranch_execz .LBB62_74
; %bb.69:                               ;   in Loop: Header=BB62_6 Depth=1
	global_load_u16 v9, v[20:21], off
	v_dual_mov_b32 v6, v34 :: v_dual_mov_b32 v7, v26
	s_mov_b32 s19, 0
	s_branch .LBB62_71
.LBB62_70:                              ;   in Loop: Header=BB62_71 Depth=2
	s_wait_xcnt 0x0
	s_or_b32 exec_lo, exec_lo, s15
	s_wait_loadcnt 0x0
	v_bfe_i32 v9, v9, 0, 16
	s_and_b32 s15, exec_lo, vcc_lo
	v_add_nc_u32_e32 v6, s51, v6
	s_or_b32 s19, s15, s19
	s_delay_alu instid0(VALU_DEP_2) | instskip(NEXT) | instid1(VALU_DEP_1)
	v_add_nc_u32_e32 v9, 0x8000, v9
	v_and_b32_e32 v16, v9, v37
	v_bfe_u32 v9, v9, s93, 2
	s_delay_alu instid0(VALU_DEP_2) | instskip(NEXT) | instid1(VALU_DEP_2)
	v_cmp_eq_u32_e32 vcc_lo, v16, v29
	v_cmp_eq_u32_e64 s14, 0, v9
	v_cmp_eq_u32_e64 s15, 1, v9
	;; [unrolled: 1-line block ×4, first 2 shown]
	s_and_b32 s14, vcc_lo, s14
	s_delay_alu instid0(SALU_CYCLE_1) | instskip(SKIP_1) | instid1(SALU_CYCLE_1)
	v_cndmask_b32_e64 v9, 0, 1, s14
	s_and_b32 s14, vcc_lo, s15
	v_cndmask_b32_e64 v16, 0, 1, s14
	s_and_b32 s14, vcc_lo, s16
	s_delay_alu instid0(SALU_CYCLE_1)
	v_cndmask_b32_e64 v40, 0, 1, s14
	s_and_b32 s14, vcc_lo, s17
	v_cmp_ne_u32_e32 vcc_lo, 0, v9
	v_cndmask_b32_e64 v41, 0, 1, s14
	v_cmp_ne_u32_e64 s14, 0, v16
	v_cmp_ne_u32_e64 s15, 0, v40
	v_mov_b32_e32 v9, v8
	s_bcnt1_i32_b32 s17, vcc_lo
	v_cmp_ne_u32_e64 s16, 0, v41
	s_bcnt1_i32_b32 s14, s14
	s_bcnt1_i32_b32 s15, s15
	v_dual_add_nc_u32 v3, s14, v3 :: v_dual_add_nc_u32 v2, s17, v2
	s_bcnt1_i32_b32 s16, s16
	s_delay_alu instid0(SALU_CYCLE_1)
	v_dual_add_nc_u32 v4, s15, v4 :: v_dual_add_nc_u32 v5, s16, v5
	s_and_not1_b32 exec_lo, exec_lo, s19
	s_cbranch_execz .LBB62_73
.LBB62_71:                              ;   Parent Loop BB62_6 Depth=1
                                        ; =>  This Inner Loop Header: Depth=2
	s_delay_alu instid0(VALU_DEP_1) | instskip(SKIP_1) | instid1(VALU_DEP_1)
	v_dual_mov_b32 v8, 0 :: v_dual_add_nc_u32 v7, s47, v7
	s_mov_b32 s15, exec_lo
	v_cmp_le_u32_e32 vcc_lo, s36, v7
	s_wait_xcnt 0x0
	v_cmpx_gt_u32_e64 s36, v7
	s_cbranch_execz .LBB62_70
; %bb.72:                               ;   in Loop: Header=BB62_71 Depth=2
	v_readfirstlane_b32 s16, v12
	v_readfirstlane_b32 s17, v13
	global_load_u16 v8, v6, s[16:17] scale_offset
	s_branch .LBB62_70
.LBB62_73:                              ;   in Loop: Header=BB62_6 Depth=1
	s_or_b32 exec_lo, exec_lo, s19
.LBB62_74:                              ;   in Loop: Header=BB62_6 Depth=1
	s_delay_alu instid0(SALU_CYCLE_1)
	s_or_b32 exec_lo, exec_lo, s18
	s_branch .LBB62_53
.LBB62_75:                              ;   in Loop: Header=BB62_6 Depth=1
	s_mul_u64 s[14:15], s[38:39], s[62:63]
	v_mov_b64_e32 v[4:5], 0
	s_mul_i32 s14, s15, s73
	v_mov_b64_e32 v[2:3], 0
	s_sub_co_i32 s14, s38, s14
	s_mov_b32 s45, exec_lo
	s_sub_co_i32 s15, s14, s73
	s_cmp_ge_u32 s14, s73
	s_cselect_b32 s14, s15, s14
	s_delay_alu instid0(SALU_CYCLE_1) | instskip(SKIP_2) | instid1(SALU_CYCLE_1)
	s_sub_co_i32 s15, s14, s73
	s_cmp_ge_u32 s14, s73
	s_cselect_b32 s14, s15, s14
	s_sub_co_i32 s44, s38, s14
	s_delay_alu instid0(SALU_CYCLE_1)
	v_cmpx_gt_u32_e64 s44, v1
	s_cbranch_execz .LBB62_79
; %bb.76:                               ;   in Loop: Header=BB62_6 Depth=1
	v_dual_mov_b32 v6, v35 :: v_dual_mov_b32 v7, v1
	s_mov_b32 s46, 0
	s_mov_b32 s68, 0
	;; [unrolled: 1-line block ×5, first 2 shown]
.LBB62_77:                              ;   Parent Loop BB62_6 Depth=1
                                        ; =>  This Inner Loop Header: Depth=2
	ds_load_b64 v[2:3], v6
	v_dual_add_nc_u32 v7, s73, v7 :: v_dual_add_nc_u32 v6, s91, v6
	s_delay_alu instid0(VALU_DEP_1)
	v_cmp_le_u32_e32 vcc_lo, s44, v7
	s_wait_dscnt 0x0
	v_bfe_i32 v4, v2, 0, 16
	v_ashrrev_i32_e32 v2, 16, v2
	v_bfe_i32 v5, v3, 0, 16
	v_ashrrev_i32_e32 v3, 16, v3
	s_delay_alu instid0(VALU_DEP_4) | instskip(NEXT) | instid1(VALU_DEP_4)
	v_add_nc_u32_e32 v4, 0x8000, v4
	v_add_nc_u32_e32 v2, 0x8000, v2
	s_delay_alu instid0(VALU_DEP_4) | instskip(NEXT) | instid1(VALU_DEP_4)
	v_add_nc_u32_e32 v5, 0x8000, v5
	v_add_nc_u32_e32 v3, 0x8000, v3
	s_delay_alu instid0(VALU_DEP_4)
	v_and_b32_e32 v8, v4, v37
	v_bfe_u32 v4, v4, s93, 2
	v_and_b32_e32 v9, v2, v37
	v_bfe_u32 v2, v2, s93, 2
	;; [unrolled: 2-line block ×3, first 2 shown]
	v_cmp_eq_u32_e64 s14, v8, v29
	v_cmp_eq_u32_e64 s18, 0, v4
	v_and_b32_e32 v40, v3, v37
	v_bfe_u32 v3, v3, s93, 2
	v_cmp_eq_u32_e64 s15, v9, v29
	v_cmp_eq_u32_e64 s19, 0, v2
	;; [unrolled: 1-line block ×4, first 2 shown]
	s_and_b32 s18, s14, s18
	v_cmp_eq_u32_e64 s17, v40, v29
	v_cmp_eq_u32_e64 s21, 0, v3
	;; [unrolled: 1-line block ×5, first 2 shown]
	v_cndmask_b32_e64 v2, 0, 1, s18
	s_and_b32 s18, s15, s19
	v_cmp_eq_u32_e64 s22, 1, v4
	v_cmp_eq_u32_e64 s25, 1, v3
	;; [unrolled: 1-line block ×4, first 2 shown]
	v_cndmask_b32_e64 v3, 0, 1, s18
	s_and_b32 s18, s16, s20
	v_cmp_eq_u32_e64 s26, 2, v4
	v_cmp_eq_u32_e64 s30, 3, v4
	v_cndmask_b32_e64 v4, 0, 1, s18
	s_and_b32 s18, s17, s21
	v_cmp_eq_u32_e64 s24, 1, v5
	v_cmp_eq_u32_e64 s28, 2, v5
	;; [unrolled: 1-line block ×3, first 2 shown]
	v_cndmask_b32_e64 v5, 0, 1, s18
	s_and_b32 s18, s14, s22
	s_delay_alu instid0(SALU_CYCLE_1) | instskip(SKIP_1) | instid1(SALU_CYCLE_1)
	v_cndmask_b32_e64 v8, 0, 1, s18
	s_and_b32 s18, s15, s23
	v_cndmask_b32_e64 v9, 0, 1, s18
	s_and_b32 s18, s16, s24
	s_delay_alu instid0(SALU_CYCLE_1) | instskip(SKIP_1) | instid1(VALU_DEP_2)
	v_cndmask_b32_e64 v16, 0, 1, s18
	s_and_b32 s18, s17, s25
	v_cmp_ne_u32_e64 s19, 0, v9
	v_cndmask_b32_e64 v40, 0, 1, s18
	s_and_b32 s18, s14, s26
	s_and_b32 s14, s14, s30
	v_cndmask_b32_e64 v41, 0, 1, s18
	s_and_b32 s18, s15, s27
	v_cndmask_b32_e64 v45, 0, 1, s14
	;; [unrolled: 2-line block ×7, first 2 shown]
	v_cndmask_b32_e64 v48, 0, 1, s14
	v_cmp_ne_u32_e64 s14, 0, v2
	v_cmp_ne_u32_e64 s18, 0, v8
	;; [unrolled: 1-line block ×11, first 2 shown]
	s_bcnt1_i32_b32 s14, s14
	s_bcnt1_i32_b32 s18, s18
	;; [unrolled: 1-line block ×4, first 2 shown]
	v_cmp_ne_u32_e64 s17, 0, v5
	v_cmp_ne_u32_e64 s21, 0, v40
	;; [unrolled: 1-line block ×4, first 2 shown]
	s_bcnt1_i32_b32 s15, s15
	s_bcnt1_i32_b32 s19, s19
	s_bcnt1_i32_b32 s23, s23
	s_bcnt1_i32_b32 s27, s27
	s_add_co_i32 s14, s14, s68
	s_add_co_i32 s18, s18, s69
	s_add_co_i32 s22, s22, s70
	s_add_co_i32 s26, s26, s71
	s_bcnt1_i32_b32 s16, s16
	s_bcnt1_i32_b32 s20, s20
	s_bcnt1_i32_b32 s24, s24
	s_bcnt1_i32_b32 s28, s28
	s_add_co_i32 s18, s18, s19
	s_add_co_i32 s14, s14, s15
	s_add_co_i32 s15, s26, s27
	s_add_co_i32 s19, s22, s23
	s_bcnt1_i32_b32 s17, s17
	s_bcnt1_i32_b32 s21, s21
	s_bcnt1_i32_b32 s25, s25
	s_bcnt1_i32_b32 s29, s29
	s_add_co_i32 s14, s14, s16
	s_add_co_i32 s16, s18, s20
	s_add_co_i32 s18, s19, s24
	s_add_co_i32 s15, s15, s28
	s_add_co_i32 s69, s16, s21
	s_add_co_i32 s68, s14, s17
	;; [unrolled: 1-line block ×4, first 2 shown]
	v_mov_b64_e32 v[2:3], s[68:69]
	v_mov_b64_e32 v[4:5], s[70:71]
	s_or_b32 s46, vcc_lo, s46
	s_delay_alu instid0(SALU_CYCLE_1)
	s_and_not1_b32 exec_lo, exec_lo, s46
	s_cbranch_execnz .LBB62_77
; %bb.78:                               ;   in Loop: Header=BB62_6 Depth=1
	s_or_b32 exec_lo, exec_lo, s46
.LBB62_79:                              ;   in Loop: Header=BB62_6 Depth=1
	s_delay_alu instid0(SALU_CYCLE_1) | instskip(SKIP_2) | instid1(VALU_DEP_1)
	s_or_b32 exec_lo, exec_lo, s45
	v_add_nc_u32_e32 v6, s44, v0
	s_mov_b32 s19, exec_lo
	v_cmpx_gt_u32_e64 s38, v6
	s_cbranch_execz .LBB62_83
; %bb.80:                               ;   in Loop: Header=BB62_6 Depth=1
	v_lshlrev_b32_e32 v7, 1, v6
	s_mov_b32 s20, 0
.LBB62_81:                              ;   Parent Loop BB62_6 Depth=1
                                        ; =>  This Inner Loop Header: Depth=2
	ds_load_i16 v8, v7
	v_dual_add_nc_u32 v6, s47, v6 :: v_dual_add_nc_u32 v7, s92, v7
	s_delay_alu instid0(VALU_DEP_1) | instskip(SKIP_2) | instid1(VALU_DEP_1)
	v_cmp_le_u32_e32 vcc_lo, s38, v6
	s_wait_dscnt 0x0
	v_add_nc_u32_e32 v8, 0x8000, v8
	v_and_b32_e32 v9, v8, v37
	v_bfe_u32 v8, v8, s93, 2
	s_delay_alu instid0(VALU_DEP_2) | instskip(NEXT) | instid1(VALU_DEP_2)
	v_cmp_eq_u32_e64 s14, v9, v29
	v_cmp_eq_u32_e64 s15, 0, v8
	;; [unrolled: 1-line block ×5, first 2 shown]
	s_and_b32 s15, s14, s15
	s_delay_alu instid0(SALU_CYCLE_1) | instskip(SKIP_1) | instid1(SALU_CYCLE_1)
	v_cndmask_b32_e64 v8, 0, 1, s15
	s_and_b32 s15, s14, s16
	v_cndmask_b32_e64 v9, 0, 1, s15
	s_and_b32 s15, s14, s17
	s_and_b32 s14, s14, s18
	v_cndmask_b32_e64 v16, 0, 1, s15
	v_cndmask_b32_e64 v40, 0, 1, s14
	v_cmp_ne_u32_e64 s14, 0, v8
	v_cmp_ne_u32_e64 s15, 0, v9
	s_delay_alu instid0(VALU_DEP_4) | instskip(NEXT) | instid1(VALU_DEP_4)
	v_cmp_ne_u32_e64 s16, 0, v16
	v_cmp_ne_u32_e64 s17, 0, v40
	s_bcnt1_i32_b32 s14, s14
	s_bcnt1_i32_b32 s15, s15
	;; [unrolled: 1-line block ×4, first 2 shown]
	v_dual_add_nc_u32 v3, s15, v3 :: v_dual_add_nc_u32 v2, s14, v2
	v_dual_add_nc_u32 v5, s17, v5 :: v_dual_add_nc_u32 v4, s16, v4
	s_or_b32 s20, vcc_lo, s20
	s_delay_alu instid0(SALU_CYCLE_1)
	s_and_not1_b32 exec_lo, exec_lo, s20
	s_cbranch_execnz .LBB62_81
; %bb.82:                               ;   in Loop: Header=BB62_6 Depth=1
	s_or_b32 exec_lo, exec_lo, s20
.LBB62_83:                              ;   in Loop: Header=BB62_6 Depth=1
	s_delay_alu instid0(SALU_CYCLE_1)
	s_or_b32 exec_lo, exec_lo, s19
	s_lshl_b32 s16, s96, 7
	s_and_saveexec_b32 s14, s2
	s_cbranch_execnz .LBB62_54
	s_branch .LBB62_55
.LBB62_84:                              ;   in Loop: Header=BB62_6 Depth=1
	v_mov_b32_e32 v2, 0
	s_mov_b32 s14, 0
	s_cbranch_execz .LBB62_87
.LBB62_85:                              ;   in Loop: Header=BB62_6 Depth=1
	s_lshl_b32 s15, s96, 9
	s_lshl_b32 s18, s14, 4
	s_sub_co_i32 s14, s77, s14
	v_add3_u32 v3, s15, s18, v36
.LBB62_86:                              ;   Parent Loop BB62_6 Depth=1
                                        ; =>  This Inner Loop Header: Depth=2
	ds_load_b32 v5, v3
	v_add_nc_u32_e32 v3, 16, v3
	s_add_co_i32 s14, s14, -1
	s_delay_alu instid0(SALU_CYCLE_1)
	s_cmp_eq_u32 s14, 0
	s_wait_dscnt 0x0
	v_add_nc_u32_e32 v2, v5, v2
	s_cbranch_scc0 .LBB62_86
.LBB62_87:                              ;   in Loop: Header=BB62_6 Depth=1
	s_delay_alu instid0(VALU_DEP_1)
	v_lshlrev_b32_e32 v3, 2, v4
	ds_store_b32 v3, v2 offset:3072
.LBB62_88:                              ;   in Loop: Header=BB62_6 Depth=1
	s_or_b32 exec_lo, exec_lo, s17
	s_lshl_b32 s14, s16, 2
	s_wait_dscnt 0x0
	v_mov_b32_e32 v2, s14
	s_barrier_signal -1
	s_barrier_wait -1
	v_cmp_eq_u32_e64 s14, 1, v39
	ds_load_b128 v[2:5], v2 offset:3072
	s_lshl_b32 s18, 3, s93
	s_mov_b32 s26, -1
	s_not_b32 s19, s18
	s_mov_b32 s16, 0
	s_and_not1_b32 vcc_lo, exec_lo, s55
	s_mov_b32 s23, 0
	s_mov_b32 s15, 0
                                        ; implicit-def: $sgpr24
                                        ; implicit-def: $sgpr25
                                        ; implicit-def: $vgpr6
	s_wait_dscnt 0x0
	v_readfirstlane_b32 s17, v2
	v_readfirstlane_b32 s20, v3
	;; [unrolled: 1-line block ×4, first 2 shown]
                                        ; implicit-def: $vgpr5
                                        ; implicit-def: $vgpr2
                                        ; implicit-def: $vgpr3
                                        ; implicit-def: $vgpr4
	s_cbranch_vccnz .LBB62_247
; %bb.89:                               ;   in Loop: Header=BB62_6 Depth=1
	s_cmp_eq_u32 s17, 1
	v_dual_mov_b32 v3, v29 :: v_dual_mov_b32 v4, v37
	v_mov_b32_e32 v6, v38
	s_cselect_b32 s15, -1, 0
	s_mov_b32 s29, -1
	s_and_b32 s28, s15, s14
                                        ; implicit-def: $sgpr25
                                        ; implicit-def: $sgpr24
	s_delay_alu instid0(SALU_CYCLE_1)
	s_and_saveexec_b32 s15, s28
	s_cbranch_execz .LBB62_116
; %bb.90:                               ;   in Loop: Header=BB62_6 Depth=1
	ds_load_b32 v2, v17 offset:4096
	s_wait_dscnt 0x0
	s_barrier_signal -1
	s_barrier_wait -1
	v_readfirstlane_b32 s26, v2
	s_and_saveexec_b32 s23, s6
; %bb.91:                               ;   in Loop: Header=BB62_6 Depth=1
	ds_store_b16 v23, v17
; %bb.92:                               ;   in Loop: Header=BB62_6 Depth=1
	s_or_b32 exec_lo, exec_lo, s23
	v_and_b32_e32 v3, s19, v29
	v_or_b32_e32 v4, s18, v37
	s_mov_b32 s24, -1
	s_mov_b32 s25, 0
	s_cmp_eq_u32 s26, 0
	s_mov_b32 s23, 0
	s_mov_b32 s27, -1
	s_wait_dscnt 0x0
	s_barrier_signal -1
	s_barrier_wait -1
                                        ; implicit-def: $vgpr6
	s_cbranch_scc1 .LBB62_103
; %bb.93:                               ;   in Loop: Header=BB62_6 Depth=1
	s_add_co_i32 s38, s26, s76
	s_mov_b32 s29, exec_lo
	s_mul_u64 s[30:31], s[38:39], s[64:65]
                                        ; implicit-def: $vgpr6
	s_delay_alu instid0(SALU_CYCLE_1) | instskip(NEXT) | instid1(SALU_CYCLE_1)
	s_mul_i32 s23, s31, s47
	s_sub_co_i32 s23, s38, s23
	s_delay_alu instid0(SALU_CYCLE_1) | instskip(SKIP_2) | instid1(SALU_CYCLE_1)
	s_sub_co_i32 s27, s23, s47
	s_cmp_ge_u32 s23, s47
	s_cselect_b32 s23, s27, s23
	s_sub_co_i32 s27, s23, s47
	s_cmp_ge_u32 s23, s47
	s_cselect_b32 s23, s27, s23
	s_mov_b32 s27, 0
	s_sub_co_i32 s30, s38, s23
	s_mov_b32 s23, 0
	v_cmpx_gt_u32_e64 s30, v0
	s_cbranch_execz .LBB62_102
; %bb.94:                               ;   in Loop: Header=BB62_6 Depth=1
	v_dual_mov_b32 v2, v22 :: v_dual_mov_b32 v5, v0
                                        ; implicit-def: $sgpr31
	s_branch .LBB62_97
.LBB62_95:                              ;   in Loop: Header=BB62_97 Depth=2
	s_or_b32 exec_lo, exec_lo, s33
	s_wait_dscnt 0x0
	s_barrier_signal -1
	s_barrier_wait -1
	ds_load_b32 v6, v17 offset:3072
	s_mov_b32 s33, -1
	s_mov_b32 s34, -1
	s_wait_dscnt 0x0
	s_barrier_signal -1
	s_barrier_wait -1
	v_and_b32_e32 v7, 0xffff, v6
	s_delay_alu instid0(VALU_DEP_1)
	v_cmp_ne_u32_e32 vcc_lo, 0, v7
	s_cbranch_vccz .LBB62_100
.LBB62_96:                              ;   in Loop: Header=BB62_97 Depth=2
	s_and_b32 s33, exec_lo, s33
	s_delay_alu instid0(SALU_CYCLE_1) | instskip(SKIP_2) | instid1(SALU_CYCLE_1)
	s_or_b32 s23, s33, s23
	s_and_not1_b32 s31, s31, exec_lo
	s_and_b32 s33, s34, exec_lo
	s_or_b32 s31, s31, s33
	s_and_not1_b32 exec_lo, exec_lo, s23
	s_cbranch_execz .LBB62_101
.LBB62_97:                              ;   Parent Loop BB62_6 Depth=1
                                        ; =>  This Inner Loop Header: Depth=2
	s_mov_b32 s33, exec_lo
	s_delay_alu instid0(VALU_DEP_1)
	v_cmpx_gt_u32_e64 s26, v5
	s_cbranch_execz .LBB62_95
; %bb.98:                               ;   in Loop: Header=BB62_97 Depth=2
	ds_load_u16 v6, v2
	s_wait_dscnt 0x0
	v_bfe_i32 v7, v6, 0, 16
	s_delay_alu instid0(VALU_DEP_1) | instskip(NEXT) | instid1(VALU_DEP_1)
	v_add_nc_u32_e32 v7, 0x8000, v7
	v_and_b32_e32 v7, v7, v4
	s_delay_alu instid0(VALU_DEP_1)
	v_cmp_eq_u32_e32 vcc_lo, v7, v3
	s_and_b32 exec_lo, exec_lo, vcc_lo
	s_cbranch_execz .LBB62_95
; %bb.99:                               ;   in Loop: Header=BB62_97 Depth=2
	v_perm_b32 v6, v6, 1, 0x5040100
	ds_store_b32 v17, v6 offset:3072
	s_branch .LBB62_95
.LBB62_100:                             ;   in Loop: Header=BB62_97 Depth=2
	v_dual_add_nc_u32 v5, s47, v5 :: v_dual_add_nc_u32 v2, s92, v2
	s_mov_b32 s34, 0
	s_delay_alu instid0(VALU_DEP_1)
	v_cmp_le_u32_e32 vcc_lo, s30, v5
	s_or_not1_b32 s33, vcc_lo, exec_lo
	s_branch .LBB62_96
.LBB62_101:                             ;   in Loop: Header=BB62_6 Depth=1
	s_or_b32 exec_lo, exec_lo, s23
	v_lshrrev_b32_e32 v6, 16, v6
	s_and_b32 s23, s31, exec_lo
.LBB62_102:                             ;   in Loop: Header=BB62_6 Depth=1
	s_or_b32 exec_lo, exec_lo, s29
.LBB62_103:                             ;   in Loop: Header=BB62_6 Depth=1
	s_delay_alu instid0(SALU_CYCLE_1)
	s_and_b32 vcc_lo, exec_lo, s27
	s_cbranch_vccz .LBB62_115
; %bb.104:                              ;   in Loop: Header=BB62_6 Depth=1
                                        ; implicit-def: $vgpr6
	s_and_saveexec_b32 s24, s13
	s_cbranch_execz .LBB62_114
; %bb.105:                              ;   in Loop: Header=BB62_6 Depth=1
	v_dual_mov_b32 v2, v18 :: v_dual_mov_b32 v5, v0
	s_mov_b32 s25, 0
                                        ; implicit-def: $sgpr26
	s_branch .LBB62_108
.LBB62_106:                             ;   in Loop: Header=BB62_108 Depth=2
	s_or_b32 exec_lo, exec_lo, s27
	s_wait_dscnt 0x0
	s_barrier_signal -1
	s_barrier_wait -1
	ds_load_b32 v6, v17 offset:3072
	s_mov_b32 s27, -1
	s_mov_b32 s29, -1
	s_wait_dscnt 0x0
	s_barrier_signal -1
	s_barrier_wait -1
	v_and_b32_e32 v7, 0xffff, v6
	s_delay_alu instid0(VALU_DEP_1)
	v_cmp_ne_u32_e32 vcc_lo, 0, v7
	s_cbranch_vccz .LBB62_111
.LBB62_107:                             ;   in Loop: Header=BB62_108 Depth=2
	s_and_b32 s27, exec_lo, s27
	s_delay_alu instid0(SALU_CYCLE_1) | instskip(SKIP_2) | instid1(SALU_CYCLE_1)
	s_or_b32 s25, s27, s25
	s_and_not1_b32 s26, s26, exec_lo
	s_and_b32 s27, s29, exec_lo
	s_or_b32 s26, s26, s27
	s_and_not1_b32 exec_lo, exec_lo, s25
	s_cbranch_execz .LBB62_113
.LBB62_108:                             ;   Parent Loop BB62_6 Depth=1
                                        ; =>  This Inner Loop Header: Depth=2
	s_mov_b32 s27, exec_lo
	s_delay_alu instid0(VALU_DEP_1)
	v_cmpx_gt_u32_e64 s36, v5
	s_cbranch_execz .LBB62_106
; %bb.109:                              ;   in Loop: Header=BB62_108 Depth=2
	v_readfirstlane_b32 s30, v12
	v_readfirstlane_b32 s31, v13
	global_load_u16 v6, v2, s[30:31] scale_offset
	s_wait_loadcnt 0x0
	v_bfe_i32 v7, v6, 0, 16
	s_delay_alu instid0(VALU_DEP_1) | instskip(NEXT) | instid1(VALU_DEP_1)
	v_add_nc_u32_e32 v7, 0x8000, v7
	v_and_b32_e32 v7, v7, v4
	s_delay_alu instid0(VALU_DEP_1)
	v_cmp_eq_u32_e32 vcc_lo, v7, v3
	s_and_b32 exec_lo, exec_lo, vcc_lo
	s_cbranch_execz .LBB62_106
; %bb.110:                              ;   in Loop: Header=BB62_108 Depth=2
	v_perm_b32 v6, v6, 1, 0x5040100
	ds_store_b32 v17, v6 offset:3072
	s_branch .LBB62_106
.LBB62_111:                             ;   in Loop: Header=BB62_108 Depth=2
	v_dual_add_nc_u32 v5, s47, v5 :: v_dual_add_nc_u32 v2, s51, v2
	s_mov_b32 s29, 0
	s_delay_alu instid0(VALU_DEP_1)
	v_cmp_le_u32_e32 vcc_lo, s89, v5
	s_or_not1_b32 s27, vcc_lo, exec_lo
	s_branch .LBB62_107
.LBB62_112:                             ;   in Loop: Header=BB62_6 Depth=1
	s_mov_b64 s[14:15], 0x100000000
	v_mov_b64_e32 v[2:3], 0
	s_and_not1_b32 vcc_lo, exec_lo, s83
	s_mov_b32 s18, s80
	s_cbranch_vccz .LBB62_62
	s_branch .LBB62_63
.LBB62_113:                             ;   in Loop: Header=BB62_6 Depth=1
	s_or_b32 exec_lo, exec_lo, s25
	v_lshrrev_b32_e32 v6, 16, v6
	s_and_not1_b32 s23, s23, exec_lo
	s_and_b32 s25, s26, exec_lo
	s_delay_alu instid0(SALU_CYCLE_1)
	s_or_b32 s23, s23, s25
.LBB62_114:                             ;   in Loop: Header=BB62_6 Depth=1
	s_or_b32 exec_lo, exec_lo, s24
	s_mov_b32 s24, 0
	s_mov_b32 s25, -1
.LBB62_115:                             ;   in Loop: Header=BB62_6 Depth=1
	s_or_not1_b32 s29, s23, exec_lo
.LBB62_116:                             ;   in Loop: Header=BB62_6 Depth=1
	s_or_b32 exec_lo, exec_lo, s15
	s_mov_b32 s26, 0
	s_mov_b32 s23, 0
	;; [unrolled: 1-line block ×3, first 2 shown]
                                        ; implicit-def: $vgpr5
                                        ; implicit-def: $vgpr2
	s_and_saveexec_b32 s27, s29
	s_cbranch_execz .LBB62_246
; %bb.117:                              ;   in Loop: Header=BB62_6 Depth=1
	v_dual_mov_b32 v5, 1 :: v_dual_mov_b32 v2, 1
	s_xor_b32 s23, s28, -1
	s_mov_b32 s30, 0
	s_and_saveexec_b32 s15, s23
	s_cbranch_execz .LBB62_126
; %bb.118:                              ;   in Loop: Header=BB62_6 Depth=1
	s_mov_b32 s23, exec_lo
	v_cmpx_ge_u32_e64 s17, v39
	s_xor_b32 s23, exec_lo, s23
	s_cbranch_execz .LBB62_123
; %bb.119:                              ;   in Loop: Header=BB62_6 Depth=1
	ds_load_b32 v2, v17 offset:4096
	v_and_b32_e32 v3, s19, v3
	v_or_b32_e32 v4, s18, v4
	s_wait_dscnt 0x0
	v_cmp_ne_u32_e32 vcc_lo, 0, v2
	s_cbranch_vccnz .LBB62_123
; %bb.120:                              ;   in Loop: Header=BB62_6 Depth=1
	s_and_saveexec_b32 s28, s5
; %bb.121:                              ;   in Loop: Header=BB62_6 Depth=1
	v_mov_b32_e32 v2, s17
	ds_store_b32 v17, v2 offset:4100
; %bb.122:                              ;   in Loop: Header=BB62_6 Depth=1
	s_or_b32 exec_lo, exec_lo, s28
	s_wait_dscnt 0x0
	s_barrier_signal -1
	s_barrier_wait -1
.LBB62_123:                             ;   in Loop: Header=BB62_6 Depth=1
	s_or_saveexec_b32 s23, s23
	v_dual_mov_b32 v2, 8 :: v_dual_mov_b32 v5, v39
	s_mov_b32 s28, 0
	s_xor_b32 exec_lo, exec_lo, s23
; %bb.124:                              ;   in Loop: Header=BB62_6 Depth=1
	v_subrev_nc_u32_e32 v5, s17, v39
	v_mov_b32_e32 v2, 0
	s_mov_b32 s28, exec_lo
; %bb.125:                              ;   in Loop: Header=BB62_6 Depth=1
	s_or_b32 exec_lo, exec_lo, s23
	s_delay_alu instid0(SALU_CYCLE_1)
	s_and_b32 s30, s28, exec_lo
.LBB62_126:                             ;   in Loop: Header=BB62_6 Depth=1
	s_or_b32 exec_lo, exec_lo, s15
	s_mov_b32 s29, -1
                                        ; implicit-def: $sgpr23
                                        ; implicit-def: $sgpr28
	s_and_saveexec_b32 s15, s30
	s_delay_alu instid0(SALU_CYCLE_1)
	s_xor_b32 s15, exec_lo, s15
	s_cbranch_execz .LBB62_243
; %bb.127:                              ;   in Loop: Header=BB62_6 Depth=1
	v_cmp_eq_u32_e32 vcc_lo, 1, v5
	s_cmp_eq_u32 s20, 1
	s_mov_b32 s31, -1
	s_cselect_b32 s23, -1, 0
                                        ; implicit-def: $sgpr28
	s_delay_alu instid0(SALU_CYCLE_1) | instskip(NEXT) | instid1(SALU_CYCLE_1)
	s_and_b32 s30, s23, vcc_lo
                                        ; implicit-def: $sgpr23
	s_and_saveexec_b32 s29, s30
	s_cbranch_execz .LBB62_153
; %bb.128:                              ;   in Loop: Header=BB62_6 Depth=1
	ds_load_b32 v6, v17 offset:4096
	s_wait_dscnt 0x0
	s_barrier_signal -1
	s_barrier_wait -1
	v_readfirstlane_b32 s33, v6
	s_and_saveexec_b32 s23, s6
; %bb.129:                              ;   in Loop: Header=BB62_6 Depth=1
	ds_store_b16 v23, v17
; %bb.130:                              ;   in Loop: Header=BB62_6 Depth=1
	s_or_b32 exec_lo, exec_lo, s23
	s_lshl_b32 s23, 1, s93
	v_or_b32_e32 v4, s18, v4
	v_and_or_b32 v3, v3, s19, s23
	s_mov_b32 s23, -1
	s_mov_b32 s28, 0
	s_cmp_eq_u32 s33, 0
	s_mov_b32 s31, 0
	s_mov_b32 s34, -1
	s_wait_dscnt 0x0
	s_barrier_signal -1
	s_barrier_wait -1
                                        ; implicit-def: $vgpr6
	s_cbranch_scc1 .LBB62_141
; %bb.131:                              ;   in Loop: Header=BB62_6 Depth=1
	s_add_co_i32 s38, s33, s76
                                        ; implicit-def: $vgpr6
	s_delay_alu instid0(SALU_CYCLE_1) | instskip(NEXT) | instid1(SALU_CYCLE_1)
	s_mul_u64 s[40:41], s[38:39], s[64:65]
	s_mul_i32 s31, s41, s47
	s_delay_alu instid0(SALU_CYCLE_1) | instskip(NEXT) | instid1(SALU_CYCLE_1)
	s_sub_co_i32 s31, s38, s31
	s_sub_co_i32 s34, s31, s47
	s_cmp_ge_u32 s31, s47
	s_cselect_b32 s31, s34, s31
	s_delay_alu instid0(SALU_CYCLE_1)
	s_sub_co_i32 s34, s31, s47
	s_cmp_ge_u32 s31, s47
	s_cselect_b32 s31, s34, s31
	s_mov_b32 s34, 0
	s_sub_co_i32 s44, s38, s31
	s_mov_b32 s31, 0
	s_mov_b32 s38, exec_lo
	v_cmpx_gt_u32_e64 s44, v0
	s_cbranch_execz .LBB62_140
; %bb.132:                              ;   in Loop: Header=BB62_6 Depth=1
	v_dual_mov_b32 v6, v22 :: v_dual_mov_b32 v7, v0
                                        ; implicit-def: $sgpr45
	s_branch .LBB62_135
.LBB62_133:                             ;   in Loop: Header=BB62_135 Depth=2
	s_or_b32 exec_lo, exec_lo, s46
	s_wait_dscnt 0x0
	s_barrier_signal -1
	s_barrier_wait -1
	ds_load_b32 v8, v17 offset:3072
	s_mov_b32 s46, -1
	s_mov_b32 s56, -1
	s_wait_dscnt 0x0
	s_barrier_signal -1
	s_barrier_wait -1
	v_and_b32_e32 v9, 0xffff, v8
	s_delay_alu instid0(VALU_DEP_1)
	v_cmp_ne_u32_e32 vcc_lo, 0, v9
	s_cbranch_vccz .LBB62_138
.LBB62_134:                             ;   in Loop: Header=BB62_135 Depth=2
	s_and_b32 s40, exec_lo, s46
	s_delay_alu instid0(SALU_CYCLE_1) | instskip(SKIP_2) | instid1(SALU_CYCLE_1)
	s_or_b32 s31, s40, s31
	s_and_not1_b32 s40, s45, exec_lo
	s_and_b32 s41, s56, exec_lo
	s_or_b32 s45, s40, s41
	s_and_not1_b32 exec_lo, exec_lo, s31
	s_cbranch_execz .LBB62_139
.LBB62_135:                             ;   Parent Loop BB62_6 Depth=1
                                        ; =>  This Inner Loop Header: Depth=2
	s_mov_b32 s46, exec_lo
	s_delay_alu instid0(VALU_DEP_1)
	v_cmpx_gt_u32_e64 s33, v7
	s_cbranch_execz .LBB62_133
; %bb.136:                              ;   in Loop: Header=BB62_135 Depth=2
	ds_load_u16 v8, v6
	s_wait_dscnt 0x0
	v_bfe_i32 v9, v8, 0, 16
	s_delay_alu instid0(VALU_DEP_1) | instskip(NEXT) | instid1(VALU_DEP_1)
	v_add_nc_u32_e32 v9, 0x8000, v9
	v_and_b32_e32 v9, v9, v4
	s_delay_alu instid0(VALU_DEP_1)
	v_cmp_eq_u32_e32 vcc_lo, v9, v3
	s_and_b32 exec_lo, exec_lo, vcc_lo
	s_cbranch_execz .LBB62_133
; %bb.137:                              ;   in Loop: Header=BB62_135 Depth=2
	v_perm_b32 v8, v8, 1, 0x5040100
	ds_store_b32 v17, v8 offset:3072
	s_branch .LBB62_133
.LBB62_138:                             ;   in Loop: Header=BB62_135 Depth=2
	v_dual_add_nc_u32 v7, s47, v7 :: v_dual_add_nc_u32 v6, s92, v6
	s_mov_b32 s56, 0
	s_delay_alu instid0(VALU_DEP_1)
	v_cmp_le_u32_e32 vcc_lo, s44, v7
	s_or_not1_b32 s46, vcc_lo, exec_lo
	s_branch .LBB62_134
.LBB62_139:                             ;   in Loop: Header=BB62_6 Depth=1
	s_or_b32 exec_lo, exec_lo, s31
	v_lshrrev_b32_e32 v6, 16, v8
	s_and_b32 s31, s45, exec_lo
.LBB62_140:                             ;   in Loop: Header=BB62_6 Depth=1
	s_or_b32 exec_lo, exec_lo, s38
.LBB62_141:                             ;   in Loop: Header=BB62_6 Depth=1
	s_delay_alu instid0(SALU_CYCLE_1)
	s_and_b32 vcc_lo, exec_lo, s34
	s_cbranch_vccz .LBB62_152
; %bb.142:                              ;   in Loop: Header=BB62_6 Depth=1
                                        ; implicit-def: $vgpr6
	s_and_saveexec_b32 s23, s13
	s_cbranch_execz .LBB62_151
; %bb.143:                              ;   in Loop: Header=BB62_6 Depth=1
	v_dual_mov_b32 v6, v18 :: v_dual_mov_b32 v7, v0
	s_mov_b32 s28, 0
                                        ; implicit-def: $sgpr33
	s_branch .LBB62_146
.LBB62_144:                             ;   in Loop: Header=BB62_146 Depth=2
	s_or_b32 exec_lo, exec_lo, s34
	s_wait_dscnt 0x0
	s_barrier_signal -1
	s_barrier_wait -1
	ds_load_b32 v8, v17 offset:3072
	s_mov_b32 s34, -1
	s_mov_b32 s38, -1
	s_wait_dscnt 0x0
	s_barrier_signal -1
	s_barrier_wait -1
	v_and_b32_e32 v9, 0xffff, v8
	s_delay_alu instid0(VALU_DEP_1)
	v_cmp_eq_u32_e32 vcc_lo, 0, v9
	s_cbranch_vccnz .LBB62_149
.LBB62_145:                             ;   in Loop: Header=BB62_146 Depth=2
	s_and_b32 s34, exec_lo, s34
	s_delay_alu instid0(SALU_CYCLE_1) | instskip(SKIP_2) | instid1(SALU_CYCLE_1)
	s_or_b32 s28, s34, s28
	s_and_not1_b32 s33, s33, exec_lo
	s_and_b32 s34, s38, exec_lo
	s_or_b32 s33, s33, s34
	s_and_not1_b32 exec_lo, exec_lo, s28
	s_cbranch_execz .LBB62_150
.LBB62_146:                             ;   Parent Loop BB62_6 Depth=1
                                        ; =>  This Inner Loop Header: Depth=2
	s_mov_b32 s34, exec_lo
	s_delay_alu instid0(VALU_DEP_1)
	v_cmpx_gt_u32_e64 s36, v7
	s_cbranch_execz .LBB62_144
; %bb.147:                              ;   in Loop: Header=BB62_146 Depth=2
	v_readfirstlane_b32 s40, v12
	v_readfirstlane_b32 s41, v13
	global_load_u16 v8, v6, s[40:41] scale_offset
	s_wait_loadcnt 0x0
	v_bfe_i32 v9, v8, 0, 16
	s_delay_alu instid0(VALU_DEP_1) | instskip(NEXT) | instid1(VALU_DEP_1)
	v_add_nc_u32_e32 v9, 0x8000, v9
	v_and_b32_e32 v9, v9, v4
	s_delay_alu instid0(VALU_DEP_1)
	v_cmp_eq_u32_e32 vcc_lo, v9, v3
	s_and_b32 exec_lo, exec_lo, vcc_lo
	s_cbranch_execz .LBB62_144
; %bb.148:                              ;   in Loop: Header=BB62_146 Depth=2
	v_perm_b32 v8, v8, 1, 0x5040100
	ds_store_b32 v17, v8 offset:3072
	s_branch .LBB62_144
.LBB62_149:                             ;   in Loop: Header=BB62_146 Depth=2
	v_dual_add_nc_u32 v7, s47, v7 :: v_dual_add_nc_u32 v6, s51, v6
	s_mov_b32 s38, 0
	s_delay_alu instid0(VALU_DEP_1)
	v_cmp_le_u32_e32 vcc_lo, s89, v7
	s_or_not1_b32 s34, vcc_lo, exec_lo
	s_branch .LBB62_145
.LBB62_150:                             ;   in Loop: Header=BB62_6 Depth=1
	s_or_b32 exec_lo, exec_lo, s28
	v_lshrrev_b32_e32 v6, 16, v8
	s_and_not1_b32 s28, s31, exec_lo
	s_and_b32 s31, s33, exec_lo
	s_delay_alu instid0(SALU_CYCLE_1)
	s_or_b32 s31, s28, s31
.LBB62_151:                             ;   in Loop: Header=BB62_6 Depth=1
	s_or_b32 exec_lo, exec_lo, s23
	s_mov_b32 s23, 0
	s_mov_b32 s28, -1
.LBB62_152:                             ;   in Loop: Header=BB62_6 Depth=1
	s_or_not1_b32 s31, s31, exec_lo
.LBB62_153:                             ;   in Loop: Header=BB62_6 Depth=1
	s_or_b32 exec_lo, exec_lo, s29
	s_mov_b32 s33, 0
	s_and_saveexec_b32 s29, s31
	s_cbranch_execz .LBB62_242
; %bb.154:                              ;   in Loop: Header=BB62_6 Depth=1
	v_dual_mov_b32 v7, 1 :: v_dual_mov_b32 v2, 1
	s_xor_b32 s31, s30, -1
	s_mov_b32 s38, 0
	s_and_saveexec_b32 s30, s31
	s_cbranch_execz .LBB62_163
; %bb.155:                              ;   in Loop: Header=BB62_6 Depth=1
	s_mov_b32 s31, exec_lo
	v_cmpx_ge_u32_e64 s20, v5
	s_xor_b32 s31, exec_lo, s31
	s_cbranch_execz .LBB62_160
; %bb.156:                              ;   in Loop: Header=BB62_6 Depth=1
	ds_load_b32 v2, v17 offset:4096
	s_lshl_b32 s33, 1, s93
	v_or_b32_e32 v4, s18, v4
	v_and_or_b32 v3, v3, s19, s33
	s_wait_dscnt 0x0
	v_cmp_ne_u32_e32 vcc_lo, 0, v2
	s_cbranch_vccnz .LBB62_160
; %bb.157:                              ;   in Loop: Header=BB62_6 Depth=1
	s_and_saveexec_b32 s33, s5
; %bb.158:                              ;   in Loop: Header=BB62_6 Depth=1
	v_mov_b32_e32 v2, s20
	ds_store_b32 v17, v2 offset:4100
; %bb.159:                              ;   in Loop: Header=BB62_6 Depth=1
	s_or_b32 exec_lo, exec_lo, s33
	s_wait_dscnt 0x0
	s_barrier_signal -1
	s_barrier_wait -1
.LBB62_160:                             ;   in Loop: Header=BB62_6 Depth=1
	s_or_saveexec_b32 s31, s31
	v_mov_b32_e32 v2, 8
	s_mov_b32 s33, 0
	s_xor_b32 exec_lo, exec_lo, s31
; %bb.161:                              ;   in Loop: Header=BB62_6 Depth=1
	v_subrev_nc_u32_e32 v5, s20, v5
	v_mov_b32_e32 v2, 0
	s_mov_b32 s33, exec_lo
; %bb.162:                              ;   in Loop: Header=BB62_6 Depth=1
	s_or_b32 exec_lo, exec_lo, s31
	s_delay_alu instid0(VALU_DEP_2)
	v_mov_b32_e32 v7, v5
	s_and_b32 s38, s33, exec_lo
.LBB62_163:                             ;   in Loop: Header=BB62_6 Depth=1
	s_or_b32 exec_lo, exec_lo, s30
	s_mov_b32 s34, -1
                                        ; implicit-def: $sgpr31
                                        ; implicit-def: $sgpr33
	s_and_saveexec_b32 s30, s38
	s_cbranch_execz .LBB62_241
; %bb.164:                              ;   in Loop: Header=BB62_6 Depth=1
	v_cmp_eq_u32_e32 vcc_lo, 1, v7
	s_cmp_eq_u32 s21, 1
	s_mov_b32 s38, -1
	s_cselect_b32 s31, -1, 0
                                        ; implicit-def: $sgpr33
	s_delay_alu instid0(SALU_CYCLE_1) | instskip(NEXT) | instid1(SALU_CYCLE_1)
	s_and_b32 s68, s31, vcc_lo
                                        ; implicit-def: $sgpr31
	s_and_saveexec_b32 s34, s68
	s_cbranch_execz .LBB62_190
; %bb.165:                              ;   in Loop: Header=BB62_6 Depth=1
	ds_load_b32 v5, v17 offset:4096
	s_wait_dscnt 0x0
	s_barrier_signal -1
	s_barrier_wait -1
	v_readfirstlane_b32 s44, v5
	s_and_saveexec_b32 s31, s6
; %bb.166:                              ;   in Loop: Header=BB62_6 Depth=1
	ds_store_b16 v23, v17
; %bb.167:                              ;   in Loop: Header=BB62_6 Depth=1
	s_or_b32 exec_lo, exec_lo, s31
	s_lshl_b32 s31, 2, s93
	v_or_b32_e32 v4, s18, v4
	v_and_or_b32 v3, v3, s19, s31
	s_mov_b32 s31, -1
	s_mov_b32 s33, 0
	s_cmp_eq_u32 s44, 0
	s_mov_b32 s38, 0
	s_mov_b32 s45, -1
	s_wait_dscnt 0x0
	s_barrier_signal -1
	s_barrier_wait -1
                                        ; implicit-def: $vgpr6
	s_cbranch_scc1 .LBB62_178
; %bb.168:                              ;   in Loop: Header=BB62_6 Depth=1
	s_add_co_i32 s38, s44, s76
	s_mov_b32 s45, 0
	s_mul_u64 s[40:41], s[38:39], s[64:65]
	s_mov_b32 s46, exec_lo
	s_mul_i32 s40, s41, s47
                                        ; implicit-def: $vgpr6
	s_delay_alu instid0(SALU_CYCLE_1) | instskip(NEXT) | instid1(SALU_CYCLE_1)
	s_sub_co_i32 s40, s38, s40
	s_sub_co_i32 s41, s40, s47
	s_cmp_ge_u32 s40, s47
	s_cselect_b32 s40, s41, s40
	s_delay_alu instid0(SALU_CYCLE_1) | instskip(SKIP_2) | instid1(SALU_CYCLE_1)
	s_sub_co_i32 s41, s40, s47
	s_cmp_ge_u32 s40, s47
	s_cselect_b32 s40, s41, s40
	s_sub_co_i32 s56, s38, s40
	s_mov_b32 s38, 0
	v_cmpx_gt_u32_e64 s56, v0
	s_cbranch_execz .LBB62_177
; %bb.169:                              ;   in Loop: Header=BB62_6 Depth=1
	v_dual_mov_b32 v5, v22 :: v_dual_mov_b32 v6, v0
                                        ; implicit-def: $sgpr57
	s_branch .LBB62_172
.LBB62_170:                             ;   in Loop: Header=BB62_172 Depth=2
	s_or_b32 exec_lo, exec_lo, s58
	s_wait_dscnt 0x0
	s_barrier_signal -1
	s_barrier_wait -1
	ds_load_b32 v8, v17 offset:3072
	s_mov_b32 s58, -1
	s_mov_b32 s59, -1
	s_wait_dscnt 0x0
	s_barrier_signal -1
	s_barrier_wait -1
	v_and_b32_e32 v9, 0xffff, v8
	s_delay_alu instid0(VALU_DEP_1)
	v_cmp_ne_u32_e32 vcc_lo, 0, v9
	s_cbranch_vccz .LBB62_175
.LBB62_171:                             ;   in Loop: Header=BB62_172 Depth=2
	s_and_b32 s40, exec_lo, s58
	s_delay_alu instid0(SALU_CYCLE_1) | instskip(SKIP_2) | instid1(SALU_CYCLE_1)
	s_or_b32 s38, s40, s38
	s_and_not1_b32 s40, s57, exec_lo
	s_and_b32 s41, s59, exec_lo
	s_or_b32 s57, s40, s41
	s_and_not1_b32 exec_lo, exec_lo, s38
	s_cbranch_execz .LBB62_176
.LBB62_172:                             ;   Parent Loop BB62_6 Depth=1
                                        ; =>  This Inner Loop Header: Depth=2
	s_mov_b32 s58, exec_lo
	s_delay_alu instid0(VALU_DEP_1)
	v_cmpx_gt_u32_e64 s44, v6
	s_cbranch_execz .LBB62_170
; %bb.173:                              ;   in Loop: Header=BB62_172 Depth=2
	ds_load_u16 v8, v5
	s_wait_dscnt 0x0
	v_bfe_i32 v9, v8, 0, 16
	s_delay_alu instid0(VALU_DEP_1) | instskip(NEXT) | instid1(VALU_DEP_1)
	v_add_nc_u32_e32 v9, 0x8000, v9
	v_and_b32_e32 v9, v9, v4
	s_delay_alu instid0(VALU_DEP_1)
	v_cmp_eq_u32_e32 vcc_lo, v9, v3
	s_and_b32 exec_lo, exec_lo, vcc_lo
	s_cbranch_execz .LBB62_170
; %bb.174:                              ;   in Loop: Header=BB62_172 Depth=2
	v_perm_b32 v8, v8, 1, 0x5040100
	ds_store_b32 v17, v8 offset:3072
	s_branch .LBB62_170
.LBB62_175:                             ;   in Loop: Header=BB62_172 Depth=2
	v_dual_add_nc_u32 v6, s47, v6 :: v_dual_add_nc_u32 v5, s92, v5
	s_mov_b32 s59, 0
	s_delay_alu instid0(VALU_DEP_1)
	v_cmp_le_u32_e32 vcc_lo, s56, v6
	s_or_not1_b32 s58, vcc_lo, exec_lo
	s_branch .LBB62_171
.LBB62_176:                             ;   in Loop: Header=BB62_6 Depth=1
	s_or_b32 exec_lo, exec_lo, s38
	v_lshrrev_b32_e32 v6, 16, v8
	s_and_b32 s38, s57, exec_lo
.LBB62_177:                             ;   in Loop: Header=BB62_6 Depth=1
	s_or_b32 exec_lo, exec_lo, s46
.LBB62_178:                             ;   in Loop: Header=BB62_6 Depth=1
	s_delay_alu instid0(SALU_CYCLE_1)
	s_and_b32 vcc_lo, exec_lo, s45
	s_cbranch_vccz .LBB62_189
; %bb.179:                              ;   in Loop: Header=BB62_6 Depth=1
                                        ; implicit-def: $vgpr6
	s_and_saveexec_b32 s31, s13
	s_cbranch_execz .LBB62_188
; %bb.180:                              ;   in Loop: Header=BB62_6 Depth=1
	v_dual_mov_b32 v5, v18 :: v_dual_mov_b32 v6, v0
	s_mov_b32 s33, 0
                                        ; implicit-def: $sgpr44
	s_branch .LBB62_183
.LBB62_181:                             ;   in Loop: Header=BB62_183 Depth=2
	s_or_b32 exec_lo, exec_lo, s45
	s_wait_dscnt 0x0
	s_barrier_signal -1
	s_barrier_wait -1
	ds_load_b32 v8, v17 offset:3072
	s_mov_b32 s45, -1
	s_mov_b32 s46, -1
	s_wait_dscnt 0x0
	s_barrier_signal -1
	s_barrier_wait -1
	v_and_b32_e32 v9, 0xffff, v8
	s_delay_alu instid0(VALU_DEP_1)
	v_cmp_eq_u32_e32 vcc_lo, 0, v9
	s_cbranch_vccnz .LBB62_186
.LBB62_182:                             ;   in Loop: Header=BB62_183 Depth=2
	s_and_b32 s40, exec_lo, s45
	s_delay_alu instid0(SALU_CYCLE_1) | instskip(SKIP_2) | instid1(SALU_CYCLE_1)
	s_or_b32 s33, s40, s33
	s_and_not1_b32 s40, s44, exec_lo
	s_and_b32 s41, s46, exec_lo
	s_or_b32 s44, s40, s41
	s_and_not1_b32 exec_lo, exec_lo, s33
	s_cbranch_execz .LBB62_187
.LBB62_183:                             ;   Parent Loop BB62_6 Depth=1
                                        ; =>  This Inner Loop Header: Depth=2
	s_mov_b32 s45, exec_lo
	s_delay_alu instid0(VALU_DEP_1)
	v_cmpx_gt_u32_e64 s36, v6
	s_cbranch_execz .LBB62_181
; %bb.184:                              ;   in Loop: Header=BB62_183 Depth=2
	v_readfirstlane_b32 s40, v12
	v_readfirstlane_b32 s41, v13
	global_load_u16 v8, v5, s[40:41] scale_offset
	s_wait_loadcnt 0x0
	v_bfe_i32 v9, v8, 0, 16
	s_delay_alu instid0(VALU_DEP_1) | instskip(NEXT) | instid1(VALU_DEP_1)
	v_add_nc_u32_e32 v9, 0x8000, v9
	v_and_b32_e32 v9, v9, v4
	s_delay_alu instid0(VALU_DEP_1)
	v_cmp_eq_u32_e32 vcc_lo, v9, v3
	s_and_b32 exec_lo, exec_lo, vcc_lo
	s_cbranch_execz .LBB62_181
; %bb.185:                              ;   in Loop: Header=BB62_183 Depth=2
	v_perm_b32 v8, v8, 1, 0x5040100
	ds_store_b32 v17, v8 offset:3072
	s_branch .LBB62_181
.LBB62_186:                             ;   in Loop: Header=BB62_183 Depth=2
	v_dual_add_nc_u32 v6, s47, v6 :: v_dual_add_nc_u32 v5, s51, v5
	s_mov_b32 s46, 0
	s_delay_alu instid0(VALU_DEP_1)
	v_cmp_le_u32_e32 vcc_lo, s89, v6
	s_or_not1_b32 s45, vcc_lo, exec_lo
	s_branch .LBB62_182
.LBB62_187:                             ;   in Loop: Header=BB62_6 Depth=1
	s_or_b32 exec_lo, exec_lo, s33
	v_lshrrev_b32_e32 v6, 16, v8
	s_and_not1_b32 s33, s38, exec_lo
	s_and_b32 s38, s44, exec_lo
	s_delay_alu instid0(SALU_CYCLE_1)
	s_or_b32 s38, s33, s38
.LBB62_188:                             ;   in Loop: Header=BB62_6 Depth=1
	s_or_b32 exec_lo, exec_lo, s31
	s_mov_b32 s31, 0
	s_mov_b32 s33, -1
.LBB62_189:                             ;   in Loop: Header=BB62_6 Depth=1
	s_or_not1_b32 s38, s38, exec_lo
.LBB62_190:                             ;   in Loop: Header=BB62_6 Depth=1
	s_or_b32 exec_lo, exec_lo, s34
	s_mov_b32 s44, 0
	s_and_saveexec_b32 s34, s38
	s_cbranch_execz .LBB62_240
; %bb.191:                              ;   in Loop: Header=BB62_6 Depth=1
	v_dual_mov_b32 v5, 1 :: v_dual_mov_b32 v2, 1
	s_xor_b32 s40, s68, -1
	s_delay_alu instid0(SALU_CYCLE_1)
	s_and_saveexec_b32 s38, s40
	s_cbranch_execz .LBB62_200
; %bb.192:                              ;   in Loop: Header=BB62_6 Depth=1
	s_mov_b32 s40, exec_lo
	v_cmpx_ge_u32_e64 s21, v7
	s_xor_b32 s44, exec_lo, s40
	s_cbranch_execz .LBB62_197
; %bb.193:                              ;   in Loop: Header=BB62_6 Depth=1
	ds_load_b32 v2, v17 offset:4096
	s_lshl_b32 s40, 2, s93
	v_or_b32_e32 v4, s18, v4
	v_and_or_b32 v3, v3, s19, s40
	s_wait_dscnt 0x0
	v_cmp_ne_u32_e32 vcc_lo, 0, v2
	s_cbranch_vccnz .LBB62_197
; %bb.194:                              ;   in Loop: Header=BB62_6 Depth=1
	s_and_saveexec_b32 s40, s5
; %bb.195:                              ;   in Loop: Header=BB62_6 Depth=1
	v_mov_b32_e32 v2, s21
	ds_store_b32 v17, v2 offset:4100
; %bb.196:                              ;   in Loop: Header=BB62_6 Depth=1
	s_or_b32 exec_lo, exec_lo, s40
	s_wait_dscnt 0x0
	s_barrier_signal -1
	s_barrier_wait -1
.LBB62_197:                             ;   in Loop: Header=BB62_6 Depth=1
	s_or_saveexec_b32 s44, s44
	v_mov_b32_e32 v2, 8
	s_mov_b32 s45, 0
	s_xor_b32 exec_lo, exec_lo, s44
; %bb.198:                              ;   in Loop: Header=BB62_6 Depth=1
	v_subrev_nc_u32_e32 v7, s21, v7
	v_mov_b32_e32 v2, 0
	s_mov_b32 s45, exec_lo
; %bb.199:                              ;   in Loop: Header=BB62_6 Depth=1
	s_or_b32 exec_lo, exec_lo, s44
	s_delay_alu instid0(VALU_DEP_2)
	v_mov_b32_e32 v5, v7
	s_and_b32 s44, s45, exec_lo
.LBB62_200:                             ;   in Loop: Header=BB62_6 Depth=1
	s_or_b32 exec_lo, exec_lo, s38
	s_mov_b32 s38, -1
                                        ; implicit-def: $sgpr71
                                        ; implicit-def: $sgpr70
	s_and_saveexec_b32 s68, s44
	s_cbranch_execz .LBB62_239
; %bb.201:                              ;   in Loop: Header=BB62_6 Depth=1
	v_cmp_eq_u32_e32 vcc_lo, 1, v5
	s_cmp_eq_u32 s22, 1
	s_mov_b32 s45, -1
	s_cselect_b32 s38, -1, 0
                                        ; implicit-def: $sgpr71
                                        ; implicit-def: $sgpr70
	s_delay_alu instid0(SALU_CYCLE_1) | instskip(NEXT) | instid1(SALU_CYCLE_1)
	s_and_b32 s69, s38, vcc_lo
	s_and_saveexec_b32 s44, s69
	s_cbranch_execz .LBB62_227
; %bb.202:                              ;   in Loop: Header=BB62_6 Depth=1
	ds_load_b32 v6, v17 offset:4096
	s_wait_dscnt 0x0
	s_barrier_signal -1
	s_barrier_wait -1
	v_readfirstlane_b32 s45, v6
	s_and_saveexec_b32 s38, s6
; %bb.203:                              ;   in Loop: Header=BB62_6 Depth=1
	ds_store_b16 v23, v17
; %bb.204:                              ;   in Loop: Header=BB62_6 Depth=1
	s_or_b32 exec_lo, exec_lo, s38
	v_or_b32_e32 v3, s18, v3
	v_or_b32_e32 v4, s18, v4
	s_mov_b32 s70, -1
	s_mov_b32 s71, 0
	s_cmp_eq_u32 s45, 0
	s_mov_b32 s38, 0
	s_mov_b32 s46, -1
	s_wait_dscnt 0x0
	s_barrier_signal -1
	s_barrier_wait -1
                                        ; implicit-def: $vgpr6
	s_cbranch_scc1 .LBB62_215
; %bb.205:                              ;   in Loop: Header=BB62_6 Depth=1
	s_add_co_i32 s38, s45, s76
	s_mov_b32 s46, 0
	s_mul_u64 s[40:41], s[38:39], s[64:65]
	s_mov_b32 s56, exec_lo
	s_mul_i32 s40, s41, s47
                                        ; implicit-def: $vgpr6
	s_delay_alu instid0(SALU_CYCLE_1) | instskip(NEXT) | instid1(SALU_CYCLE_1)
	s_sub_co_i32 s40, s38, s40
	s_sub_co_i32 s41, s40, s47
	s_cmp_ge_u32 s40, s47
	s_cselect_b32 s40, s41, s40
	s_delay_alu instid0(SALU_CYCLE_1) | instskip(SKIP_2) | instid1(SALU_CYCLE_1)
	s_sub_co_i32 s41, s40, s47
	s_cmp_ge_u32 s40, s47
	s_cselect_b32 s40, s41, s40
	s_sub_co_i32 s57, s38, s40
	s_mov_b32 s38, 0
	v_cmpx_gt_u32_e64 s57, v0
	s_cbranch_execz .LBB62_214
; %bb.206:                              ;   in Loop: Header=BB62_6 Depth=1
	v_dual_mov_b32 v6, v22 :: v_dual_mov_b32 v7, v0
                                        ; implicit-def: $sgpr58
	s_branch .LBB62_209
.LBB62_207:                             ;   in Loop: Header=BB62_209 Depth=2
	s_or_b32 exec_lo, exec_lo, s59
	s_wait_dscnt 0x0
	s_barrier_signal -1
	s_barrier_wait -1
	ds_load_b32 v8, v17 offset:3072
	s_mov_b32 s59, -1
	s_mov_b32 s40, -1
	s_wait_dscnt 0x0
	s_barrier_signal -1
	s_barrier_wait -1
	v_and_b32_e32 v9, 0xffff, v8
	s_delay_alu instid0(VALU_DEP_1)
	v_cmp_ne_u32_e32 vcc_lo, 0, v9
	s_cbranch_vccz .LBB62_212
.LBB62_208:                             ;   in Loop: Header=BB62_209 Depth=2
	s_and_b32 s41, exec_lo, s59
	s_delay_alu instid0(SALU_CYCLE_1) | instskip(SKIP_2) | instid1(SALU_CYCLE_1)
	s_or_b32 s38, s41, s38
	s_and_not1_b32 s41, s58, exec_lo
	s_and_b32 s40, s40, exec_lo
	s_or_b32 s58, s41, s40
	s_and_not1_b32 exec_lo, exec_lo, s38
	s_cbranch_execz .LBB62_213
.LBB62_209:                             ;   Parent Loop BB62_6 Depth=1
                                        ; =>  This Inner Loop Header: Depth=2
	s_mov_b32 s59, exec_lo
	s_delay_alu instid0(VALU_DEP_1)
	v_cmpx_gt_u32_e64 s45, v7
	s_cbranch_execz .LBB62_207
; %bb.210:                              ;   in Loop: Header=BB62_209 Depth=2
	ds_load_u16 v8, v6
	s_wait_dscnt 0x0
	v_bfe_i32 v9, v8, 0, 16
	s_delay_alu instid0(VALU_DEP_1) | instskip(NEXT) | instid1(VALU_DEP_1)
	v_add_nc_u32_e32 v9, 0x8000, v9
	v_and_b32_e32 v9, v9, v4
	s_delay_alu instid0(VALU_DEP_1)
	v_cmp_eq_u32_e32 vcc_lo, v9, v3
	s_and_b32 exec_lo, exec_lo, vcc_lo
	s_cbranch_execz .LBB62_207
; %bb.211:                              ;   in Loop: Header=BB62_209 Depth=2
	v_perm_b32 v8, v8, 1, 0x5040100
	ds_store_b32 v17, v8 offset:3072
	s_branch .LBB62_207
.LBB62_212:                             ;   in Loop: Header=BB62_209 Depth=2
	v_dual_add_nc_u32 v7, s47, v7 :: v_dual_add_nc_u32 v6, s92, v6
	s_mov_b32 s40, 0
	s_delay_alu instid0(VALU_DEP_1)
	v_cmp_le_u32_e32 vcc_lo, s57, v7
	s_or_not1_b32 s59, vcc_lo, exec_lo
	s_branch .LBB62_208
.LBB62_213:                             ;   in Loop: Header=BB62_6 Depth=1
	s_or_b32 exec_lo, exec_lo, s38
	v_lshrrev_b32_e32 v6, 16, v8
	s_and_b32 s38, s58, exec_lo
.LBB62_214:                             ;   in Loop: Header=BB62_6 Depth=1
	s_or_b32 exec_lo, exec_lo, s56
.LBB62_215:                             ;   in Loop: Header=BB62_6 Depth=1
	s_delay_alu instid0(SALU_CYCLE_1)
	s_and_b32 vcc_lo, exec_lo, s46
	s_cbranch_vccz .LBB62_226
; %bb.216:                              ;   in Loop: Header=BB62_6 Depth=1
                                        ; implicit-def: $vgpr6
	s_and_saveexec_b32 s45, s13
	s_cbranch_execz .LBB62_225
; %bb.217:                              ;   in Loop: Header=BB62_6 Depth=1
	v_dual_mov_b32 v6, v18 :: v_dual_mov_b32 v7, v0
	s_mov_b32 s46, 0
                                        ; implicit-def: $sgpr56
	s_branch .LBB62_220
.LBB62_218:                             ;   in Loop: Header=BB62_220 Depth=2
	s_or_b32 exec_lo, exec_lo, s57
	s_wait_dscnt 0x0
	s_barrier_signal -1
	s_barrier_wait -1
	ds_load_b32 v8, v17 offset:3072
	s_mov_b32 s40, -1
	s_mov_b32 s41, -1
	s_wait_dscnt 0x0
	s_barrier_signal -1
	s_barrier_wait -1
	v_and_b32_e32 v9, 0xffff, v8
	s_delay_alu instid0(VALU_DEP_1)
	v_cmp_eq_u32_e32 vcc_lo, 0, v9
	s_cbranch_vccnz .LBB62_223
.LBB62_219:                             ;   in Loop: Header=BB62_220 Depth=2
	s_and_b32 s40, exec_lo, s40
	s_delay_alu instid0(SALU_CYCLE_1) | instskip(SKIP_2) | instid1(SALU_CYCLE_1)
	s_or_b32 s46, s40, s46
	s_and_not1_b32 s40, s56, exec_lo
	s_and_b32 s41, s41, exec_lo
	s_or_b32 s56, s40, s41
	s_and_not1_b32 exec_lo, exec_lo, s46
	s_cbranch_execz .LBB62_224
.LBB62_220:                             ;   Parent Loop BB62_6 Depth=1
                                        ; =>  This Inner Loop Header: Depth=2
	s_mov_b32 s57, exec_lo
	s_delay_alu instid0(VALU_DEP_1)
	v_cmpx_gt_u32_e64 s36, v7
	s_cbranch_execz .LBB62_218
; %bb.221:                              ;   in Loop: Header=BB62_220 Depth=2
	v_readfirstlane_b32 s40, v12
	v_readfirstlane_b32 s41, v13
	global_load_u16 v8, v6, s[40:41] scale_offset
	s_wait_loadcnt 0x0
	v_bfe_i32 v9, v8, 0, 16
	s_delay_alu instid0(VALU_DEP_1) | instskip(NEXT) | instid1(VALU_DEP_1)
	v_add_nc_u32_e32 v9, 0x8000, v9
	v_and_b32_e32 v9, v9, v4
	s_delay_alu instid0(VALU_DEP_1)
	v_cmp_eq_u32_e32 vcc_lo, v9, v3
	s_and_b32 exec_lo, exec_lo, vcc_lo
	s_cbranch_execz .LBB62_218
; %bb.222:                              ;   in Loop: Header=BB62_220 Depth=2
	v_perm_b32 v8, v8, 1, 0x5040100
	ds_store_b32 v17, v8 offset:3072
	s_branch .LBB62_218
.LBB62_223:                             ;   in Loop: Header=BB62_220 Depth=2
	v_dual_add_nc_u32 v7, s47, v7 :: v_dual_add_nc_u32 v6, s51, v6
	s_mov_b32 s41, 0
	s_delay_alu instid0(VALU_DEP_1)
	v_cmp_le_u32_e32 vcc_lo, s89, v7
	s_or_not1_b32 s40, vcc_lo, exec_lo
	s_branch .LBB62_219
.LBB62_224:                             ;   in Loop: Header=BB62_6 Depth=1
	s_or_b32 exec_lo, exec_lo, s46
	v_lshrrev_b32_e32 v6, 16, v8
	s_and_not1_b32 s38, s38, exec_lo
	s_and_b32 s40, s56, exec_lo
	s_delay_alu instid0(SALU_CYCLE_1)
	s_or_b32 s38, s38, s40
.LBB62_225:                             ;   in Loop: Header=BB62_6 Depth=1
	s_or_b32 exec_lo, exec_lo, s45
	s_mov_b32 s70, 0
	s_mov_b32 s71, -1
.LBB62_226:                             ;   in Loop: Header=BB62_6 Depth=1
	s_or_not1_b32 s45, s38, exec_lo
.LBB62_227:                             ;   in Loop: Header=BB62_6 Depth=1
	s_or_b32 exec_lo, exec_lo, s44
	s_mov_b32 s44, 0
	s_and_saveexec_b32 s38, s45
	s_cbranch_execz .LBB62_238
; %bb.228:                              ;   in Loop: Header=BB62_6 Depth=1
	v_dual_mov_b32 v2, 1 :: v_dual_mov_b32 v7, 1
	s_xor_b32 s40, s69, -1
	s_delay_alu instid0(SALU_CYCLE_1)
	s_and_saveexec_b32 s44, s40
	s_cbranch_execz .LBB62_237
; %bb.229:                              ;   in Loop: Header=BB62_6 Depth=1
	s_mov_b32 s40, exec_lo
	v_cmpx_ge_u32_e64 s22, v5
	s_xor_b32 s45, exec_lo, s40
	s_cbranch_execz .LBB62_234
; %bb.230:                              ;   in Loop: Header=BB62_6 Depth=1
	ds_load_b32 v2, v17 offset:4096
	v_or_b32_e32 v3, s18, v3
	v_or_b32_e32 v4, s18, v4
	s_wait_dscnt 0x0
	v_cmp_ne_u32_e32 vcc_lo, 0, v2
	s_cbranch_vccnz .LBB62_234
; %bb.231:                              ;   in Loop: Header=BB62_6 Depth=1
	s_and_saveexec_b32 s40, s5
; %bb.232:                              ;   in Loop: Header=BB62_6 Depth=1
	v_mov_b32_e32 v2, s22
	ds_store_b32 v17, v2 offset:4100
; %bb.233:                              ;   in Loop: Header=BB62_6 Depth=1
	s_or_b32 exec_lo, exec_lo, s40
	s_wait_dscnt 0x0
	s_barrier_signal -1
	s_barrier_wait -1
.LBB62_234:                             ;   in Loop: Header=BB62_6 Depth=1
	s_and_not1_saveexec_b32 s45, s45
; %bb.235:                              ;   in Loop: Header=BB62_6 Depth=1
	v_subrev_nc_u32_e32 v5, s22, v5
; %bb.236:                              ;   in Loop: Header=BB62_6 Depth=1
	s_or_b32 exec_lo, exec_lo, s45
	s_delay_alu instid0(VALU_DEP_1)
	v_dual_mov_b32 v2, 8 :: v_dual_mov_b32 v7, v5
.LBB62_237:                             ;   in Loop: Header=BB62_6 Depth=1
	s_or_b32 exec_lo, exec_lo, s44
	s_delay_alu instid0(VALU_DEP_1)
	v_mov_b32_e32 v5, v7
	s_mov_b32 s44, exec_lo
.LBB62_238:                             ;   in Loop: Header=BB62_6 Depth=1
	s_or_b32 exec_lo, exec_lo, s38
	s_delay_alu instid0(SALU_CYCLE_1)
	s_or_not1_b32 s38, s44, exec_lo
.LBB62_239:                             ;   in Loop: Header=BB62_6 Depth=1
	s_or_b32 exec_lo, exec_lo, s68
	v_mov_b32_e32 v7, v5
	s_and_not1_b32 s33, s33, exec_lo
	s_and_b32 s40, s71, exec_lo
	s_and_not1_b32 s31, s31, exec_lo
	s_and_b32 s41, s70, exec_lo
	s_or_b32 s33, s33, s40
	s_or_b32 s31, s31, s41
	s_and_b32 s44, s38, exec_lo
.LBB62_240:                             ;   in Loop: Header=BB62_6 Depth=1
	s_or_b32 exec_lo, exec_lo, s34
	s_delay_alu instid0(SALU_CYCLE_1)
	s_or_not1_b32 s34, s44, exec_lo
.LBB62_241:                             ;   in Loop: Header=BB62_6 Depth=1
	s_or_b32 exec_lo, exec_lo, s30
	v_mov_b32_e32 v5, v7
	s_and_not1_b32 s28, s28, exec_lo
	s_and_b32 s30, s33, exec_lo
	s_and_not1_b32 s23, s23, exec_lo
	s_and_b32 s31, s31, exec_lo
	s_or_b32 s28, s28, s30
	s_or_b32 s23, s23, s31
	s_and_b32 s33, s34, exec_lo
.LBB62_242:                             ;   in Loop: Header=BB62_6 Depth=1
	s_or_b32 exec_lo, exec_lo, s29
	s_delay_alu instid0(SALU_CYCLE_1)
	s_or_not1_b32 s29, s33, exec_lo
.LBB62_243:                             ;   in Loop: Header=BB62_6 Depth=1
	s_or_b32 exec_lo, exec_lo, s15
	s_mov_b32 s30, 0
	s_mov_b32 s31, 0
	s_and_saveexec_b32 s15, s29
	s_delay_alu instid0(SALU_CYCLE_1)
	s_xor_b32 s29, exec_lo, s15
; %bb.244:                              ;   in Loop: Header=BB62_6 Depth=1
	v_cmp_ne_u32_e32 vcc_lo, 8, v2
	v_cmp_eq_u32_e64 s15, 8, v2
	s_and_b32 s31, vcc_lo, exec_lo
	s_and_b32 s30, s15, exec_lo
; %bb.245:                              ;   in Loop: Header=BB62_6 Depth=1
	s_or_b32 exec_lo, exec_lo, s29
	s_delay_alu instid0(SALU_CYCLE_1)
	s_and_not1_b32 s15, s25, exec_lo
	s_and_b32 s25, s28, exec_lo
	s_and_not1_b32 s24, s24, exec_lo
	s_and_b32 s23, s23, exec_lo
	s_or_b32 s25, s15, s25
	s_or_b32 s24, s24, s23
	s_and_b32 s15, s31, exec_lo
	s_and_b32 s23, s30, exec_lo
.LBB62_246:                             ;   in Loop: Header=BB62_6 Depth=1
	s_or_b32 exec_lo, exec_lo, s27
.LBB62_247:                             ;   in Loop: Header=BB62_6 Depth=1
	s_delay_alu instid0(SALU_CYCLE_1)
	s_and_b32 vcc_lo, exec_lo, s26
	s_cbranch_vccz .LBB62_260
; %bb.248:                              ;   in Loop: Header=BB62_6 Depth=1
	s_cmp_eq_u32 s22, 1
	s_mov_b32 s25, -1
	s_cselect_b32 s16, -1, 0
                                        ; implicit-def: $sgpr26
	s_delay_alu instid0(SALU_CYCLE_1) | instskip(NEXT) | instid1(SALU_CYCLE_1)
	s_and_b32 s14, s16, s14
                                        ; implicit-def: $sgpr16
	s_and_saveexec_b32 s24, s14
	s_cbranch_execz .LBB62_275
; %bb.249:                              ;   in Loop: Header=BB62_6 Depth=1
	ds_load_b32 v2, v17 offset:4096
	s_wait_dscnt 0x0
	s_barrier_signal -1
	s_barrier_wait -1
	v_readfirstlane_b32 s27, v2
	s_and_saveexec_b32 s16, s6
; %bb.250:                              ;   in Loop: Header=BB62_6 Depth=1
	ds_store_b16 v23, v17
; %bb.251:                              ;   in Loop: Header=BB62_6 Depth=1
	s_or_b32 exec_lo, exec_lo, s16
	v_or_b32_e32 v29, s18, v29
	v_or_b32_e32 v37, s18, v37
	s_mov_b32 s16, -1
	s_mov_b32 s26, 0
	s_cmp_eq_u32 s27, 0
	s_mov_b32 s25, 0
	s_mov_b32 s28, -1
	s_wait_dscnt 0x0
	s_barrier_signal -1
	s_barrier_wait -1
                                        ; implicit-def: $vgpr38
	s_cbranch_scc1 .LBB62_263
; %bb.252:                              ;   in Loop: Header=BB62_6 Depth=1
	s_add_co_i32 s38, s27, s76
                                        ; implicit-def: $vgpr38
	s_delay_alu instid0(SALU_CYCLE_1) | instskip(NEXT) | instid1(SALU_CYCLE_1)
	s_mul_u64 s[28:29], s[38:39], s[64:65]
	s_mul_i32 s25, s29, s47
	s_mov_b32 s29, exec_lo
	s_sub_co_i32 s25, s38, s25
	s_delay_alu instid0(SALU_CYCLE_1) | instskip(SKIP_2) | instid1(SALU_CYCLE_1)
	s_sub_co_i32 s28, s25, s47
	s_cmp_ge_u32 s25, s47
	s_cselect_b32 s25, s28, s25
	s_sub_co_i32 s28, s25, s47
	s_cmp_ge_u32 s25, s47
	s_cselect_b32 s25, s28, s25
	s_mov_b32 s28, 0
	s_sub_co_i32 s30, s38, s25
	s_mov_b32 s25, 0
	v_cmpx_gt_u32_e64 s30, v0
	s_cbranch_execz .LBB62_262
; %bb.253:                              ;   in Loop: Header=BB62_6 Depth=1
	v_dual_mov_b32 v2, v22 :: v_dual_mov_b32 v3, v0
                                        ; implicit-def: $sgpr31
	s_branch .LBB62_256
.LBB62_254:                             ;   in Loop: Header=BB62_256 Depth=2
	s_or_b32 exec_lo, exec_lo, s33
	s_wait_dscnt 0x0
	s_barrier_signal -1
	s_barrier_wait -1
	ds_load_b32 v4, v17 offset:3072
	s_mov_b32 s33, -1
	s_mov_b32 s34, -1
	s_wait_dscnt 0x0
	s_barrier_signal -1
	s_barrier_wait -1
	v_and_b32_e32 v5, 0xffff, v4
	s_delay_alu instid0(VALU_DEP_1)
	v_cmp_ne_u32_e32 vcc_lo, 0, v5
	s_cbranch_vccz .LBB62_259
.LBB62_255:                             ;   in Loop: Header=BB62_256 Depth=2
	s_and_b32 s33, exec_lo, s33
	s_delay_alu instid0(SALU_CYCLE_1) | instskip(SKIP_2) | instid1(SALU_CYCLE_1)
	s_or_b32 s25, s33, s25
	s_and_not1_b32 s31, s31, exec_lo
	s_and_b32 s33, s34, exec_lo
	s_or_b32 s31, s31, s33
	s_and_not1_b32 exec_lo, exec_lo, s25
	s_cbranch_execz .LBB62_261
.LBB62_256:                             ;   Parent Loop BB62_6 Depth=1
                                        ; =>  This Inner Loop Header: Depth=2
	s_mov_b32 s33, exec_lo
	s_delay_alu instid0(VALU_DEP_1)
	v_cmpx_gt_u32_e64 s27, v3
	s_cbranch_execz .LBB62_254
; %bb.257:                              ;   in Loop: Header=BB62_256 Depth=2
	ds_load_u16 v4, v2
	s_wait_dscnt 0x0
	v_bfe_i32 v5, v4, 0, 16
	s_delay_alu instid0(VALU_DEP_1) | instskip(NEXT) | instid1(VALU_DEP_1)
	v_add_nc_u32_e32 v5, 0x8000, v5
	v_and_b32_e32 v5, v5, v37
	s_delay_alu instid0(VALU_DEP_1)
	v_cmp_eq_u32_e32 vcc_lo, v5, v29
	s_and_b32 exec_lo, exec_lo, vcc_lo
	s_cbranch_execz .LBB62_254
; %bb.258:                              ;   in Loop: Header=BB62_256 Depth=2
	v_perm_b32 v4, v4, 1, 0x5040100
	ds_store_b32 v17, v4 offset:3072
	s_branch .LBB62_254
.LBB62_259:                             ;   in Loop: Header=BB62_256 Depth=2
	v_dual_add_nc_u32 v3, s47, v3 :: v_dual_add_nc_u32 v2, s92, v2
	s_mov_b32 s34, 0
	s_delay_alu instid0(VALU_DEP_1)
	v_cmp_le_u32_e32 vcc_lo, s30, v3
	s_or_not1_b32 s33, vcc_lo, exec_lo
	s_branch .LBB62_255
.LBB62_260:                             ;   in Loop: Header=BB62_6 Depth=1
	v_dual_mov_b32 v29, v3 :: v_dual_mov_b32 v37, v4
	v_mov_b32_e32 v38, v6
	s_mov_b32 s26, 0
	s_and_saveexec_b32 s14, s23
	s_cbranch_execnz .LBB62_406
	s_branch .LBB62_407
.LBB62_261:                             ;   in Loop: Header=BB62_6 Depth=1
	s_or_b32 exec_lo, exec_lo, s25
	v_lshrrev_b32_e32 v38, 16, v4
	s_and_b32 s25, s31, exec_lo
.LBB62_262:                             ;   in Loop: Header=BB62_6 Depth=1
	s_or_b32 exec_lo, exec_lo, s29
.LBB62_263:                             ;   in Loop: Header=BB62_6 Depth=1
	s_delay_alu instid0(SALU_CYCLE_1)
	s_and_b32 vcc_lo, exec_lo, s28
	s_cbranch_vccz .LBB62_274
; %bb.264:                              ;   in Loop: Header=BB62_6 Depth=1
                                        ; implicit-def: $vgpr38
	s_and_saveexec_b32 s16, s13
	s_cbranch_execz .LBB62_273
; %bb.265:                              ;   in Loop: Header=BB62_6 Depth=1
	v_dual_mov_b32 v2, v18 :: v_dual_mov_b32 v3, v0
	s_mov_b32 s26, 0
                                        ; implicit-def: $sgpr27
	s_branch .LBB62_268
.LBB62_266:                             ;   in Loop: Header=BB62_268 Depth=2
	s_or_b32 exec_lo, exec_lo, s28
	s_wait_dscnt 0x0
	s_barrier_signal -1
	s_barrier_wait -1
	ds_load_b32 v4, v17 offset:3072
	s_mov_b32 s28, -1
	s_mov_b32 s29, -1
	s_wait_dscnt 0x0
	s_barrier_signal -1
	s_barrier_wait -1
	v_and_b32_e32 v5, 0xffff, v4
	s_delay_alu instid0(VALU_DEP_1)
	v_cmp_ne_u32_e32 vcc_lo, 0, v5
	s_cbranch_vccz .LBB62_271
.LBB62_267:                             ;   in Loop: Header=BB62_268 Depth=2
	s_and_b32 s28, exec_lo, s28
	s_delay_alu instid0(SALU_CYCLE_1) | instskip(SKIP_2) | instid1(SALU_CYCLE_1)
	s_or_b32 s26, s28, s26
	s_and_not1_b32 s27, s27, exec_lo
	s_and_b32 s28, s29, exec_lo
	s_or_b32 s27, s27, s28
	s_and_not1_b32 exec_lo, exec_lo, s26
	s_cbranch_execz .LBB62_272
.LBB62_268:                             ;   Parent Loop BB62_6 Depth=1
                                        ; =>  This Inner Loop Header: Depth=2
	s_mov_b32 s28, exec_lo
	s_delay_alu instid0(VALU_DEP_1)
	v_cmpx_gt_u32_e64 s36, v3
	s_cbranch_execz .LBB62_266
; %bb.269:                              ;   in Loop: Header=BB62_268 Depth=2
	v_readfirstlane_b32 s30, v12
	v_readfirstlane_b32 s31, v13
	global_load_u16 v4, v2, s[30:31] scale_offset
	s_wait_loadcnt 0x0
	v_bfe_i32 v5, v4, 0, 16
	s_delay_alu instid0(VALU_DEP_1) | instskip(NEXT) | instid1(VALU_DEP_1)
	v_add_nc_u32_e32 v5, 0x8000, v5
	v_and_b32_e32 v5, v5, v37
	s_delay_alu instid0(VALU_DEP_1)
	v_cmp_eq_u32_e32 vcc_lo, v5, v29
	s_and_b32 exec_lo, exec_lo, vcc_lo
	s_cbranch_execz .LBB62_266
; %bb.270:                              ;   in Loop: Header=BB62_268 Depth=2
	v_perm_b32 v4, v4, 1, 0x5040100
	ds_store_b32 v17, v4 offset:3072
	s_branch .LBB62_266
.LBB62_271:                             ;   in Loop: Header=BB62_268 Depth=2
	v_dual_add_nc_u32 v3, s47, v3 :: v_dual_add_nc_u32 v2, s51, v2
	s_mov_b32 s29, 0
	s_delay_alu instid0(VALU_DEP_1)
	v_cmp_le_u32_e32 vcc_lo, s89, v3
	s_or_not1_b32 s28, vcc_lo, exec_lo
	s_branch .LBB62_267
.LBB62_272:                             ;   in Loop: Header=BB62_6 Depth=1
	s_or_b32 exec_lo, exec_lo, s26
	v_lshrrev_b32_e32 v38, 16, v4
	s_and_not1_b32 s25, s25, exec_lo
	s_and_b32 s26, s27, exec_lo
	s_delay_alu instid0(SALU_CYCLE_1)
	s_or_b32 s25, s25, s26
.LBB62_273:                             ;   in Loop: Header=BB62_6 Depth=1
	s_or_b32 exec_lo, exec_lo, s16
	s_mov_b32 s16, 0
	s_mov_b32 s26, -1
.LBB62_274:                             ;   in Loop: Header=BB62_6 Depth=1
	s_or_not1_b32 s25, s25, exec_lo
.LBB62_275:                             ;   in Loop: Header=BB62_6 Depth=1
	s_or_b32 exec_lo, exec_lo, s24
                                        ; implicit-def: $vgpr5
                                        ; implicit-def: $vgpr2
	s_and_saveexec_b32 s24, s25
	s_cbranch_execz .LBB62_405
; %bb.276:                              ;   in Loop: Header=BB62_6 Depth=1
	v_dual_mov_b32 v5, 1 :: v_dual_mov_b32 v2, 1
	s_xor_b32 s25, s14, -1
	s_mov_b32 s28, 0
	s_and_saveexec_b32 s14, s25
	s_cbranch_execz .LBB62_285
; %bb.277:                              ;   in Loop: Header=BB62_6 Depth=1
	s_mov_b32 s25, exec_lo
	v_cmpx_ge_u32_e64 s22, v39
	s_xor_b32 s25, exec_lo, s25
	s_cbranch_execz .LBB62_282
; %bb.278:                              ;   in Loop: Header=BB62_6 Depth=1
	ds_load_b32 v2, v17 offset:4096
	v_or_b32_e32 v29, s18, v29
	v_or_b32_e32 v37, s18, v37
	s_wait_dscnt 0x0
	v_cmp_ne_u32_e32 vcc_lo, 0, v2
	s_cbranch_vccnz .LBB62_282
; %bb.279:                              ;   in Loop: Header=BB62_6 Depth=1
	s_and_saveexec_b32 s27, s5
; %bb.280:                              ;   in Loop: Header=BB62_6 Depth=1
	v_mov_b32_e32 v2, s22
	ds_store_b32 v17, v2 offset:4100
; %bb.281:                              ;   in Loop: Header=BB62_6 Depth=1
	s_or_b32 exec_lo, exec_lo, s27
	s_wait_dscnt 0x0
	s_barrier_signal -1
	s_barrier_wait -1
.LBB62_282:                             ;   in Loop: Header=BB62_6 Depth=1
	s_or_saveexec_b32 s25, s25
	v_mov_b32_e32 v2, 5
	s_mov_b32 s27, 0
	s_xor_b32 exec_lo, exec_lo, s25
; %bb.283:                              ;   in Loop: Header=BB62_6 Depth=1
	v_subrev_nc_u32_e32 v39, s22, v39
	v_mov_b32_e32 v2, 0
	s_mov_b32 s27, exec_lo
; %bb.284:                              ;   in Loop: Header=BB62_6 Depth=1
	s_or_b32 exec_lo, exec_lo, s25
	s_delay_alu instid0(VALU_DEP_2)
	v_mov_b32_e32 v5, v39
	s_and_b32 s28, s27, exec_lo
.LBB62_285:                             ;   in Loop: Header=BB62_6 Depth=1
	s_or_b32 exec_lo, exec_lo, s14
	s_mov_b32 s27, -1
                                        ; implicit-def: $sgpr22
                                        ; implicit-def: $sgpr25
	s_and_saveexec_b32 s14, s28
	s_delay_alu instid0(SALU_CYCLE_1)
	s_xor_b32 s14, exec_lo, s14
	s_cbranch_execz .LBB62_402
; %bb.286:                              ;   in Loop: Header=BB62_6 Depth=1
	v_cmp_eq_u32_e32 vcc_lo, 1, v5
	s_cmp_eq_u32 s21, 1
	s_mov_b32 s29, -1
	s_cselect_b32 s22, -1, 0
                                        ; implicit-def: $sgpr25
	s_delay_alu instid0(SALU_CYCLE_1) | instskip(NEXT) | instid1(SALU_CYCLE_1)
	s_and_b32 s28, s22, vcc_lo
                                        ; implicit-def: $sgpr22
	s_and_saveexec_b32 s27, s28
	s_cbranch_execz .LBB62_312
; %bb.287:                              ;   in Loop: Header=BB62_6 Depth=1
	ds_load_b32 v3, v17 offset:4096
	s_wait_dscnt 0x0
	s_barrier_signal -1
	s_barrier_wait -1
	v_readfirstlane_b32 s30, v3
	s_and_saveexec_b32 s22, s6
; %bb.288:                              ;   in Loop: Header=BB62_6 Depth=1
	ds_store_b16 v23, v17
; %bb.289:                              ;   in Loop: Header=BB62_6 Depth=1
	s_or_b32 exec_lo, exec_lo, s22
	s_lshl_b32 s22, 2, s93
	v_or_b32_e32 v37, s18, v37
	v_and_or_b32 v29, v29, s19, s22
	s_mov_b32 s22, -1
	s_mov_b32 s25, 0
	s_cmp_eq_u32 s30, 0
	s_mov_b32 s29, 0
	s_mov_b32 s31, -1
	s_wait_dscnt 0x0
	s_barrier_signal -1
	s_barrier_wait -1
                                        ; implicit-def: $vgpr38
	s_cbranch_scc1 .LBB62_300
; %bb.290:                              ;   in Loop: Header=BB62_6 Depth=1
	s_add_co_i32 s38, s30, s76
	s_mov_b32 s33, exec_lo
	s_mul_u64 s[40:41], s[38:39], s[64:65]
                                        ; implicit-def: $vgpr38
	s_delay_alu instid0(SALU_CYCLE_1) | instskip(NEXT) | instid1(SALU_CYCLE_1)
	s_mul_i32 s29, s41, s47
	s_sub_co_i32 s29, s38, s29
	s_delay_alu instid0(SALU_CYCLE_1) | instskip(SKIP_2) | instid1(SALU_CYCLE_1)
	s_sub_co_i32 s31, s29, s47
	s_cmp_ge_u32 s29, s47
	s_cselect_b32 s29, s31, s29
	s_sub_co_i32 s31, s29, s47
	s_cmp_ge_u32 s29, s47
	s_cselect_b32 s29, s31, s29
	s_mov_b32 s31, 0
	s_sub_co_i32 s34, s38, s29
	s_mov_b32 s29, 0
	v_cmpx_gt_u32_e64 s34, v0
	s_cbranch_execz .LBB62_299
; %bb.291:                              ;   in Loop: Header=BB62_6 Depth=1
	v_dual_mov_b32 v3, v22 :: v_dual_mov_b32 v4, v0
                                        ; implicit-def: $sgpr38
	s_branch .LBB62_294
.LBB62_292:                             ;   in Loop: Header=BB62_294 Depth=2
	s_or_b32 exec_lo, exec_lo, s44
	s_wait_dscnt 0x0
	s_barrier_signal -1
	s_barrier_wait -1
	ds_load_b32 v6, v17 offset:3072
	s_mov_b32 s40, -1
	s_mov_b32 s41, -1
	s_wait_dscnt 0x0
	s_barrier_signal -1
	s_barrier_wait -1
	v_and_b32_e32 v7, 0xffff, v6
	s_delay_alu instid0(VALU_DEP_1)
	v_cmp_ne_u32_e32 vcc_lo, 0, v7
	s_cbranch_vccz .LBB62_297
.LBB62_293:                             ;   in Loop: Header=BB62_294 Depth=2
	s_and_b32 s40, exec_lo, s40
	s_delay_alu instid0(SALU_CYCLE_1) | instskip(SKIP_2) | instid1(SALU_CYCLE_1)
	s_or_b32 s29, s40, s29
	s_and_not1_b32 s38, s38, exec_lo
	s_and_b32 s40, s41, exec_lo
	s_or_b32 s38, s38, s40
	s_and_not1_b32 exec_lo, exec_lo, s29
	s_cbranch_execz .LBB62_298
.LBB62_294:                             ;   Parent Loop BB62_6 Depth=1
                                        ; =>  This Inner Loop Header: Depth=2
	s_mov_b32 s44, exec_lo
	s_delay_alu instid0(VALU_DEP_1)
	v_cmpx_gt_u32_e64 s30, v4
	s_cbranch_execz .LBB62_292
; %bb.295:                              ;   in Loop: Header=BB62_294 Depth=2
	ds_load_u16 v6, v3
	s_wait_dscnt 0x0
	v_bfe_i32 v7, v6, 0, 16
	s_delay_alu instid0(VALU_DEP_1) | instskip(NEXT) | instid1(VALU_DEP_1)
	v_add_nc_u32_e32 v7, 0x8000, v7
	v_and_b32_e32 v7, v7, v37
	s_delay_alu instid0(VALU_DEP_1)
	v_cmp_eq_u32_e32 vcc_lo, v7, v29
	s_and_b32 exec_lo, exec_lo, vcc_lo
	s_cbranch_execz .LBB62_292
; %bb.296:                              ;   in Loop: Header=BB62_294 Depth=2
	v_perm_b32 v6, v6, 1, 0x5040100
	ds_store_b32 v17, v6 offset:3072
	s_branch .LBB62_292
.LBB62_297:                             ;   in Loop: Header=BB62_294 Depth=2
	v_dual_add_nc_u32 v4, s47, v4 :: v_dual_add_nc_u32 v3, s92, v3
	s_mov_b32 s41, 0
	s_delay_alu instid0(VALU_DEP_1)
	v_cmp_le_u32_e32 vcc_lo, s34, v4
	s_or_not1_b32 s40, vcc_lo, exec_lo
	s_branch .LBB62_293
.LBB62_298:                             ;   in Loop: Header=BB62_6 Depth=1
	s_or_b32 exec_lo, exec_lo, s29
	v_lshrrev_b32_e32 v38, 16, v6
	s_and_b32 s29, s38, exec_lo
.LBB62_299:                             ;   in Loop: Header=BB62_6 Depth=1
	s_or_b32 exec_lo, exec_lo, s33
.LBB62_300:                             ;   in Loop: Header=BB62_6 Depth=1
	s_delay_alu instid0(SALU_CYCLE_1)
	s_and_b32 vcc_lo, exec_lo, s31
	s_cbranch_vccz .LBB62_311
; %bb.301:                              ;   in Loop: Header=BB62_6 Depth=1
                                        ; implicit-def: $vgpr38
	s_and_saveexec_b32 s22, s13
	s_cbranch_execz .LBB62_310
; %bb.302:                              ;   in Loop: Header=BB62_6 Depth=1
	v_dual_mov_b32 v3, v18 :: v_dual_mov_b32 v4, v0
	s_mov_b32 s25, 0
                                        ; implicit-def: $sgpr30
	s_branch .LBB62_305
.LBB62_303:                             ;   in Loop: Header=BB62_305 Depth=2
	s_or_b32 exec_lo, exec_lo, s31
	s_wait_dscnt 0x0
	s_barrier_signal -1
	s_barrier_wait -1
	ds_load_b32 v6, v17 offset:3072
	s_mov_b32 s31, -1
	s_mov_b32 s33, -1
	s_wait_dscnt 0x0
	s_barrier_signal -1
	s_barrier_wait -1
	v_and_b32_e32 v7, 0xffff, v6
	s_delay_alu instid0(VALU_DEP_1)
	v_cmp_eq_u32_e32 vcc_lo, 0, v7
	s_cbranch_vccnz .LBB62_308
.LBB62_304:                             ;   in Loop: Header=BB62_305 Depth=2
	s_and_b32 s31, exec_lo, s31
	s_delay_alu instid0(SALU_CYCLE_1) | instskip(SKIP_2) | instid1(SALU_CYCLE_1)
	s_or_b32 s25, s31, s25
	s_and_not1_b32 s30, s30, exec_lo
	s_and_b32 s31, s33, exec_lo
	s_or_b32 s30, s30, s31
	s_and_not1_b32 exec_lo, exec_lo, s25
	s_cbranch_execz .LBB62_309
.LBB62_305:                             ;   Parent Loop BB62_6 Depth=1
                                        ; =>  This Inner Loop Header: Depth=2
	s_mov_b32 s31, exec_lo
	s_delay_alu instid0(VALU_DEP_1)
	v_cmpx_gt_u32_e64 s36, v4
	s_cbranch_execz .LBB62_303
; %bb.306:                              ;   in Loop: Header=BB62_305 Depth=2
	v_readfirstlane_b32 s40, v12
	v_readfirstlane_b32 s41, v13
	global_load_u16 v6, v3, s[40:41] scale_offset
	s_wait_loadcnt 0x0
	v_bfe_i32 v7, v6, 0, 16
	s_delay_alu instid0(VALU_DEP_1) | instskip(NEXT) | instid1(VALU_DEP_1)
	v_add_nc_u32_e32 v7, 0x8000, v7
	v_and_b32_e32 v7, v7, v37
	s_delay_alu instid0(VALU_DEP_1)
	v_cmp_eq_u32_e32 vcc_lo, v7, v29
	s_and_b32 exec_lo, exec_lo, vcc_lo
	s_cbranch_execz .LBB62_303
; %bb.307:                              ;   in Loop: Header=BB62_305 Depth=2
	v_perm_b32 v6, v6, 1, 0x5040100
	ds_store_b32 v17, v6 offset:3072
	s_branch .LBB62_303
.LBB62_308:                             ;   in Loop: Header=BB62_305 Depth=2
	v_dual_add_nc_u32 v4, s47, v4 :: v_dual_add_nc_u32 v3, s51, v3
	s_mov_b32 s33, 0
	s_delay_alu instid0(VALU_DEP_1)
	v_cmp_le_u32_e32 vcc_lo, s89, v4
	s_or_not1_b32 s31, vcc_lo, exec_lo
	s_branch .LBB62_304
.LBB62_309:                             ;   in Loop: Header=BB62_6 Depth=1
	s_or_b32 exec_lo, exec_lo, s25
	v_lshrrev_b32_e32 v38, 16, v6
	s_and_not1_b32 s25, s29, exec_lo
	s_and_b32 s29, s30, exec_lo
	s_delay_alu instid0(SALU_CYCLE_1)
	s_or_b32 s29, s25, s29
.LBB62_310:                             ;   in Loop: Header=BB62_6 Depth=1
	s_or_b32 exec_lo, exec_lo, s22
	s_mov_b32 s22, 0
	s_mov_b32 s25, -1
.LBB62_311:                             ;   in Loop: Header=BB62_6 Depth=1
	s_or_not1_b32 s29, s29, exec_lo
.LBB62_312:                             ;   in Loop: Header=BB62_6 Depth=1
	s_or_b32 exec_lo, exec_lo, s27
	s_mov_b32 s30, 0
	s_and_saveexec_b32 s27, s29
	s_cbranch_execz .LBB62_401
; %bb.313:                              ;   in Loop: Header=BB62_6 Depth=1
	v_dual_mov_b32 v3, 1 :: v_dual_mov_b32 v2, 1
	s_xor_b32 s29, s28, -1
	s_mov_b32 s31, 0
	s_and_saveexec_b32 s28, s29
	s_cbranch_execz .LBB62_322
; %bb.314:                              ;   in Loop: Header=BB62_6 Depth=1
	s_mov_b32 s29, exec_lo
	v_cmpx_ge_u32_e64 s21, v5
	s_xor_b32 s29, exec_lo, s29
	s_cbranch_execz .LBB62_319
; %bb.315:                              ;   in Loop: Header=BB62_6 Depth=1
	ds_load_b32 v2, v17 offset:4096
	s_lshl_b32 s30, 2, s93
	v_or_b32_e32 v37, s18, v37
	v_and_or_b32 v29, v29, s19, s30
	s_wait_dscnt 0x0
	v_cmp_ne_u32_e32 vcc_lo, 0, v2
	s_cbranch_vccnz .LBB62_319
; %bb.316:                              ;   in Loop: Header=BB62_6 Depth=1
	s_and_saveexec_b32 s30, s5
; %bb.317:                              ;   in Loop: Header=BB62_6 Depth=1
	v_mov_b32_e32 v2, s21
	ds_store_b32 v17, v2 offset:4100
; %bb.318:                              ;   in Loop: Header=BB62_6 Depth=1
	s_or_b32 exec_lo, exec_lo, s30
	s_wait_dscnt 0x0
	s_barrier_signal -1
	s_barrier_wait -1
.LBB62_319:                             ;   in Loop: Header=BB62_6 Depth=1
	s_or_saveexec_b32 s29, s29
	v_mov_b32_e32 v2, 5
	s_mov_b32 s30, 0
	s_xor_b32 exec_lo, exec_lo, s29
; %bb.320:                              ;   in Loop: Header=BB62_6 Depth=1
	v_subrev_nc_u32_e32 v5, s21, v5
	v_mov_b32_e32 v2, 0
	s_mov_b32 s30, exec_lo
; %bb.321:                              ;   in Loop: Header=BB62_6 Depth=1
	s_or_b32 exec_lo, exec_lo, s29
	s_delay_alu instid0(VALU_DEP_2)
	v_mov_b32_e32 v3, v5
	s_and_b32 s31, s30, exec_lo
.LBB62_322:                             ;   in Loop: Header=BB62_6 Depth=1
	s_or_b32 exec_lo, exec_lo, s28
	s_mov_b32 s30, -1
                                        ; implicit-def: $sgpr28
                                        ; implicit-def: $sgpr29
	s_and_saveexec_b32 s21, s31
	s_cbranch_execz .LBB62_400
; %bb.323:                              ;   in Loop: Header=BB62_6 Depth=1
	v_cmp_eq_u32_e32 vcc_lo, 1, v3
	s_cmp_eq_u32 s20, 1
	s_mov_b32 s33, -1
	s_cselect_b32 s28, -1, 0
                                        ; implicit-def: $sgpr29
	s_delay_alu instid0(SALU_CYCLE_1) | instskip(NEXT) | instid1(SALU_CYCLE_1)
	s_and_b32 s31, s28, vcc_lo
                                        ; implicit-def: $sgpr28
	s_and_saveexec_b32 s30, s31
	s_cbranch_execz .LBB62_349
; %bb.324:                              ;   in Loop: Header=BB62_6 Depth=1
	ds_load_b32 v4, v17 offset:4096
	s_wait_dscnt 0x0
	s_barrier_signal -1
	s_barrier_wait -1
	v_readfirstlane_b32 s34, v4
	s_and_saveexec_b32 s28, s6
; %bb.325:                              ;   in Loop: Header=BB62_6 Depth=1
	ds_store_b16 v23, v17
; %bb.326:                              ;   in Loop: Header=BB62_6 Depth=1
	s_or_b32 exec_lo, exec_lo, s28
	s_lshl_b32 s28, 1, s93
	v_or_b32_e32 v37, s18, v37
	v_and_or_b32 v29, v29, s19, s28
	s_mov_b32 s28, -1
	s_mov_b32 s29, 0
	s_cmp_eq_u32 s34, 0
	s_mov_b32 s33, 0
	s_mov_b32 s38, -1
	s_wait_dscnt 0x0
	s_barrier_signal -1
	s_barrier_wait -1
                                        ; implicit-def: $vgpr38
	s_cbranch_scc1 .LBB62_337
; %bb.327:                              ;   in Loop: Header=BB62_6 Depth=1
	s_add_co_i32 s38, s34, s76
	s_mov_b32 s44, exec_lo
	s_mul_u64 s[40:41], s[38:39], s[64:65]
                                        ; implicit-def: $vgpr38
	s_delay_alu instid0(SALU_CYCLE_1) | instskip(NEXT) | instid1(SALU_CYCLE_1)
	s_mul_i32 s33, s41, s47
	s_sub_co_i32 s33, s38, s33
	s_delay_alu instid0(SALU_CYCLE_1) | instskip(SKIP_2) | instid1(SALU_CYCLE_1)
	s_sub_co_i32 s40, s33, s47
	s_cmp_ge_u32 s33, s47
	s_cselect_b32 s33, s40, s33
	s_sub_co_i32 s40, s33, s47
	s_cmp_ge_u32 s33, s47
	s_cselect_b32 s33, s40, s33
	s_delay_alu instid0(SALU_CYCLE_1)
	s_sub_co_i32 s45, s38, s33
	s_mov_b32 s38, 0
	s_mov_b32 s33, 0
	v_cmpx_gt_u32_e64 s45, v0
	s_cbranch_execz .LBB62_336
; %bb.328:                              ;   in Loop: Header=BB62_6 Depth=1
	v_dual_mov_b32 v4, v22 :: v_dual_mov_b32 v5, v0
                                        ; implicit-def: $sgpr46
	s_branch .LBB62_331
.LBB62_329:                             ;   in Loop: Header=BB62_331 Depth=2
	s_or_b32 exec_lo, exec_lo, s56
	s_wait_dscnt 0x0
	s_barrier_signal -1
	s_barrier_wait -1
	ds_load_b32 v6, v17 offset:3072
	s_mov_b32 s40, -1
	s_mov_b32 s41, -1
	s_wait_dscnt 0x0
	s_barrier_signal -1
	s_barrier_wait -1
	v_and_b32_e32 v7, 0xffff, v6
	s_delay_alu instid0(VALU_DEP_1)
	v_cmp_ne_u32_e32 vcc_lo, 0, v7
	s_cbranch_vccz .LBB62_334
.LBB62_330:                             ;   in Loop: Header=BB62_331 Depth=2
	s_and_b32 s40, exec_lo, s40
	s_delay_alu instid0(SALU_CYCLE_1) | instskip(SKIP_2) | instid1(SALU_CYCLE_1)
	s_or_b32 s33, s40, s33
	s_and_not1_b32 s40, s46, exec_lo
	s_and_b32 s41, s41, exec_lo
	s_or_b32 s46, s40, s41
	s_and_not1_b32 exec_lo, exec_lo, s33
	s_cbranch_execz .LBB62_335
.LBB62_331:                             ;   Parent Loop BB62_6 Depth=1
                                        ; =>  This Inner Loop Header: Depth=2
	s_mov_b32 s56, exec_lo
	s_delay_alu instid0(VALU_DEP_1)
	v_cmpx_gt_u32_e64 s34, v5
	s_cbranch_execz .LBB62_329
; %bb.332:                              ;   in Loop: Header=BB62_331 Depth=2
	ds_load_u16 v6, v4
	s_wait_dscnt 0x0
	v_bfe_i32 v7, v6, 0, 16
	s_delay_alu instid0(VALU_DEP_1) | instskip(NEXT) | instid1(VALU_DEP_1)
	v_add_nc_u32_e32 v7, 0x8000, v7
	v_and_b32_e32 v7, v7, v37
	s_delay_alu instid0(VALU_DEP_1)
	v_cmp_eq_u32_e32 vcc_lo, v7, v29
	s_and_b32 exec_lo, exec_lo, vcc_lo
	s_cbranch_execz .LBB62_329
; %bb.333:                              ;   in Loop: Header=BB62_331 Depth=2
	v_perm_b32 v6, v6, 1, 0x5040100
	ds_store_b32 v17, v6 offset:3072
	s_branch .LBB62_329
.LBB62_334:                             ;   in Loop: Header=BB62_331 Depth=2
	v_dual_add_nc_u32 v5, s47, v5 :: v_dual_add_nc_u32 v4, s92, v4
	s_mov_b32 s41, 0
	s_delay_alu instid0(VALU_DEP_1)
	v_cmp_le_u32_e32 vcc_lo, s45, v5
	s_or_not1_b32 s40, vcc_lo, exec_lo
	s_branch .LBB62_330
.LBB62_335:                             ;   in Loop: Header=BB62_6 Depth=1
	s_or_b32 exec_lo, exec_lo, s33
	v_lshrrev_b32_e32 v38, 16, v6
	s_and_b32 s33, s46, exec_lo
.LBB62_336:                             ;   in Loop: Header=BB62_6 Depth=1
	s_or_b32 exec_lo, exec_lo, s44
.LBB62_337:                             ;   in Loop: Header=BB62_6 Depth=1
	s_delay_alu instid0(SALU_CYCLE_1)
	s_and_b32 vcc_lo, exec_lo, s38
	s_cbranch_vccz .LBB62_348
; %bb.338:                              ;   in Loop: Header=BB62_6 Depth=1
                                        ; implicit-def: $vgpr38
	s_and_saveexec_b32 s28, s13
	s_cbranch_execz .LBB62_347
; %bb.339:                              ;   in Loop: Header=BB62_6 Depth=1
	v_dual_mov_b32 v4, v18 :: v_dual_mov_b32 v5, v0
	s_mov_b32 s29, 0
                                        ; implicit-def: $sgpr34
	s_branch .LBB62_342
.LBB62_340:                             ;   in Loop: Header=BB62_342 Depth=2
	s_or_b32 exec_lo, exec_lo, s38
	s_wait_dscnt 0x0
	s_barrier_signal -1
	s_barrier_wait -1
	ds_load_b32 v6, v17 offset:3072
	s_mov_b32 s38, -1
	s_mov_b32 s40, -1
	s_wait_dscnt 0x0
	s_barrier_signal -1
	s_barrier_wait -1
	v_and_b32_e32 v7, 0xffff, v6
	s_delay_alu instid0(VALU_DEP_1)
	v_cmp_eq_u32_e32 vcc_lo, 0, v7
	s_cbranch_vccnz .LBB62_345
.LBB62_341:                             ;   in Loop: Header=BB62_342 Depth=2
	s_and_b32 s38, exec_lo, s38
	s_delay_alu instid0(SALU_CYCLE_1) | instskip(SKIP_2) | instid1(SALU_CYCLE_1)
	s_or_b32 s29, s38, s29
	s_and_not1_b32 s34, s34, exec_lo
	s_and_b32 s38, s40, exec_lo
	s_or_b32 s34, s34, s38
	s_and_not1_b32 exec_lo, exec_lo, s29
	s_cbranch_execz .LBB62_346
.LBB62_342:                             ;   Parent Loop BB62_6 Depth=1
                                        ; =>  This Inner Loop Header: Depth=2
	s_mov_b32 s38, exec_lo
	s_delay_alu instid0(VALU_DEP_1)
	v_cmpx_gt_u32_e64 s36, v5
	s_cbranch_execz .LBB62_340
; %bb.343:                              ;   in Loop: Header=BB62_342 Depth=2
	v_readfirstlane_b32 s40, v12
	v_readfirstlane_b32 s41, v13
	global_load_u16 v6, v4, s[40:41] scale_offset
	s_wait_loadcnt 0x0
	v_bfe_i32 v7, v6, 0, 16
	s_delay_alu instid0(VALU_DEP_1) | instskip(NEXT) | instid1(VALU_DEP_1)
	v_add_nc_u32_e32 v7, 0x8000, v7
	v_and_b32_e32 v7, v7, v37
	s_delay_alu instid0(VALU_DEP_1)
	v_cmp_eq_u32_e32 vcc_lo, v7, v29
	s_and_b32 exec_lo, exec_lo, vcc_lo
	s_cbranch_execz .LBB62_340
; %bb.344:                              ;   in Loop: Header=BB62_342 Depth=2
	v_perm_b32 v6, v6, 1, 0x5040100
	ds_store_b32 v17, v6 offset:3072
	s_branch .LBB62_340
.LBB62_345:                             ;   in Loop: Header=BB62_342 Depth=2
	v_dual_add_nc_u32 v5, s47, v5 :: v_dual_add_nc_u32 v4, s51, v4
	s_mov_b32 s40, 0
	s_delay_alu instid0(VALU_DEP_1)
	v_cmp_le_u32_e32 vcc_lo, s89, v5
	s_or_not1_b32 s38, vcc_lo, exec_lo
	s_branch .LBB62_341
.LBB62_346:                             ;   in Loop: Header=BB62_6 Depth=1
	s_or_b32 exec_lo, exec_lo, s29
	v_lshrrev_b32_e32 v38, 16, v6
	s_and_not1_b32 s29, s33, exec_lo
	s_and_b32 s33, s34, exec_lo
	s_delay_alu instid0(SALU_CYCLE_1)
	s_or_b32 s33, s29, s33
.LBB62_347:                             ;   in Loop: Header=BB62_6 Depth=1
	s_or_b32 exec_lo, exec_lo, s28
	s_mov_b32 s28, 0
	s_mov_b32 s29, -1
.LBB62_348:                             ;   in Loop: Header=BB62_6 Depth=1
	s_or_not1_b32 s33, s33, exec_lo
.LBB62_349:                             ;   in Loop: Header=BB62_6 Depth=1
	s_or_b32 exec_lo, exec_lo, s30
	s_mov_b32 s34, 0
	s_and_saveexec_b32 s30, s33
	s_cbranch_execz .LBB62_399
; %bb.350:                              ;   in Loop: Header=BB62_6 Depth=1
	v_dual_mov_b32 v4, 1 :: v_dual_mov_b32 v2, 1
	s_xor_b32 s33, s31, -1
	s_mov_b32 s38, 0
	s_and_saveexec_b32 s31, s33
	s_cbranch_execz .LBB62_359
; %bb.351:                              ;   in Loop: Header=BB62_6 Depth=1
	s_mov_b32 s33, exec_lo
	v_cmpx_ge_u32_e64 s20, v3
	s_xor_b32 s33, exec_lo, s33
	s_cbranch_execz .LBB62_356
; %bb.352:                              ;   in Loop: Header=BB62_6 Depth=1
	ds_load_b32 v2, v17 offset:4096
	s_lshl_b32 s34, 1, s93
	v_or_b32_e32 v37, s18, v37
	v_and_or_b32 v29, v29, s19, s34
	s_wait_dscnt 0x0
	v_cmp_ne_u32_e32 vcc_lo, 0, v2
	s_cbranch_vccnz .LBB62_356
; %bb.353:                              ;   in Loop: Header=BB62_6 Depth=1
	s_and_saveexec_b32 s34, s5
; %bb.354:                              ;   in Loop: Header=BB62_6 Depth=1
	v_mov_b32_e32 v2, s20
	ds_store_b32 v17, v2 offset:4100
; %bb.355:                              ;   in Loop: Header=BB62_6 Depth=1
	s_or_b32 exec_lo, exec_lo, s34
	s_wait_dscnt 0x0
	s_barrier_signal -1
	s_barrier_wait -1
.LBB62_356:                             ;   in Loop: Header=BB62_6 Depth=1
	s_or_saveexec_b32 s33, s33
	v_mov_b32_e32 v2, 5
	s_mov_b32 s34, 0
	s_xor_b32 exec_lo, exec_lo, s33
; %bb.357:                              ;   in Loop: Header=BB62_6 Depth=1
	v_subrev_nc_u32_e32 v3, s20, v3
	v_mov_b32_e32 v2, 0
	s_mov_b32 s34, exec_lo
; %bb.358:                              ;   in Loop: Header=BB62_6 Depth=1
	s_or_b32 exec_lo, exec_lo, s33
	s_delay_alu instid0(VALU_DEP_2)
	v_mov_b32_e32 v4, v3
	s_and_b32 s38, s34, exec_lo
.LBB62_359:                             ;   in Loop: Header=BB62_6 Depth=1
	s_or_b32 exec_lo, exec_lo, s31
	s_mov_b32 s31, -1
                                        ; implicit-def: $sgpr34
                                        ; implicit-def: $sgpr33
	s_and_saveexec_b32 s20, s38
	s_cbranch_execz .LBB62_398
; %bb.360:                              ;   in Loop: Header=BB62_6 Depth=1
	v_cmp_eq_u32_e32 vcc_lo, 1, v4
	s_cmp_eq_u32 s17, 1
	s_mov_b32 s45, -1
	s_cselect_b32 s31, -1, 0
                                        ; implicit-def: $sgpr34
                                        ; implicit-def: $sgpr33
	s_delay_alu instid0(SALU_CYCLE_1) | instskip(NEXT) | instid1(SALU_CYCLE_1)
	s_and_b32 s31, s31, vcc_lo
	s_and_saveexec_b32 s44, s31
	s_cbranch_execz .LBB62_386
; %bb.361:                              ;   in Loop: Header=BB62_6 Depth=1
	ds_load_b32 v3, v17 offset:4096
	s_wait_dscnt 0x0
	s_barrier_signal -1
	s_barrier_wait -1
	v_readfirstlane_b32 s45, v3
	s_and_saveexec_b32 s33, s6
; %bb.362:                              ;   in Loop: Header=BB62_6 Depth=1
	ds_store_b16 v23, v17
; %bb.363:                              ;   in Loop: Header=BB62_6 Depth=1
	s_or_b32 exec_lo, exec_lo, s33
	v_and_b32_e32 v29, s19, v29
	v_or_b32_e32 v37, s18, v37
	s_mov_b32 s33, -1
	s_mov_b32 s34, 0
	s_cmp_eq_u32 s45, 0
	s_mov_b32 s38, 0
	s_mov_b32 s46, -1
	s_wait_dscnt 0x0
	s_barrier_signal -1
	s_barrier_wait -1
                                        ; implicit-def: $vgpr38
	s_cbranch_scc1 .LBB62_374
; %bb.364:                              ;   in Loop: Header=BB62_6 Depth=1
	s_add_co_i32 s38, s45, s76
	s_mov_b32 s46, 0
	s_mul_u64 s[40:41], s[38:39], s[64:65]
	s_mov_b32 s68, exec_lo
	s_mul_i32 s40, s41, s47
                                        ; implicit-def: $vgpr38
	s_delay_alu instid0(SALU_CYCLE_1) | instskip(NEXT) | instid1(SALU_CYCLE_1)
	s_sub_co_i32 s40, s38, s40
	s_sub_co_i32 s41, s40, s47
	s_cmp_ge_u32 s40, s47
	s_cselect_b32 s40, s41, s40
	s_delay_alu instid0(SALU_CYCLE_1) | instskip(SKIP_2) | instid1(SALU_CYCLE_1)
	s_sub_co_i32 s41, s40, s47
	s_cmp_ge_u32 s40, s47
	s_cselect_b32 s40, s41, s40
	s_sub_co_i32 s56, s38, s40
	s_mov_b32 s38, 0
	v_cmpx_gt_u32_e64 s56, v0
	s_cbranch_execz .LBB62_373
; %bb.365:                              ;   in Loop: Header=BB62_6 Depth=1
	v_dual_mov_b32 v3, v22 :: v_dual_mov_b32 v5, v0
                                        ; implicit-def: $sgpr57
	s_branch .LBB62_368
.LBB62_366:                             ;   in Loop: Header=BB62_368 Depth=2
	s_or_b32 exec_lo, exec_lo, s58
	s_wait_dscnt 0x0
	s_barrier_signal -1
	s_barrier_wait -1
	ds_load_b32 v6, v17 offset:3072
	s_mov_b32 s40, -1
	s_mov_b32 s41, -1
	s_wait_dscnt 0x0
	s_barrier_signal -1
	s_barrier_wait -1
	v_and_b32_e32 v7, 0xffff, v6
	s_delay_alu instid0(VALU_DEP_1)
	v_cmp_ne_u32_e32 vcc_lo, 0, v7
	s_cbranch_vccz .LBB62_371
.LBB62_367:                             ;   in Loop: Header=BB62_368 Depth=2
	s_and_b32 s40, exec_lo, s40
	s_delay_alu instid0(SALU_CYCLE_1) | instskip(SKIP_2) | instid1(SALU_CYCLE_1)
	s_or_b32 s38, s40, s38
	s_and_not1_b32 s40, s57, exec_lo
	s_and_b32 s41, s41, exec_lo
	s_or_b32 s57, s40, s41
	s_and_not1_b32 exec_lo, exec_lo, s38
	s_cbranch_execz .LBB62_372
.LBB62_368:                             ;   Parent Loop BB62_6 Depth=1
                                        ; =>  This Inner Loop Header: Depth=2
	s_mov_b32 s58, exec_lo
	s_delay_alu instid0(VALU_DEP_1)
	v_cmpx_gt_u32_e64 s45, v5
	s_cbranch_execz .LBB62_366
; %bb.369:                              ;   in Loop: Header=BB62_368 Depth=2
	ds_load_u16 v6, v3
	s_wait_dscnt 0x0
	v_bfe_i32 v7, v6, 0, 16
	s_delay_alu instid0(VALU_DEP_1) | instskip(NEXT) | instid1(VALU_DEP_1)
	v_add_nc_u32_e32 v7, 0x8000, v7
	v_and_b32_e32 v7, v7, v37
	s_delay_alu instid0(VALU_DEP_1)
	v_cmp_eq_u32_e32 vcc_lo, v7, v29
	s_and_b32 exec_lo, exec_lo, vcc_lo
	s_cbranch_execz .LBB62_366
; %bb.370:                              ;   in Loop: Header=BB62_368 Depth=2
	v_perm_b32 v6, v6, 1, 0x5040100
	ds_store_b32 v17, v6 offset:3072
	s_branch .LBB62_366
.LBB62_371:                             ;   in Loop: Header=BB62_368 Depth=2
	v_dual_add_nc_u32 v5, s47, v5 :: v_dual_add_nc_u32 v3, s92, v3
	s_mov_b32 s41, 0
	s_delay_alu instid0(VALU_DEP_1)
	v_cmp_le_u32_e32 vcc_lo, s56, v5
	s_or_not1_b32 s40, vcc_lo, exec_lo
	s_branch .LBB62_367
.LBB62_372:                             ;   in Loop: Header=BB62_6 Depth=1
	s_or_b32 exec_lo, exec_lo, s38
	v_lshrrev_b32_e32 v38, 16, v6
	s_and_b32 s38, s57, exec_lo
.LBB62_373:                             ;   in Loop: Header=BB62_6 Depth=1
	s_or_b32 exec_lo, exec_lo, s68
.LBB62_374:                             ;   in Loop: Header=BB62_6 Depth=1
	s_delay_alu instid0(SALU_CYCLE_1)
	s_and_b32 vcc_lo, exec_lo, s46
	s_cbranch_vccz .LBB62_385
; %bb.375:                              ;   in Loop: Header=BB62_6 Depth=1
                                        ; implicit-def: $vgpr38
	s_and_saveexec_b32 s33, s13
	s_cbranch_execz .LBB62_384
; %bb.376:                              ;   in Loop: Header=BB62_6 Depth=1
	v_dual_mov_b32 v3, v18 :: v_dual_mov_b32 v5, v0
	s_mov_b32 s34, 0
                                        ; implicit-def: $sgpr45
	s_branch .LBB62_379
.LBB62_377:                             ;   in Loop: Header=BB62_379 Depth=2
	s_or_b32 exec_lo, exec_lo, s46
	s_wait_dscnt 0x0
	s_barrier_signal -1
	s_barrier_wait -1
	ds_load_b32 v6, v17 offset:3072
	s_mov_b32 s40, -1
	s_mov_b32 s41, -1
	s_wait_dscnt 0x0
	s_barrier_signal -1
	s_barrier_wait -1
	v_and_b32_e32 v7, 0xffff, v6
	s_delay_alu instid0(VALU_DEP_1)
	v_cmp_eq_u32_e32 vcc_lo, 0, v7
	s_cbranch_vccnz .LBB62_382
.LBB62_378:                             ;   in Loop: Header=BB62_379 Depth=2
	s_and_b32 s40, exec_lo, s40
	s_delay_alu instid0(SALU_CYCLE_1) | instskip(SKIP_2) | instid1(SALU_CYCLE_1)
	s_or_b32 s34, s40, s34
	s_and_not1_b32 s40, s45, exec_lo
	s_and_b32 s41, s41, exec_lo
	s_or_b32 s45, s40, s41
	s_and_not1_b32 exec_lo, exec_lo, s34
	s_cbranch_execz .LBB62_383
.LBB62_379:                             ;   Parent Loop BB62_6 Depth=1
                                        ; =>  This Inner Loop Header: Depth=2
	s_mov_b32 s46, exec_lo
	s_delay_alu instid0(VALU_DEP_1)
	v_cmpx_gt_u32_e64 s36, v5
	s_cbranch_execz .LBB62_377
; %bb.380:                              ;   in Loop: Header=BB62_379 Depth=2
	v_readfirstlane_b32 s40, v12
	v_readfirstlane_b32 s41, v13
	global_load_u16 v6, v3, s[40:41] scale_offset
	s_wait_loadcnt 0x0
	v_bfe_i32 v7, v6, 0, 16
	s_delay_alu instid0(VALU_DEP_1) | instskip(NEXT) | instid1(VALU_DEP_1)
	v_add_nc_u32_e32 v7, 0x8000, v7
	v_and_b32_e32 v7, v7, v37
	s_delay_alu instid0(VALU_DEP_1)
	v_cmp_eq_u32_e32 vcc_lo, v7, v29
	s_and_b32 exec_lo, exec_lo, vcc_lo
	s_cbranch_execz .LBB62_377
; %bb.381:                              ;   in Loop: Header=BB62_379 Depth=2
	v_perm_b32 v6, v6, 1, 0x5040100
	ds_store_b32 v17, v6 offset:3072
	s_branch .LBB62_377
.LBB62_382:                             ;   in Loop: Header=BB62_379 Depth=2
	v_dual_add_nc_u32 v5, s47, v5 :: v_dual_add_nc_u32 v3, s51, v3
	s_mov_b32 s41, 0
	s_delay_alu instid0(VALU_DEP_1)
	v_cmp_le_u32_e32 vcc_lo, s89, v5
	s_or_not1_b32 s40, vcc_lo, exec_lo
	s_branch .LBB62_378
.LBB62_383:                             ;   in Loop: Header=BB62_6 Depth=1
	s_or_b32 exec_lo, exec_lo, s34
	v_lshrrev_b32_e32 v38, 16, v6
	s_and_not1_b32 s34, s38, exec_lo
	s_and_b32 s38, s45, exec_lo
	s_delay_alu instid0(SALU_CYCLE_1)
	s_or_b32 s38, s34, s38
.LBB62_384:                             ;   in Loop: Header=BB62_6 Depth=1
	s_or_b32 exec_lo, exec_lo, s33
	s_mov_b32 s33, 0
	s_mov_b32 s34, -1
.LBB62_385:                             ;   in Loop: Header=BB62_6 Depth=1
	s_or_not1_b32 s45, s38, exec_lo
.LBB62_386:                             ;   in Loop: Header=BB62_6 Depth=1
	s_or_b32 exec_lo, exec_lo, s44
	s_mov_b32 s44, 0
	s_and_saveexec_b32 s38, s45
	s_cbranch_execz .LBB62_397
; %bb.387:                              ;   in Loop: Header=BB62_6 Depth=1
	v_dual_mov_b32 v2, 1 :: v_dual_mov_b32 v3, 1
	s_xor_b32 s40, s31, -1
	s_delay_alu instid0(SALU_CYCLE_1)
	s_and_saveexec_b32 s31, s40
	s_cbranch_execz .LBB62_396
; %bb.388:                              ;   in Loop: Header=BB62_6 Depth=1
	s_mov_b32 s40, exec_lo
	v_cmpx_ge_u32_e64 s17, v4
	s_xor_b32 s44, exec_lo, s40
	s_cbranch_execz .LBB62_393
; %bb.389:                              ;   in Loop: Header=BB62_6 Depth=1
	ds_load_b32 v2, v17 offset:4096
	v_and_b32_e32 v29, s19, v29
	v_or_b32_e32 v37, s18, v37
	s_wait_dscnt 0x0
	v_cmp_ne_u32_e32 vcc_lo, 0, v2
	s_cbranch_vccnz .LBB62_393
; %bb.390:                              ;   in Loop: Header=BB62_6 Depth=1
	s_and_saveexec_b32 s18, s5
; %bb.391:                              ;   in Loop: Header=BB62_6 Depth=1
	v_mov_b32_e32 v2, s17
	ds_store_b32 v17, v2 offset:4100
; %bb.392:                              ;   in Loop: Header=BB62_6 Depth=1
	s_or_b32 exec_lo, exec_lo, s18
	s_wait_dscnt 0x0
	s_barrier_signal -1
	s_barrier_wait -1
.LBB62_393:                             ;   in Loop: Header=BB62_6 Depth=1
	s_and_not1_saveexec_b32 s18, s44
; %bb.394:                              ;   in Loop: Header=BB62_6 Depth=1
	v_subrev_nc_u32_e32 v4, s17, v4
; %bb.395:                              ;   in Loop: Header=BB62_6 Depth=1
	s_or_b32 exec_lo, exec_lo, s18
	s_delay_alu instid0(VALU_DEP_1)
	v_dual_mov_b32 v2, 5 :: v_dual_mov_b32 v3, v4
.LBB62_396:                             ;   in Loop: Header=BB62_6 Depth=1
	s_or_b32 exec_lo, exec_lo, s31
	s_delay_alu instid0(VALU_DEP_1)
	v_mov_b32_e32 v4, v3
	s_mov_b32 s44, exec_lo
.LBB62_397:                             ;   in Loop: Header=BB62_6 Depth=1
	s_or_b32 exec_lo, exec_lo, s38
	s_delay_alu instid0(SALU_CYCLE_1)
	s_or_not1_b32 s31, s44, exec_lo
.LBB62_398:                             ;   in Loop: Header=BB62_6 Depth=1
	s_or_b32 exec_lo, exec_lo, s20
	v_mov_b32_e32 v3, v4
	s_and_not1_b32 s17, s29, exec_lo
	s_and_b32 s18, s34, exec_lo
	s_and_not1_b32 s19, s28, exec_lo
	s_and_b32 s20, s33, exec_lo
	s_or_b32 s29, s17, s18
	s_or_b32 s28, s19, s20
	s_and_b32 s34, s31, exec_lo
.LBB62_399:                             ;   in Loop: Header=BB62_6 Depth=1
	s_or_b32 exec_lo, exec_lo, s30
	s_delay_alu instid0(SALU_CYCLE_1)
	s_or_not1_b32 s30, s34, exec_lo
.LBB62_400:                             ;   in Loop: Header=BB62_6 Depth=1
	s_or_b32 exec_lo, exec_lo, s21
	v_mov_b32_e32 v5, v3
	s_and_not1_b32 s17, s25, exec_lo
	s_and_b32 s18, s29, exec_lo
	s_and_not1_b32 s19, s22, exec_lo
	s_and_b32 s20, s28, exec_lo
	s_or_b32 s25, s17, s18
	s_or_b32 s22, s19, s20
	s_and_b32 s30, s30, exec_lo
.LBB62_401:                             ;   in Loop: Header=BB62_6 Depth=1
	s_or_b32 exec_lo, exec_lo, s27
	s_delay_alu instid0(SALU_CYCLE_1)
	s_or_not1_b32 s27, s30, exec_lo
.LBB62_402:                             ;   in Loop: Header=BB62_6 Depth=1
	s_or_b32 exec_lo, exec_lo, s14
	s_mov_b32 s14, s23
	s_mov_b32 s17, s15
	s_and_saveexec_b32 s18, s27
; %bb.403:                              ;   in Loop: Header=BB62_6 Depth=1
	v_cmp_ne_u32_e32 vcc_lo, 5, v2
	v_cmp_eq_u32_e64 s14, 5, v2
	s_and_not1_b32 s17, s15, exec_lo
	s_and_not1_b32 s19, s23, exec_lo
	s_and_b32 s20, vcc_lo, exec_lo
	s_and_b32 s14, s14, exec_lo
	s_or_b32 s17, s17, s20
	s_or_b32 s14, s19, s14
; %bb.404:                              ;   in Loop: Header=BB62_6 Depth=1
	s_or_b32 exec_lo, exec_lo, s18
	s_delay_alu instid0(SALU_CYCLE_1)
	s_and_not1_b32 s18, s26, exec_lo
	s_and_b32 s19, s25, exec_lo
	s_and_not1_b32 s16, s16, exec_lo
	s_and_b32 s20, s22, exec_lo
	s_or_b32 s26, s18, s19
	s_and_not1_b32 s15, s15, exec_lo
	s_and_b32 s17, s17, exec_lo
	s_and_not1_b32 s18, s23, exec_lo
	s_and_b32 s14, s14, exec_lo
	s_or_b32 s16, s16, s20
	s_or_b32 s15, s15, s17
	s_or_b32 s23, s18, s14
.LBB62_405:                             ;   in Loop: Header=BB62_6 Depth=1
	s_or_b32 exec_lo, exec_lo, s24
	s_mov_b32 s24, 0
	s_mov_b32 s25, 0
	s_and_saveexec_b32 s14, s23
.LBB62_406:                             ;   in Loop: Header=BB62_6 Depth=1
	v_mov_b32_e32 v2, 0
	s_or_b32 s15, s15, exec_lo
.LBB62_407:                             ;   in Loop: Header=BB62_6 Depth=1
	s_or_b32 exec_lo, exec_lo, s14
	s_delay_alu instid0(SALU_CYCLE_1)
	s_and_not1_b32 s14, s103, exec_lo
	s_and_b32 s18, s26, exec_lo
	s_and_not1_b32 s19, s101, exec_lo
	s_and_b32 s16, s16, exec_lo
	v_mov_b32_e32 v39, v5
	s_or_b32 s103, s14, s18
	s_or_b32 s101, s19, s16
	s_and_not1_b32 s14, vcc_hi, exec_lo
	s_and_b32 s16, s25, exec_lo
	s_and_not1_b32 s18, s104, exec_lo
	s_and_b32 s19, s24, exec_lo
	s_mov_b32 s17, -1
	s_and_not1_b32 s102, s102, exec_lo
	s_or_b32 vcc_hi, s14, s16
	s_or_b32 s104, s18, s19
	s_and_saveexec_b32 s14, s15
	s_delay_alu instid0(SALU_CYCLE_1)
	s_xor_b32 s14, exec_lo, s14
	s_cbranch_execz .LBB62_5
; %bb.408:                              ;   in Loop: Header=BB62_6 Depth=1
	s_mov_b32 s15, -1
	s_mov_b32 s16, -1
	s_mov_b32 s17, exec_lo
	v_cmpx_eq_u32_e32 0, v2
	s_cbranch_execz .LBB62_4
; %bb.409:                              ;   in Loop: Header=BB62_6 Depth=1
	s_xor_b32 s96, s96, 1
	s_add_co_i32 s18, s93, -2
	s_cmp_eq_u32 s93, 0
	s_mov_b32 s93, s18
	s_cselect_b32 s15, -1, 0
	s_xor_b32 s16, exec_lo, -1
	s_or_not1_b32 s15, s15, exec_lo
	s_branch .LBB62_4
.LBB62_410:
	s_or_b32 exec_lo, exec_lo, s94
	s_xor_b32 s7, s100, -1
	s_xor_b32 s9, s98, -1
	;; [unrolled: 1-line block ×5, first 2 shown]
	s_mov_b32 s8, 0
	s_and_saveexec_b32 s12, s11
	s_delay_alu instid0(SALU_CYCLE_1)
	s_xor_b32 s12, exec_lo, s12
	s_cbranch_execnz .LBB62_415
; %bb.411:
	s_and_not1_saveexec_b32 s0, s12
	s_cbranch_execnz .LBB62_434
.LBB62_412:
	s_or_b32 exec_lo, exec_lo, s0
	s_and_saveexec_b32 s0, s8
.LBB62_413:
	; divergent unreachable
.LBB62_414:
	s_sendmsg sendmsg(MSG_DEALLOC_VGPRS)
	s_endpgm
.LBB62_415:
	s_and_saveexec_b32 s11, s10
	s_delay_alu instid0(SALU_CYCLE_1)
	s_xor_b32 s13, exec_lo, s11
	s_cbranch_execz .LBB62_432
; %bb.416:
	s_and_saveexec_b32 s10, s9
	s_delay_alu instid0(SALU_CYCLE_1)
	s_xor_b32 s14, exec_lo, s10
	s_cbranch_execz .LBB62_430
; %bb.417:
	;; [unrolled: 5-line block ×3, first 2 shown]
	s_and_saveexec_b32 s7, s6
	s_delay_alu instid0(SALU_CYCLE_1)
	s_xor_b32 s6, exec_lo, s7
; %bb.419:
	v_xor_b32_e32 v38, 0xffff8000, v29
; %bb.420:
	s_or_b32 exec_lo, exec_lo, s6
	s_and_saveexec_b32 s6, s5
; %bb.421:
	v_mov_b32_e32 v1, 0
	ds_store_b32 v1, v1 offset:4108
; %bb.422:
	s_or_b32 exec_lo, exec_lo, s6
	v_mov_b32_e32 v1, 0
	s_wait_dscnt 0x0
	s_barrier_signal -1
	s_barrier_wait -1
	s_and_saveexec_b32 s5, s3
	s_cbranch_execz .LBB62_424
; %bb.423:
	global_load_u16 v1, v[14:15], off
.LBB62_424:
	s_wait_xcnt 0x0
	s_or_b32 exec_lo, exec_lo, s5
	s_load_b96 s[16:18], s[0:1], 0x15c
	s_mul_i32 s7, s61, s52
	s_add_co_i32 s5, s36, 31
	s_mul_i32 s6, s50, s53
	s_sub_co_i32 s7, s50, s7
	s_and_not1_b32 s5, s5, 31
	s_sub_co_i32 s6, s72, s6
	s_add_co_i32 s8, s61, 1
	s_sub_co_i32 s9, s7, s52
	s_cmp_ge_u32 s7, s52
	v_readlane_b32 s20, v71, 0
	s_cselect_b32 s8, s8, s61
	s_cselect_b32 s7, s9, s7
	s_add_co_i32 s9, s8, 1
	s_cmp_ge_u32 s7, s52
	v_readlane_b32 s21, v71, 1
	s_cselect_b32 s7, s9, s8
	s_mul_i32 s9, s54, s49
	s_mul_i32 s8, s7, s52
	v_readlane_b32 s22, v71, 2
	s_sub_co_i32 s8, s50, s8
	s_wait_kmcnt 0x0
	s_mul_i32 s6, s6, s18
	s_mul_i32 s8, s8, s17
	;; [unrolled: 1-line block ×3, first 2 shown]
	s_add_co_i32 s6, s8, s6
	s_mul_i32 s8, s35, s48
	s_add_co_i32 s10, s6, s7
	s_sub_co_i32 s7, s54, s8
	s_sub_co_i32 s6, s72, s9
	s_add_co_i32 s8, s35, 1
	s_sub_co_i32 s9, s7, s48
	s_cmp_ge_u32 s7, s48
	s_clause 0x1
	s_load_b32 s16, s[0:1], 0x1c8
	s_load_b32 s17, s[0:1], 0x2a8
	s_cselect_b32 s8, s8, s35
	s_cselect_b32 s7, s9, s7
	s_add_co_i32 s9, s8, 1
	s_cmp_ge_u32 s7, s48
	s_mul_i32 s6, s6, s22
	s_cselect_b32 s7, s9, s8
	v_readlane_b32 s8, v71, 5
	s_wait_xcnt 0x0
	s_mul_i32 s0, s7, s48
	v_readlane_b32 s9, v71, 6
	s_sub_co_i32 s0, s54, s0
	s_mul_i32 s7, s7, s20
	s_mul_i32 s0, s0, s21
	s_mov_b32 s11, 0
	s_add_co_i32 s0, s0, s6
	s_mov_b32 s1, s11
	s_add_co_i32 s0, s0, s7
	s_lshl_b64 s[6:7], s[10:11], 1
	v_cmp_gt_u32_e32 vcc_lo, s5, v0
	s_add_nc_u64 s[6:7], s[8:9], s[6:7]
	v_readlane_b32 s8, v71, 3
	v_readlane_b32 s9, v71, 4
	s_lshl_b64 s[0:1], s[0:1], 3
	s_delay_alu instid0(SALU_CYCLE_1)
	s_add_nc_u64 s[8:9], s[8:9], s[0:1]
	s_mov_b32 s0, -1
	s_mov_b32 s1, 0
	s_and_saveexec_b32 s10, vcc_lo
	s_cbranch_execnz .LBB62_435
; %bb.425:
	s_or_b32 exec_lo, exec_lo, s10
	s_and_saveexec_b32 s4, s0
	s_cbranch_execnz .LBB62_450
.LBB62_426:
	s_or_b32 exec_lo, exec_lo, s4
	s_and_saveexec_b32 s0, s1
	s_delay_alu instid0(SALU_CYCLE_1)
	s_xor_b32 s0, exec_lo, s0
	s_cbranch_execnz .LBB62_473
.LBB62_427:
	s_or_b32 exec_lo, exec_lo, s0
	s_delay_alu instid0(SALU_CYCLE_1)
	s_and_b32 s8, s11, exec_lo
.LBB62_428:
	s_and_not1_saveexec_b32 s0, s15
	s_cbranch_execnz .LBB62_475
.LBB62_429:
	s_or_b32 exec_lo, exec_lo, s0
	s_delay_alu instid0(SALU_CYCLE_1)
	s_and_b32 s8, s8, exec_lo
.LBB62_430:
	s_and_not1_saveexec_b32 s0, s14
	s_cbranch_execnz .LBB62_474
.LBB62_431:
	s_or_b32 exec_lo, exec_lo, s0
	s_delay_alu instid0(SALU_CYCLE_1)
	s_and_b32 s8, s8, exec_lo
.LBB62_432:
	s_and_not1_saveexec_b32 s0, s13
	s_cbranch_execnz .LBB62_469
.LBB62_433:
	s_or_b32 exec_lo, exec_lo, s0
	s_delay_alu instid0(SALU_CYCLE_1)
	s_and_b32 s8, s8, exec_lo
	s_and_not1_saveexec_b32 s0, s12
	s_cbranch_execz .LBB62_412
.LBB62_434:
	s_or_b32 s8, s8, exec_lo
	s_trap 2
	s_or_b32 exec_lo, exec_lo, s0
	s_and_saveexec_b32 s0, s8
	s_cbranch_execnz .LBB62_413
	s_branch .LBB62_414
.LBB62_435:
	v_add_nc_u32_e32 v2, s47, v0
	v_bfe_i32 v3, v38, 0, 16
	s_mov_b32 s18, 0
                                        ; implicit-def: $sgpr19
                                        ; implicit-def: $vgpr7
	s_delay_alu instid0(VALU_DEP_1)
	v_add_nc_u32_e32 v5, 0x8000, v3
	v_mov_b32_e32 v3, 0
	v_mul_lo_u32 v4, s43, v2
	v_mov_b32_e32 v2, v0
	s_branch .LBB62_437
.LBB62_436:                             ;   in Loop: Header=BB62_437 Depth=1
	s_or_b32 exec_lo, exec_lo, s21
	s_xor_b32 s0, s20, -1
	s_and_b32 s1, exec_lo, s1
	v_dual_mov_b32 v1, v8 :: v_dual_mov_b32 v2, v6
	s_or_b32 s18, s1, s18
	s_and_not1_b32 s1, s19, exec_lo
	s_and_b32 s0, s0, exec_lo
	s_delay_alu instid0(SALU_CYCLE_1)
	s_or_b32 s19, s1, s0
	s_and_not1_b32 exec_lo, exec_lo, s18
	s_cbranch_execz .LBB62_449
.LBB62_437:                             ; =>This Inner Loop Header: Depth=1
	s_delay_alu instid0(VALU_DEP_1) | instskip(SKIP_1) | instid1(VALU_DEP_1)
	v_dual_add_nc_u32 v6, s47, v2 :: v_dual_mov_b32 v8, 0
	s_mov_b32 s1, exec_lo
	v_cmpx_gt_u32_e64 s36, v6
	s_cbranch_execz .LBB62_439
; %bb.438:                              ;   in Loop: Header=BB62_437 Depth=1
	v_readfirstlane_b32 s20, v12
	v_readfirstlane_b32 s21, v13
	global_load_u16 v8, v4, s[20:21] scale_offset
.LBB62_439:                             ;   in Loop: Header=BB62_437 Depth=1
	s_wait_xcnt 0x0
	s_or_b32 exec_lo, exec_lo, s1
	s_wait_loadcnt 0x0
	v_bfe_i32 v9, v1, 0, 16
	s_delay_alu instid0(VALU_DEP_1) | instskip(NEXT) | instid1(VALU_DEP_1)
	v_add_nc_u32_e32 v9, 0x8000, v9
	v_cmp_gt_u32_e64 s0, v9, v5
	s_delay_alu instid0(VALU_DEP_1) | instskip(SKIP_1) | instid1(VALU_DEP_1)
	v_cndmask_b32_e64 v11, 0, 1, s0
	v_cmp_lt_u32_e64 s0, v9, v5
	v_cndmask_b32_e64 v9, 0, 1, s0
	v_cmp_gt_u32_e64 s0, s36, v2
	s_delay_alu instid0(VALU_DEP_2) | instskip(NEXT) | instid1(VALU_DEP_1)
	v_cndmask_b32_e64 v9, v9, v11, s4
	v_and_b32_e32 v9, 1, v9
	s_delay_alu instid0(VALU_DEP_1) | instskip(SKIP_1) | instid1(SALU_CYCLE_1)
	v_cmp_eq_u32_e64 s1, 1, v9
	s_and_b32 s20, s0, s1
	v_cndmask_b32_e64 v9, 0, 1, s20
	s_delay_alu instid0(VALU_DEP_1) | instskip(SKIP_2) | instid1(SALU_CYCLE_1)
	v_cmp_ne_u32_e64 s0, 0, v9
	s_cmp_lg_u32 s0, 0
	s_cselect_b32 s1, -1, 0
	s_and_b32 s1, s2, s1
	s_delay_alu instid0(SALU_CYCLE_1)
	s_and_saveexec_b32 s21, s1
	s_cbranch_execz .LBB62_443
; %bb.440:                              ;   in Loop: Header=BB62_437 Depth=1
	s_mov_b32 s24, exec_lo
	s_bcnt1_i32_b32 s22, s0
	s_wait_dscnt 0x0
	v_mbcnt_lo_u32_b32 v7, s24, 0
	s_mov_b32 s23, exec_lo
                                        ; implicit-def: $vgpr9
	s_delay_alu instid0(VALU_DEP_1)
	v_cmpx_eq_u32_e32 0, v7
; %bb.441:                              ;   in Loop: Header=BB62_437 Depth=1
	s_bcnt1_i32_b32 s1, s24
	s_delay_alu instid0(SALU_CYCLE_1) | instskip(NEXT) | instid1(SALU_CYCLE_1)
	s_mul_i32 s1, s22, s1
	v_mov_b32_e32 v9, s1
	ds_add_rtn_u32 v9, v3, v9 offset:4108
; %bb.442:                              ;   in Loop: Header=BB62_437 Depth=1
	s_or_b32 exec_lo, exec_lo, s23
	s_wait_dscnt 0x0
	v_readfirstlane_b32 s1, v9
	s_delay_alu instid0(VALU_DEP_1)
	v_mad_u32_u24 v7, s22, v7, s1
.LBB62_443:                             ;   in Loop: Header=BB62_437 Depth=1
	s_or_b32 exec_lo, exec_lo, s21
	s_wait_dscnt 0x0
	ds_bpermute_b32 v7, v3, v7
	s_mov_b32 s1, -1
	s_mov_b32 s22, -1
	s_and_saveexec_b32 s21, s20
	s_cbranch_execz .LBB62_447
; %bb.444:                              ;   in Loop: Header=BB62_437 Depth=1
	v_and_b32_e32 v9, s0, v10
	s_mov_b32 s20, 0
	s_mov_b32 s22, exec_lo
	s_wait_dscnt 0x0
	s_delay_alu instid0(VALU_DEP_1) | instskip(NEXT) | instid1(VALU_DEP_1)
	v_bcnt_u32_b32 v9, v9, v7
	v_cmpx_gt_u32_e64 s37, v9
	s_cbranch_execz .LBB62_446
; %bb.445:                              ;   in Loop: Header=BB62_437 Depth=1
	s_wait_kmcnt 0x0
	v_mul_lo_u32 v11, v9, s16
	v_mul_lo_u32 v9, v9, s17
	s_mov_b32 s20, exec_lo
	global_store_b16 v11, v1, s[6:7] scale_offset
	global_store_b64 v9, v[2:3], s[8:9] scale_offset
.LBB62_446:                             ;   in Loop: Header=BB62_437 Depth=1
	s_wait_xcnt 0x0
	s_or_b32 exec_lo, exec_lo, s22
	s_delay_alu instid0(SALU_CYCLE_1)
	s_or_not1_b32 s22, s20, exec_lo
.LBB62_447:                             ;   in Loop: Header=BB62_437 Depth=1
	s_or_b32 exec_lo, exec_lo, s21
	s_mov_b32 s20, -1
	s_and_saveexec_b32 s21, s22
	s_cbranch_execz .LBB62_436
; %bb.448:                              ;   in Loop: Header=BB62_437 Depth=1
	v_cmp_le_u32_e64 s0, s5, v6
	v_add_nc_u32_e32 v4, s51, v4
	s_xor_b32 s20, exec_lo, -1
	s_or_not1_b32 s1, s0, exec_lo
	s_branch .LBB62_436
.LBB62_449:
	s_or_b32 exec_lo, exec_lo, s18
	s_delay_alu instid0(SALU_CYCLE_1)
	s_mov_b32 s1, exec_lo
	s_or_not1_b32 s0, s19, exec_lo
	s_or_b32 exec_lo, exec_lo, s10
	s_and_saveexec_b32 s4, s0
	s_cbranch_execz .LBB62_426
.LBB62_450:
	v_mov_b32_e32 v6, 0
	s_wait_storecnt 0x0
	s_wait_loadcnt_dscnt 0x0
	s_barrier_signal -1
	s_barrier_wait -1
	s_and_saveexec_b32 s0, s3
	s_cbranch_execz .LBB62_452
; %bb.451:
	global_load_u16 v6, v[14:15], off
.LBB62_452:
	s_wait_xcnt 0x0
	s_or_b32 exec_lo, exec_lo, s0
	s_mov_b32 s0, 0
	s_and_saveexec_b32 s3, vcc_lo
	s_cbranch_execz .LBB62_472
; %bb.453:
	v_add_nc_u32_e32 v1, s47, v0
	s_mov_b32 s10, 0
                                        ; implicit-def: $sgpr11
                                        ; implicit-def: $vgpr5
	s_delay_alu instid0(VALU_DEP_1)
	v_mul_lo_u32 v2, s43, v1
	v_mov_b32_e32 v1, 0
	s_branch .LBB62_456
.LBB62_454:                             ;   in Loop: Header=BB62_456 Depth=1
	s_or_b32 exec_lo, exec_lo, s20
	s_delay_alu instid0(SALU_CYCLE_1)
	s_or_not1_b32 s20, s18, exec_lo
	s_or_not1_b32 s19, s19, exec_lo
.LBB62_455:                             ;   in Loop: Header=BB62_456 Depth=1
	s_or_b32 exec_lo, exec_lo, s0
	s_xor_b32 s0, s20, -1
	s_and_b32 s18, exec_lo, s19
	v_dual_mov_b32 v0, v3 :: v_dual_mov_b32 v6, v4
	s_or_b32 s10, s18, s10
	s_and_not1_b32 s11, s11, exec_lo
	s_and_b32 s0, s0, exec_lo
	s_delay_alu instid0(SALU_CYCLE_1)
	s_or_b32 s11, s11, s0
	s_and_not1_b32 exec_lo, exec_lo, s10
	s_cbranch_execz .LBB62_470
.LBB62_456:                             ; =>This Inner Loop Header: Depth=1
	v_dual_mov_b32 v4, 0 :: v_dual_add_nc_u32 v3, s47, v0
	s_mov_b32 s0, exec_lo
	s_delay_alu instid0(VALU_DEP_1)
	v_cmpx_gt_u32_e64 s36, v3
	s_cbranch_execz .LBB62_458
; %bb.457:                              ;   in Loop: Header=BB62_456 Depth=1
	v_readfirstlane_b32 s18, v12
	v_readfirstlane_b32 s19, v13
	global_load_u16 v4, v2, s[18:19] scale_offset
.LBB62_458:                             ;   in Loop: Header=BB62_456 Depth=1
	s_wait_xcnt 0x0
	s_or_b32 exec_lo, exec_lo, s0
	v_cmp_gt_u32_e32 vcc_lo, s36, v0
	s_wait_loadcnt 0x0
	v_cmp_eq_u16_e64 s0, v6, v38
	s_and_b32 s18, vcc_lo, s0
	s_delay_alu instid0(SALU_CYCLE_1) | instskip(NEXT) | instid1(VALU_DEP_1)
	v_cndmask_b32_e64 v6, 0, 1, s18
	v_cmp_ne_u32_e32 vcc_lo, 0, v6
	s_cmp_lg_u32 vcc_lo, 0
	s_cselect_b32 s0, -1, 0
	s_delay_alu instid0(SALU_CYCLE_1) | instskip(NEXT) | instid1(SALU_CYCLE_1)
	s_and_b32 s0, s2, s0
	s_and_saveexec_b32 s19, s0
	s_cbranch_execz .LBB62_462
; %bb.459:                              ;   in Loop: Header=BB62_456 Depth=1
	s_mov_b32 s22, exec_lo
	s_bcnt1_i32_b32 s20, vcc_lo
	v_mbcnt_lo_u32_b32 v5, s22, 0
	s_mov_b32 s21, exec_lo
                                        ; implicit-def: $vgpr6
	s_delay_alu instid0(VALU_DEP_1)
	v_cmpx_eq_u32_e32 0, v5
; %bb.460:                              ;   in Loop: Header=BB62_456 Depth=1
	s_bcnt1_i32_b32 s0, s22
	s_delay_alu instid0(SALU_CYCLE_1) | instskip(NEXT) | instid1(SALU_CYCLE_1)
	s_mul_i32 s0, s20, s0
	v_mov_b32_e32 v6, s0
	ds_add_rtn_u32 v6, v1, v6 offset:4108
; %bb.461:                              ;   in Loop: Header=BB62_456 Depth=1
	s_or_b32 exec_lo, exec_lo, s21
	s_wait_dscnt 0x0
	v_readfirstlane_b32 s0, v6
	s_delay_alu instid0(VALU_DEP_1)
	v_mad_u32_u24 v5, s20, v5, s0
.LBB62_462:                             ;   in Loop: Header=BB62_456 Depth=1
	s_or_b32 exec_lo, exec_lo, s19
	ds_bpermute_b32 v5, v1, v5
	s_cmp_eq_u32 vcc_lo, 0
	s_mov_b32 s19, -1
	s_cselect_b32 s20, -1, 0
	s_wait_dscnt 0x0
	v_cmp_gt_u32_e64 s0, s37, v5
	s_or_b32 s21, s20, s0
	s_mov_b32 s20, -1
	s_and_saveexec_b32 s0, s21
	s_cbranch_execz .LBB62_455
; %bb.463:                              ;   in Loop: Header=BB62_456 Depth=1
	v_dual_sub_nc_u32 v7, s37, v5 :: v_dual_bitop2_b32 v6, vcc_lo, v10 bitop3:0x40
	s_mov_b32 s21, -1
	s_delay_alu instid0(VALU_DEP_1) | instskip(NEXT) | instid1(VALU_DEP_1)
	v_bcnt_u32_b32 v6, v6, 0
	v_bcnt_u32_b32 v6, 0, v6
	s_delay_alu instid0(VALU_DEP_1)
	v_cmp_gt_u32_e32 vcc_lo, v7, v6
	s_and_b32 s22, s18, vcc_lo
	s_mov_b32 s18, -1
	s_and_saveexec_b32 s20, s22
	s_cbranch_execz .LBB62_467
; %bb.464:                              ;   in Loop: Header=BB62_456 Depth=1
	v_add_nc_u32_e32 v6, v5, v6
	s_mov_b32 s21, 0
	s_mov_b32 s18, exec_lo
	s_delay_alu instid0(VALU_DEP_1)
	v_cmpx_gt_u32_e64 s37, v6
	s_cbranch_execz .LBB62_466
; %bb.465:                              ;   in Loop: Header=BB62_456 Depth=1
	s_wait_kmcnt 0x0
	v_mul_lo_u32 v7, v6, s16
	v_mul_lo_u32 v6, v6, s17
	s_mov_b32 s21, exec_lo
	global_store_b16 v7, v38, s[6:7] scale_offset
	global_store_b64 v6, v[0:1], s[8:9] scale_offset
.LBB62_466:                             ;   in Loop: Header=BB62_456 Depth=1
	s_wait_xcnt 0x0
	s_or_b32 exec_lo, exec_lo, s18
	s_delay_alu instid0(SALU_CYCLE_1)
	s_xor_b32 s18, exec_lo, -1
	s_or_not1_b32 s21, s21, exec_lo
.LBB62_467:                             ;   in Loop: Header=BB62_456 Depth=1
	s_or_b32 exec_lo, exec_lo, s20
	s_and_saveexec_b32 s20, s21
	s_cbranch_execz .LBB62_454
; %bb.468:                              ;   in Loop: Header=BB62_456 Depth=1
	v_cmp_le_u32_e32 vcc_lo, s5, v3
	v_add_nc_u32_e32 v2, s51, v2
	s_or_b32 s18, s18, exec_lo
	s_or_not1_b32 s19, vcc_lo, exec_lo
	s_branch .LBB62_454
.LBB62_469:
	s_or_b32 s8, s8, exec_lo
	s_trap 2
	s_branch .LBB62_433
.LBB62_470:
	s_or_b32 exec_lo, exec_lo, s10
	s_mov_b32 s0, 0
	s_and_saveexec_b32 s2, s11
	s_delay_alu instid0(SALU_CYCLE_1)
	s_xor_b32 s2, exec_lo, s2
	s_cbranch_execnz .LBB62_476
.LBB62_471:
	s_or_b32 exec_lo, exec_lo, s2
	s_delay_alu instid0(SALU_CYCLE_1)
	s_and_b32 s0, s0, exec_lo
.LBB62_472:
	s_or_b32 exec_lo, exec_lo, s3
	s_delay_alu instid0(SALU_CYCLE_1) | instskip(SKIP_3) | instid1(SALU_CYCLE_1)
	s_and_b32 s11, s0, exec_lo
	s_and_not1_b32 s1, s1, exec_lo
	s_or_b32 exec_lo, exec_lo, s4
	s_and_saveexec_b32 s0, s1
	s_xor_b32 s0, exec_lo, s0
	s_cbranch_execz .LBB62_427
.LBB62_473:
	s_or_b32 s11, s11, exec_lo
	s_trap 2
	s_branch .LBB62_427
.LBB62_474:
	s_or_b32 s8, s8, exec_lo
	s_trap 2
	s_branch .LBB62_431
.LBB62_475:
	s_or_b32 s8, s8, exec_lo
	s_trap 2
	s_branch .LBB62_429
.LBB62_476:
	s_mov_b32 s0, exec_lo
	s_trap 2
	s_branch .LBB62_471
	.section	.rodata,"a",@progbits
	.p2align	6, 0x0
	.amdhsa_kernel _ZN2at6native6sbtopk10gatherTopKIsjLi3ELb0EEEvNS_4cuda6detail10TensorInfoIKT_T0_EES8_S8_bS8_S8_NS5_IS6_S8_EES8_NS5_IlS8_EES8_PS6_
		.amdhsa_group_segment_fixed_size 4112
		.amdhsa_private_segment_fixed_size 0
		.amdhsa_kernarg_size 952
		.amdhsa_user_sgpr_count 2
		.amdhsa_user_sgpr_dispatch_ptr 0
		.amdhsa_user_sgpr_queue_ptr 0
		.amdhsa_user_sgpr_kernarg_segment_ptr 1
		.amdhsa_user_sgpr_dispatch_id 0
		.amdhsa_user_sgpr_kernarg_preload_length 0
		.amdhsa_user_sgpr_kernarg_preload_offset 0
		.amdhsa_user_sgpr_private_segment_size 0
		.amdhsa_wavefront_size32 1
		.amdhsa_uses_dynamic_stack 0
		.amdhsa_enable_private_segment 0
		.amdhsa_system_sgpr_workgroup_id_x 1
		.amdhsa_system_sgpr_workgroup_id_y 1
		.amdhsa_system_sgpr_workgroup_id_z 1
		.amdhsa_system_sgpr_workgroup_info 0
		.amdhsa_system_vgpr_workitem_id 0
		.amdhsa_next_free_vgpr 72
		.amdhsa_next_free_sgpr 105
		.amdhsa_named_barrier_count 0
		.amdhsa_reserve_vcc 1
		.amdhsa_float_round_mode_32 0
		.amdhsa_float_round_mode_16_64 0
		.amdhsa_float_denorm_mode_32 3
		.amdhsa_float_denorm_mode_16_64 3
		.amdhsa_fp16_overflow 0
		.amdhsa_memory_ordered 1
		.amdhsa_forward_progress 1
		.amdhsa_inst_pref_size 137
		.amdhsa_round_robin_scheduling 0
		.amdhsa_exception_fp_ieee_invalid_op 0
		.amdhsa_exception_fp_denorm_src 0
		.amdhsa_exception_fp_ieee_div_zero 0
		.amdhsa_exception_fp_ieee_overflow 0
		.amdhsa_exception_fp_ieee_underflow 0
		.amdhsa_exception_fp_ieee_inexact 0
		.amdhsa_exception_int_div_zero 0
	.end_amdhsa_kernel
	.section	.text._ZN2at6native6sbtopk10gatherTopKIsjLi3ELb0EEEvNS_4cuda6detail10TensorInfoIKT_T0_EES8_S8_bS8_S8_NS5_IS6_S8_EES8_NS5_IlS8_EES8_PS6_,"axG",@progbits,_ZN2at6native6sbtopk10gatherTopKIsjLi3ELb0EEEvNS_4cuda6detail10TensorInfoIKT_T0_EES8_S8_bS8_S8_NS5_IS6_S8_EES8_NS5_IlS8_EES8_PS6_,comdat
.Lfunc_end62:
	.size	_ZN2at6native6sbtopk10gatherTopKIsjLi3ELb0EEEvNS_4cuda6detail10TensorInfoIKT_T0_EES8_S8_bS8_S8_NS5_IS6_S8_EES8_NS5_IlS8_EES8_PS6_, .Lfunc_end62-_ZN2at6native6sbtopk10gatherTopKIsjLi3ELb0EEEvNS_4cuda6detail10TensorInfoIKT_T0_EES8_S8_bS8_S8_NS5_IS6_S8_EES8_NS5_IlS8_EES8_PS6_
                                        ; -- End function
	.set _ZN2at6native6sbtopk10gatherTopKIsjLi3ELb0EEEvNS_4cuda6detail10TensorInfoIKT_T0_EES8_S8_bS8_S8_NS5_IS6_S8_EES8_NS5_IlS8_EES8_PS6_.num_vgpr, 72
	.set _ZN2at6native6sbtopk10gatherTopKIsjLi3ELb0EEEvNS_4cuda6detail10TensorInfoIKT_T0_EES8_S8_bS8_S8_NS5_IS6_S8_EES8_NS5_IlS8_EES8_PS6_.num_agpr, 0
	.set _ZN2at6native6sbtopk10gatherTopKIsjLi3ELb0EEEvNS_4cuda6detail10TensorInfoIKT_T0_EES8_S8_bS8_S8_NS5_IS6_S8_EES8_NS5_IlS8_EES8_PS6_.numbered_sgpr, 105
	.set _ZN2at6native6sbtopk10gatherTopKIsjLi3ELb0EEEvNS_4cuda6detail10TensorInfoIKT_T0_EES8_S8_bS8_S8_NS5_IS6_S8_EES8_NS5_IlS8_EES8_PS6_.num_named_barrier, 0
	.set _ZN2at6native6sbtopk10gatherTopKIsjLi3ELb0EEEvNS_4cuda6detail10TensorInfoIKT_T0_EES8_S8_bS8_S8_NS5_IS6_S8_EES8_NS5_IlS8_EES8_PS6_.private_seg_size, 0
	.set _ZN2at6native6sbtopk10gatherTopKIsjLi3ELb0EEEvNS_4cuda6detail10TensorInfoIKT_T0_EES8_S8_bS8_S8_NS5_IS6_S8_EES8_NS5_IlS8_EES8_PS6_.uses_vcc, 1
	.set _ZN2at6native6sbtopk10gatherTopKIsjLi3ELb0EEEvNS_4cuda6detail10TensorInfoIKT_T0_EES8_S8_bS8_S8_NS5_IS6_S8_EES8_NS5_IlS8_EES8_PS6_.uses_flat_scratch, 0
	.set _ZN2at6native6sbtopk10gatherTopKIsjLi3ELb0EEEvNS_4cuda6detail10TensorInfoIKT_T0_EES8_S8_bS8_S8_NS5_IS6_S8_EES8_NS5_IlS8_EES8_PS6_.has_dyn_sized_stack, 0
	.set _ZN2at6native6sbtopk10gatherTopKIsjLi3ELb0EEEvNS_4cuda6detail10TensorInfoIKT_T0_EES8_S8_bS8_S8_NS5_IS6_S8_EES8_NS5_IlS8_EES8_PS6_.has_recursion, 0
	.set _ZN2at6native6sbtopk10gatherTopKIsjLi3ELb0EEEvNS_4cuda6detail10TensorInfoIKT_T0_EES8_S8_bS8_S8_NS5_IS6_S8_EES8_NS5_IlS8_EES8_PS6_.has_indirect_call, 0
	.section	.AMDGPU.csdata,"",@progbits
; Kernel info:
; codeLenInByte = 17468
; TotalNumSgprs: 107
; NumVgprs: 72
; ScratchSize: 0
; MemoryBound: 0
; FloatMode: 240
; IeeeMode: 1
; LDSByteSize: 4112 bytes/workgroup (compile time only)
; SGPRBlocks: 0
; VGPRBlocks: 4
; NumSGPRsForWavesPerEU: 107
; NumVGPRsForWavesPerEU: 72
; NamedBarCnt: 0
; Occupancy: 12
; WaveLimiterHint : 1
; COMPUTE_PGM_RSRC2:SCRATCH_EN: 0
; COMPUTE_PGM_RSRC2:USER_SGPR: 2
; COMPUTE_PGM_RSRC2:TRAP_HANDLER: 0
; COMPUTE_PGM_RSRC2:TGID_X_EN: 1
; COMPUTE_PGM_RSRC2:TGID_Y_EN: 1
; COMPUTE_PGM_RSRC2:TGID_Z_EN: 1
; COMPUTE_PGM_RSRC2:TIDIG_COMP_CNT: 0
	.section	.text._ZN2at6native6mbtopk23computeBlockDigitCountsIsjjLin1EEEvNS_4cuda6detail10TensorInfoIKT_T0_EEjPjjS8_iijT1_PSB_Ps,"axG",@progbits,_ZN2at6native6mbtopk23computeBlockDigitCountsIsjjLin1EEEvNS_4cuda6detail10TensorInfoIKT_T0_EEjPjjS8_iijT1_PSB_Ps,comdat
	.protected	_ZN2at6native6mbtopk23computeBlockDigitCountsIsjjLin1EEEvNS_4cuda6detail10TensorInfoIKT_T0_EEjPjjS8_iijT1_PSB_Ps ; -- Begin function _ZN2at6native6mbtopk23computeBlockDigitCountsIsjjLin1EEEvNS_4cuda6detail10TensorInfoIKT_T0_EEjPjjS8_iijT1_PSB_Ps
	.globl	_ZN2at6native6mbtopk23computeBlockDigitCountsIsjjLin1EEEvNS_4cuda6detail10TensorInfoIKT_T0_EEjPjjS8_iijT1_PSB_Ps
	.p2align	8
	.type	_ZN2at6native6mbtopk23computeBlockDigitCountsIsjjLin1EEEvNS_4cuda6detail10TensorInfoIKT_T0_EEjPjjS8_iijT1_PSB_Ps,@function
_ZN2at6native6mbtopk23computeBlockDigitCountsIsjjLin1EEEvNS_4cuda6detail10TensorInfoIKT_T0_EEjPjjS8_iijT1_PSB_Ps: ; @_ZN2at6native6mbtopk23computeBlockDigitCountsIsjjLin1EEEvNS_4cuda6detail10TensorInfoIKT_T0_EEjPjjS8_iijT1_PSB_Ps
; %bb.0:
	s_load_b64 s[2:3], s[0:1], 0xf8
	s_bfe_u32 s4, ttmp6, 0x40010
	s_and_b32 s6, ttmp7, 0xffff
	s_add_co_i32 s7, s4, 1
	s_bfe_u32 s8, ttmp6, 0x40004
	s_mul_i32 s7, s6, s7
	s_load_b64 s[4:5], s[0:1], 0x110
	s_add_co_i32 s7, s8, s7
	s_bfe_u32 s9, ttmp6, 0x4000c
	s_bfe_u32 s11, ttmp6, 0x40014
	s_add_co_i32 s9, s9, 1
	s_and_b32 s10, ttmp6, 15
	s_mul_i32 s9, ttmp9, s9
	s_add_co_i32 s11, s11, 1
	s_add_co_i32 s12, s10, s9
	s_bfe_u32 s10, ttmp6, 0x40008
	s_mov_b32 s15, 0
	s_wait_kmcnt 0x0
	s_cvt_f32_u32 s8, s2
	s_delay_alu instid0(SALU_CYCLE_3) | instskip(SKIP_1) | instid1(SALU_CYCLE_1)
	v_rcp_iflag_f32_e32 v1, s8
	s_lshr_b32 s8, ttmp7, 16
	s_mul_i32 s9, s8, s11
	s_getreg_b32 s11, hwreg(HW_REG_IB_STS2, 6, 4)
	s_add_co_i32 s10, s10, s9
	s_cmp_eq_u32 s11, 0
	v_nop
	v_readfirstlane_b32 s13, v1
	s_cselect_b32 s14, s8, s10
	s_load_b128 s[8:11], s[0:1], 0xe8
	s_mul_i32 s5, s5, s14
	s_cselect_b32 s12, ttmp9, s12
	s_mul_f32 s13, s13, 0x4f7ffffe
	s_cselect_b32 s6, s6, s7
	s_sub_co_i32 s7, 0, s2
	s_add_co_i32 s5, s5, s6
	s_cvt_u32_f32 s13, s13
	s_mul_i32 s16, s5, s4
	s_delay_alu instid0(SALU_CYCLE_1) | instskip(NEXT) | instid1(SALU_CYCLE_1)
	s_add_co_i32 s16, s16, s12
	s_mul_i32 s7, s7, s13
	s_delay_alu instid0(SALU_CYCLE_1) | instskip(NEXT) | instid1(SALU_CYCLE_1)
	s_mul_hi_u32 s4, s13, s7
	s_add_co_i32 s13, s13, s4
	s_delay_alu instid0(SALU_CYCLE_1) | instskip(NEXT) | instid1(SALU_CYCLE_1)
	s_mul_hi_u32 s4, s16, s13
	s_mul_i32 s5, s4, s2
	s_add_co_i32 s6, s4, 1
	s_sub_co_i32 s5, s16, s5
	s_delay_alu instid0(SALU_CYCLE_1)
	s_sub_co_i32 s7, s5, s2
	s_cmp_ge_u32 s5, s2
	s_cselect_b32 s4, s6, s4
	s_cselect_b32 s5, s7, s5
	s_add_co_i32 s6, s4, 1
	s_cmp_ge_u32 s5, s2
	s_cselect_b32 s17, s6, s4
	s_wait_kmcnt 0x0
	s_cmp_ge_u32 s17, s8
	s_cbranch_scc1 .LBB63_30
; %bb.1:
	s_clause 0x1
	s_load_b32 s8, s[0:1], 0xd0
	s_load_b128 s[4:7], s[0:1], 0x100
	s_mov_b32 s18, s17
	s_wait_kmcnt 0x0
	s_cmp_lt_i32 s8, 2
	s_cbranch_scc1 .LBB63_4
; %bb.2:
	s_add_co_i32 s14, s8, -1
	s_add_co_i32 s8, s8, 1
	s_lshl_b64 s[12:13], s[14:15], 2
	s_mov_b32 s18, s17
	s_add_nc_u64 s[12:13], s[0:1], s[12:13]
	s_delay_alu instid0(SALU_CYCLE_1)
	s_add_nc_u64 s[12:13], s[12:13], 8
.LBB63_3:                               ; =>This Inner Loop Header: Depth=1
	s_clause 0x1
	s_load_b32 s14, s[12:13], 0x0
	s_load_b32 s19, s[12:13], 0x64
	s_mov_b32 s22, s18
	s_wait_xcnt 0x0
	s_add_nc_u64 s[12:13], s[12:13], -4
	s_wait_kmcnt 0x0
	s_cvt_f32_u32 s20, s14
	s_sub_co_i32 s21, 0, s14
	s_delay_alu instid0(SALU_CYCLE_2) | instskip(SKIP_1) | instid1(TRANS32_DEP_1)
	v_rcp_iflag_f32_e32 v1, s20
	v_nop
	v_readfirstlane_b32 s20, v1
	s_mul_f32 s20, s20, 0x4f7ffffe
	s_delay_alu instid0(SALU_CYCLE_3) | instskip(NEXT) | instid1(SALU_CYCLE_3)
	s_cvt_u32_f32 s20, s20
	s_mul_i32 s21, s21, s20
	s_delay_alu instid0(SALU_CYCLE_1) | instskip(NEXT) | instid1(SALU_CYCLE_1)
	s_mul_hi_u32 s21, s20, s21
	s_add_co_i32 s20, s20, s21
	s_delay_alu instid0(SALU_CYCLE_1) | instskip(NEXT) | instid1(SALU_CYCLE_1)
	s_mul_hi_u32 s18, s18, s20
	s_mul_i32 s20, s18, s14
	s_add_co_i32 s21, s18, 1
	s_sub_co_i32 s20, s22, s20
	s_delay_alu instid0(SALU_CYCLE_1)
	s_sub_co_i32 s23, s20, s14
	s_cmp_ge_u32 s20, s14
	s_cselect_b32 s18, s21, s18
	s_cselect_b32 s20, s23, s20
	s_add_co_i32 s21, s18, 1
	s_cmp_ge_u32 s20, s14
	s_cselect_b32 s18, s21, s18
	s_add_co_i32 s8, s8, -1
	s_mul_i32 s14, s18, s14
	s_delay_alu instid0(SALU_CYCLE_1) | instskip(NEXT) | instid1(SALU_CYCLE_1)
	s_sub_co_i32 s14, s22, s14
	s_mul_i32 s14, s19, s14
	s_delay_alu instid0(SALU_CYCLE_1)
	s_add_co_i32 s15, s14, s15
	s_cmp_gt_u32 s8, 2
	s_cbranch_scc1 .LBB63_3
.LBB63_4:
	s_load_b32 s8, s[4:5], s17 offset:0x0 scale_offset
	v_cmp_gt_u32_e32 vcc_lo, 0x100, v0
	v_lshlrev_b32_e32 v1, 2, v0
	s_wait_xcnt 0x0
	s_and_saveexec_b32 s4, vcc_lo
; %bb.5:
	v_mov_b32_e32 v2, 0
	ds_store_b32 v1, v2
; %bb.6:
	s_or_b32 exec_lo, exec_lo, s4
	s_load_b32 s14, s[0:1], 0xd8
	s_mul_i32 s17, s17, s2
	s_mov_b32 s13, 0
	s_sub_co_i32 s19, s16, s17
	s_wait_dscnt 0x0
	s_mul_i32 s4, s11, s19
	s_add_co_i32 s19, s19, 1
	s_lshl_b32 s17, s4, 8
	s_barrier_signal -1
	s_barrier_wait -1
	s_wait_kmcnt 0x0
	s_sub_co_i32 s12, s14, s17
	s_delay_alu instid0(SALU_CYCLE_1) | instskip(NEXT) | instid1(SALU_CYCLE_1)
	s_add_nc_u64 s[4:5], s[12:13], 0xff
	s_lshr_b64 s[4:5], s[4:5], 8
	s_cmp_lt_u32 s19, s2
	s_cselect_b32 s2, s11, s4
	s_delay_alu instid0(SALU_CYCLE_1)
	s_cmp_lt_i32 s2, 1
	s_cbranch_scc1 .LBB63_28
; %bb.7:
	s_clause 0x1
	s_load_b32 s11, s[0:1], 0x6c
	s_load_b64 s[4:5], s[0:1], 0x0
	s_wait_xcnt 0x0
	s_and_b32 s1, s10, 0xff
	s_wait_kmcnt 0x0
	s_mul_i32 s0, s11, s18
	s_delay_alu instid0(SALU_CYCLE_1) | instskip(NEXT) | instid1(SALU_CYCLE_1)
	s_add_co_i32 s12, s0, s15
	s_lshl_b64 s[18:19], s[12:13], 1
	s_cmp_lt_u32 s2, 4
	s_add_nc_u64 s[4:5], s[4:5], s[18:19]
	s_cbranch_scc1 .LBB63_22
; %bb.8:
	v_dual_mov_b32 v7, 1 :: v_dual_add_nc_u32 v6, s17, v0
	s_and_b32 s13, s2, 0x7ffffffc
	s_lshl_b32 s10, s9, 10
	s_mov_b32 s11, 0
	s_delay_alu instid0(VALU_DEP_1)
	v_add_nc_u32_e32 v2, 0x300, v6
	v_add_nc_u32_e32 v4, 0x200, v6
	;; [unrolled: 1-line block ×3, first 2 shown]
	v_mul_lo_u32 v6, s9, v6
	s_mov_b32 s12, 0
	v_mul_lo_u32 v3, s9, v2
	v_mul_lo_u32 v4, s9, v4
	;; [unrolled: 1-line block ×3, first 2 shown]
	s_branch .LBB63_10
.LBB63_9:                               ;   in Loop: Header=BB63_10 Depth=1
	s_or_b32 exec_lo, exec_lo, s15
	v_add_nc_u32_e32 v2, 0x400, v2
	s_add_co_i32 s12, s12, 4
	s_add_co_i32 s11, s11, s10
	s_cmp_eq_u32 s13, s12
	s_cbranch_scc1 .LBB63_22
.LBB63_10:                              ; =>This Inner Loop Header: Depth=1
	v_add_nc_u32_e32 v8, 0xfffffd00, v2
	s_mov_b32 s15, exec_lo
	s_delay_alu instid0(VALU_DEP_1)
	v_cmpx_gt_u32_e64 s14, v8
	s_cbranch_execz .LBB63_13
; %bb.11:                               ;   in Loop: Header=BB63_10 Depth=1
	v_add_nc_u32_e32 v8, s11, v6
	global_load_i16 v8, v8, s[4:5] scale_offset
	s_wait_loadcnt 0x0
	s_wait_xcnt 0x0
	v_add_nc_u32_e32 v8, 0x8000, v8
	s_delay_alu instid0(VALU_DEP_1) | instskip(NEXT) | instid1(VALU_DEP_1)
	v_bitop3_b32 v9, v8, s3, s8 bitop3:0x48
	v_cmp_eq_u32_e64 s0, 0, v9
	s_and_b32 exec_lo, exec_lo, s0
; %bb.12:                               ;   in Loop: Header=BB63_10 Depth=1
	v_bfe_u32 v8, v8, s1, 8
	s_delay_alu instid0(VALU_DEP_1)
	v_lshlrev_b32_e32 v8, 2, v8
	ds_add_u32 v8, v7
.LBB63_13:                              ;   in Loop: Header=BB63_10 Depth=1
	s_or_b32 exec_lo, exec_lo, s15
	v_add_nc_u32_e32 v8, 0xfffffe00, v2
	s_mov_b32 s15, exec_lo
	s_delay_alu instid0(VALU_DEP_1)
	v_cmpx_gt_u32_e64 s14, v8
	s_cbranch_execz .LBB63_16
; %bb.14:                               ;   in Loop: Header=BB63_10 Depth=1
	v_add_nc_u32_e32 v8, s11, v5
	global_load_i16 v8, v8, s[4:5] scale_offset
	s_wait_loadcnt 0x0
	v_add_nc_u32_e32 v8, 0x8000, v8
	s_delay_alu instid0(VALU_DEP_1) | instskip(NEXT) | instid1(VALU_DEP_1)
	v_bitop3_b32 v9, v8, s3, s8 bitop3:0x48
	v_cmp_eq_u32_e64 s0, 0, v9
	s_and_b32 exec_lo, exec_lo, s0
; %bb.15:                               ;   in Loop: Header=BB63_10 Depth=1
	v_bfe_u32 v8, v8, s1, 8
	s_delay_alu instid0(VALU_DEP_1)
	v_lshlrev_b32_e32 v8, 2, v8
	ds_add_u32 v8, v7
.LBB63_16:                              ;   in Loop: Header=BB63_10 Depth=1
	s_or_b32 exec_lo, exec_lo, s15
	v_add_nc_u32_e32 v8, 0xffffff00, v2
	s_mov_b32 s15, exec_lo
	s_delay_alu instid0(VALU_DEP_1)
	v_cmpx_gt_u32_e64 s14, v8
	s_cbranch_execz .LBB63_19
; %bb.17:                               ;   in Loop: Header=BB63_10 Depth=1
	v_add_nc_u32_e32 v8, s11, v4
	global_load_i16 v8, v8, s[4:5] scale_offset
	s_wait_loadcnt 0x0
	v_add_nc_u32_e32 v8, 0x8000, v8
	s_delay_alu instid0(VALU_DEP_1) | instskip(NEXT) | instid1(VALU_DEP_1)
	v_bitop3_b32 v9, v8, s3, s8 bitop3:0x48
	v_cmp_eq_u32_e64 s0, 0, v9
	s_and_b32 exec_lo, exec_lo, s0
; %bb.18:                               ;   in Loop: Header=BB63_10 Depth=1
	v_bfe_u32 v8, v8, s1, 8
	s_delay_alu instid0(VALU_DEP_1)
	v_lshlrev_b32_e32 v8, 2, v8
	ds_add_u32 v8, v7
.LBB63_19:                              ;   in Loop: Header=BB63_10 Depth=1
	s_or_b32 exec_lo, exec_lo, s15
	s_delay_alu instid0(SALU_CYCLE_1)
	s_mov_b32 s15, exec_lo
	v_cmpx_gt_u32_e64 s14, v2
	s_cbranch_execz .LBB63_9
; %bb.20:                               ;   in Loop: Header=BB63_10 Depth=1
	v_add_nc_u32_e32 v8, s11, v3
	global_load_i16 v8, v8, s[4:5] scale_offset
	s_wait_loadcnt 0x0
	v_add_nc_u32_e32 v8, 0x8000, v8
	s_delay_alu instid0(VALU_DEP_1) | instskip(NEXT) | instid1(VALU_DEP_1)
	v_bitop3_b32 v9, v8, s3, s8 bitop3:0x48
	v_cmp_eq_u32_e64 s0, 0, v9
	s_and_b32 exec_lo, exec_lo, s0
	s_cbranch_execz .LBB63_9
; %bb.21:                               ;   in Loop: Header=BB63_10 Depth=1
	v_bfe_u32 v8, v8, s1, 8
	s_delay_alu instid0(VALU_DEP_1)
	v_lshlrev_b32_e32 v8, 2, v8
	ds_add_u32 v8, v7
	s_branch .LBB63_9
.LBB63_22:
	s_and_b32 s2, s2, 3
	s_delay_alu instid0(SALU_CYCLE_1)
	s_cmp_eq_u32 s2, 0
	s_cbranch_scc1 .LBB63_28
; %bb.23:
	s_lshl_b32 s0, s13, 8
	v_mov_b32_e32 v4, 1
	v_add3_u32 v2, s0, s17, v0
	s_delay_alu instid0(VALU_DEP_1)
	v_mul_lo_u32 v3, s9, v2
	s_lshl_b32 s9, s9, 8
	s_branch .LBB63_25
.LBB63_24:                              ;   in Loop: Header=BB63_25 Depth=1
	s_or_b32 exec_lo, exec_lo, s10
	s_delay_alu instid0(VALU_DEP_2) | instskip(SKIP_2) | instid1(SALU_CYCLE_1)
	v_add_nc_u32_e32 v3, s9, v3
	v_add_nc_u32_e32 v2, 0x100, v2
	s_add_co_i32 s2, s2, -1
	s_cmp_lg_u32 s2, 0
	s_cbranch_scc0 .LBB63_28
.LBB63_25:                              ; =>This Inner Loop Header: Depth=1
	s_mov_b32 s10, exec_lo
	v_cmpx_gt_u32_e64 s14, v2
	s_cbranch_execz .LBB63_24
; %bb.26:                               ;   in Loop: Header=BB63_25 Depth=1
	global_load_i16 v5, v3, s[4:5] scale_offset
	s_wait_loadcnt 0x0
	v_add_nc_u32_e32 v5, 0x8000, v5
	s_delay_alu instid0(VALU_DEP_1) | instskip(NEXT) | instid1(VALU_DEP_1)
	v_bitop3_b32 v6, v5, s3, s8 bitop3:0x48
	v_cmp_eq_u32_e64 s0, 0, v6
	s_and_b32 exec_lo, exec_lo, s0
	s_cbranch_execz .LBB63_24
; %bb.27:                               ;   in Loop: Header=BB63_25 Depth=1
	v_bfe_u32 v5, v5, s1, 8
	s_delay_alu instid0(VALU_DEP_1)
	v_lshlrev_b32_e32 v5, 2, v5
	ds_add_u32 v5, v4
	s_branch .LBB63_24
.LBB63_28:
	s_wait_dscnt 0x0
	s_barrier_signal -1
	s_barrier_wait -1
	s_and_saveexec_b32 s0, vcc_lo
	s_cbranch_execz .LBB63_30
; %bb.29:
	ds_load_b32 v1, v1
	v_lshl_or_b32 v0, s16, 8, v0
	s_wait_dscnt 0x0
	global_store_b16 v0, v1, s[6:7] scale_offset
.LBB63_30:
	s_endpgm
	.section	.rodata,"a",@progbits
	.p2align	6, 0x0
	.amdhsa_kernel _ZN2at6native6mbtopk23computeBlockDigitCountsIsjjLin1EEEvNS_4cuda6detail10TensorInfoIKT_T0_EEjPjjS8_iijT1_PSB_Ps
		.amdhsa_group_segment_fixed_size 1024
		.amdhsa_private_segment_fixed_size 0
		.amdhsa_kernarg_size 528
		.amdhsa_user_sgpr_count 2
		.amdhsa_user_sgpr_dispatch_ptr 0
		.amdhsa_user_sgpr_queue_ptr 0
		.amdhsa_user_sgpr_kernarg_segment_ptr 1
		.amdhsa_user_sgpr_dispatch_id 0
		.amdhsa_user_sgpr_kernarg_preload_length 0
		.amdhsa_user_sgpr_kernarg_preload_offset 0
		.amdhsa_user_sgpr_private_segment_size 0
		.amdhsa_wavefront_size32 1
		.amdhsa_uses_dynamic_stack 0
		.amdhsa_enable_private_segment 0
		.amdhsa_system_sgpr_workgroup_id_x 1
		.amdhsa_system_sgpr_workgroup_id_y 1
		.amdhsa_system_sgpr_workgroup_id_z 1
		.amdhsa_system_sgpr_workgroup_info 0
		.amdhsa_system_vgpr_workitem_id 0
		.amdhsa_next_free_vgpr 10
		.amdhsa_next_free_sgpr 24
		.amdhsa_named_barrier_count 0
		.amdhsa_reserve_vcc 1
		.amdhsa_float_round_mode_32 0
		.amdhsa_float_round_mode_16_64 0
		.amdhsa_float_denorm_mode_32 3
		.amdhsa_float_denorm_mode_16_64 3
		.amdhsa_fp16_overflow 0
		.amdhsa_memory_ordered 1
		.amdhsa_forward_progress 1
		.amdhsa_inst_pref_size 12
		.amdhsa_round_robin_scheduling 0
		.amdhsa_exception_fp_ieee_invalid_op 0
		.amdhsa_exception_fp_denorm_src 0
		.amdhsa_exception_fp_ieee_div_zero 0
		.amdhsa_exception_fp_ieee_overflow 0
		.amdhsa_exception_fp_ieee_underflow 0
		.amdhsa_exception_fp_ieee_inexact 0
		.amdhsa_exception_int_div_zero 0
	.end_amdhsa_kernel
	.section	.text._ZN2at6native6mbtopk23computeBlockDigitCountsIsjjLin1EEEvNS_4cuda6detail10TensorInfoIKT_T0_EEjPjjS8_iijT1_PSB_Ps,"axG",@progbits,_ZN2at6native6mbtopk23computeBlockDigitCountsIsjjLin1EEEvNS_4cuda6detail10TensorInfoIKT_T0_EEjPjjS8_iijT1_PSB_Ps,comdat
.Lfunc_end63:
	.size	_ZN2at6native6mbtopk23computeBlockDigitCountsIsjjLin1EEEvNS_4cuda6detail10TensorInfoIKT_T0_EEjPjjS8_iijT1_PSB_Ps, .Lfunc_end63-_ZN2at6native6mbtopk23computeBlockDigitCountsIsjjLin1EEEvNS_4cuda6detail10TensorInfoIKT_T0_EEjPjjS8_iijT1_PSB_Ps
                                        ; -- End function
	.set _ZN2at6native6mbtopk23computeBlockDigitCountsIsjjLin1EEEvNS_4cuda6detail10TensorInfoIKT_T0_EEjPjjS8_iijT1_PSB_Ps.num_vgpr, 10
	.set _ZN2at6native6mbtopk23computeBlockDigitCountsIsjjLin1EEEvNS_4cuda6detail10TensorInfoIKT_T0_EEjPjjS8_iijT1_PSB_Ps.num_agpr, 0
	.set _ZN2at6native6mbtopk23computeBlockDigitCountsIsjjLin1EEEvNS_4cuda6detail10TensorInfoIKT_T0_EEjPjjS8_iijT1_PSB_Ps.numbered_sgpr, 24
	.set _ZN2at6native6mbtopk23computeBlockDigitCountsIsjjLin1EEEvNS_4cuda6detail10TensorInfoIKT_T0_EEjPjjS8_iijT1_PSB_Ps.num_named_barrier, 0
	.set _ZN2at6native6mbtopk23computeBlockDigitCountsIsjjLin1EEEvNS_4cuda6detail10TensorInfoIKT_T0_EEjPjjS8_iijT1_PSB_Ps.private_seg_size, 0
	.set _ZN2at6native6mbtopk23computeBlockDigitCountsIsjjLin1EEEvNS_4cuda6detail10TensorInfoIKT_T0_EEjPjjS8_iijT1_PSB_Ps.uses_vcc, 1
	.set _ZN2at6native6mbtopk23computeBlockDigitCountsIsjjLin1EEEvNS_4cuda6detail10TensorInfoIKT_T0_EEjPjjS8_iijT1_PSB_Ps.uses_flat_scratch, 0
	.set _ZN2at6native6mbtopk23computeBlockDigitCountsIsjjLin1EEEvNS_4cuda6detail10TensorInfoIKT_T0_EEjPjjS8_iijT1_PSB_Ps.has_dyn_sized_stack, 0
	.set _ZN2at6native6mbtopk23computeBlockDigitCountsIsjjLin1EEEvNS_4cuda6detail10TensorInfoIKT_T0_EEjPjjS8_iijT1_PSB_Ps.has_recursion, 0
	.set _ZN2at6native6mbtopk23computeBlockDigitCountsIsjjLin1EEEvNS_4cuda6detail10TensorInfoIKT_T0_EEjPjjS8_iijT1_PSB_Ps.has_indirect_call, 0
	.section	.AMDGPU.csdata,"",@progbits
; Kernel info:
; codeLenInByte = 1508
; TotalNumSgprs: 26
; NumVgprs: 10
; ScratchSize: 0
; MemoryBound: 0
; FloatMode: 240
; IeeeMode: 1
; LDSByteSize: 1024 bytes/workgroup (compile time only)
; SGPRBlocks: 0
; VGPRBlocks: 0
; NumSGPRsForWavesPerEU: 26
; NumVGPRsForWavesPerEU: 10
; NamedBarCnt: 0
; Occupancy: 16
; WaveLimiterHint : 1
; COMPUTE_PGM_RSRC2:SCRATCH_EN: 0
; COMPUTE_PGM_RSRC2:USER_SGPR: 2
; COMPUTE_PGM_RSRC2:TRAP_HANDLER: 0
; COMPUTE_PGM_RSRC2:TGID_X_EN: 1
; COMPUTE_PGM_RSRC2:TGID_Y_EN: 1
; COMPUTE_PGM_RSRC2:TGID_Z_EN: 1
; COMPUTE_PGM_RSRC2:TIDIG_COMP_CNT: 0
	.section	.text._ZN2at6native6mbtopk10gatherTopKIsjLin1EEEvNS_4cuda6detail10TensorInfoIKT_T0_EES8_S8_bjS8_NS5_IS6_S8_EES8_NS5_IlS8_EES8_jjPS6_PjSD_j,"axG",@progbits,_ZN2at6native6mbtopk10gatherTopKIsjLin1EEEvNS_4cuda6detail10TensorInfoIKT_T0_EES8_S8_bjS8_NS5_IS6_S8_EES8_NS5_IlS8_EES8_jjPS6_PjSD_j,comdat
	.protected	_ZN2at6native6mbtopk10gatherTopKIsjLin1EEEvNS_4cuda6detail10TensorInfoIKT_T0_EES8_S8_bjS8_NS5_IS6_S8_EES8_NS5_IlS8_EES8_jjPS6_PjSD_j ; -- Begin function _ZN2at6native6mbtopk10gatherTopKIsjLin1EEEvNS_4cuda6detail10TensorInfoIKT_T0_EES8_S8_bjS8_NS5_IS6_S8_EES8_NS5_IlS8_EES8_jjPS6_PjSD_j
	.globl	_ZN2at6native6mbtopk10gatherTopKIsjLin1EEEvNS_4cuda6detail10TensorInfoIKT_T0_EES8_S8_bjS8_NS5_IS6_S8_EES8_NS5_IlS8_EES8_jjPS6_PjSD_j
	.p2align	8
	.type	_ZN2at6native6mbtopk10gatherTopKIsjLin1EEEvNS_4cuda6detail10TensorInfoIKT_T0_EES8_S8_bjS8_NS5_IS6_S8_EES8_NS5_IlS8_EES8_jjPS6_PjSD_j,@function
_ZN2at6native6mbtopk10gatherTopKIsjLin1EEEvNS_4cuda6detail10TensorInfoIKT_T0_EES8_S8_bjS8_NS5_IS6_S8_EES8_NS5_IlS8_EES8_jjPS6_PjSD_j: ; @_ZN2at6native6mbtopk10gatherTopKIsjLin1EEEvNS_4cuda6detail10TensorInfoIKT_T0_EES8_S8_bjS8_NS5_IS6_S8_EES8_NS5_IlS8_EES8_jjPS6_PjSD_j
; %bb.0:
	s_bfe_u32 s2, ttmp6, 0x40010
	s_and_b32 s4, ttmp7, 0xffff
	s_add_co_i32 s5, s2, 1
	s_clause 0x1
	s_load_b32 s6, s[0:1], 0x2d0
	s_load_b64 s[2:3], s[0:1], 0x2d8
	s_bfe_u32 s8, ttmp6, 0x4000c
	s_mul_i32 s5, s4, s5
	s_bfe_u32 s7, ttmp6, 0x40004
	s_add_co_i32 s8, s8, 1
	s_bfe_u32 s9, ttmp6, 0x40014
	s_add_co_i32 s7, s7, s5
	s_and_b32 s5, ttmp6, 15
	s_mul_i32 s8, ttmp9, s8
	s_lshr_b32 s10, ttmp7, 16
	s_add_co_i32 s9, s9, 1
	s_add_co_i32 s5, s5, s8
	s_mul_i32 s8, s10, s9
	s_bfe_u32 s9, ttmp6, 0x40008
	s_getreg_b32 s11, hwreg(HW_REG_IB_STS2, 6, 4)
	s_add_co_i32 s9, s9, s8
	s_cmp_eq_u32 s11, 0
	s_mov_b32 s17, 0
	s_cselect_b32 s8, s10, s9
	s_cselect_b32 s4, s4, s7
	s_wait_kmcnt 0x0
	s_mul_i32 s3, s3, s8
	s_cselect_b32 s5, ttmp9, s5
	s_add_co_i32 s3, s3, s4
	s_delay_alu instid0(SALU_CYCLE_1) | instskip(NEXT) | instid1(SALU_CYCLE_1)
	s_mul_i32 s8, s3, s2
	s_add_co_i32 s8, s8, s5
	s_delay_alu instid0(SALU_CYCLE_1)
	s_cmp_ge_u32 s8, s6
	s_cbranch_scc1 .LBB64_49
; %bb.1:
	s_clause 0x1
	s_load_b96 s[12:14], s[0:1], 0x2a8
	s_load_b32 s2, s[0:1], 0xd0
	s_wait_kmcnt 0x0
	s_cvt_f32_u32 s3, s14
	s_sub_co_i32 s4, 0, s14
	s_delay_alu instid0(SALU_CYCLE_2) | instskip(SKIP_1) | instid1(TRANS32_DEP_1)
	v_rcp_iflag_f32_e32 v1, s3
	v_nop
	v_readfirstlane_b32 s3, v1
	s_mul_f32 s3, s3, 0x4f7ffffe
	s_delay_alu instid0(SALU_CYCLE_3) | instskip(NEXT) | instid1(SALU_CYCLE_3)
	s_cvt_u32_f32 s3, s3
	s_mul_i32 s4, s4, s3
	s_delay_alu instid0(SALU_CYCLE_1) | instskip(NEXT) | instid1(SALU_CYCLE_1)
	s_mul_hi_u32 s4, s3, s4
	s_add_co_i32 s3, s3, s4
	s_delay_alu instid0(SALU_CYCLE_1) | instskip(NEXT) | instid1(SALU_CYCLE_1)
	s_mul_hi_u32 s3, s8, s3
	s_mul_i32 s4, s3, s14
	s_add_co_i32 s5, s3, 1
	s_sub_co_i32 s4, s8, s4
	s_delay_alu instid0(SALU_CYCLE_1)
	s_sub_co_i32 s6, s4, s14
	s_cmp_ge_u32 s4, s14
	s_cselect_b32 s3, s5, s3
	s_cselect_b32 s4, s6, s4
	s_add_co_i32 s5, s3, 1
	s_cmp_ge_u32 s4, s14
	s_cselect_b32 s9, s5, s3
	s_cmp_lt_i32 s2, 2
	s_mov_b32 s15, s9
	s_cbranch_scc1 .LBB64_4
; %bb.2:
	s_add_co_i32 s16, s2, -1
	s_mov_b32 s15, s9
	s_lshl_b64 s[4:5], s[16:17], 2
	s_delay_alu instid0(SALU_CYCLE_1)
	s_add_nc_u64 s[6:7], s[0:1], s[4:5]
	s_add_co_i32 s4, s2, 1
	s_add_nc_u64 s[2:3], s[6:7], 8
.LBB64_3:                               ; =>This Inner Loop Header: Depth=1
	s_clause 0x1
	s_load_b32 s5, s[2:3], 0x0
	s_load_b32 s6, s[2:3], 0x64
	s_mov_b32 s11, s15
	s_wait_xcnt 0x0
	s_add_nc_u64 s[2:3], s[2:3], -4
	s_wait_kmcnt 0x0
	s_cvt_f32_u32 s7, s5
	s_sub_co_i32 s10, 0, s5
	s_delay_alu instid0(SALU_CYCLE_2) | instskip(SKIP_1) | instid1(TRANS32_DEP_1)
	v_rcp_iflag_f32_e32 v1, s7
	v_nop
	v_readfirstlane_b32 s7, v1
	s_mul_f32 s7, s7, 0x4f7ffffe
	s_delay_alu instid0(SALU_CYCLE_3) | instskip(NEXT) | instid1(SALU_CYCLE_3)
	s_cvt_u32_f32 s7, s7
	s_mul_i32 s10, s10, s7
	s_delay_alu instid0(SALU_CYCLE_1) | instskip(NEXT) | instid1(SALU_CYCLE_1)
	s_mul_hi_u32 s10, s7, s10
	s_add_co_i32 s7, s7, s10
	s_delay_alu instid0(SALU_CYCLE_1) | instskip(NEXT) | instid1(SALU_CYCLE_1)
	s_mul_hi_u32 s7, s15, s7
	s_mul_i32 s10, s7, s5
	s_delay_alu instid0(SALU_CYCLE_1)
	s_sub_co_i32 s10, s15, s10
	s_add_co_i32 s15, s7, 1
	s_sub_co_i32 s16, s10, s5
	s_cmp_ge_u32 s10, s5
	s_cselect_b32 s7, s15, s7
	s_cselect_b32 s10, s16, s10
	s_add_co_i32 s15, s7, 1
	s_cmp_ge_u32 s10, s5
	s_cselect_b32 s15, s15, s7
	s_add_co_i32 s4, s4, -1
	s_mul_i32 s5, s15, s5
	s_delay_alu instid0(SALU_CYCLE_1) | instskip(NEXT) | instid1(SALU_CYCLE_1)
	s_sub_co_i32 s5, s11, s5
	s_mul_i32 s5, s6, s5
	s_delay_alu instid0(SALU_CYCLE_1)
	s_add_co_i32 s17, s5, s17
	s_cmp_gt_u32 s4, 2
	s_cbranch_scc1 .LBB64_3
.LBB64_4:
	s_load_b32 s4, s[0:1], 0x1c0
	s_add_nc_u64 s[2:3], s[0:1], 0xf0
	s_mov_b32 s19, 0
	s_mov_b32 s16, s9
	s_wait_kmcnt 0x0
	s_cmp_lt_i32 s4, 2
	s_cbranch_scc1 .LBB64_7
; %bb.5:
	s_add_co_i32 s18, s4, -1
	s_mov_b32 s16, s9
	s_lshl_b64 s[6:7], s[18:19], 2
	s_delay_alu instid0(SALU_CYCLE_1)
	s_add_nc_u64 s[10:11], s[2:3], s[6:7]
	s_add_co_i32 s6, s4, 1
	s_add_nc_u64 s[4:5], s[10:11], 8
.LBB64_6:                               ; =>This Inner Loop Header: Depth=1
	s_clause 0x1
	s_load_b32 s7, s[4:5], 0x0
	s_load_b32 s10, s[4:5], 0x64
	s_mov_b32 s20, s16
	s_wait_xcnt 0x0
	s_add_nc_u64 s[4:5], s[4:5], -4
	s_wait_kmcnt 0x0
	s_cvt_f32_u32 s11, s7
	s_sub_co_i32 s18, 0, s7
	s_delay_alu instid0(SALU_CYCLE_2) | instskip(SKIP_1) | instid1(TRANS32_DEP_1)
	v_rcp_iflag_f32_e32 v1, s11
	v_nop
	v_readfirstlane_b32 s11, v1
	s_mul_f32 s11, s11, 0x4f7ffffe
	s_delay_alu instid0(SALU_CYCLE_3) | instskip(NEXT) | instid1(SALU_CYCLE_3)
	s_cvt_u32_f32 s11, s11
	s_mul_i32 s18, s18, s11
	s_delay_alu instid0(SALU_CYCLE_1) | instskip(NEXT) | instid1(SALU_CYCLE_1)
	s_mul_hi_u32 s18, s11, s18
	s_add_co_i32 s11, s11, s18
	s_delay_alu instid0(SALU_CYCLE_1) | instskip(NEXT) | instid1(SALU_CYCLE_1)
	s_mul_hi_u32 s11, s16, s11
	s_mul_i32 s16, s11, s7
	s_add_co_i32 s18, s11, 1
	s_sub_co_i32 s16, s20, s16
	s_delay_alu instid0(SALU_CYCLE_1)
	s_sub_co_i32 s21, s16, s7
	s_cmp_ge_u32 s16, s7
	s_cselect_b32 s11, s18, s11
	s_cselect_b32 s16, s21, s16
	s_add_co_i32 s18, s11, 1
	s_cmp_ge_u32 s16, s7
	s_cselect_b32 s16, s18, s11
	s_add_co_i32 s6, s6, -1
	s_mul_i32 s7, s16, s7
	s_delay_alu instid0(SALU_CYCLE_1) | instskip(NEXT) | instid1(SALU_CYCLE_1)
	s_sub_co_i32 s7, s20, s7
	s_mul_i32 s7, s10, s7
	s_delay_alu instid0(SALU_CYCLE_1)
	s_add_co_i32 s19, s7, s19
	s_cmp_gt_u32 s6, 2
	s_cbranch_scc1 .LBB64_6
.LBB64_7:
	s_clause 0x1
	s_load_b32 s18, s[0:1], 0x6c
	s_load_b32 s4, s[0:1], 0x2a0
	s_mov_b32 s21, 0
	s_mov_b32 s20, s9
	s_wait_kmcnt 0x0
	s_cmp_lt_i32 s4, 2
	s_cbranch_scc1 .LBB64_10
; %bb.8:
	s_add_co_i32 s20, s4, -1
	s_add_nc_u64 s[6:7], s[0:1], 0x1d0
	s_lshl_b64 s[10:11], s[20:21], 2
	s_mov_b32 s20, s9
	s_add_nc_u64 s[10:11], s[6:7], s[10:11]
	s_add_co_i32 s6, s4, 1
	s_add_nc_u64 s[4:5], s[10:11], 8
.LBB64_9:                               ; =>This Inner Loop Header: Depth=1
	s_clause 0x1
	s_load_b32 s7, s[4:5], 0x0
	s_load_b32 s10, s[4:5], 0x64
	s_mov_b32 s23, s20
	s_wait_xcnt 0x0
	s_add_nc_u64 s[4:5], s[4:5], -4
	s_wait_kmcnt 0x0
	s_cvt_f32_u32 s11, s7
	s_sub_co_i32 s22, 0, s7
	s_delay_alu instid0(SALU_CYCLE_2) | instskip(SKIP_1) | instid1(TRANS32_DEP_1)
	v_rcp_iflag_f32_e32 v1, s11
	v_nop
	v_readfirstlane_b32 s11, v1
	s_mul_f32 s11, s11, 0x4f7ffffe
	s_delay_alu instid0(SALU_CYCLE_3) | instskip(NEXT) | instid1(SALU_CYCLE_3)
	s_cvt_u32_f32 s11, s11
	s_mul_i32 s22, s22, s11
	s_delay_alu instid0(SALU_CYCLE_1) | instskip(NEXT) | instid1(SALU_CYCLE_1)
	s_mul_hi_u32 s22, s11, s22
	s_add_co_i32 s11, s11, s22
	s_delay_alu instid0(SALU_CYCLE_1) | instskip(NEXT) | instid1(SALU_CYCLE_1)
	s_mul_hi_u32 s11, s20, s11
	s_mul_i32 s20, s11, s7
	s_add_co_i32 s22, s11, 1
	s_sub_co_i32 s20, s23, s20
	s_delay_alu instid0(SALU_CYCLE_1)
	s_sub_co_i32 s24, s20, s7
	s_cmp_ge_u32 s20, s7
	s_cselect_b32 s11, s22, s11
	s_cselect_b32 s20, s24, s20
	s_add_co_i32 s22, s11, 1
	s_cmp_ge_u32 s20, s7
	s_cselect_b32 s20, s22, s11
	s_add_co_i32 s6, s6, -1
	s_mul_i32 s7, s20, s7
	s_delay_alu instid0(SALU_CYCLE_1) | instskip(NEXT) | instid1(SALU_CYCLE_1)
	s_sub_co_i32 s7, s23, s7
	s_mul_i32 s7, s10, s7
	s_delay_alu instid0(SALU_CYCLE_1)
	s_add_co_i32 s21, s7, s21
	s_cmp_gt_u32 s6, 2
	s_cbranch_scc1 .LBB64_9
.LBB64_10:
	s_clause 0x1
	s_load_b32 s30, s[2:3], 0x6c
	s_load_b128 s[4:7], s[0:1], 0x2b8
	v_mov_b32_e32 v1, s9
	s_wait_xcnt 0x0
	v_cmp_ne_u32_e64 s2, 0, v0
	v_cmp_eq_u32_e64 s3, 0, v0
	s_wait_kmcnt 0x0
	global_load_u16 v1, v1, s[4:5] scale_offset
	s_wait_xcnt 0x0
	s_mul_i32 s4, s9, s14
	s_mov_b32 s5, 0
	s_sub_co_i32 s31, s8, s4
	s_and_saveexec_b32 s33, s3
	s_cbranch_execz .LBB64_26
; %bb.11:
	s_load_b64 s[24:25], s[0:1], 0x2c8
	s_lshl_b64 s[26:27], s[4:5], 2
	s_cmp_lt_u32 s14, 4
	s_cbranch_scc1 .LBB64_23
; %bb.12:
	s_mov_b64 s[22:23], 0
	s_mov_b32 s4, 0
.LBB64_13:                              ; =>This Inner Loop Header: Depth=1
	s_add_nc_u64 s[28:29], s[6:7], s[26:27]
	s_cmp_ge_u32 s4, s31
	s_load_b128 s[8:11], s[28:29], 0x0
	s_wait_kmcnt 0x0
	s_add_nc_u64 s[28:29], s[24:25], s[26:27]
	s_cbranch_scc0 .LBB64_20
; %bb.14:                               ;   in Loop: Header=BB64_13 Depth=1
	s_add_co_i32 s34, s4, 1
	s_delay_alu instid0(SALU_CYCLE_1)
	s_cmp_ge_u32 s34, s31
	s_cbranch_scc0 .LBB64_21
.LBB64_15:                              ;   in Loop: Header=BB64_13 Depth=1
	s_add_co_i32 s34, s34, 1
	s_delay_alu instid0(SALU_CYCLE_1)
	s_cmp_ge_u32 s34, s31
	s_cbranch_scc0 .LBB64_22
.LBB64_16:                              ;   in Loop: Header=BB64_13 Depth=1
	s_add_co_i32 s34, s34, 1
	s_delay_alu instid0(SALU_CYCLE_1)
	s_cmp_ge_u32 s34, s31
	s_cbranch_scc1 .LBB64_18
.LBB64_17:                              ;   in Loop: Header=BB64_13 Depth=1
	s_load_b32 s28, s[28:29], 0xc
	s_add_co_i32 s23, s11, s23
	s_wait_kmcnt 0x0
	s_add_co_i32 s22, s28, s22
.LBB64_18:                              ;   in Loop: Header=BB64_13 Depth=1
	s_add_co_i32 s5, s8, s5
	s_add_co_i32 s8, s34, 1
	;; [unrolled: 1-line block ×5, first 2 shown]
	s_add_nc_u64 s[6:7], s[6:7], 16
	s_add_co_i32 s5, s5, s11
	s_cmp_ge_u32 s9, s14
	s_add_nc_u64 s[24:25], s[24:25], 16
	s_cbranch_scc1 .LBB64_24
; %bb.19:                               ;   in Loop: Header=BB64_13 Depth=1
	s_mov_b32 s4, s8
	s_branch .LBB64_13
.LBB64_20:                              ;   in Loop: Header=BB64_13 Depth=1
	s_load_b32 s34, s[28:29], 0x0
	s_add_co_i32 s23, s8, s23
	s_wait_kmcnt 0x0
	s_add_co_i32 s22, s34, s22
	s_add_co_i32 s34, s4, 1
	s_delay_alu instid0(SALU_CYCLE_1)
	s_cmp_ge_u32 s34, s31
	s_cbranch_scc1 .LBB64_15
.LBB64_21:                              ;   in Loop: Header=BB64_13 Depth=1
	s_load_b32 s35, s[28:29], 0x4
	s_add_co_i32 s23, s9, s23
	s_wait_kmcnt 0x0
	s_add_co_i32 s22, s35, s22
	s_add_co_i32 s34, s34, 1
	s_delay_alu instid0(SALU_CYCLE_1)
	s_cmp_ge_u32 s34, s31
	s_cbranch_scc1 .LBB64_16
.LBB64_22:                              ;   in Loop: Header=BB64_13 Depth=1
	s_load_b32 s35, s[28:29], 0x8
	s_add_co_i32 s23, s10, s23
	s_wait_kmcnt 0x0
	s_add_co_i32 s22, s35, s22
	s_add_co_i32 s34, s34, 1
	s_delay_alu instid0(SALU_CYCLE_1)
	s_cmp_ge_u32 s34, s31
	s_cbranch_scc0 .LBB64_17
	s_branch .LBB64_18
.LBB64_23:
	s_mov_b64 s[22:23], 0
	s_add_nc_u64 s[6:7], s[6:7], s[26:27]
	s_wait_kmcnt 0x0
	s_add_nc_u64 s[8:9], s[24:25], s[26:27]
	s_mov_b32 s4, 0
	s_delay_alu instid0(SALU_CYCLE_1)
	s_cmp_ge_u32 s4, s14
	s_cbranch_scc0 .LBB64_47
	s_branch .LBB64_25
.LBB64_24:
	s_add_co_i32 s4, s4, 4
	s_add_nc_u64 s[8:9], s[24:25], s[26:27]
	s_add_nc_u64 s[6:7], s[6:7], s[26:27]
	s_cmp_ge_u32 s4, s14
	s_cbranch_scc0 .LBB64_47
.LBB64_25:
	v_dual_mov_b32 v2, s22 :: v_dual_mov_b32 v3, s5
	v_dual_mov_b32 v4, s23 :: v_dual_mov_b32 v5, 0
	ds_store_b96 v5, v[2:4] offset:1056
.LBB64_26:
	s_or_b32 exec_lo, exec_lo, s33
	s_clause 0x4
	s_load_b32 s7, s[0:1], 0x23c
	s_load_b64 s[8:9], s[0:1], 0x0
	s_load_b64 s[22:23], s[0:1], 0xf0
	;; [unrolled: 1-line block ×3, first 2 shown]
	s_load_b96 s[4:6], s[0:1], 0xd8
	s_mul_i32 s24, s13, s31
	s_mov_b32 s25, 0
	s_lshl_b32 s26, s24, 8
	s_add_co_i32 s31, s31, 1
	s_wait_loadcnt_dscnt 0x0
	s_barrier_signal -1
	s_barrier_wait -1
	s_wait_kmcnt 0x0
	s_sub_co_i32 s24, s4, s26
	s_delay_alu instid0(SALU_CYCLE_1) | instskip(NEXT) | instid1(SALU_CYCLE_1)
	s_add_nc_u64 s[28:29], s[24:25], 0xff
	s_lshr_b64 s[28:29], s[28:29], 8
	s_cmp_lt_u32 s31, s14
	s_cselect_b32 s13, s13, s28
	s_delay_alu instid0(SALU_CYCLE_1)
	s_cmp_eq_u32 s13, 0
	s_cbranch_scc1 .LBB64_49
; %bb.27:
	v_dual_mov_b32 v7, 0 :: v_dual_lshrrev_b32 v6, 3, v0
	s_mul_i32 s7, s7, s20
	v_add_nc_u32_e32 v10, -1, v0
	s_mul_i32 s15, s18, s15
	ds_load_b96 v[2:4], v7 offset:1056
	s_clause 0x1
	s_load_b32 s20, s[0:1], 0xe8
	s_load_b32 s14, s[0:1], 0x1c8
	v_and_b32_e32 v6, 28, v6
	v_lshrrev_b32_e32 v9, 3, v10
	s_mul_i32 s16, s30, s16
	v_lshlrev_b32_e32 v13, 5, v0
	v_bfe_i32 v5, v1, 0, 16
	v_lshl_add_u32 v8, v0, 2, v6
	v_add_nc_u32_e32 v6, s26, v0
	v_and_b32_e32 v11, 0xfc, v0
	s_add_co_i32 s24, s15, s17
	s_mov_b32 s29, s25
	s_mov_b32 s31, s25
	s_add_co_i32 s28, s16, s19
	s_add_co_i32 s30, s7, s21
	s_wait_xcnt 0x0
	s_lshl_b64 s[0:1], s[24:25], 1
	s_lshl_b64 s[16:17], s[28:29], 1
	;; [unrolled: 1-line block ×3, first 2 shown]
	v_add_nc_u32_e32 v5, 0x8000, v5
	s_bitcmp1_b32 s6, 0
	s_wait_dscnt 0x0
	v_add_nc_u32_e32 v2, v2, v3
	v_and_b32_e32 v12, 0x1ffffffc, v9
	s_wait_kmcnt 0x0
	v_mul_lo_u32 v9, s20, v6
	v_mbcnt_lo_u32_b32 v3, -1, 0
	s_add_nc_u64 s[6:7], s[8:9], s[0:1]
	v_cmp_gt_u32_e64 s0, 32, v0
	v_lshl_add_u32 v0, v10, 2, v12
	s_delay_alu instid0(VALU_DEP_3)
	v_dual_add_nc_u32 v10, v11, v13 :: v_dual_bitop2_b32 v11, 15, v3 bitop3:0x40
	v_bfe_i32 v12, v3, 4, 1
	v_add_nc_u32_e32 v13, -1, v3
	s_add_nc_u64 s[8:9], s[22:23], s[16:17]
	s_add_nc_u64 s[10:11], s[10:11], s[18:19]
	s_cselect_b32 s1, -1, 0
	s_lshl_b32 s15, s20, 8
                                        ; implicit-def: $vgpr14
	s_branch .LBB64_30
.LBB64_28:                              ;   in Loop: Header=BB64_30 Depth=1
	s_wait_xcnt 0x0
	s_or_b32 exec_lo, exec_lo, s16
	v_add_nc_u32_e32 v2, v17, v2
.LBB64_29:                              ;   in Loop: Header=BB64_30 Depth=1
	v_dual_add_nc_u32 v4, v16, v4 :: v_dual_add_nc_u32 v9, s15, v9
	v_add_nc_u32_e32 v6, 0x100, v6
	s_add_co_i32 s13, s13, -1
	s_delay_alu instid0(SALU_CYCLE_1)
	s_cmp_lg_u32 s13, 0
	s_cbranch_scc0 .LBB64_49
.LBB64_30:                              ; =>This Inner Loop Header: Depth=1
	v_dual_mov_b32 v17, 0 :: v_dual_mov_b32 v15, 0
	s_mov_b32 s16, exec_lo
	v_cmpx_gt_u32_e64 s4, v6
	s_cbranch_execz .LBB64_32
; %bb.31:                               ;   in Loop: Header=BB64_30 Depth=1
	global_load_u16 v14, v9, s[6:7] scale_offset
	s_wait_loadcnt 0x0
	v_bfe_i32 v15, v14, 0, 16
	s_delay_alu instid0(VALU_DEP_1) | instskip(NEXT) | instid1(VALU_DEP_1)
	v_add_nc_u32_e32 v15, 0x8000, v15
	v_cmp_gt_u32_e32 vcc_lo, v15, v5
	v_cndmask_b32_e64 v16, 0, 1, vcc_lo
	v_cmp_lt_u32_e32 vcc_lo, v15, v5
	v_cndmask_b32_e64 v15, 0, 1, vcc_lo
	v_cmp_eq_u16_e32 vcc_lo, v14, v1
	s_delay_alu instid0(VALU_DEP_2) | instskip(NEXT) | instid1(VALU_DEP_1)
	v_cndmask_b32_e64 v15, v15, v16, s1
	v_and_b32_e32 v17, 1, v15
	v_cndmask_b32_e64 v15, 0, 1, vcc_lo
.LBB64_32:                              ;   in Loop: Header=BB64_30 Depth=1
	s_wait_xcnt 0x0
	s_or_b32 exec_lo, exec_lo, s16
	ds_store_b32 v8, v17
	s_wait_dscnt 0x0
	s_barrier_signal -1
	s_barrier_wait -1
	s_and_saveexec_b32 s16, s0
	s_cbranch_execz .LBB64_34
; %bb.33:                               ;   in Loop: Header=BB64_30 Depth=1
	ds_load_2addr_b32 v[18:19], v10 offset1:1
	ds_load_2addr_b32 v[20:21], v10 offset0:2 offset1:3
	ds_load_2addr_b32 v[22:23], v10 offset0:4 offset1:5
	;; [unrolled: 1-line block ×3, first 2 shown]
	v_cmp_ne_u32_e32 vcc_lo, 0, v11
	; wave barrier
	s_wait_dscnt 0x3
	v_add_nc_u32_e32 v16, v19, v18
	s_wait_dscnt 0x2
	s_delay_alu instid0(VALU_DEP_1) | instskip(SKIP_1) | instid1(VALU_DEP_1)
	v_add3_u32 v16, v16, v20, v21
	s_wait_dscnt 0x1
	v_add3_u32 v16, v16, v22, v23
	s_wait_dscnt 0x0
	s_delay_alu instid0(VALU_DEP_1) | instskip(NEXT) | instid1(VALU_DEP_1)
	v_add3_u32 v16, v16, v24, v25
	v_mov_b32_dpp v19, v16 row_shr:1 row_mask:0xf bank_mask:0xf
	s_delay_alu instid0(VALU_DEP_1) | instskip(SKIP_1) | instid1(VALU_DEP_2)
	v_cndmask_b32_e32 v19, 0, v19, vcc_lo
	v_cmp_lt_u32_e32 vcc_lo, 1, v11
	v_add_nc_u32_e32 v16, v19, v16
	s_delay_alu instid0(VALU_DEP_1) | instskip(NEXT) | instid1(VALU_DEP_1)
	v_mov_b32_dpp v19, v16 row_shr:2 row_mask:0xf bank_mask:0xf
	v_cndmask_b32_e32 v19, 0, v19, vcc_lo
	v_cmp_lt_u32_e32 vcc_lo, 3, v11
	s_delay_alu instid0(VALU_DEP_2) | instskip(NEXT) | instid1(VALU_DEP_1)
	v_add_nc_u32_e32 v16, v16, v19
	v_mov_b32_dpp v19, v16 row_shr:4 row_mask:0xf bank_mask:0xf
	s_delay_alu instid0(VALU_DEP_1) | instskip(SKIP_1) | instid1(VALU_DEP_2)
	v_cndmask_b32_e32 v19, 0, v19, vcc_lo
	v_cmp_lt_u32_e32 vcc_lo, 7, v11
	v_add_nc_u32_e32 v16, v16, v19
	s_delay_alu instid0(VALU_DEP_1) | instskip(NEXT) | instid1(VALU_DEP_1)
	v_mov_b32_dpp v19, v16 row_shr:8 row_mask:0xf bank_mask:0xf
	v_cndmask_b32_e32 v19, 0, v19, vcc_lo
	v_cmp_gt_i32_e32 vcc_lo, 0, v13
	v_cndmask_b32_e32 v20, v13, v3, vcc_lo
	s_delay_alu instid0(VALU_DEP_1) | instskip(SKIP_3) | instid1(VALU_DEP_1)
	v_dual_add_nc_u32 v16, v16, v19 :: v_dual_lshlrev_b32 v20, 2, v20
	ds_swizzle_b32 v19, v16 offset:swizzle(BROADCAST,32,15)
	s_wait_dscnt 0x0
	v_and_b32_e32 v19, v12, v19
	v_add_nc_u32_e32 v16, v16, v19
	ds_bpermute_b32 v16, v20, v16
	s_wait_dscnt 0x0
	v_add_nc_u32_e32 v16, v16, v18
	s_delay_alu instid0(VALU_DEP_1)
	v_cndmask_b32_e64 v16, v16, v17, s3
	ds_store_b32 v10, v16
	; wave barrier
	ds_load_2addr_b32 v[18:19], v10 offset0:1 offset1:2
	ds_load_2addr_b32 v[20:21], v10 offset0:3 offset1:4
	;; [unrolled: 1-line block ×3, first 2 shown]
	ds_load_b32 v24, v10 offset:28
	s_wait_dscnt 0x3
	v_add_nc_u32_e32 v16, v18, v16
	s_delay_alu instid0(VALU_DEP_1) | instskip(SKIP_1) | instid1(VALU_DEP_1)
	v_add_nc_u32_e32 v18, v19, v16
	s_wait_dscnt 0x2
	v_add_nc_u32_e32 v19, v20, v18
	s_delay_alu instid0(VALU_DEP_1) | instskip(SKIP_1) | instid1(VALU_DEP_1)
	v_add_nc_u32_e32 v20, v21, v19
	s_wait_dscnt 0x1
	v_add_nc_u32_e32 v21, v22, v20
	s_delay_alu instid0(VALU_DEP_1) | instskip(SKIP_1) | instid1(VALU_DEP_1)
	v_add_nc_u32_e32 v22, v23, v21
	s_wait_dscnt 0x0
	v_add_nc_u32_e32 v23, v24, v22
	ds_store_2addr_b32 v10, v16, v18 offset0:1 offset1:2
	ds_store_2addr_b32 v10, v19, v20 offset0:3 offset1:4
	;; [unrolled: 1-line block ×3, first 2 shown]
	ds_store_b32 v10, v23 offset:28
.LBB64_34:                              ;   in Loop: Header=BB64_30 Depth=1
	s_or_b32 exec_lo, exec_lo, s16
	v_mov_b32_e32 v18, 0
	s_wait_dscnt 0x0
	s_barrier_signal -1
	s_barrier_wait -1
	s_and_saveexec_b32 s16, s2
; %bb.35:                               ;   in Loop: Header=BB64_30 Depth=1
	ds_load_b32 v18, v0
; %bb.36:                               ;   in Loop: Header=BB64_30 Depth=1
	s_or_b32 exec_lo, exec_lo, s16
	ds_load_b32 v16, v7 offset:1048
	s_mov_b32 s16, exec_lo
	s_wait_dscnt 0x0
	s_barrier_signal -1
	s_barrier_wait -1
	v_cmpx_ne_u32_e32 0, v17
	s_cbranch_execz .LBB64_38
; %bb.37:                               ;   in Loop: Header=BB64_30 Depth=1
	v_add_nc_u32_e32 v17, v18, v4
	s_delay_alu instid0(VALU_DEP_1)
	v_mul_lo_u32 v18, v17, s14
	v_mul_lo_u32 v17, v17, s12
	global_store_b16 v18, v14, s[8:9] scale_offset
	global_store_b64 v17, v[6:7], s[10:11] scale_offset
.LBB64_38:                              ;   in Loop: Header=BB64_30 Depth=1
	s_wait_xcnt 0x0
	s_or_b32 exec_lo, exec_lo, s16
	v_cmp_le_u32_e32 vcc_lo, s5, v2
	s_cbranch_vccnz .LBB64_29
; %bb.39:                               ;   in Loop: Header=BB64_30 Depth=1
	ds_store_b32 v8, v15
	s_wait_storecnt_dscnt 0x0
	s_barrier_signal -1
	s_barrier_wait -1
	s_and_saveexec_b32 s16, s0
	s_cbranch_execz .LBB64_41
; %bb.40:                               ;   in Loop: Header=BB64_30 Depth=1
	ds_load_2addr_b32 v[18:19], v10 offset1:1
	ds_load_2addr_b32 v[20:21], v10 offset0:2 offset1:3
	ds_load_2addr_b32 v[22:23], v10 offset0:4 offset1:5
	;; [unrolled: 1-line block ×3, first 2 shown]
	v_cmp_ne_u32_e32 vcc_lo, 0, v11
	; wave barrier
	s_wait_dscnt 0x3
	v_add_nc_u32_e32 v17, v19, v18
	s_wait_dscnt 0x2
	s_delay_alu instid0(VALU_DEP_1) | instskip(SKIP_1) | instid1(VALU_DEP_1)
	v_add3_u32 v17, v17, v20, v21
	s_wait_dscnt 0x1
	v_add3_u32 v17, v17, v22, v23
	s_wait_dscnt 0x0
	s_delay_alu instid0(VALU_DEP_1) | instskip(NEXT) | instid1(VALU_DEP_1)
	v_add3_u32 v17, v17, v24, v25
	v_mov_b32_dpp v19, v17 row_shr:1 row_mask:0xf bank_mask:0xf
	s_delay_alu instid0(VALU_DEP_1) | instskip(SKIP_1) | instid1(VALU_DEP_2)
	v_cndmask_b32_e32 v19, 0, v19, vcc_lo
	v_cmp_lt_u32_e32 vcc_lo, 1, v11
	v_add_nc_u32_e32 v17, v19, v17
	s_delay_alu instid0(VALU_DEP_1) | instskip(NEXT) | instid1(VALU_DEP_1)
	v_mov_b32_dpp v19, v17 row_shr:2 row_mask:0xf bank_mask:0xf
	v_cndmask_b32_e32 v19, 0, v19, vcc_lo
	v_cmp_lt_u32_e32 vcc_lo, 3, v11
	s_delay_alu instid0(VALU_DEP_2) | instskip(NEXT) | instid1(VALU_DEP_1)
	v_add_nc_u32_e32 v17, v17, v19
	v_mov_b32_dpp v19, v17 row_shr:4 row_mask:0xf bank_mask:0xf
	s_delay_alu instid0(VALU_DEP_1) | instskip(SKIP_1) | instid1(VALU_DEP_2)
	v_cndmask_b32_e32 v19, 0, v19, vcc_lo
	v_cmp_lt_u32_e32 vcc_lo, 7, v11
	v_add_nc_u32_e32 v17, v17, v19
	s_delay_alu instid0(VALU_DEP_1) | instskip(NEXT) | instid1(VALU_DEP_1)
	v_mov_b32_dpp v19, v17 row_shr:8 row_mask:0xf bank_mask:0xf
	v_cndmask_b32_e32 v19, 0, v19, vcc_lo
	v_cmp_gt_i32_e32 vcc_lo, 0, v13
	s_delay_alu instid0(VALU_DEP_2) | instskip(SKIP_4) | instid1(VALU_DEP_1)
	v_add_nc_u32_e32 v17, v17, v19
	v_cndmask_b32_e32 v20, v13, v3, vcc_lo
	ds_swizzle_b32 v19, v17 offset:swizzle(BROADCAST,32,15)
	s_wait_dscnt 0x0
	v_dual_lshlrev_b32 v20, 2, v20 :: v_dual_bitop2_b32 v19, v12, v19 bitop3:0x40
	v_add_nc_u32_e32 v17, v17, v19
	ds_bpermute_b32 v17, v20, v17
	s_wait_dscnt 0x0
	v_add_nc_u32_e32 v17, v17, v18
	s_delay_alu instid0(VALU_DEP_1)
	v_cndmask_b32_e64 v17, v17, v15, s3
	ds_store_b32 v10, v17
	; wave barrier
	ds_load_2addr_b32 v[18:19], v10 offset0:1 offset1:2
	ds_load_2addr_b32 v[20:21], v10 offset0:3 offset1:4
	;; [unrolled: 1-line block ×3, first 2 shown]
	ds_load_b32 v24, v10 offset:28
	s_wait_dscnt 0x3
	v_add_nc_u32_e32 v17, v18, v17
	s_delay_alu instid0(VALU_DEP_1) | instskip(SKIP_1) | instid1(VALU_DEP_1)
	v_add_nc_u32_e32 v18, v19, v17
	s_wait_dscnt 0x2
	v_add_nc_u32_e32 v19, v20, v18
	s_delay_alu instid0(VALU_DEP_1) | instskip(SKIP_1) | instid1(VALU_DEP_1)
	v_add_nc_u32_e32 v20, v21, v19
	;; [unrolled: 4-line block ×3, first 2 shown]
	s_wait_dscnt 0x0
	v_add_nc_u32_e32 v23, v24, v22
	ds_store_2addr_b32 v10, v17, v18 offset0:1 offset1:2
	ds_store_2addr_b32 v10, v19, v20 offset0:3 offset1:4
	;; [unrolled: 1-line block ×3, first 2 shown]
	ds_store_b32 v10, v23 offset:28
.LBB64_41:                              ;   in Loop: Header=BB64_30 Depth=1
	s_or_b32 exec_lo, exec_lo, s16
	v_mov_b32_e32 v18, 0
	s_wait_dscnt 0x0
	s_barrier_signal -1
	s_barrier_wait -1
	s_and_saveexec_b32 s16, s2
; %bb.42:                               ;   in Loop: Header=BB64_30 Depth=1
	ds_load_b32 v18, v0
; %bb.43:                               ;   in Loop: Header=BB64_30 Depth=1
	s_or_b32 exec_lo, exec_lo, s16
	ds_load_b32 v17, v7 offset:1048
	s_mov_b32 s16, exec_lo
	s_wait_dscnt 0x0
	s_barrier_signal -1
	s_barrier_wait -1
	v_cmpx_ne_u32_e32 0, v15
	s_cbranch_execz .LBB64_28
; %bb.44:                               ;   in Loop: Header=BB64_30 Depth=1
	v_add_nc_u32_e32 v15, v18, v2
	s_delay_alu instid0(VALU_DEP_1)
	v_cmp_gt_u32_e32 vcc_lo, s5, v15
	s_and_b32 exec_lo, exec_lo, vcc_lo
	s_cbranch_execz .LBB64_28
; %bb.45:                               ;   in Loop: Header=BB64_30 Depth=1
	v_mul_lo_u32 v18, v15, s14
	v_mul_lo_u32 v15, v15, s12
	global_store_b16 v18, v14, s[8:9] scale_offset
	global_store_b64 v15, v[6:7], s[10:11] scale_offset
	s_branch .LBB64_28
.LBB64_46:                              ;   in Loop: Header=BB64_47 Depth=1
	s_add_co_i32 s4, s4, 1
	s_wait_kmcnt 0x0
	s_add_co_i32 s5, s10, s5
	s_add_nc_u64 s[6:7], s[6:7], 4
	s_cmp_lt_u32 s4, s14
	s_add_nc_u64 s[8:9], s[8:9], 4
	s_cbranch_scc0 .LBB64_25
.LBB64_47:                              ; =>This Inner Loop Header: Depth=1
	s_load_b32 s10, s[6:7], 0x0
	s_cmp_ge_u32 s4, s31
	s_cbranch_scc1 .LBB64_46
; %bb.48:                               ;   in Loop: Header=BB64_47 Depth=1
	s_load_b32 s11, s[8:9], 0x0
	s_wait_kmcnt 0x0
	s_add_co_i32 s23, s10, s23
	s_add_co_i32 s22, s11, s22
	s_branch .LBB64_46
.LBB64_49:
	s_endpgm
	.section	.rodata,"a",@progbits
	.p2align	6, 0x0
	.amdhsa_kernel _ZN2at6native6mbtopk10gatherTopKIsjLin1EEEvNS_4cuda6detail10TensorInfoIKT_T0_EES8_S8_bjS8_NS5_IS6_S8_EES8_NS5_IlS8_EES8_jjPS6_PjSD_j
		.amdhsa_group_segment_fixed_size 1068
		.amdhsa_private_segment_fixed_size 0
		.amdhsa_kernarg_size 984
		.amdhsa_user_sgpr_count 2
		.amdhsa_user_sgpr_dispatch_ptr 0
		.amdhsa_user_sgpr_queue_ptr 0
		.amdhsa_user_sgpr_kernarg_segment_ptr 1
		.amdhsa_user_sgpr_dispatch_id 0
		.amdhsa_user_sgpr_kernarg_preload_length 0
		.amdhsa_user_sgpr_kernarg_preload_offset 0
		.amdhsa_user_sgpr_private_segment_size 0
		.amdhsa_wavefront_size32 1
		.amdhsa_uses_dynamic_stack 0
		.amdhsa_enable_private_segment 0
		.amdhsa_system_sgpr_workgroup_id_x 1
		.amdhsa_system_sgpr_workgroup_id_y 1
		.amdhsa_system_sgpr_workgroup_id_z 1
		.amdhsa_system_sgpr_workgroup_info 0
		.amdhsa_system_vgpr_workitem_id 0
		.amdhsa_next_free_vgpr 26
		.amdhsa_next_free_sgpr 36
		.amdhsa_named_barrier_count 0
		.amdhsa_reserve_vcc 1
		.amdhsa_float_round_mode_32 0
		.amdhsa_float_round_mode_16_64 0
		.amdhsa_float_denorm_mode_32 3
		.amdhsa_float_denorm_mode_16_64 3
		.amdhsa_fp16_overflow 0
		.amdhsa_memory_ordered 1
		.amdhsa_forward_progress 1
		.amdhsa_inst_pref_size 25
		.amdhsa_round_robin_scheduling 0
		.amdhsa_exception_fp_ieee_invalid_op 0
		.amdhsa_exception_fp_denorm_src 0
		.amdhsa_exception_fp_ieee_div_zero 0
		.amdhsa_exception_fp_ieee_overflow 0
		.amdhsa_exception_fp_ieee_underflow 0
		.amdhsa_exception_fp_ieee_inexact 0
		.amdhsa_exception_int_div_zero 0
	.end_amdhsa_kernel
	.section	.text._ZN2at6native6mbtopk10gatherTopKIsjLin1EEEvNS_4cuda6detail10TensorInfoIKT_T0_EES8_S8_bjS8_NS5_IS6_S8_EES8_NS5_IlS8_EES8_jjPS6_PjSD_j,"axG",@progbits,_ZN2at6native6mbtopk10gatherTopKIsjLin1EEEvNS_4cuda6detail10TensorInfoIKT_T0_EES8_S8_bjS8_NS5_IS6_S8_EES8_NS5_IlS8_EES8_jjPS6_PjSD_j,comdat
.Lfunc_end64:
	.size	_ZN2at6native6mbtopk10gatherTopKIsjLin1EEEvNS_4cuda6detail10TensorInfoIKT_T0_EES8_S8_bjS8_NS5_IS6_S8_EES8_NS5_IlS8_EES8_jjPS6_PjSD_j, .Lfunc_end64-_ZN2at6native6mbtopk10gatherTopKIsjLin1EEEvNS_4cuda6detail10TensorInfoIKT_T0_EES8_S8_bjS8_NS5_IS6_S8_EES8_NS5_IlS8_EES8_jjPS6_PjSD_j
                                        ; -- End function
	.set _ZN2at6native6mbtopk10gatherTopKIsjLin1EEEvNS_4cuda6detail10TensorInfoIKT_T0_EES8_S8_bjS8_NS5_IS6_S8_EES8_NS5_IlS8_EES8_jjPS6_PjSD_j.num_vgpr, 26
	.set _ZN2at6native6mbtopk10gatherTopKIsjLin1EEEvNS_4cuda6detail10TensorInfoIKT_T0_EES8_S8_bjS8_NS5_IS6_S8_EES8_NS5_IlS8_EES8_jjPS6_PjSD_j.num_agpr, 0
	.set _ZN2at6native6mbtopk10gatherTopKIsjLin1EEEvNS_4cuda6detail10TensorInfoIKT_T0_EES8_S8_bjS8_NS5_IS6_S8_EES8_NS5_IlS8_EES8_jjPS6_PjSD_j.numbered_sgpr, 36
	.set _ZN2at6native6mbtopk10gatherTopKIsjLin1EEEvNS_4cuda6detail10TensorInfoIKT_T0_EES8_S8_bjS8_NS5_IS6_S8_EES8_NS5_IlS8_EES8_jjPS6_PjSD_j.num_named_barrier, 0
	.set _ZN2at6native6mbtopk10gatherTopKIsjLin1EEEvNS_4cuda6detail10TensorInfoIKT_T0_EES8_S8_bjS8_NS5_IS6_S8_EES8_NS5_IlS8_EES8_jjPS6_PjSD_j.private_seg_size, 0
	.set _ZN2at6native6mbtopk10gatherTopKIsjLin1EEEvNS_4cuda6detail10TensorInfoIKT_T0_EES8_S8_bjS8_NS5_IS6_S8_EES8_NS5_IlS8_EES8_jjPS6_PjSD_j.uses_vcc, 1
	.set _ZN2at6native6mbtopk10gatherTopKIsjLin1EEEvNS_4cuda6detail10TensorInfoIKT_T0_EES8_S8_bjS8_NS5_IS6_S8_EES8_NS5_IlS8_EES8_jjPS6_PjSD_j.uses_flat_scratch, 0
	.set _ZN2at6native6mbtopk10gatherTopKIsjLin1EEEvNS_4cuda6detail10TensorInfoIKT_T0_EES8_S8_bjS8_NS5_IS6_S8_EES8_NS5_IlS8_EES8_jjPS6_PjSD_j.has_dyn_sized_stack, 0
	.set _ZN2at6native6mbtopk10gatherTopKIsjLin1EEEvNS_4cuda6detail10TensorInfoIKT_T0_EES8_S8_bjS8_NS5_IS6_S8_EES8_NS5_IlS8_EES8_jjPS6_PjSD_j.has_recursion, 0
	.set _ZN2at6native6mbtopk10gatherTopKIsjLin1EEEvNS_4cuda6detail10TensorInfoIKT_T0_EES8_S8_bjS8_NS5_IS6_S8_EES8_NS5_IlS8_EES8_jjPS6_PjSD_j.has_indirect_call, 0
	.section	.AMDGPU.csdata,"",@progbits
; Kernel info:
; codeLenInByte = 3156
; TotalNumSgprs: 38
; NumVgprs: 26
; ScratchSize: 0
; MemoryBound: 0
; FloatMode: 240
; IeeeMode: 1
; LDSByteSize: 1068 bytes/workgroup (compile time only)
; SGPRBlocks: 0
; VGPRBlocks: 1
; NumSGPRsForWavesPerEU: 38
; NumVGPRsForWavesPerEU: 26
; NamedBarCnt: 0
; Occupancy: 16
; WaveLimiterHint : 1
; COMPUTE_PGM_RSRC2:SCRATCH_EN: 0
; COMPUTE_PGM_RSRC2:USER_SGPR: 2
; COMPUTE_PGM_RSRC2:TRAP_HANDLER: 0
; COMPUTE_PGM_RSRC2:TGID_X_EN: 1
; COMPUTE_PGM_RSRC2:TGID_Y_EN: 1
; COMPUTE_PGM_RSRC2:TGID_Z_EN: 1
; COMPUTE_PGM_RSRC2:TIDIG_COMP_CNT: 0
	.section	.text._ZN2at6native6sbtopk10gatherTopKIsjLin1ELb0EEEvNS_4cuda6detail10TensorInfoIKT_T0_EES8_S8_bS8_S8_NS5_IS6_S8_EES8_NS5_IlS8_EES8_PS6_,"axG",@progbits,_ZN2at6native6sbtopk10gatherTopKIsjLin1ELb0EEEvNS_4cuda6detail10TensorInfoIKT_T0_EES8_S8_bS8_S8_NS5_IS6_S8_EES8_NS5_IlS8_EES8_PS6_,comdat
	.protected	_ZN2at6native6sbtopk10gatherTopKIsjLin1ELb0EEEvNS_4cuda6detail10TensorInfoIKT_T0_EES8_S8_bS8_S8_NS5_IS6_S8_EES8_NS5_IlS8_EES8_PS6_ ; -- Begin function _ZN2at6native6sbtopk10gatherTopKIsjLin1ELb0EEEvNS_4cuda6detail10TensorInfoIKT_T0_EES8_S8_bS8_S8_NS5_IS6_S8_EES8_NS5_IlS8_EES8_PS6_
	.globl	_ZN2at6native6sbtopk10gatherTopKIsjLin1ELb0EEEvNS_4cuda6detail10TensorInfoIKT_T0_EES8_S8_bS8_S8_NS5_IS6_S8_EES8_NS5_IlS8_EES8_PS6_
	.p2align	8
	.type	_ZN2at6native6sbtopk10gatherTopKIsjLin1ELb0EEEvNS_4cuda6detail10TensorInfoIKT_T0_EES8_S8_bS8_S8_NS5_IS6_S8_EES8_NS5_IlS8_EES8_PS6_,@function
_ZN2at6native6sbtopk10gatherTopKIsjLin1ELb0EEEvNS_4cuda6detail10TensorInfoIKT_T0_EES8_S8_bS8_S8_NS5_IS6_S8_EES8_NS5_IlS8_EES8_PS6_: ; @_ZN2at6native6sbtopk10gatherTopKIsjLin1ELb0EEEvNS_4cuda6detail10TensorInfoIKT_T0_EES8_S8_bS8_S8_NS5_IS6_S8_EES8_NS5_IlS8_EES8_PS6_
; %bb.0:
	s_clause 0x1
	s_load_b128 s[36:39], s[0:1], 0xd8
	s_load_b64 s[8:9], s[0:1], 0x2b8
	s_bfe_u32 s2, ttmp6, 0x40010
	s_and_b32 s3, ttmp7, 0xffff
	s_add_co_i32 s2, s2, 1
	s_bfe_u32 s5, ttmp6, 0x4000c
	s_mul_i32 s2, s3, s2
	s_bfe_u32 s4, ttmp6, 0x40004
	s_add_co_i32 s5, s5, 1
	s_bfe_u32 s6, ttmp6, 0x40014
	s_add_co_i32 s4, s4, s2
	s_and_b32 s2, ttmp6, 15
	s_mul_i32 s5, ttmp9, s5
	s_lshr_b32 s7, ttmp7, 16
	s_add_co_i32 s6, s6, 1
	s_add_co_i32 s2, s2, s5
	s_mul_i32 s5, s7, s6
	s_bfe_u32 s6, ttmp6, 0x40008
	s_getreg_b32 s10, hwreg(HW_REG_IB_STS2, 6, 4)
	s_add_co_i32 s6, s6, s5
	s_cmp_eq_u32 s10, 0
	s_cselect_b32 s5, s7, s6
	s_cselect_b32 s3, s3, s4
	s_wait_kmcnt 0x0
	s_mul_i32 s5, s9, s5
	s_cselect_b32 s9, ttmp9, s2
	s_add_co_i32 s2, s5, s3
	s_delay_alu instid0(SALU_CYCLE_1) | instskip(NEXT) | instid1(SALU_CYCLE_1)
	s_mul_i32 s2, s2, s8
	s_add_co_i32 s57, s2, s9
	s_delay_alu instid0(SALU_CYCLE_1)
	s_cmp_ge_u32 s57, s39
	s_cbranch_scc1 .LBB65_423
; %bb.1:
	s_clause 0x1
	s_load_b32 s2, s[0:1], 0xd0
	s_load_b32 s56, s[0:1], 0xe8
	v_dual_mov_b32 v2, s57 :: v_dual_mov_b32 v1, 0
	s_wait_kmcnt 0x0
	s_cmp_lt_i32 s2, 2
	s_cbranch_scc1 .LBB65_4
; %bb.2:
	s_add_co_i32 s4, s2, -1
	s_mov_b32 s5, 0
	v_dual_mov_b32 v2, s57 :: v_dual_mov_b32 v1, 0
	s_lshl_b64 s[4:5], s[4:5], 2
	s_delay_alu instid0(SALU_CYCLE_1)
	s_add_nc_u64 s[6:7], s[0:1], s[4:5]
	s_add_co_i32 s4, s2, 1
	s_add_nc_u64 s[2:3], s[6:7], 8
.LBB65_3:                               ; =>This Inner Loop Header: Depth=1
	s_clause 0x1
	s_load_b32 s5, s[2:3], 0x0
	s_load_b32 s6, s[2:3], 0x64
	s_add_co_i32 s4, s4, -1
	s_wait_xcnt 0x0
	s_add_nc_u64 s[2:3], s[2:3], -4
	s_wait_kmcnt 0x0
	s_cvt_f32_u32 s7, s5
	s_delay_alu instid0(SALU_CYCLE_3) | instskip(SKIP_3) | instid1(TRANS32_DEP_1)
	v_rcp_iflag_f32_e32 v3, s7
	s_sub_co_i32 s7, 0, s5
	s_cmp_gt_u32 s4, 2
	v_nop
	v_mul_f32_e32 v3, 0x4f7ffffe, v3
	s_delay_alu instid0(VALU_DEP_1) | instskip(NEXT) | instid1(VALU_DEP_1)
	v_cvt_u32_f32_e32 v3, v3
	v_mul_lo_u32 v4, s7, v3
	s_delay_alu instid0(VALU_DEP_1) | instskip(NEXT) | instid1(VALU_DEP_1)
	v_mul_hi_u32 v4, v3, v4
	v_dual_mov_b32 v5, v2 :: v_dual_add_nc_u32 v2, v3, v4
	s_delay_alu instid0(VALU_DEP_1) | instskip(NEXT) | instid1(VALU_DEP_1)
	v_mul_hi_u32 v2, v5, v2
	v_mul_lo_u32 v3, v2, s5
	s_delay_alu instid0(VALU_DEP_1) | instskip(NEXT) | instid1(VALU_DEP_1)
	v_dual_add_nc_u32 v4, 1, v2 :: v_dual_sub_nc_u32 v3, v5, v3
	v_cmp_le_u32_e32 vcc_lo, s5, v3
	s_delay_alu instid0(VALU_DEP_2) | instskip(SKIP_1) | instid1(VALU_DEP_2)
	v_cndmask_b32_e32 v2, v2, v4, vcc_lo
	v_subrev_nc_u32_e32 v6, s5, v3
	v_add_nc_u32_e32 v4, 1, v2
	s_delay_alu instid0(VALU_DEP_2) | instskip(NEXT) | instid1(VALU_DEP_1)
	v_cndmask_b32_e32 v3, v3, v6, vcc_lo
	v_cmp_le_u32_e32 vcc_lo, s5, v3
	s_delay_alu instid0(VALU_DEP_3) | instskip(NEXT) | instid1(VALU_DEP_1)
	v_cndmask_b32_e32 v2, v2, v4, vcc_lo
	v_mul_lo_u32 v3, v2, s5
	s_delay_alu instid0(VALU_DEP_1) | instskip(NEXT) | instid1(VALU_DEP_1)
	v_sub_nc_u32_e32 v3, v5, v3
	v_mul_lo_u32 v3, s6, v3
	s_delay_alu instid0(VALU_DEP_1)
	v_add_nc_u32_e32 v1, v3, v1
	s_cbranch_scc1 .LBB65_3
.LBB65_4:
	s_load_b32 s4, s[0:1], 0x1c0
	s_add_nc_u64 s[14:15], s[0:1], 0x2b8
	s_add_nc_u64 s[2:3], s[0:1], 0xf0
	s_mov_b32 s35, 0
	s_mov_b32 s59, s57
	s_wait_kmcnt 0x0
	s_cmp_lt_i32 s4, 2
	s_cbranch_scc1 .LBB65_7
; %bb.5:
	s_add_co_i32 s34, s4, -1
	s_mov_b32 s59, s57
	s_lshl_b64 s[6:7], s[34:35], 2
	s_delay_alu instid0(SALU_CYCLE_1)
	s_add_nc_u64 s[10:11], s[2:3], s[6:7]
	s_add_co_i32 s6, s4, 1
	s_add_nc_u64 s[4:5], s[10:11], 8
.LBB65_6:                               ; =>This Inner Loop Header: Depth=1
	s_clause 0x1
	s_load_b32 s7, s[4:5], 0x0
	s_load_b32 s10, s[4:5], 0x64
	s_mov_b32 s13, s59
	s_wait_xcnt 0x0
	s_add_nc_u64 s[4:5], s[4:5], -4
	s_wait_kmcnt 0x0
	s_cvt_f32_u32 s11, s7
	s_sub_co_i32 s12, 0, s7
	s_delay_alu instid0(SALU_CYCLE_2) | instskip(SKIP_1) | instid1(TRANS32_DEP_1)
	v_rcp_iflag_f32_e32 v3, s11
	v_nop
	v_readfirstlane_b32 s11, v3
	s_mul_f32 s11, s11, 0x4f7ffffe
	s_delay_alu instid0(SALU_CYCLE_3) | instskip(NEXT) | instid1(SALU_CYCLE_3)
	s_cvt_u32_f32 s11, s11
	s_mul_i32 s12, s12, s11
	s_delay_alu instid0(SALU_CYCLE_1) | instskip(NEXT) | instid1(SALU_CYCLE_1)
	s_mul_hi_u32 s12, s11, s12
	s_add_co_i32 s11, s11, s12
	s_delay_alu instid0(SALU_CYCLE_1) | instskip(NEXT) | instid1(SALU_CYCLE_1)
	s_mul_hi_u32 s11, s59, s11
	s_mul_i32 s12, s11, s7
	s_add_co_i32 s16, s11, 1
	s_sub_co_i32 s12, s59, s12
	s_delay_alu instid0(SALU_CYCLE_1)
	s_sub_co_i32 s17, s12, s7
	s_cmp_ge_u32 s12, s7
	s_cselect_b32 s11, s16, s11
	s_cselect_b32 s12, s17, s12
	s_add_co_i32 s16, s11, 1
	s_cmp_ge_u32 s12, s7
	s_cselect_b32 s59, s16, s11
	s_add_co_i32 s6, s6, -1
	s_mul_i32 s7, s59, s7
	s_delay_alu instid0(SALU_CYCLE_1) | instskip(NEXT) | instid1(SALU_CYCLE_1)
	s_sub_co_i32 s7, s13, s7
	s_mul_i32 s7, s10, s7
	s_delay_alu instid0(SALU_CYCLE_1)
	s_add_co_i32 s35, s7, s35
	s_cmp_gt_u32 s6, 2
	s_cbranch_scc1 .LBB65_6
.LBB65_7:
	s_clause 0x1
	s_load_b32 s10, s[0:1], 0x6c
	s_load_b32 s4, s[0:1], 0x2a0
	s_mov_b32 s41, 0
	s_wait_kmcnt 0x0
	s_cmp_lt_i32 s4, 2
	s_cbranch_scc1 .LBB65_10
; %bb.8:
	s_add_co_i32 s40, s4, -1
	s_add_nc_u64 s[6:7], s[0:1], 0x1d0
	s_lshl_b64 s[12:13], s[40:41], 2
	s_delay_alu instid0(SALU_CYCLE_1)
	s_add_nc_u64 s[12:13], s[6:7], s[12:13]
	s_add_co_i32 s6, s4, 1
	s_add_nc_u64 s[4:5], s[12:13], 8
.LBB65_9:                               ; =>This Inner Loop Header: Depth=1
	s_clause 0x1
	s_load_b32 s7, s[4:5], 0x0
	s_load_b32 s11, s[4:5], 0x64
	s_mov_b32 s16, s57
	s_wait_xcnt 0x0
	s_add_nc_u64 s[4:5], s[4:5], -4
	s_wait_kmcnt 0x0
	s_cvt_f32_u32 s12, s7
	s_sub_co_i32 s13, 0, s7
	s_delay_alu instid0(SALU_CYCLE_2) | instskip(SKIP_1) | instid1(TRANS32_DEP_1)
	v_rcp_iflag_f32_e32 v3, s12
	v_nop
	v_readfirstlane_b32 s12, v3
	s_mul_f32 s12, s12, 0x4f7ffffe
	s_delay_alu instid0(SALU_CYCLE_3) | instskip(NEXT) | instid1(SALU_CYCLE_3)
	s_cvt_u32_f32 s12, s12
	s_mul_i32 s13, s13, s12
	s_delay_alu instid0(SALU_CYCLE_1) | instskip(NEXT) | instid1(SALU_CYCLE_1)
	s_mul_hi_u32 s13, s12, s13
	s_add_co_i32 s12, s12, s13
	s_delay_alu instid0(SALU_CYCLE_1) | instskip(NEXT) | instid1(SALU_CYCLE_1)
	s_mul_hi_u32 s12, s57, s12
	s_mul_i32 s13, s12, s7
	s_add_co_i32 s17, s12, 1
	s_sub_co_i32 s13, s57, s13
	s_delay_alu instid0(SALU_CYCLE_1)
	s_sub_co_i32 s18, s13, s7
	s_cmp_ge_u32 s13, s7
	s_cselect_b32 s12, s17, s12
	s_cselect_b32 s13, s18, s13
	s_add_co_i32 s17, s12, 1
	s_cmp_ge_u32 s13, s7
	s_cselect_b32 s57, s17, s12
	s_add_co_i32 s6, s6, -1
	s_mul_i32 s7, s57, s7
	s_delay_alu instid0(SALU_CYCLE_1) | instskip(NEXT) | instid1(SALU_CYCLE_1)
	s_sub_co_i32 s7, s16, s7
	s_mul_i32 s7, s11, s7
	s_delay_alu instid0(SALU_CYCLE_1)
	s_add_co_i32 s41, s7, s41
	s_cmp_gt_u32 s6, 2
	s_cbranch_scc1 .LBB65_9
.LBB65_10:
	s_clause 0x1
	s_load_b32 s60, s[2:3], 0x6c
	s_load_b64 s[6:7], s[0:1], 0x0
	v_cmp_eq_u32_e64 s5, 0, v0
	s_mov_b32 s39, 0
	s_wait_xcnt 0x0
	s_and_saveexec_b32 s2, s5
; %bb.11:
	v_dual_mov_b32 v4, 0 :: v_dual_mov_b32 v5, s36
	s_delay_alu instid0(VALU_DEP_1)
	v_mov_b32_e32 v6, v4
	ds_store_b96 v4, v[4:6] offset:4096
; %bb.12:
	s_or_b32 exec_lo, exec_lo, s2
	v_mul_lo_u32 v2, s10, v2
	s_wait_dscnt 0x0
	s_barrier_signal -1
	s_barrier_wait -1
	s_load_b32 s10, s[14:15], 0xc
	s_clause 0x2
	s_load_b32 s61, s[0:1], 0x23c
	s_load_b64 s[44:45], s[0:1], 0xf0
	s_load_b64 s[42:43], s[0:1], 0x1d0
	v_mov_b32_e32 v17, 0
	v_mbcnt_lo_u32_b32 v13, -1, 0
	v_cmp_gt_u32_e32 vcc_lo, 32, v0
	s_bitcmp1_b32 s38, 0
	v_mul_lo_u32 v18, s56, v0
	v_add_nc_u32_e32 v16, v2, v1
	v_cmp_gt_i32_e64 s2, 4, v13
	s_cselect_b32 s4, -1, 0
	v_mov_b32_e32 v19, v17
	s_xor_b32 s62, s4, -1
	v_lshlrev_b64_e32 v[2:3], 1, v[16:17]
	s_and_b32 s63, vcc_lo, s2
	v_dual_lshlrev_b32 v1, 2, v0 :: v_dual_lshlrev_b32 v22, 1, v0
	v_cmp_eq_u32_e64 s2, 0, v13
	v_cmp_gt_u32_e64 s3, s36, v0
	s_wait_kmcnt 0x0
	s_and_b32 s40, s10, 0xffff
	v_add_nc_u64_e32 v[10:11], s[6:7], v[2:3]
	s_lshl_b32 s64, s40, 2
	v_lshlrev_b64_e64 v[2:3], v13, -1
	s_cmp_gt_u32 s36, 0x600
	s_movk_i32 s7, 0x1f0
	s_cselect_b32 s65, -1, 0
	s_cmp_gt_u32 s40, 31
	v_add_max_u32_e64 v3, v0, 2, s36
	s_cselect_b32 s66, -1, 0
	s_add_co_i32 s67, s40, -1
	v_not_b32_e32 v12, v2
	s_add_co_i32 s13, s67, s36
	v_lshrrev_b32_e32 v2, 1, v0
	s_cmp_lt_u32 s9, s8
	s_cvt_f32_u32 s9, s64
	s_cselect_b32 s38, 12, 18
	s_bfe_u32 s68, s10, 0xb0005
	v_and_or_b32 v23, v2, s7, 0xc00
	v_rcp_iflag_f32_e32 v2, s9
	s_add_co_i32 s8, s68, -2
	s_cvt_f32_u32 s9, s40
	s_lshr_b32 s10, s8, 1
	v_xad_u32 v3, v0, -1, v3
	s_add_co_i32 s10, s10, 1
	s_cmp_gt_u32 s40, 63
	v_readfirstlane_b32 s7, v2
	s_cselect_b32 s69, -1, 0
	s_and_b32 s70, s68, 0x7fe
	s_and_b32 s71, s10, 7
	s_cmp_gt_u32 s8, 13
	s_mul_f32 s7, s7, 0x4f7ffffe
	s_cselect_b32 s72, -1, 0
	s_and_b32 s73, s10, -8
	s_cmp_lg_u32 s71, 0
	s_cvt_u32_f32 s8, s7
	s_cselect_b32 s74, -1, 0
	s_cmp_lg_u32 s70, s68
	v_rcp_iflag_f32_e32 v5, s9
	s_cselect_b32 s75, -1, 0
	s_sub_co_i32 s7, 0, s64
	v_add_nc_u32_e32 v4, -4, v3
	s_mul_i32 s7, s7, s8
	v_and_b32_e32 v24, -4, v3
	s_mul_hi_u32 s10, s8, s7
	v_readfirstlane_b32 s9, v5
	s_add_co_i32 s46, s8, s10
	v_lshrrev_b32_e32 v2, 2, v4
	s_mul_hi_u32 s8, s36, s46
	v_cmp_lt_u32_e64 s7, 31, v3
	s_mul_i32 s8, s8, s64
	s_mul_f32 s9, s9, 0x4f7ffffe
	s_sub_co_i32 s8, s36, s8
	v_add_nc_u32_e32 v2, 1, v2
	s_sub_co_i32 s10, s8, s64
	s_cmp_ge_u32 s8, s64
	s_cvt_u32_f32 s9, s9
	s_cselect_b32 s8, s10, s8
	v_dual_add_nc_u32 v25, v0, v24 :: v_dual_bitop2_b32 v5, 3, v2 bitop3:0x40
	s_sub_co_i32 s10, s8, s64
	s_cmp_ge_u32 s8, s64
	v_and_b32_e32 v27, 0x7ffffffc, v2
	s_cselect_b32 s16, s10, s8
	s_sub_co_i32 s10, 0, s40
	s_sub_co_i32 s79, s36, s16
	s_mul_i32 s10, s10, s9
	v_dual_add_nc_u32 v26, s79, v0 :: v_dual_lshlrev_b32 v28, 3, v5
	s_mul_hi_u32 s10, s9, s10
	v_add3_u32 v2, s40, s36, v0
	s_add_co_i32 s48, s9, s10
	v_cmp_lt_u32_e64 s8, 11, v4
	s_mul_hi_u32 s10, s13, s48
	v_mul_lo_u32 v16, v26, s56
	s_mul_i32 s10, s10, s40
	v_dual_lshlrev_b32 v35, 3, v0 :: v_dual_bitop2_b32 v4, 3, v1 bitop3:0x54
	s_sub_co_i32 s11, s13, s10
	v_cmp_ne_u32_e64 s10, v3, v24
	s_sub_co_i32 s12, s11, s40
	s_cmp_ge_u32 s11, s40
	v_dual_lshlrev_b32 v33, 2, v18 :: v_dual_bitop2_b32 v3, 2, v1 bitop3:0x54
	v_subrev_nc_u32_e32 v2, s16, v2
	s_cselect_b32 s17, s12, s11
	v_mad_u32 v30, s56, v1, s56
	s_sub_co_i32 s18, s17, s40
	s_cmp_ge_u32 s17, s40
	v_mul_lo_u32 v31, s56, v3
	v_mul_lo_u32 v32, s56, v4
	v_mul_lo_u32 v34, s56, v2
	s_cselect_b32 s17, s18, s17
	v_lshl_add_u64 v[14:15], v[18:19], 1, v[10:11]
	s_sub_co_i32 s80, s13, s17
	v_cmp_gt_u32_e64 s6, 2, v0
	v_dual_mov_b32 v38, 0 :: v_dual_add_nc_u32 v19, 0xc00, v22
	v_cmp_ne_u32_e64 s9, 0, v5
	v_cmp_gt_u32_e64 s11, s79, v1
	v_cmp_gt_u32_e64 s12, s36, v26
	v_lshl_add_u64 v[20:21], v[16:17], 1, v[10:11]
	v_cmp_gt_u32_e64 s13, s80, v0
	v_lshl_or_b32 v36, v13, 2, 0xc00
	v_dual_mov_b32 v39, s37 :: v_dual_mov_b32 v29, 0
	v_mov_b32_e32 v37, 0
	s_mul_i32 s58, s56, s40
	s_mov_b32 s76, s56
	s_mov_b32 s77, s56
	s_mov_b32 s78, s56
	s_mov_b32 s47, s39
	s_mov_b32 s49, s39
	s_lshl_b32 s81, s58, 2
	s_lshl_b32 s82, s40, 3
	;; [unrolled: 1-line block ×3, first 2 shown]
	s_mov_b32 s84, 14
	s_add_nc_u64 s[50:51], s[14:15], s[38:39]
	s_mov_b32 s85, 0
	s_mov_b32 s87, 0
                                        ; implicit-def: $sgpr86
                                        ; implicit-def: $sgpr90
                                        ; implicit-def: $sgpr89
                                        ; implicit-def: $sgpr91
                                        ; implicit-def: $sgpr88
                                        ; implicit-def: $sgpr95
                                        ; implicit-def: $sgpr96
                                        ; implicit-def: $sgpr92
                                        ; implicit-def: $sgpr94
                                        ; implicit-def: $sgpr93
	s_branch .LBB65_15
.LBB65_13:                              ;   in Loop: Header=BB65_15 Depth=1
	s_or_b32 exec_lo, exec_lo, s17
	v_mov_b32_e32 v39, v5
	s_and_not1_b32 s17, s93, exec_lo
	s_and_b32 s16, s16, exec_lo
	s_and_not1_b32 s94, s94, exec_lo
	s_or_b32 s93, s17, s16
	s_and_not1_b32 s92, s92, exec_lo
	s_and_not1_b32 s96, s96, exec_lo
	;; [unrolled: 1-line block ×3, first 2 shown]
	s_or_not1_b32 s17, s15, exec_lo
.LBB65_14:                              ;   in Loop: Header=BB65_15 Depth=1
	s_or_b32 exec_lo, exec_lo, s14
	s_delay_alu instid0(SALU_CYCLE_1) | instskip(NEXT) | instid1(SALU_CYCLE_1)
	s_and_b32 s14, exec_lo, s17
	s_or_b32 s85, s14, s85
	s_and_not1_b32 s14, s88, exec_lo
	s_and_b32 s15, s93, exec_lo
	s_and_not1_b32 s16, s91, exec_lo
	s_or_b32 s88, s14, s15
	s_and_b32 s14, s94, exec_lo
	s_and_not1_b32 s15, s89, exec_lo
	s_and_b32 s17, s92, exec_lo
	s_or_b32 s91, s16, s14
	s_or_b32 s89, s15, s17
	s_and_not1_b32 s14, s90, exec_lo
	s_and_b32 s15, s96, exec_lo
	s_and_not1_b32 s16, s86, exec_lo
	s_and_b32 s17, s95, exec_lo
	s_or_b32 s90, s14, s15
	s_or_b32 s86, s16, s17
	s_and_not1_b32 exec_lo, exec_lo, s85
	s_cbranch_execz .LBB65_419
.LBB65_15:                              ; =>This Loop Header: Depth=1
                                        ;     Child Loop BB65_20 Depth 2
                                        ;     Child Loop BB65_41 Depth 2
	;; [unrolled: 1-line block ×27, first 2 shown]
	ds_load_b64 v[2:3], v17 offset:4096
	s_wait_dscnt 0x0
	v_readfirstlane_b32 s38, v2
	s_cmp_lg_u32 s38, 0
	s_cbranch_scc1 .LBB65_60
; %bb.16:                               ;   in Loop: Header=BB65_15 Depth=1
	s_and_b32 vcc_lo, exec_lo, s65
	s_cbranch_vccz .LBB65_28
; %bb.17:                               ;   in Loop: Header=BB65_15 Depth=1
	v_cmp_gt_u32_e32 vcc_lo, 0x601, v3
	s_mov_b32 s16, 0
	s_mov_b32 s14, 0
	s_cbranch_vccz .LBB65_29
; %bb.18:                               ;   in Loop: Header=BB65_15 Depth=1
	global_load_u16 v3, v[14:15], off
	s_load_u16 s17, s[50:51], 0x0
	s_mov_b32 s18, 0
	s_wait_kmcnt 0x0
	v_dual_mov_b32 v4, v0 :: v_dual_add_nc_u32 v2, s17, v0
	s_mul_i32 s19, s56, s17
	s_delay_alu instid0(VALU_DEP_1)
	v_mul_lo_u32 v2, s56, v2
	s_branch .LBB65_20
.LBB65_19:                              ;   in Loop: Header=BB65_20 Depth=2
	s_or_b32 exec_lo, exec_lo, s15
	v_dual_mov_b32 v3, v5 :: v_dual_add_nc_u32 v2, s19, v2
	s_and_not1_b32 exec_lo, exec_lo, s18
	s_cbranch_execz .LBB65_35
.LBB65_20:                              ;   Parent Loop BB65_15 Depth=1
                                        ; =>  This Inner Loop Header: Depth=2
	s_wait_dscnt 0x0
	v_dual_add_nc_u32 v4, s17, v4 :: v_dual_mov_b32 v6, 0
	v_mov_b32_e32 v5, 0
	s_mov_b32 s15, exec_lo
	s_delay_alu instid0(VALU_DEP_2)
	v_cmp_le_u32_e32 vcc_lo, s36, v4
	v_cmpx_gt_u32_e64 s36, v4
	s_cbranch_execz .LBB65_22
; %bb.21:                               ;   in Loop: Header=BB65_20 Depth=2
	v_readfirstlane_b32 s20, v10
	v_readfirstlane_b32 s21, v11
	global_load_u16 v5, v2, s[20:21] scale_offset
.LBB65_22:                              ;   in Loop: Header=BB65_20 Depth=2
	s_wait_xcnt 0x0
	s_or_b32 exec_lo, exec_lo, s15
	s_wait_loadcnt 0x0
	v_bfe_i32 v7, v3, 0, 16
	s_delay_alu instid0(VALU_DEP_1) | instskip(NEXT) | instid1(VALU_DEP_1)
	v_add_nc_u32_e32 v7, 0x8000, v7
	v_and_b32_e32 v7, v7, v37
	s_delay_alu instid0(VALU_DEP_1) | instskip(SKIP_2) | instid1(SALU_CYCLE_1)
	v_cmp_eq_u32_e64 s14, v7, v29
	s_cmp_lg_u32 s14, 0
	s_cselect_b32 s15, -1, 0
	s_and_b32 s15, s2, s15
	s_delay_alu instid0(SALU_CYCLE_1)
	s_and_saveexec_b32 s20, s15
	s_cbranch_execz .LBB65_26
; %bb.23:                               ;   in Loop: Header=BB65_20 Depth=2
	s_mov_b32 s23, exec_lo
	s_bcnt1_i32_b32 s21, s14
	v_mbcnt_lo_u32_b32 v6, s23, 0
	s_mov_b32 s22, exec_lo
                                        ; implicit-def: $vgpr7
	s_delay_alu instid0(VALU_DEP_1)
	v_cmpx_eq_u32_e32 0, v6
; %bb.24:                               ;   in Loop: Header=BB65_20 Depth=2
	s_bcnt1_i32_b32 s15, s23
	s_delay_alu instid0(SALU_CYCLE_1) | instskip(NEXT) | instid1(SALU_CYCLE_1)
	s_mul_i32 s15, s21, s15
	v_mov_b32_e32 v7, s15
	ds_add_rtn_u32 v7, v17, v7 offset:4104
; %bb.25:                               ;   in Loop: Header=BB65_20 Depth=2
	s_or_b32 exec_lo, exec_lo, s22
	s_wait_dscnt 0x0
	v_readfirstlane_b32 s15, v7
	s_delay_alu instid0(VALU_DEP_1)
	v_mad_u32_u24 v6, s21, v6, s15
.LBB65_26:                              ;   in Loop: Header=BB65_20 Depth=2
	s_or_b32 exec_lo, exec_lo, s20
	ds_bpermute_b32 v6, v17, v6
	s_and_b32 s15, exec_lo, vcc_lo
	s_delay_alu instid0(SALU_CYCLE_1)
	s_or_b32 s18, s15, s18
	s_and_saveexec_b32 s15, s14
	s_cbranch_execz .LBB65_19
; %bb.27:                               ;   in Loop: Header=BB65_20 Depth=2
	v_and_b32_e32 v7, s14, v12
	s_delay_alu instid0(VALU_DEP_1) | instskip(NEXT) | instid1(VALU_DEP_1)
	v_bcnt_u32_b32 v7, v7, 0
	v_lshlrev_b32_e32 v7, 1, v7
	s_wait_dscnt 0x0
	s_delay_alu instid0(VALU_DEP_1)
	v_lshl_add_u32 v6, v6, 1, v7
	ds_store_b16 v6, v3
	s_branch .LBB65_19
.LBB65_28:                              ;   in Loop: Header=BB65_15 Depth=1
	s_mov_b32 s16, -1
	s_mov_b32 s14, 0
.LBB65_29:                              ;   in Loop: Header=BB65_15 Depth=1
	s_and_b32 vcc_lo, exec_lo, s16
	s_cbranch_vccz .LBB65_58
.LBB65_30:                              ;   in Loop: Header=BB65_15 Depth=1
	s_and_saveexec_b32 s15, s3
	s_cbranch_execz .LBB65_55
; %bb.31:                               ;   in Loop: Header=BB65_15 Depth=1
	global_load_u16 v16, v[14:15], off
	s_load_u16 s17, s[50:51], 0x0
	s_mov_b32 s16, exec_lo
	s_wait_kmcnt 0x0
	v_dual_mov_b32 v4, v0 :: v_dual_add_nc_u32 v2, s17, v0
	s_delay_alu instid0(VALU_DEP_1)
	v_cmpx_gt_u32_e64 s36, v2
	s_cbranch_execz .LBB65_54
; %bb.32:                               ;   in Loop: Header=BB65_15 Depth=1
	s_mov_b32 s14, 0
	s_mul_i32 s18, s56, s17
                                        ; implicit-def: $vgpr4
                                        ; implicit-def: $vgpr6
                                        ; implicit-def: $vgpr3
                                        ; implicit-def: $vgpr5
	s_and_saveexec_b32 s19, s7
	s_delay_alu instid0(SALU_CYCLE_1)
	s_xor_b32 s19, exec_lo, s19
	s_cbranch_execnz .LBB65_38
; %bb.33:                               ;   in Loop: Header=BB65_15 Depth=1
	s_and_not1_saveexec_b32 s19, s19
	s_cbranch_execnz .LBB65_49
.LBB65_34:                              ;   in Loop: Header=BB65_15 Depth=1
	s_or_b32 exec_lo, exec_lo, s19
	s_and_saveexec_b32 s18, s14
	s_cbranch_execnz .LBB65_50
	s_branch .LBB65_53
.LBB65_35:                              ;   in Loop: Header=BB65_15 Depth=1
	s_or_b32 exec_lo, exec_lo, s18
	s_wait_dscnt 0x0
	s_barrier_signal -1
	s_barrier_wait -1
	s_and_saveexec_b32 s14, s5
	s_cbranch_execz .LBB65_37
; %bb.36:                               ;   in Loop: Header=BB65_15 Depth=1
	ds_load_b32 v2, v17 offset:4104
	s_wait_dscnt 0x0
	ds_store_b32 v17, v2 offset:4096
.LBB65_37:                              ;   in Loop: Header=BB65_15 Depth=1
	s_or_b32 exec_lo, exec_lo, s14
	s_wait_dscnt 0x0
	s_barrier_signal -1
	s_mov_b32 s14, -1
	s_barrier_wait -1
	s_and_b32 vcc_lo, exec_lo, s16
	s_cbranch_vccnz .LBB65_30
	s_branch .LBB65_58
.LBB65_38:                              ;   in Loop: Header=BB65_15 Depth=1
	s_cvt_f32_u32 s14, s17
	v_add_max_u32_e64 v3, v2, s17, s36
	s_delay_alu instid0(SALU_CYCLE_2) | instskip(SKIP_1) | instid1(VALU_DEP_1)
	v_rcp_iflag_f32_e32 v4, s14
	s_lshl_b32 s14, s17, 1
	v_sub_nc_u32_e32 v3, v3, v0
	s_delay_alu instid0(VALU_DEP_1) | instskip(NEXT) | instid1(TRANS32_DEP_1)
	v_cmp_ne_u32_e32 vcc_lo, s14, v3
	v_readfirstlane_b32 s20, v4
	v_cndmask_b32_e64 v4, 0, 1, vcc_lo
	s_mul_f32 s20, s20, 0x4f7ffffe
	s_delay_alu instid0(VALU_DEP_1) | instskip(NEXT) | instid1(SALU_CYCLE_2)
	v_or_b32_e32 v4, s14, v4
	s_cvt_u32_f32 s14, s20
	s_sub_co_i32 s20, 0, s17
	s_delay_alu instid0(SALU_CYCLE_2) | instskip(NEXT) | instid1(VALU_DEP_1)
	s_mul_i32 s20, s20, s14
	v_sub_nc_u32_e32 v3, v3, v4
	s_mul_hi_u32 s20, s14, s20
	s_delay_alu instid0(SALU_CYCLE_1)
	s_add_co_i32 s14, s14, s20
	s_delay_alu instid0(VALU_DEP_1) | instid1(SALU_CYCLE_1)
	v_mul_hi_u32 v4, v3, s14
	s_delay_alu instid0(VALU_DEP_1) | instskip(NEXT) | instid1(VALU_DEP_1)
	v_mul_lo_u32 v5, v4, s17
	v_dual_sub_nc_u32 v3, v3, v5 :: v_dual_add_nc_u32 v5, 1, v4
	s_delay_alu instid0(VALU_DEP_1) | instskip(SKIP_1) | instid1(VALU_DEP_1)
	v_subrev_nc_u32_e32 v6, s17, v3
	v_cmp_le_u32_e64 s14, s17, v3
	v_dual_cndmask_b32 v4, v4, v5, s14 :: v_dual_cndmask_b32 v3, v3, v6, s14
	s_delay_alu instid0(VALU_DEP_1) | instskip(NEXT) | instid1(VALU_DEP_2)
	v_add_nc_u32_e32 v5, 1, v4
	v_cmp_le_u32_e64 s14, s17, v3
	s_delay_alu instid0(VALU_DEP_1) | instskip(SKIP_2) | instid1(VALU_DEP_2)
	v_cndmask_b32_e64 v3, v4, v5, s14
	v_mul_lo_u32 v4, s56, v2
	s_abs_i32 s14, s18
	v_add_co_ci_u32_e64 v3, null, 0, v3, vcc_lo
	s_delay_alu instid0(VALU_DEP_1) | instskip(SKIP_2) | instid1(SALU_CYCLE_1)
	v_mul_hi_u32 v5, s14, v3
	v_mul_lo_u32 v3, s14, v3
	s_not_b32 s14, s18
	s_ashr_i32 s14, s14, 31
	s_cmp_eq_u32 s17, 1
	s_delay_alu instid0(VALU_DEP_4) | instskip(SKIP_1) | instid1(VALU_DEP_3)
	v_xor_b32_e32 v4, s14, v4
	s_cselect_b32 s20, -1, 0
	v_cmp_eq_u32_e32 vcc_lo, 0, v5
	s_delay_alu instid0(VALU_DEP_2) | instskip(SKIP_2) | instid1(SALU_CYCLE_1)
	v_cmp_le_u32_e64 s14, v3, v4
	v_mov_b32_e32 v3, v0
                                        ; implicit-def: $vgpr4
	s_and_b32 s20, vcc_lo, s20
	s_and_b32 s21, s20, s14
	s_mov_b32 s20, -1
	s_and_saveexec_b32 s14, s21
	s_cbranch_execz .LBB65_48
; %bb.39:                               ;   in Loop: Header=BB65_15 Depth=1
	v_dual_add_nc_u32 v5, 3, v2 :: v_dual_add_nc_u32 v4, 2, v2
	s_wait_loadcnt 0x0
	v_dual_add_nc_u32 v3, 1, v2 :: v_dual_lshlrev_b32 v40, 16, v16
	v_mov_b32_e32 v43, 0
                                        ; implicit-def: $vgpr16
	s_delay_alu instid0(VALU_DEP_3) | instskip(NEXT) | instid1(VALU_DEP_3)
	v_mov_b64_e32 v[8:9], v[4:5]
	v_mov_b64_e32 v[6:7], v[2:3]
	s_and_saveexec_b32 s20, s8
	s_cbranch_execz .LBB65_43
; %bb.40:                               ;   in Loop: Header=BB65_15 Depth=1
	v_mov_b64_e32 v[8:9], v[4:5]
	v_mov_b64_e32 v[6:7], v[2:3]
	v_dual_mov_b32 v41, v27 :: v_dual_mov_b32 v42, v22
	s_mov_b32 s21, 0
	s_mov_b32 s22, 0
.LBB65_41:                              ;   Parent Loop BB65_15 Depth=1
                                        ; =>  This Inner Loop Header: Depth=2
	s_delay_alu instid0(VALU_DEP_2) | instskip(SKIP_1) | instid1(VALU_DEP_4)
	v_mul_lo_u32 v16, v6, s56
	v_dual_mov_b32 v5, v17 :: v_dual_add_nc_u32 v3, 4, v6
	v_dual_add_nc_u32 v43, 4, v7 :: v_dual_add_nc_u32 v48, 4, v8
	v_dual_mov_b32 v49, v17 :: v_dual_add_nc_u32 v50, 4, v9
	v_mul_lo_u32 v46, v7, s76
	v_dual_mov_b32 v47, v17 :: v_dual_mov_b32 v45, v17
	s_delay_alu instid0(VALU_DEP_3)
	v_mul_lo_u32 v52, v50, s78
	v_mul_lo_u32 v50, v48, s77
	;; [unrolled: 1-line block ×3, first 2 shown]
	v_lshl_add_u64 v[66:67], v[16:17], 1, v[10:11]
	v_mul_lo_u32 v16, v3, s56
	v_dual_add_nc_u32 v68, 8, v6 :: v_dual_add_nc_u32 v54, 8, v7
	v_dual_add_nc_u32 v56, 8, v8 :: v_dual_add_nc_u32 v58, 8, v9
	v_lshl_add_u64 v[46:47], v[46:47], 1, v[10:11]
	s_clause 0x1
	global_load_u16 v3, v[66:67], off
	global_load_u16 v70, v[46:47], off
	s_wait_xcnt 0x0
	v_lshl_add_u64 v[46:47], v[48:49], 1, v[10:11]
	v_lshl_add_u64 v[48:49], v[16:17], 1, v[10:11]
	v_mul_lo_u32 v16, v68, s56
	v_dual_add_nc_u32 v60, 12, v7 :: v_dual_add_nc_u32 v62, 12, v8
	v_mul_lo_u32 v44, v8, s77
	v_dual_mov_b32 v59, v17 :: v_dual_add_nc_u32 v69, 12, v6
	v_mul_lo_u32 v4, v9, s78
	v_dual_mov_b32 v61, v17 :: v_dual_add_nc_u32 v64, 12, v9
	v_mul_lo_u32 v58, v58, s78
	v_mul_lo_u32 v60, v60, s76
	;; [unrolled: 1-line block ×5, first 2 shown]
	v_lshl_add_u64 v[66:67], v[16:17], 1, v[10:11]
	v_mul_lo_u32 v16, v69, s56
	v_mul_lo_u32 v64, v64, s78
	v_dual_mov_b32 v51, v17 :: v_dual_mov_b32 v53, v17
	v_dual_mov_b32 v63, v17 :: v_dual_mov_b32 v65, v17
	;; [unrolled: 1-line block ×3, first 2 shown]
	v_lshl_add_u64 v[44:45], v[44:45], 1, v[10:11]
	v_lshl_add_u64 v[4:5], v[4:5], 1, v[10:11]
	;; [unrolled: 1-line block ×9, first 2 shown]
	s_clause 0x8
	global_load_u16 v44, v[44:45], off
	global_load_u16 v68, v[4:5], off
	global_load_u16 v48, v[48:49], off
	global_load_u16 v46, v[46:47], off
	global_load_u16 v47, v[50:51], off
	global_load_u16 v50, v[52:53], off
	global_load_u16 v51, v[66:67], off
	global_load_u16 v49, v[54:55], off
	global_load_u16 v52, v[56:57], off
	v_lshl_add_u64 v[4:5], v[16:17], 1, v[10:11]
	v_lshl_add_u64 v[64:65], v[64:65], 1, v[10:11]
	s_clause 0x4
	global_load_u16 v53, v[58:59], off
	global_load_u16 v54, v[60:61], off
	;; [unrolled: 1-line block ×5, first 2 shown]
	s_add_co_i32 s22, s22, 16
	s_delay_alu instid0(SALU_CYCLE_1) | instskip(SKIP_2) | instid1(VALU_DEP_3)
	v_dual_add_nc_u32 v41, -4, v41 :: v_dual_mov_b32 v43, s22
	v_dual_add_nc_u32 v9, 16, v9 :: v_dual_add_nc_u32 v8, 16, v8
	v_dual_add_nc_u32 v7, 16, v7 :: v_dual_add_nc_u32 v6, 16, v6
	v_cmp_eq_u32_e32 vcc_lo, 0, v41
	s_or_b32 s21, vcc_lo, s21
	s_wait_loadcnt 0xd
	v_perm_b32 v45, v44, v70, 0x5040100
	v_alignbit_b32 v44, v3, v40, 16
	s_wait_loadcnt 0x9
	v_perm_b32 v47, v47, v46, 0x5040100
	v_perm_b32 v46, v48, v68, 0x5040100
	s_wait_loadcnt 0x7
	v_perm_b32 v48, v51, v50, 0x5040100
	s_wait_loadcnt 0x5
	;; [unrolled: 2-line block ×5, first 2 shown]
	v_perm_b32 v40, v16, v55, 0x5040100
	ds_store_b128 v42, v[44:47]
	ds_store_b128 v42, v[48:51] offset:16
	v_add_nc_u32_e32 v42, 32, v42
	s_wait_xcnt 0x0
	s_and_not1_b32 exec_lo, exec_lo, s21
	s_cbranch_execnz .LBB65_41
; %bb.42:                               ;   in Loop: Header=BB65_15 Depth=1
	s_or_b32 exec_lo, exec_lo, s21
.LBB65_43:                              ;   in Loop: Header=BB65_15 Depth=1
	s_delay_alu instid0(SALU_CYCLE_1)
	s_or_b32 exec_lo, exec_lo, s20
	s_and_saveexec_b32 s20, s9
	s_cbranch_execz .LBB65_47
; %bb.44:                               ;   in Loop: Header=BB65_15 Depth=1
	v_lshl_add_u32 v3, v43, 1, v22
	v_mov_b32_e32 v4, v28
	s_mov_b32 s21, 0
.LBB65_45:                              ;   Parent Loop BB65_15 Depth=1
                                        ; =>  This Inner Loop Header: Depth=2
	v_mul_lo_u32 v42, v7, s76
	v_mul_lo_u32 v44, v8, s77
	;; [unrolled: 1-line block ×4, first 2 shown]
	v_dual_mov_b32 v43, v17 :: v_dual_mov_b32 v45, v17
	v_dual_mov_b32 v47, v17 :: v_dual_add_nc_u32 v9, 4, v9
	v_dual_add_nc_u32 v4, -8, v4 :: v_dual_add_nc_u32 v6, 4, v6
	v_dual_add_nc_u32 v8, 4, v8 :: v_dual_add_nc_u32 v7, 4, v7
	s_delay_alu instid0(VALU_DEP_4)
	v_lshl_add_u64 v[42:43], v[42:43], 1, v[10:11]
	v_lshl_add_u64 v[44:45], v[44:45], 1, v[10:11]
	;; [unrolled: 1-line block ×4, first 2 shown]
	s_clause 0x3
	global_load_u16 v5, v[42:43], off
	global_load_u16 v42, v[44:45], off
	;; [unrolled: 1-line block ×4, first 2 shown]
	v_cmp_eq_u32_e32 vcc_lo, 0, v4
	s_or_b32 s21, vcc_lo, s21
	s_wait_loadcnt 0x2
	v_perm_b32 v41, v42, v5, 0x5040100
	s_wait_loadcnt 0x1
	v_alignbit_b32 v40, v43, v40, 16
	s_wait_loadcnt 0x0
	v_perm_b32 v5, v16, v42, 0x5040100
	ds_store_b64 v3, v[40:41]
	v_dual_mov_b32 v40, v5 :: v_dual_add_nc_u32 v3, 8, v3
	s_and_not1_b32 exec_lo, exec_lo, s21
	s_cbranch_execnz .LBB65_45
; %bb.46:                               ;   in Loop: Header=BB65_15 Depth=1
	s_or_b32 exec_lo, exec_lo, s21
.LBB65_47:                              ;   in Loop: Header=BB65_15 Depth=1
	s_delay_alu instid0(SALU_CYCLE_1) | instskip(SKIP_2) | instid1(VALU_DEP_1)
	s_or_b32 exec_lo, exec_lo, s20
	v_dual_mov_b32 v3, v25 :: v_dual_add_nc_u32 v2, v2, v24
	s_or_not1_b32 s20, s10, exec_lo
	v_add_nc_u32_e32 v4, -1, v2
.LBB65_48:                              ;   in Loop: Header=BB65_15 Depth=1
	s_or_b32 exec_lo, exec_lo, s14
	s_wait_loadcnt 0x0
	v_dual_mov_b32 v5, s18 :: v_dual_mov_b32 v6, v16
	s_and_b32 s14, s20, exec_lo
	s_and_not1_saveexec_b32 s19, s19
	s_cbranch_execz .LBB65_34
.LBB65_49:                              ;   in Loop: Header=BB65_15 Depth=1
	s_wait_loadcnt 0x0
	v_dual_mov_b32 v5, s18 :: v_dual_mov_b32 v6, v16
	v_mov_b32_e32 v3, v0
	s_or_b32 s14, s14, exec_lo
	s_or_b32 exec_lo, exec_lo, s19
	s_and_saveexec_b32 s18, s14
	s_cbranch_execz .LBB65_53
.LBB65_50:                              ;   in Loop: Header=BB65_15 Depth=1
	v_mul_lo_u32 v4, s56, v2
	s_mov_b32 s19, 0
	s_sub_co_i32 s14, 0, s17
.LBB65_51:                              ;   Parent Loop BB65_15 Depth=1
                                        ; =>  This Inner Loop Header: Depth=2
	v_readfirstlane_b32 s20, v10
	v_readfirstlane_b32 s21, v11
	v_dual_mov_b32 v7, v2 :: v_dual_lshlrev_b32 v3, 1, v3
	s_wait_loadcnt 0x0
	global_load_u16 v16, v4, s[20:21] scale_offset
	s_wait_xcnt 0x0
	v_dual_add_nc_u32 v2, s17, v7 :: v_dual_add_nc_u32 v4, v4, v5
	ds_store_b16 v3, v6
	v_mov_b32_e32 v3, v7
	v_cmp_le_u32_e32 vcc_lo, s36, v2
	s_or_b32 s19, vcc_lo, s19
	s_wait_loadcnt 0x0
	v_mov_b32_e32 v6, v16
	s_and_not1_b32 exec_lo, exec_lo, s19
	s_cbranch_execnz .LBB65_51
; %bb.52:                               ;   in Loop: Header=BB65_15 Depth=1
	s_or_b32 exec_lo, exec_lo, s19
	v_add_nc_u32_e32 v4, s14, v2
.LBB65_53:                              ;   in Loop: Header=BB65_15 Depth=1
	s_or_b32 exec_lo, exec_lo, s18
.LBB65_54:                              ;   in Loop: Header=BB65_15 Depth=1
	s_delay_alu instid0(SALU_CYCLE_1) | instskip(NEXT) | instid1(VALU_DEP_1)
	s_or_b32 exec_lo, exec_lo, s16
	v_lshlrev_b32_e32 v2, 1, v4
	s_wait_loadcnt 0x0
	ds_store_b16 v2, v16
.LBB65_55:                              ;   in Loop: Header=BB65_15 Depth=1
	s_or_b32 exec_lo, exec_lo, s15
	s_wait_dscnt 0x0
	s_barrier_signal -1
	s_barrier_wait -1
	s_and_saveexec_b32 s14, s5
; %bb.56:                               ;   in Loop: Header=BB65_15 Depth=1
	v_mov_b32_e32 v2, s36
	ds_store_b32 v17, v2 offset:4096
; %bb.57:                               ;   in Loop: Header=BB65_15 Depth=1
	s_or_b32 exec_lo, exec_lo, s14
	s_mov_b32 s14, -1
	s_wait_dscnt 0x0
	s_barrier_signal -1
	s_barrier_wait -1
.LBB65_58:                              ;   in Loop: Header=BB65_15 Depth=1
	s_and_b32 vcc_lo, exec_lo, s14
	s_mov_b32 s38, 0
	s_cbranch_vccz .LBB65_60
; %bb.59:                               ;   in Loop: Header=BB65_15 Depth=1
	ds_load_b32 v2, v17 offset:4096
	s_wait_dscnt 0x0
	v_readfirstlane_b32 s38, v2
.LBB65_60:                              ;   in Loop: Header=BB65_15 Depth=1
	s_delay_alu instid0(VALU_DEP_1)
	s_cmp_lt_i32 s38, 1
	s_mov_b32 s14, -1
                                        ; implicit-def: $vgpr4_vgpr5
	s_cbranch_scc1 .LBB65_73
; %bb.61:                               ;   in Loop: Header=BB65_15 Depth=1
	s_and_b32 vcc_lo, exec_lo, s14
	s_cbranch_vccnz .LBB65_84
.LBB65_62:                              ;   in Loop: Header=BB65_15 Depth=1
	s_lshl_b32 s16, s87, 7
	s_and_saveexec_b32 s14, s2
.LBB65_63:                              ;   in Loop: Header=BB65_15 Depth=1
	v_lshl_add_u32 v6, s16, 2, v23
	ds_store_b128 v6, v[2:5]
.LBB65_64:                              ;   in Loop: Header=BB65_15 Depth=1
	s_or_b32 exec_lo, exec_lo, s14
	s_wait_dscnt 0x0
	s_barrier_signal -1
	s_barrier_wait -1
	s_and_saveexec_b32 s17, s63
	s_cbranch_execz .LBB65_97
; %bb.65:                               ;   in Loop: Header=BB65_15 Depth=1
	v_dual_add_nc_u32 v4, s16, v13 :: v_dual_mov_b32 v2, 0
	s_and_not1_b32 vcc_lo, exec_lo, s66
	s_cbranch_vccnz .LBB65_96
; %bb.66:                               ;   in Loop: Header=BB65_15 Depth=1
	s_and_not1_b32 vcc_lo, exec_lo, s69
	s_cbranch_vccnz .LBB65_93
; %bb.67:                               ;   in Loop: Header=BB65_15 Depth=1
	v_lshl_add_u32 v5, v4, 2, 0xc00
	s_and_not1_b32 vcc_lo, exec_lo, s72
	s_cbranch_vccnz .LBB65_121
; %bb.68:                               ;   in Loop: Header=BB65_15 Depth=1
	v_dual_mov_b32 v2, 0 :: v_dual_mov_b32 v3, 0
	s_mov_b32 s15, 1
	s_mov_b32 s14, 0
	;; [unrolled: 1-line block ×3, first 2 shown]
.LBB65_69:                              ;   Parent Loop BB65_15 Depth=1
                                        ; =>  This Inner Loop Header: Depth=2
	v_lshl_add_u32 v16, s15, 4, v5
	v_lshl_add_u32 v50, s14, 4, v5
	s_add_co_i32 s18, s18, -8
	s_add_co_i32 s15, s15, 16
	s_add_co_i32 s14, s14, 16
	ds_load_2addr_b32 v[6:7], v16 offset1:8
	ds_load_2addr_b32 v[8:9], v50 offset1:8
	ds_load_2addr_b32 v[40:41], v16 offset0:16 offset1:24
	ds_load_2addr_b32 v[42:43], v50 offset0:16 offset1:24
	;; [unrolled: 1-line block ×6, first 2 shown]
	s_cmp_lg_u32 s18, 0
	s_wait_dscnt 0x7
	v_add3_u32 v3, v6, v3, v7
	s_wait_dscnt 0x6
	v_add3_u32 v2, v8, v2, v9
	s_wait_dscnt 0x5
	s_delay_alu instid0(VALU_DEP_2) | instskip(SKIP_1) | instid1(VALU_DEP_2)
	v_add3_u32 v3, v40, v3, v41
	s_wait_dscnt 0x4
	v_add3_u32 v2, v42, v2, v43
	s_wait_dscnt 0x3
	s_delay_alu instid0(VALU_DEP_2) | instskip(SKIP_1) | instid1(VALU_DEP_2)
	;; [unrolled: 5-line block ×3, first 2 shown]
	v_add3_u32 v3, v48, v3, v49
	s_wait_dscnt 0x0
	v_add3_u32 v2, v50, v2, v51
	s_cbranch_scc1 .LBB65_69
; %bb.70:                               ;   in Loop: Header=BB65_15 Depth=1
	s_and_not1_b32 vcc_lo, exec_lo, s74
	s_mov_b32 s18, s71
	s_cbranch_vccnz .LBB65_72
.LBB65_71:                              ;   Parent Loop BB65_15 Depth=1
                                        ; =>  This Inner Loop Header: Depth=2
	v_lshl_add_u32 v6, s15, 4, v5
	v_lshl_add_u32 v7, s14, 4, v5
	s_add_co_i32 s18, s18, -1
	s_add_co_i32 s15, s15, 2
	s_add_co_i32 s14, s14, 2
	ds_load_b32 v6, v6
	ds_load_b32 v7, v7
	s_cmp_lg_u32 s18, 0
	s_wait_dscnt 0x0
	v_dual_add_nc_u32 v3, v6, v3 :: v_dual_add_nc_u32 v2, v7, v2
	s_cbranch_scc1 .LBB65_71
.LBB65_72:                              ;   in Loop: Header=BB65_15 Depth=1
	s_delay_alu instid0(VALU_DEP_1) | instskip(SKIP_2) | instid1(SALU_CYCLE_1)
	v_add_nc_u32_e32 v2, v2, v3
	s_mov_b32 s14, s70
	s_mov_b32 s15, s75
	s_and_b32 vcc_lo, exec_lo, s15
	s_cbranch_vccnz .LBB65_94
	s_branch .LBB65_96
.LBB65_73:                              ;   in Loop: Header=BB65_15 Depth=1
	v_mov_b64_e32 v[4:5], 0
	v_mov_b64_e32 v[2:3], 0
	s_and_saveexec_b32 s97, s11
	s_cbranch_execz .LBB65_77
; %bb.74:                               ;   in Loop: Header=BB65_15 Depth=1
	v_mov_b32_e32 v6, v1
	s_mov_b32 s98, 0
	s_mov_b32 s99, 0
	;; [unrolled: 1-line block ×6, first 2 shown]
.LBB65_75:                              ;   Parent Loop BB65_15 Depth=1
                                        ; =>  This Inner Loop Header: Depth=2
	v_dual_add_nc_u32 v2, s99, v33 :: v_dual_add_nc_u32 v3, s99, v30
	v_readfirstlane_b32 s14, v10
	v_readfirstlane_b32 s15, v11
	v_dual_add_nc_u32 v4, s99, v31 :: v_dual_add_nc_u32 v5, s99, v32
	s_clause 0x3
	global_load_i16 v2, v2, s[14:15] scale_offset
	global_load_i16 v3, v3, s[14:15] scale_offset
	;; [unrolled: 1-line block ×4, first 2 shown]
	s_add_co_i32 s99, s99, s81
	s_wait_loadcnt 0x3
	s_wait_xcnt 0x3
	v_add_nc_u32_e32 v2, 0x8000, v2
	s_wait_loadcnt 0x2
	s_wait_xcnt 0x2
	v_add_nc_u32_e32 v3, 0x8000, v3
	;; [unrolled: 3-line block ×3, first 2 shown]
	v_add_nc_u32_e32 v6, s64, v6
	s_wait_loadcnt 0x0
	v_add_nc_u32_e32 v5, 0x8000, v5
	v_and_b32_e32 v7, v2, v37
	v_bfe_u32 v2, v2, s84, 2
	v_and_b32_e32 v8, v3, v37
	v_bfe_u32 v3, v3, s84, 2
	v_and_b32_e32 v9, v4, v37
	v_bfe_u32 v4, v4, s84, 2
	v_cmp_eq_u32_e64 s14, v7, v29
	v_cmp_eq_u32_e64 s18, 0, v2
	v_and_b32_e32 v16, v5, v37
	v_bfe_u32 v5, v5, s84, 2
	v_cmp_eq_u32_e64 s15, v8, v29
	v_cmp_eq_u32_e64 s19, 0, v3
	;; [unrolled: 1-line block ×4, first 2 shown]
	s_and_b32 s18, s14, s18
	v_cmp_eq_u32_e64 s17, v16, v29
	v_cmp_eq_u32_e64 s21, 0, v5
	;; [unrolled: 1-line block ×5, first 2 shown]
	v_cndmask_b32_e64 v2, 0, 1, s18
	s_and_b32 s18, s15, s19
	v_cmp_eq_u32_e64 s23, 1, v3
	v_cmp_eq_u32_e64 s27, 2, v3
	v_cmp_eq_u32_e64 s31, 3, v3
	v_cndmask_b32_e64 v3, 0, 1, s18
	s_and_b32 s18, s16, s20
	v_cmp_eq_u32_e64 s24, 1, v4
	v_cmp_eq_u32_e64 s28, 2, v4
	v_cmp_eq_u32_e64 s33, 3, v4
	;; [unrolled: 5-line block ×3, first 2 shown]
	v_cndmask_b32_e64 v5, 0, 1, s18
	s_and_b32 s18, s14, s22
	v_cmp_le_u32_e32 vcc_lo, s79, v6
	v_cndmask_b32_e64 v7, 0, 1, s18
	s_and_b32 s18, s15, s23
	s_delay_alu instid0(SALU_CYCLE_1) | instskip(SKIP_1) | instid1(SALU_CYCLE_1)
	v_cndmask_b32_e64 v8, 0, 1, s18
	s_and_b32 s18, s16, s24
	v_cndmask_b32_e64 v9, 0, 1, s18
	s_and_b32 s18, s17, s25
	s_delay_alu instid0(VALU_DEP_2)
	v_cmp_ne_u32_e64 s19, 0, v8
	v_cndmask_b32_e64 v16, 0, 1, s18
	s_and_b32 s18, s14, s26
	s_and_b32 s14, s14, s30
	v_cndmask_b32_e64 v40, 0, 1, s18
	s_and_b32 s18, s15, s27
	v_cndmask_b32_e64 v44, 0, 1, s14
	;; [unrolled: 2-line block ×7, first 2 shown]
	v_cndmask_b32_e64 v47, 0, 1, s14
	v_cmp_ne_u32_e64 s14, 0, v2
	v_cmp_ne_u32_e64 s18, 0, v7
	;; [unrolled: 1-line block ×11, first 2 shown]
	s_bcnt1_i32_b32 s14, s14
	s_bcnt1_i32_b32 s18, s18
	;; [unrolled: 1-line block ×4, first 2 shown]
	v_cmp_ne_u32_e64 s17, 0, v5
	v_cmp_ne_u32_e64 s21, 0, v16
	;; [unrolled: 1-line block ×4, first 2 shown]
	s_bcnt1_i32_b32 s15, s15
	s_bcnt1_i32_b32 s19, s19
	s_bcnt1_i32_b32 s23, s23
	s_bcnt1_i32_b32 s27, s27
	s_add_co_i32 s14, s14, s52
	s_add_co_i32 s18, s18, s53
	s_add_co_i32 s22, s22, s54
	s_add_co_i32 s26, s26, s55
	s_bcnt1_i32_b32 s16, s16
	s_bcnt1_i32_b32 s20, s20
	s_bcnt1_i32_b32 s24, s24
	s_bcnt1_i32_b32 s28, s28
	s_add_co_i32 s18, s18, s19
	s_add_co_i32 s14, s14, s15
	s_add_co_i32 s15, s26, s27
	s_add_co_i32 s19, s22, s23
	;; [unrolled: 8-line block ×3, first 2 shown]
	s_add_co_i32 s53, s16, s21
	s_add_co_i32 s52, s14, s17
	;; [unrolled: 1-line block ×4, first 2 shown]
	v_mov_b64_e32 v[2:3], s[52:53]
	v_mov_b64_e32 v[4:5], s[54:55]
	s_or_b32 s98, vcc_lo, s98
	s_delay_alu instid0(SALU_CYCLE_1)
	s_and_not1_b32 exec_lo, exec_lo, s98
	s_cbranch_execnz .LBB65_75
; %bb.76:                               ;   in Loop: Header=BB65_15 Depth=1
	s_or_b32 exec_lo, exec_lo, s98
.LBB65_77:                              ;   in Loop: Header=BB65_15 Depth=1
	s_delay_alu instid0(SALU_CYCLE_1)
	s_or_b32 exec_lo, exec_lo, s97
	s_and_saveexec_b32 s18, s12
	s_cbranch_execz .LBB65_83
; %bb.78:                               ;   in Loop: Header=BB65_15 Depth=1
	global_load_u16 v9, v[20:21], off
	v_dual_mov_b32 v6, v34 :: v_dual_mov_b32 v7, v26
	s_mov_b32 s19, 0
	s_branch .LBB65_80
.LBB65_79:                              ;   in Loop: Header=BB65_80 Depth=2
	s_wait_xcnt 0x0
	s_or_b32 exec_lo, exec_lo, s15
	s_wait_loadcnt 0x0
	v_bfe_i32 v9, v9, 0, 16
	s_and_b32 s15, exec_lo, vcc_lo
	v_add_nc_u32_e32 v6, s58, v6
	s_or_b32 s19, s15, s19
	s_delay_alu instid0(VALU_DEP_2) | instskip(NEXT) | instid1(VALU_DEP_1)
	v_add_nc_u32_e32 v9, 0x8000, v9
	v_and_b32_e32 v16, v9, v37
	v_bfe_u32 v9, v9, s84, 2
	s_delay_alu instid0(VALU_DEP_2) | instskip(NEXT) | instid1(VALU_DEP_2)
	v_cmp_eq_u32_e32 vcc_lo, v16, v29
	v_cmp_eq_u32_e64 s14, 0, v9
	v_cmp_eq_u32_e64 s15, 1, v9
	;; [unrolled: 1-line block ×4, first 2 shown]
	s_and_b32 s14, vcc_lo, s14
	s_delay_alu instid0(SALU_CYCLE_1) | instskip(SKIP_1) | instid1(SALU_CYCLE_1)
	v_cndmask_b32_e64 v9, 0, 1, s14
	s_and_b32 s14, vcc_lo, s15
	v_cndmask_b32_e64 v16, 0, 1, s14
	s_and_b32 s14, vcc_lo, s16
	s_delay_alu instid0(SALU_CYCLE_1)
	v_cndmask_b32_e64 v40, 0, 1, s14
	s_and_b32 s14, vcc_lo, s17
	v_cmp_ne_u32_e32 vcc_lo, 0, v9
	v_cndmask_b32_e64 v41, 0, 1, s14
	v_cmp_ne_u32_e64 s14, 0, v16
	v_cmp_ne_u32_e64 s15, 0, v40
	v_mov_b32_e32 v9, v8
	s_bcnt1_i32_b32 s17, vcc_lo
	v_cmp_ne_u32_e64 s16, 0, v41
	s_bcnt1_i32_b32 s14, s14
	s_bcnt1_i32_b32 s15, s15
	v_dual_add_nc_u32 v3, s14, v3 :: v_dual_add_nc_u32 v2, s17, v2
	s_bcnt1_i32_b32 s16, s16
	s_delay_alu instid0(SALU_CYCLE_1)
	v_dual_add_nc_u32 v4, s15, v4 :: v_dual_add_nc_u32 v5, s16, v5
	s_and_not1_b32 exec_lo, exec_lo, s19
	s_cbranch_execz .LBB65_82
.LBB65_80:                              ;   Parent Loop BB65_15 Depth=1
                                        ; =>  This Inner Loop Header: Depth=2
	s_delay_alu instid0(VALU_DEP_1) | instskip(SKIP_1) | instid1(VALU_DEP_1)
	v_dual_mov_b32 v8, 0 :: v_dual_add_nc_u32 v7, s40, v7
	s_mov_b32 s15, exec_lo
	v_cmp_le_u32_e32 vcc_lo, s36, v7
	s_wait_xcnt 0x0
	v_cmpx_gt_u32_e64 s36, v7
	s_cbranch_execz .LBB65_79
; %bb.81:                               ;   in Loop: Header=BB65_80 Depth=2
	v_readfirstlane_b32 s16, v10
	v_readfirstlane_b32 s17, v11
	global_load_u16 v8, v6, s[16:17] scale_offset
	s_branch .LBB65_79
.LBB65_82:                              ;   in Loop: Header=BB65_15 Depth=1
	s_or_b32 exec_lo, exec_lo, s19
.LBB65_83:                              ;   in Loop: Header=BB65_15 Depth=1
	s_delay_alu instid0(SALU_CYCLE_1)
	s_or_b32 exec_lo, exec_lo, s18
	s_branch .LBB65_62
.LBB65_84:                              ;   in Loop: Header=BB65_15 Depth=1
	s_mul_u64 s[14:15], s[38:39], s[46:47]
	v_mov_b64_e32 v[4:5], 0
	s_mul_i32 s14, s15, s64
	v_mov_b64_e32 v[2:3], 0
	s_sub_co_i32 s14, s38, s14
	s_mov_b32 s98, exec_lo
	s_sub_co_i32 s15, s14, s64
	s_cmp_ge_u32 s14, s64
	s_cselect_b32 s14, s15, s14
	s_delay_alu instid0(SALU_CYCLE_1) | instskip(SKIP_2) | instid1(SALU_CYCLE_1)
	s_sub_co_i32 s15, s14, s64
	s_cmp_ge_u32 s14, s64
	s_cselect_b32 s14, s15, s14
	s_sub_co_i32 s97, s38, s14
	s_delay_alu instid0(SALU_CYCLE_1)
	v_cmpx_gt_u32_e64 s97, v1
	s_cbranch_execz .LBB65_88
; %bb.85:                               ;   in Loop: Header=BB65_15 Depth=1
	v_dual_mov_b32 v6, v35 :: v_dual_mov_b32 v7, v1
	s_mov_b32 s99, 0
	s_mov_b32 s52, 0
	;; [unrolled: 1-line block ×5, first 2 shown]
.LBB65_86:                              ;   Parent Loop BB65_15 Depth=1
                                        ; =>  This Inner Loop Header: Depth=2
	ds_load_b64 v[2:3], v6
	v_dual_add_nc_u32 v7, s64, v7 :: v_dual_add_nc_u32 v6, s82, v6
	s_delay_alu instid0(VALU_DEP_1)
	v_cmp_le_u32_e32 vcc_lo, s97, v7
	s_wait_dscnt 0x0
	v_bfe_i32 v4, v2, 0, 16
	v_ashrrev_i32_e32 v2, 16, v2
	v_bfe_i32 v5, v3, 0, 16
	v_ashrrev_i32_e32 v3, 16, v3
	s_delay_alu instid0(VALU_DEP_4) | instskip(NEXT) | instid1(VALU_DEP_4)
	v_add_nc_u32_e32 v4, 0x8000, v4
	v_add_nc_u32_e32 v2, 0x8000, v2
	s_delay_alu instid0(VALU_DEP_4) | instskip(NEXT) | instid1(VALU_DEP_4)
	v_add_nc_u32_e32 v5, 0x8000, v5
	v_add_nc_u32_e32 v3, 0x8000, v3
	s_delay_alu instid0(VALU_DEP_4)
	v_and_b32_e32 v8, v4, v37
	v_bfe_u32 v4, v4, s84, 2
	v_and_b32_e32 v9, v2, v37
	v_bfe_u32 v2, v2, s84, 2
	;; [unrolled: 2-line block ×3, first 2 shown]
	v_cmp_eq_u32_e64 s14, v8, v29
	v_cmp_eq_u32_e64 s18, 0, v4
	v_and_b32_e32 v40, v3, v37
	v_bfe_u32 v3, v3, s84, 2
	v_cmp_eq_u32_e64 s15, v9, v29
	v_cmp_eq_u32_e64 s19, 0, v2
	;; [unrolled: 1-line block ×4, first 2 shown]
	s_and_b32 s18, s14, s18
	v_cmp_eq_u32_e64 s17, v40, v29
	v_cmp_eq_u32_e64 s21, 0, v3
	;; [unrolled: 1-line block ×5, first 2 shown]
	v_cndmask_b32_e64 v2, 0, 1, s18
	s_and_b32 s18, s15, s19
	v_cmp_eq_u32_e64 s22, 1, v4
	v_cmp_eq_u32_e64 s25, 1, v3
	v_cmp_eq_u32_e64 s29, 2, v3
	v_cmp_eq_u32_e64 s34, 3, v3
	v_cndmask_b32_e64 v3, 0, 1, s18
	s_and_b32 s18, s16, s20
	v_cmp_eq_u32_e64 s26, 2, v4
	v_cmp_eq_u32_e64 s30, 3, v4
	v_cndmask_b32_e64 v4, 0, 1, s18
	s_and_b32 s18, s17, s21
	v_cmp_eq_u32_e64 s24, 1, v5
	v_cmp_eq_u32_e64 s28, 2, v5
	;; [unrolled: 1-line block ×3, first 2 shown]
	v_cndmask_b32_e64 v5, 0, 1, s18
	s_and_b32 s18, s14, s22
	s_delay_alu instid0(SALU_CYCLE_1) | instskip(SKIP_1) | instid1(SALU_CYCLE_1)
	v_cndmask_b32_e64 v8, 0, 1, s18
	s_and_b32 s18, s15, s23
	v_cndmask_b32_e64 v9, 0, 1, s18
	s_and_b32 s18, s16, s24
	s_delay_alu instid0(SALU_CYCLE_1) | instskip(SKIP_1) | instid1(VALU_DEP_2)
	v_cndmask_b32_e64 v16, 0, 1, s18
	s_and_b32 s18, s17, s25
	v_cmp_ne_u32_e64 s19, 0, v9
	v_cndmask_b32_e64 v40, 0, 1, s18
	s_and_b32 s18, s14, s26
	s_and_b32 s14, s14, s30
	v_cndmask_b32_e64 v41, 0, 1, s18
	s_and_b32 s18, s15, s27
	v_cndmask_b32_e64 v45, 0, 1, s14
	;; [unrolled: 2-line block ×7, first 2 shown]
	v_cndmask_b32_e64 v48, 0, 1, s14
	v_cmp_ne_u32_e64 s14, 0, v2
	v_cmp_ne_u32_e64 s18, 0, v8
	;; [unrolled: 1-line block ×11, first 2 shown]
	s_bcnt1_i32_b32 s14, s14
	s_bcnt1_i32_b32 s18, s18
	;; [unrolled: 1-line block ×4, first 2 shown]
	v_cmp_ne_u32_e64 s17, 0, v5
	v_cmp_ne_u32_e64 s21, 0, v40
	;; [unrolled: 1-line block ×4, first 2 shown]
	s_bcnt1_i32_b32 s15, s15
	s_bcnt1_i32_b32 s19, s19
	s_bcnt1_i32_b32 s23, s23
	s_bcnt1_i32_b32 s27, s27
	s_add_co_i32 s14, s14, s52
	s_add_co_i32 s18, s18, s53
	s_add_co_i32 s22, s22, s54
	s_add_co_i32 s26, s26, s55
	s_bcnt1_i32_b32 s16, s16
	s_bcnt1_i32_b32 s20, s20
	s_bcnt1_i32_b32 s24, s24
	s_bcnt1_i32_b32 s28, s28
	s_add_co_i32 s18, s18, s19
	s_add_co_i32 s14, s14, s15
	s_add_co_i32 s15, s26, s27
	s_add_co_i32 s19, s22, s23
	;; [unrolled: 8-line block ×3, first 2 shown]
	s_add_co_i32 s53, s16, s21
	s_add_co_i32 s52, s14, s17
	;; [unrolled: 1-line block ×4, first 2 shown]
	v_mov_b64_e32 v[2:3], s[52:53]
	v_mov_b64_e32 v[4:5], s[54:55]
	s_or_b32 s99, vcc_lo, s99
	s_delay_alu instid0(SALU_CYCLE_1)
	s_and_not1_b32 exec_lo, exec_lo, s99
	s_cbranch_execnz .LBB65_86
; %bb.87:                               ;   in Loop: Header=BB65_15 Depth=1
	s_or_b32 exec_lo, exec_lo, s99
.LBB65_88:                              ;   in Loop: Header=BB65_15 Depth=1
	s_delay_alu instid0(SALU_CYCLE_1) | instskip(SKIP_2) | instid1(VALU_DEP_1)
	s_or_b32 exec_lo, exec_lo, s98
	v_add_nc_u32_e32 v6, s97, v0
	s_mov_b32 s19, exec_lo
	v_cmpx_gt_u32_e64 s38, v6
	s_cbranch_execz .LBB65_92
; %bb.89:                               ;   in Loop: Header=BB65_15 Depth=1
	v_lshlrev_b32_e32 v7, 1, v6
	s_mov_b32 s20, 0
.LBB65_90:                              ;   Parent Loop BB65_15 Depth=1
                                        ; =>  This Inner Loop Header: Depth=2
	ds_load_i16 v8, v7
	v_dual_add_nc_u32 v6, s40, v6 :: v_dual_add_nc_u32 v7, s83, v7
	s_delay_alu instid0(VALU_DEP_1) | instskip(SKIP_2) | instid1(VALU_DEP_1)
	v_cmp_le_u32_e32 vcc_lo, s38, v6
	s_wait_dscnt 0x0
	v_add_nc_u32_e32 v8, 0x8000, v8
	v_and_b32_e32 v9, v8, v37
	v_bfe_u32 v8, v8, s84, 2
	s_delay_alu instid0(VALU_DEP_2) | instskip(NEXT) | instid1(VALU_DEP_2)
	v_cmp_eq_u32_e64 s14, v9, v29
	v_cmp_eq_u32_e64 s15, 0, v8
	;; [unrolled: 1-line block ×5, first 2 shown]
	s_and_b32 s15, s14, s15
	s_delay_alu instid0(SALU_CYCLE_1) | instskip(SKIP_1) | instid1(SALU_CYCLE_1)
	v_cndmask_b32_e64 v8, 0, 1, s15
	s_and_b32 s15, s14, s16
	v_cndmask_b32_e64 v9, 0, 1, s15
	s_and_b32 s15, s14, s17
	s_and_b32 s14, s14, s18
	v_cndmask_b32_e64 v16, 0, 1, s15
	v_cndmask_b32_e64 v40, 0, 1, s14
	v_cmp_ne_u32_e64 s14, 0, v8
	v_cmp_ne_u32_e64 s15, 0, v9
	s_delay_alu instid0(VALU_DEP_4) | instskip(NEXT) | instid1(VALU_DEP_4)
	v_cmp_ne_u32_e64 s16, 0, v16
	v_cmp_ne_u32_e64 s17, 0, v40
	s_bcnt1_i32_b32 s14, s14
	s_bcnt1_i32_b32 s15, s15
	;; [unrolled: 1-line block ×4, first 2 shown]
	v_dual_add_nc_u32 v3, s15, v3 :: v_dual_add_nc_u32 v2, s14, v2
	v_dual_add_nc_u32 v5, s17, v5 :: v_dual_add_nc_u32 v4, s16, v4
	s_or_b32 s20, vcc_lo, s20
	s_delay_alu instid0(SALU_CYCLE_1)
	s_and_not1_b32 exec_lo, exec_lo, s20
	s_cbranch_execnz .LBB65_90
; %bb.91:                               ;   in Loop: Header=BB65_15 Depth=1
	s_or_b32 exec_lo, exec_lo, s20
.LBB65_92:                              ;   in Loop: Header=BB65_15 Depth=1
	s_delay_alu instid0(SALU_CYCLE_1)
	s_or_b32 exec_lo, exec_lo, s19
	s_lshl_b32 s16, s87, 7
	s_and_saveexec_b32 s14, s2
	s_cbranch_execnz .LBB65_63
	s_branch .LBB65_64
.LBB65_93:                              ;   in Loop: Header=BB65_15 Depth=1
	v_mov_b32_e32 v2, 0
	s_mov_b32 s14, 0
	s_cbranch_execz .LBB65_96
.LBB65_94:                              ;   in Loop: Header=BB65_15 Depth=1
	s_lshl_b32 s15, s87, 9
	s_lshl_b32 s18, s14, 4
	s_sub_co_i32 s14, s68, s14
	v_add3_u32 v3, s15, s18, v36
.LBB65_95:                              ;   Parent Loop BB65_15 Depth=1
                                        ; =>  This Inner Loop Header: Depth=2
	ds_load_b32 v5, v3
	v_add_nc_u32_e32 v3, 16, v3
	s_add_co_i32 s14, s14, -1
	s_delay_alu instid0(SALU_CYCLE_1)
	s_cmp_eq_u32 s14, 0
	s_wait_dscnt 0x0
	v_add_nc_u32_e32 v2, v5, v2
	s_cbranch_scc0 .LBB65_95
.LBB65_96:                              ;   in Loop: Header=BB65_15 Depth=1
	s_delay_alu instid0(VALU_DEP_1)
	v_lshlrev_b32_e32 v3, 2, v4
	ds_store_b32 v3, v2 offset:3072
.LBB65_97:                              ;   in Loop: Header=BB65_15 Depth=1
	s_or_b32 exec_lo, exec_lo, s17
	s_lshl_b32 s14, s16, 2
	s_wait_dscnt 0x0
	v_mov_b32_e32 v2, s14
	s_barrier_signal -1
	s_barrier_wait -1
	v_cmp_eq_u32_e64 s14, 1, v39
	ds_load_b128 v[2:5], v2 offset:3072
	s_lshl_b32 s18, 3, s84
	s_mov_b32 s26, -1
	s_not_b32 s19, s18
	s_mov_b32 s16, 0
	s_and_not1_b32 vcc_lo, exec_lo, s62
	s_mov_b32 s23, 0
	s_mov_b32 s15, 0
                                        ; implicit-def: $sgpr24
                                        ; implicit-def: $sgpr25
                                        ; implicit-def: $vgpr6
	s_wait_dscnt 0x0
	v_readfirstlane_b32 s17, v2
	v_readfirstlane_b32 s20, v3
	v_readfirstlane_b32 s21, v4
	v_readfirstlane_b32 s22, v5
                                        ; implicit-def: $vgpr5
                                        ; implicit-def: $vgpr2
                                        ; implicit-def: $vgpr3
                                        ; implicit-def: $vgpr4
	s_cbranch_vccnz .LBB65_256
; %bb.98:                               ;   in Loop: Header=BB65_15 Depth=1
	s_cmp_eq_u32 s17, 1
	v_dual_mov_b32 v3, v29 :: v_dual_mov_b32 v4, v37
	v_mov_b32_e32 v6, v38
	s_cselect_b32 s15, -1, 0
	s_mov_b32 s29, -1
	s_and_b32 s28, s15, s14
                                        ; implicit-def: $sgpr25
                                        ; implicit-def: $sgpr24
	s_delay_alu instid0(SALU_CYCLE_1)
	s_and_saveexec_b32 s15, s28
	s_cbranch_execz .LBB65_125
; %bb.99:                               ;   in Loop: Header=BB65_15 Depth=1
	ds_load_b32 v2, v17 offset:4096
	s_wait_dscnt 0x0
	s_barrier_signal -1
	s_barrier_wait -1
	v_readfirstlane_b32 s26, v2
	s_and_saveexec_b32 s23, s6
; %bb.100:                              ;   in Loop: Header=BB65_15 Depth=1
	ds_store_b16 v19, v17
; %bb.101:                              ;   in Loop: Header=BB65_15 Depth=1
	s_or_b32 exec_lo, exec_lo, s23
	v_and_b32_e32 v3, s19, v29
	v_or_b32_e32 v4, s18, v37
	s_mov_b32 s24, -1
	s_mov_b32 s25, 0
	s_cmp_eq_u32 s26, 0
	s_mov_b32 s23, 0
	s_mov_b32 s27, -1
	s_wait_dscnt 0x0
	s_barrier_signal -1
	s_barrier_wait -1
                                        ; implicit-def: $vgpr6
	s_cbranch_scc1 .LBB65_112
; %bb.102:                              ;   in Loop: Header=BB65_15 Depth=1
	s_add_co_i32 s38, s26, s67
	s_mov_b32 s29, exec_lo
	s_mul_u64 s[30:31], s[38:39], s[48:49]
                                        ; implicit-def: $vgpr6
	s_delay_alu instid0(SALU_CYCLE_1) | instskip(NEXT) | instid1(SALU_CYCLE_1)
	s_mul_i32 s23, s31, s40
	s_sub_co_i32 s23, s38, s23
	s_delay_alu instid0(SALU_CYCLE_1) | instskip(SKIP_2) | instid1(SALU_CYCLE_1)
	s_sub_co_i32 s27, s23, s40
	s_cmp_ge_u32 s23, s40
	s_cselect_b32 s23, s27, s23
	s_sub_co_i32 s27, s23, s40
	s_cmp_ge_u32 s23, s40
	s_cselect_b32 s23, s27, s23
	s_mov_b32 s27, 0
	s_sub_co_i32 s30, s38, s23
	s_mov_b32 s23, 0
	v_cmpx_gt_u32_e64 s30, v0
	s_cbranch_execz .LBB65_111
; %bb.103:                              ;   in Loop: Header=BB65_15 Depth=1
	v_dual_mov_b32 v2, v22 :: v_dual_mov_b32 v5, v0
                                        ; implicit-def: $sgpr31
	s_branch .LBB65_106
.LBB65_104:                             ;   in Loop: Header=BB65_106 Depth=2
	s_or_b32 exec_lo, exec_lo, s33
	s_wait_dscnt 0x0
	s_barrier_signal -1
	s_barrier_wait -1
	ds_load_b32 v6, v17 offset:3072
	s_mov_b32 s33, -1
	s_mov_b32 s34, -1
	s_wait_dscnt 0x0
	s_barrier_signal -1
	s_barrier_wait -1
	v_and_b32_e32 v7, 0xffff, v6
	s_delay_alu instid0(VALU_DEP_1)
	v_cmp_ne_u32_e32 vcc_lo, 0, v7
	s_cbranch_vccz .LBB65_109
.LBB65_105:                             ;   in Loop: Header=BB65_106 Depth=2
	s_and_b32 s33, exec_lo, s33
	s_delay_alu instid0(SALU_CYCLE_1) | instskip(SKIP_2) | instid1(SALU_CYCLE_1)
	s_or_b32 s23, s33, s23
	s_and_not1_b32 s31, s31, exec_lo
	s_and_b32 s33, s34, exec_lo
	s_or_b32 s31, s31, s33
	s_and_not1_b32 exec_lo, exec_lo, s23
	s_cbranch_execz .LBB65_110
.LBB65_106:                             ;   Parent Loop BB65_15 Depth=1
                                        ; =>  This Inner Loop Header: Depth=2
	s_mov_b32 s33, exec_lo
	s_delay_alu instid0(VALU_DEP_1)
	v_cmpx_gt_u32_e64 s26, v5
	s_cbranch_execz .LBB65_104
; %bb.107:                              ;   in Loop: Header=BB65_106 Depth=2
	ds_load_u16 v6, v2
	s_wait_dscnt 0x0
	v_bfe_i32 v7, v6, 0, 16
	s_delay_alu instid0(VALU_DEP_1) | instskip(NEXT) | instid1(VALU_DEP_1)
	v_add_nc_u32_e32 v7, 0x8000, v7
	v_and_b32_e32 v7, v7, v4
	s_delay_alu instid0(VALU_DEP_1)
	v_cmp_eq_u32_e32 vcc_lo, v7, v3
	s_and_b32 exec_lo, exec_lo, vcc_lo
	s_cbranch_execz .LBB65_104
; %bb.108:                              ;   in Loop: Header=BB65_106 Depth=2
	v_perm_b32 v6, v6, 1, 0x5040100
	ds_store_b32 v17, v6 offset:3072
	s_branch .LBB65_104
.LBB65_109:                             ;   in Loop: Header=BB65_106 Depth=2
	v_dual_add_nc_u32 v5, s40, v5 :: v_dual_add_nc_u32 v2, s83, v2
	s_mov_b32 s34, 0
	s_delay_alu instid0(VALU_DEP_1)
	v_cmp_le_u32_e32 vcc_lo, s30, v5
	s_or_not1_b32 s33, vcc_lo, exec_lo
	s_branch .LBB65_105
.LBB65_110:                             ;   in Loop: Header=BB65_15 Depth=1
	s_or_b32 exec_lo, exec_lo, s23
	v_lshrrev_b32_e32 v6, 16, v6
	s_and_b32 s23, s31, exec_lo
.LBB65_111:                             ;   in Loop: Header=BB65_15 Depth=1
	s_or_b32 exec_lo, exec_lo, s29
.LBB65_112:                             ;   in Loop: Header=BB65_15 Depth=1
	s_delay_alu instid0(SALU_CYCLE_1)
	s_and_b32 vcc_lo, exec_lo, s27
	s_cbranch_vccz .LBB65_124
; %bb.113:                              ;   in Loop: Header=BB65_15 Depth=1
                                        ; implicit-def: $vgpr6
	s_and_saveexec_b32 s24, s13
	s_cbranch_execz .LBB65_123
; %bb.114:                              ;   in Loop: Header=BB65_15 Depth=1
	v_dual_mov_b32 v2, v18 :: v_dual_mov_b32 v5, v0
	s_mov_b32 s25, 0
                                        ; implicit-def: $sgpr26
	s_branch .LBB65_117
.LBB65_115:                             ;   in Loop: Header=BB65_117 Depth=2
	s_or_b32 exec_lo, exec_lo, s27
	s_wait_dscnt 0x0
	s_barrier_signal -1
	s_barrier_wait -1
	ds_load_b32 v6, v17 offset:3072
	s_mov_b32 s27, -1
	s_mov_b32 s29, -1
	s_wait_dscnt 0x0
	s_barrier_signal -1
	s_barrier_wait -1
	v_and_b32_e32 v7, 0xffff, v6
	s_delay_alu instid0(VALU_DEP_1)
	v_cmp_ne_u32_e32 vcc_lo, 0, v7
	s_cbranch_vccz .LBB65_120
.LBB65_116:                             ;   in Loop: Header=BB65_117 Depth=2
	s_and_b32 s27, exec_lo, s27
	s_delay_alu instid0(SALU_CYCLE_1) | instskip(SKIP_2) | instid1(SALU_CYCLE_1)
	s_or_b32 s25, s27, s25
	s_and_not1_b32 s26, s26, exec_lo
	s_and_b32 s27, s29, exec_lo
	s_or_b32 s26, s26, s27
	s_and_not1_b32 exec_lo, exec_lo, s25
	s_cbranch_execz .LBB65_122
.LBB65_117:                             ;   Parent Loop BB65_15 Depth=1
                                        ; =>  This Inner Loop Header: Depth=2
	s_mov_b32 s27, exec_lo
	s_delay_alu instid0(VALU_DEP_1)
	v_cmpx_gt_u32_e64 s36, v5
	s_cbranch_execz .LBB65_115
; %bb.118:                              ;   in Loop: Header=BB65_117 Depth=2
	v_readfirstlane_b32 s30, v10
	v_readfirstlane_b32 s31, v11
	global_load_u16 v6, v2, s[30:31] scale_offset
	s_wait_loadcnt 0x0
	v_bfe_i32 v7, v6, 0, 16
	s_delay_alu instid0(VALU_DEP_1) | instskip(NEXT) | instid1(VALU_DEP_1)
	v_add_nc_u32_e32 v7, 0x8000, v7
	v_and_b32_e32 v7, v7, v4
	s_delay_alu instid0(VALU_DEP_1)
	v_cmp_eq_u32_e32 vcc_lo, v7, v3
	s_and_b32 exec_lo, exec_lo, vcc_lo
	s_cbranch_execz .LBB65_115
; %bb.119:                              ;   in Loop: Header=BB65_117 Depth=2
	v_perm_b32 v6, v6, 1, 0x5040100
	ds_store_b32 v17, v6 offset:3072
	s_branch .LBB65_115
.LBB65_120:                             ;   in Loop: Header=BB65_117 Depth=2
	v_dual_add_nc_u32 v5, s40, v5 :: v_dual_add_nc_u32 v2, s58, v2
	s_mov_b32 s29, 0
	s_delay_alu instid0(VALU_DEP_1)
	v_cmp_le_u32_e32 vcc_lo, s80, v5
	s_or_not1_b32 s27, vcc_lo, exec_lo
	s_branch .LBB65_116
.LBB65_121:                             ;   in Loop: Header=BB65_15 Depth=1
	s_mov_b64 s[14:15], 0x100000000
	v_mov_b64_e32 v[2:3], 0
	s_and_not1_b32 vcc_lo, exec_lo, s74
	s_mov_b32 s18, s71
	s_cbranch_vccz .LBB65_71
	s_branch .LBB65_72
.LBB65_122:                             ;   in Loop: Header=BB65_15 Depth=1
	s_or_b32 exec_lo, exec_lo, s25
	v_lshrrev_b32_e32 v6, 16, v6
	s_and_not1_b32 s23, s23, exec_lo
	s_and_b32 s25, s26, exec_lo
	s_delay_alu instid0(SALU_CYCLE_1)
	s_or_b32 s23, s23, s25
.LBB65_123:                             ;   in Loop: Header=BB65_15 Depth=1
	s_or_b32 exec_lo, exec_lo, s24
	s_mov_b32 s24, 0
	s_mov_b32 s25, -1
.LBB65_124:                             ;   in Loop: Header=BB65_15 Depth=1
	s_or_not1_b32 s29, s23, exec_lo
.LBB65_125:                             ;   in Loop: Header=BB65_15 Depth=1
	s_or_b32 exec_lo, exec_lo, s15
	s_mov_b32 s26, 0
	s_mov_b32 s23, 0
	;; [unrolled: 1-line block ×3, first 2 shown]
                                        ; implicit-def: $vgpr5
                                        ; implicit-def: $vgpr2
	s_and_saveexec_b32 s27, s29
	s_cbranch_execz .LBB65_255
; %bb.126:                              ;   in Loop: Header=BB65_15 Depth=1
	v_dual_mov_b32 v5, 1 :: v_dual_mov_b32 v2, 1
	s_xor_b32 s23, s28, -1
	s_mov_b32 s30, 0
	s_and_saveexec_b32 s15, s23
	s_cbranch_execz .LBB65_135
; %bb.127:                              ;   in Loop: Header=BB65_15 Depth=1
	s_mov_b32 s23, exec_lo
	v_cmpx_ge_u32_e64 s17, v39
	s_xor_b32 s23, exec_lo, s23
	s_cbranch_execz .LBB65_132
; %bb.128:                              ;   in Loop: Header=BB65_15 Depth=1
	ds_load_b32 v2, v17 offset:4096
	v_and_b32_e32 v3, s19, v3
	v_or_b32_e32 v4, s18, v4
	s_wait_dscnt 0x0
	v_cmp_ne_u32_e32 vcc_lo, 0, v2
	s_cbranch_vccnz .LBB65_132
; %bb.129:                              ;   in Loop: Header=BB65_15 Depth=1
	s_and_saveexec_b32 s28, s5
; %bb.130:                              ;   in Loop: Header=BB65_15 Depth=1
	v_mov_b32_e32 v2, s17
	ds_store_b32 v17, v2 offset:4100
; %bb.131:                              ;   in Loop: Header=BB65_15 Depth=1
	s_or_b32 exec_lo, exec_lo, s28
	s_wait_dscnt 0x0
	s_barrier_signal -1
	s_barrier_wait -1
.LBB65_132:                             ;   in Loop: Header=BB65_15 Depth=1
	s_or_saveexec_b32 s23, s23
	v_dual_mov_b32 v2, 8 :: v_dual_mov_b32 v5, v39
	s_mov_b32 s28, 0
	s_xor_b32 exec_lo, exec_lo, s23
; %bb.133:                              ;   in Loop: Header=BB65_15 Depth=1
	v_subrev_nc_u32_e32 v5, s17, v39
	v_mov_b32_e32 v2, 0
	s_mov_b32 s28, exec_lo
; %bb.134:                              ;   in Loop: Header=BB65_15 Depth=1
	s_or_b32 exec_lo, exec_lo, s23
	s_delay_alu instid0(SALU_CYCLE_1)
	s_and_b32 s30, s28, exec_lo
.LBB65_135:                             ;   in Loop: Header=BB65_15 Depth=1
	s_or_b32 exec_lo, exec_lo, s15
	s_mov_b32 s29, -1
                                        ; implicit-def: $sgpr23
                                        ; implicit-def: $sgpr28
	s_and_saveexec_b32 s15, s30
	s_delay_alu instid0(SALU_CYCLE_1)
	s_xor_b32 s15, exec_lo, s15
	s_cbranch_execz .LBB65_252
; %bb.136:                              ;   in Loop: Header=BB65_15 Depth=1
	v_cmp_eq_u32_e32 vcc_lo, 1, v5
	s_cmp_eq_u32 s20, 1
	s_mov_b32 s31, -1
	s_cselect_b32 s23, -1, 0
                                        ; implicit-def: $sgpr28
	s_delay_alu instid0(SALU_CYCLE_1) | instskip(NEXT) | instid1(SALU_CYCLE_1)
	s_and_b32 s30, s23, vcc_lo
                                        ; implicit-def: $sgpr23
	s_and_saveexec_b32 s29, s30
	s_cbranch_execz .LBB65_162
; %bb.137:                              ;   in Loop: Header=BB65_15 Depth=1
	ds_load_b32 v6, v17 offset:4096
	s_wait_dscnt 0x0
	s_barrier_signal -1
	s_barrier_wait -1
	v_readfirstlane_b32 s33, v6
	s_and_saveexec_b32 s23, s6
; %bb.138:                              ;   in Loop: Header=BB65_15 Depth=1
	ds_store_b16 v19, v17
; %bb.139:                              ;   in Loop: Header=BB65_15 Depth=1
	s_or_b32 exec_lo, exec_lo, s23
	s_lshl_b32 s23, 1, s84
	v_or_b32_e32 v4, s18, v4
	v_and_or_b32 v3, v3, s19, s23
	s_mov_b32 s23, -1
	s_mov_b32 s28, 0
	s_cmp_eq_u32 s33, 0
	s_mov_b32 s31, 0
	s_mov_b32 s34, -1
	s_wait_dscnt 0x0
	s_barrier_signal -1
	s_barrier_wait -1
                                        ; implicit-def: $vgpr6
	s_cbranch_scc1 .LBB65_150
; %bb.140:                              ;   in Loop: Header=BB65_15 Depth=1
	s_add_co_i32 s38, s33, s67
                                        ; implicit-def: $vgpr6
	s_delay_alu instid0(SALU_CYCLE_1) | instskip(NEXT) | instid1(SALU_CYCLE_1)
	s_mul_u64 s[52:53], s[38:39], s[48:49]
	s_mul_i32 s31, s53, s40
	s_delay_alu instid0(SALU_CYCLE_1) | instskip(NEXT) | instid1(SALU_CYCLE_1)
	s_sub_co_i32 s31, s38, s31
	s_sub_co_i32 s34, s31, s40
	s_cmp_ge_u32 s31, s40
	s_cselect_b32 s31, s34, s31
	s_delay_alu instid0(SALU_CYCLE_1)
	s_sub_co_i32 s34, s31, s40
	s_cmp_ge_u32 s31, s40
	s_cselect_b32 s31, s34, s31
	s_mov_b32 s34, 0
	s_sub_co_i32 s52, s38, s31
	s_mov_b32 s31, 0
	s_mov_b32 s38, exec_lo
	v_cmpx_gt_u32_e64 s52, v0
	s_cbranch_execz .LBB65_149
; %bb.141:                              ;   in Loop: Header=BB65_15 Depth=1
	v_dual_mov_b32 v6, v22 :: v_dual_mov_b32 v7, v0
                                        ; implicit-def: $sgpr53
	s_branch .LBB65_144
.LBB65_142:                             ;   in Loop: Header=BB65_144 Depth=2
	s_or_b32 exec_lo, exec_lo, s54
	s_wait_dscnt 0x0
	s_barrier_signal -1
	s_barrier_wait -1
	ds_load_b32 v8, v17 offset:3072
	s_mov_b32 s54, -1
	s_mov_b32 s55, -1
	s_wait_dscnt 0x0
	s_barrier_signal -1
	s_barrier_wait -1
	v_and_b32_e32 v9, 0xffff, v8
	s_delay_alu instid0(VALU_DEP_1)
	v_cmp_ne_u32_e32 vcc_lo, 0, v9
	s_cbranch_vccz .LBB65_147
.LBB65_143:                             ;   in Loop: Header=BB65_144 Depth=2
	s_and_b32 s54, exec_lo, s54
	s_delay_alu instid0(SALU_CYCLE_1) | instskip(SKIP_2) | instid1(SALU_CYCLE_1)
	s_or_b32 s31, s54, s31
	s_and_not1_b32 s53, s53, exec_lo
	s_and_b32 s54, s55, exec_lo
	s_or_b32 s53, s53, s54
	s_and_not1_b32 exec_lo, exec_lo, s31
	s_cbranch_execz .LBB65_148
.LBB65_144:                             ;   Parent Loop BB65_15 Depth=1
                                        ; =>  This Inner Loop Header: Depth=2
	s_mov_b32 s54, exec_lo
	s_delay_alu instid0(VALU_DEP_1)
	v_cmpx_gt_u32_e64 s33, v7
	s_cbranch_execz .LBB65_142
; %bb.145:                              ;   in Loop: Header=BB65_144 Depth=2
	ds_load_u16 v8, v6
	s_wait_dscnt 0x0
	v_bfe_i32 v9, v8, 0, 16
	s_delay_alu instid0(VALU_DEP_1) | instskip(NEXT) | instid1(VALU_DEP_1)
	v_add_nc_u32_e32 v9, 0x8000, v9
	v_and_b32_e32 v9, v9, v4
	s_delay_alu instid0(VALU_DEP_1)
	v_cmp_eq_u32_e32 vcc_lo, v9, v3
	s_and_b32 exec_lo, exec_lo, vcc_lo
	s_cbranch_execz .LBB65_142
; %bb.146:                              ;   in Loop: Header=BB65_144 Depth=2
	v_perm_b32 v8, v8, 1, 0x5040100
	ds_store_b32 v17, v8 offset:3072
	s_branch .LBB65_142
.LBB65_147:                             ;   in Loop: Header=BB65_144 Depth=2
	v_dual_add_nc_u32 v7, s40, v7 :: v_dual_add_nc_u32 v6, s83, v6
	s_mov_b32 s55, 0
	s_delay_alu instid0(VALU_DEP_1)
	v_cmp_le_u32_e32 vcc_lo, s52, v7
	s_or_not1_b32 s54, vcc_lo, exec_lo
	s_branch .LBB65_143
.LBB65_148:                             ;   in Loop: Header=BB65_15 Depth=1
	s_or_b32 exec_lo, exec_lo, s31
	v_lshrrev_b32_e32 v6, 16, v8
	s_and_b32 s31, s53, exec_lo
.LBB65_149:                             ;   in Loop: Header=BB65_15 Depth=1
	s_or_b32 exec_lo, exec_lo, s38
.LBB65_150:                             ;   in Loop: Header=BB65_15 Depth=1
	s_delay_alu instid0(SALU_CYCLE_1)
	s_and_b32 vcc_lo, exec_lo, s34
	s_cbranch_vccz .LBB65_161
; %bb.151:                              ;   in Loop: Header=BB65_15 Depth=1
                                        ; implicit-def: $vgpr6
	s_and_saveexec_b32 s23, s13
	s_cbranch_execz .LBB65_160
; %bb.152:                              ;   in Loop: Header=BB65_15 Depth=1
	v_dual_mov_b32 v6, v18 :: v_dual_mov_b32 v7, v0
	s_mov_b32 s28, 0
                                        ; implicit-def: $sgpr33
	s_branch .LBB65_155
.LBB65_153:                             ;   in Loop: Header=BB65_155 Depth=2
	s_or_b32 exec_lo, exec_lo, s34
	s_wait_dscnt 0x0
	s_barrier_signal -1
	s_barrier_wait -1
	ds_load_b32 v8, v17 offset:3072
	s_mov_b32 s34, -1
	s_mov_b32 s38, -1
	s_wait_dscnt 0x0
	s_barrier_signal -1
	s_barrier_wait -1
	v_and_b32_e32 v9, 0xffff, v8
	s_delay_alu instid0(VALU_DEP_1)
	v_cmp_eq_u32_e32 vcc_lo, 0, v9
	s_cbranch_vccnz .LBB65_158
.LBB65_154:                             ;   in Loop: Header=BB65_155 Depth=2
	s_and_b32 s34, exec_lo, s34
	s_delay_alu instid0(SALU_CYCLE_1) | instskip(SKIP_2) | instid1(SALU_CYCLE_1)
	s_or_b32 s28, s34, s28
	s_and_not1_b32 s33, s33, exec_lo
	s_and_b32 s34, s38, exec_lo
	s_or_b32 s33, s33, s34
	s_and_not1_b32 exec_lo, exec_lo, s28
	s_cbranch_execz .LBB65_159
.LBB65_155:                             ;   Parent Loop BB65_15 Depth=1
                                        ; =>  This Inner Loop Header: Depth=2
	s_mov_b32 s34, exec_lo
	s_delay_alu instid0(VALU_DEP_1)
	v_cmpx_gt_u32_e64 s36, v7
	s_cbranch_execz .LBB65_153
; %bb.156:                              ;   in Loop: Header=BB65_155 Depth=2
	v_readfirstlane_b32 s52, v10
	v_readfirstlane_b32 s53, v11
	global_load_u16 v8, v6, s[52:53] scale_offset
	s_wait_loadcnt 0x0
	v_bfe_i32 v9, v8, 0, 16
	s_delay_alu instid0(VALU_DEP_1) | instskip(NEXT) | instid1(VALU_DEP_1)
	v_add_nc_u32_e32 v9, 0x8000, v9
	v_and_b32_e32 v9, v9, v4
	s_delay_alu instid0(VALU_DEP_1)
	v_cmp_eq_u32_e32 vcc_lo, v9, v3
	s_and_b32 exec_lo, exec_lo, vcc_lo
	s_cbranch_execz .LBB65_153
; %bb.157:                              ;   in Loop: Header=BB65_155 Depth=2
	v_perm_b32 v8, v8, 1, 0x5040100
	ds_store_b32 v17, v8 offset:3072
	s_branch .LBB65_153
.LBB65_158:                             ;   in Loop: Header=BB65_155 Depth=2
	v_dual_add_nc_u32 v7, s40, v7 :: v_dual_add_nc_u32 v6, s58, v6
	s_mov_b32 s38, 0
	s_delay_alu instid0(VALU_DEP_1)
	v_cmp_le_u32_e32 vcc_lo, s80, v7
	s_or_not1_b32 s34, vcc_lo, exec_lo
	s_branch .LBB65_154
.LBB65_159:                             ;   in Loop: Header=BB65_15 Depth=1
	s_or_b32 exec_lo, exec_lo, s28
	v_lshrrev_b32_e32 v6, 16, v8
	s_and_not1_b32 s28, s31, exec_lo
	s_and_b32 s31, s33, exec_lo
	s_delay_alu instid0(SALU_CYCLE_1)
	s_or_b32 s31, s28, s31
.LBB65_160:                             ;   in Loop: Header=BB65_15 Depth=1
	s_or_b32 exec_lo, exec_lo, s23
	s_mov_b32 s23, 0
	s_mov_b32 s28, -1
.LBB65_161:                             ;   in Loop: Header=BB65_15 Depth=1
	s_or_not1_b32 s31, s31, exec_lo
.LBB65_162:                             ;   in Loop: Header=BB65_15 Depth=1
	s_or_b32 exec_lo, exec_lo, s29
	s_mov_b32 s33, 0
	s_and_saveexec_b32 s29, s31
	s_cbranch_execz .LBB65_251
; %bb.163:                              ;   in Loop: Header=BB65_15 Depth=1
	v_dual_mov_b32 v7, 1 :: v_dual_mov_b32 v2, 1
	s_xor_b32 s31, s30, -1
	s_mov_b32 s38, 0
	s_and_saveexec_b32 s30, s31
	s_cbranch_execz .LBB65_172
; %bb.164:                              ;   in Loop: Header=BB65_15 Depth=1
	s_mov_b32 s31, exec_lo
	v_cmpx_ge_u32_e64 s20, v5
	s_xor_b32 s31, exec_lo, s31
	s_cbranch_execz .LBB65_169
; %bb.165:                              ;   in Loop: Header=BB65_15 Depth=1
	ds_load_b32 v2, v17 offset:4096
	s_lshl_b32 s33, 1, s84
	v_or_b32_e32 v4, s18, v4
	v_and_or_b32 v3, v3, s19, s33
	s_wait_dscnt 0x0
	v_cmp_ne_u32_e32 vcc_lo, 0, v2
	s_cbranch_vccnz .LBB65_169
; %bb.166:                              ;   in Loop: Header=BB65_15 Depth=1
	s_and_saveexec_b32 s33, s5
; %bb.167:                              ;   in Loop: Header=BB65_15 Depth=1
	v_mov_b32_e32 v2, s20
	ds_store_b32 v17, v2 offset:4100
; %bb.168:                              ;   in Loop: Header=BB65_15 Depth=1
	s_or_b32 exec_lo, exec_lo, s33
	s_wait_dscnt 0x0
	s_barrier_signal -1
	s_barrier_wait -1
.LBB65_169:                             ;   in Loop: Header=BB65_15 Depth=1
	s_or_saveexec_b32 s31, s31
	v_mov_b32_e32 v2, 8
	s_mov_b32 s33, 0
	s_xor_b32 exec_lo, exec_lo, s31
; %bb.170:                              ;   in Loop: Header=BB65_15 Depth=1
	v_subrev_nc_u32_e32 v5, s20, v5
	v_mov_b32_e32 v2, 0
	s_mov_b32 s33, exec_lo
; %bb.171:                              ;   in Loop: Header=BB65_15 Depth=1
	s_or_b32 exec_lo, exec_lo, s31
	s_delay_alu instid0(VALU_DEP_2)
	v_mov_b32_e32 v7, v5
	s_and_b32 s38, s33, exec_lo
.LBB65_172:                             ;   in Loop: Header=BB65_15 Depth=1
	s_or_b32 exec_lo, exec_lo, s30
	s_mov_b32 s34, -1
                                        ; implicit-def: $sgpr31
                                        ; implicit-def: $sgpr33
	s_and_saveexec_b32 s30, s38
	s_cbranch_execz .LBB65_250
; %bb.173:                              ;   in Loop: Header=BB65_15 Depth=1
	v_cmp_eq_u32_e32 vcc_lo, 1, v7
	s_cmp_eq_u32 s21, 1
	s_mov_b32 s38, -1
	s_cselect_b32 s31, -1, 0
                                        ; implicit-def: $sgpr33
	s_delay_alu instid0(SALU_CYCLE_1) | instskip(NEXT) | instid1(SALU_CYCLE_1)
	s_and_b32 s52, s31, vcc_lo
                                        ; implicit-def: $sgpr31
	s_and_saveexec_b32 s34, s52
	s_cbranch_execz .LBB65_199
; %bb.174:                              ;   in Loop: Header=BB65_15 Depth=1
	ds_load_b32 v5, v17 offset:4096
	s_wait_dscnt 0x0
	s_barrier_signal -1
	s_barrier_wait -1
	v_readfirstlane_b32 s53, v5
	s_and_saveexec_b32 s31, s6
; %bb.175:                              ;   in Loop: Header=BB65_15 Depth=1
	ds_store_b16 v19, v17
; %bb.176:                              ;   in Loop: Header=BB65_15 Depth=1
	s_or_b32 exec_lo, exec_lo, s31
	s_lshl_b32 s31, 2, s84
	v_or_b32_e32 v4, s18, v4
	v_and_or_b32 v3, v3, s19, s31
	s_mov_b32 s31, -1
	s_mov_b32 s33, 0
	s_cmp_eq_u32 s53, 0
	s_mov_b32 s38, 0
	s_mov_b32 s54, -1
	s_wait_dscnt 0x0
	s_barrier_signal -1
	s_barrier_wait -1
                                        ; implicit-def: $vgpr6
	s_cbranch_scc1 .LBB65_187
; %bb.177:                              ;   in Loop: Header=BB65_15 Depth=1
	s_add_co_i32 s38, s53, s67
                                        ; implicit-def: $vgpr6
	s_delay_alu instid0(SALU_CYCLE_1) | instskip(NEXT) | instid1(SALU_CYCLE_1)
	s_mul_u64 s[54:55], s[38:39], s[48:49]
	s_mul_i32 s54, s55, s40
	s_delay_alu instid0(SALU_CYCLE_1) | instskip(NEXT) | instid1(SALU_CYCLE_1)
	s_sub_co_i32 s54, s38, s54
	s_sub_co_i32 s55, s54, s40
	s_cmp_ge_u32 s54, s40
	s_cselect_b32 s54, s55, s54
	s_delay_alu instid0(SALU_CYCLE_1)
	s_sub_co_i32 s55, s54, s40
	s_cmp_ge_u32 s54, s40
	s_cselect_b32 s54, s55, s54
	s_mov_b32 s55, exec_lo
	s_sub_co_i32 s97, s38, s54
	s_mov_b32 s54, 0
	s_mov_b32 s38, 0
	v_cmpx_gt_u32_e64 s97, v0
	s_cbranch_execz .LBB65_186
; %bb.178:                              ;   in Loop: Header=BB65_15 Depth=1
	v_dual_mov_b32 v5, v22 :: v_dual_mov_b32 v6, v0
                                        ; implicit-def: $sgpr98
	s_branch .LBB65_181
.LBB65_179:                             ;   in Loop: Header=BB65_181 Depth=2
	s_or_b32 exec_lo, exec_lo, s99
	s_wait_dscnt 0x0
	s_barrier_signal -1
	s_barrier_wait -1
	ds_load_b32 v8, v17 offset:3072
	s_mov_b32 s99, -1
	s_mov_b32 s100, -1
	s_wait_dscnt 0x0
	s_barrier_signal -1
	s_barrier_wait -1
	v_and_b32_e32 v9, 0xffff, v8
	s_delay_alu instid0(VALU_DEP_1)
	v_cmp_ne_u32_e32 vcc_lo, 0, v9
	s_cbranch_vccz .LBB65_184
.LBB65_180:                             ;   in Loop: Header=BB65_181 Depth=2
	s_and_b32 s99, exec_lo, s99
	s_delay_alu instid0(SALU_CYCLE_1) | instskip(SKIP_2) | instid1(SALU_CYCLE_1)
	s_or_b32 s38, s99, s38
	s_and_not1_b32 s98, s98, exec_lo
	s_and_b32 s99, s100, exec_lo
	s_or_b32 s98, s98, s99
	s_and_not1_b32 exec_lo, exec_lo, s38
	s_cbranch_execz .LBB65_185
.LBB65_181:                             ;   Parent Loop BB65_15 Depth=1
                                        ; =>  This Inner Loop Header: Depth=2
	s_mov_b32 s99, exec_lo
	s_delay_alu instid0(VALU_DEP_1)
	v_cmpx_gt_u32_e64 s53, v6
	s_cbranch_execz .LBB65_179
; %bb.182:                              ;   in Loop: Header=BB65_181 Depth=2
	ds_load_u16 v8, v5
	s_wait_dscnt 0x0
	v_bfe_i32 v9, v8, 0, 16
	s_delay_alu instid0(VALU_DEP_1) | instskip(NEXT) | instid1(VALU_DEP_1)
	v_add_nc_u32_e32 v9, 0x8000, v9
	v_and_b32_e32 v9, v9, v4
	s_delay_alu instid0(VALU_DEP_1)
	v_cmp_eq_u32_e32 vcc_lo, v9, v3
	s_and_b32 exec_lo, exec_lo, vcc_lo
	s_cbranch_execz .LBB65_179
; %bb.183:                              ;   in Loop: Header=BB65_181 Depth=2
	v_perm_b32 v8, v8, 1, 0x5040100
	ds_store_b32 v17, v8 offset:3072
	s_branch .LBB65_179
.LBB65_184:                             ;   in Loop: Header=BB65_181 Depth=2
	v_dual_add_nc_u32 v6, s40, v6 :: v_dual_add_nc_u32 v5, s83, v5
	s_mov_b32 s100, 0
	s_delay_alu instid0(VALU_DEP_1)
	v_cmp_le_u32_e32 vcc_lo, s97, v6
	s_or_not1_b32 s99, vcc_lo, exec_lo
	s_branch .LBB65_180
.LBB65_185:                             ;   in Loop: Header=BB65_15 Depth=1
	s_or_b32 exec_lo, exec_lo, s38
	v_lshrrev_b32_e32 v6, 16, v8
	s_and_b32 s38, s98, exec_lo
.LBB65_186:                             ;   in Loop: Header=BB65_15 Depth=1
	s_or_b32 exec_lo, exec_lo, s55
.LBB65_187:                             ;   in Loop: Header=BB65_15 Depth=1
	s_delay_alu instid0(SALU_CYCLE_1)
	s_and_b32 vcc_lo, exec_lo, s54
	s_cbranch_vccz .LBB65_198
; %bb.188:                              ;   in Loop: Header=BB65_15 Depth=1
                                        ; implicit-def: $vgpr6
	s_and_saveexec_b32 s31, s13
	s_cbranch_execz .LBB65_197
; %bb.189:                              ;   in Loop: Header=BB65_15 Depth=1
	v_dual_mov_b32 v5, v18 :: v_dual_mov_b32 v6, v0
	s_mov_b32 s33, 0
                                        ; implicit-def: $sgpr53
	s_branch .LBB65_192
.LBB65_190:                             ;   in Loop: Header=BB65_192 Depth=2
	s_or_b32 exec_lo, exec_lo, s54
	s_wait_dscnt 0x0
	s_barrier_signal -1
	s_barrier_wait -1
	ds_load_b32 v8, v17 offset:3072
	s_mov_b32 s54, -1
	s_mov_b32 s55, -1
	s_wait_dscnt 0x0
	s_barrier_signal -1
	s_barrier_wait -1
	v_and_b32_e32 v9, 0xffff, v8
	s_delay_alu instid0(VALU_DEP_1)
	v_cmp_eq_u32_e32 vcc_lo, 0, v9
	s_cbranch_vccnz .LBB65_195
.LBB65_191:                             ;   in Loop: Header=BB65_192 Depth=2
	s_and_b32 s54, exec_lo, s54
	s_delay_alu instid0(SALU_CYCLE_1) | instskip(SKIP_2) | instid1(SALU_CYCLE_1)
	s_or_b32 s33, s54, s33
	s_and_not1_b32 s53, s53, exec_lo
	s_and_b32 s54, s55, exec_lo
	s_or_b32 s53, s53, s54
	s_and_not1_b32 exec_lo, exec_lo, s33
	s_cbranch_execz .LBB65_196
.LBB65_192:                             ;   Parent Loop BB65_15 Depth=1
                                        ; =>  This Inner Loop Header: Depth=2
	s_mov_b32 s54, exec_lo
	s_delay_alu instid0(VALU_DEP_1)
	v_cmpx_gt_u32_e64 s36, v6
	s_cbranch_execz .LBB65_190
; %bb.193:                              ;   in Loop: Header=BB65_192 Depth=2
	v_readfirstlane_b32 s98, v10
	v_readfirstlane_b32 s99, v11
	global_load_u16 v8, v5, s[98:99] scale_offset
	s_wait_loadcnt 0x0
	v_bfe_i32 v9, v8, 0, 16
	s_delay_alu instid0(VALU_DEP_1) | instskip(NEXT) | instid1(VALU_DEP_1)
	v_add_nc_u32_e32 v9, 0x8000, v9
	v_and_b32_e32 v9, v9, v4
	s_delay_alu instid0(VALU_DEP_1)
	v_cmp_eq_u32_e32 vcc_lo, v9, v3
	s_and_b32 exec_lo, exec_lo, vcc_lo
	s_cbranch_execz .LBB65_190
; %bb.194:                              ;   in Loop: Header=BB65_192 Depth=2
	v_perm_b32 v8, v8, 1, 0x5040100
	ds_store_b32 v17, v8 offset:3072
	s_branch .LBB65_190
.LBB65_195:                             ;   in Loop: Header=BB65_192 Depth=2
	v_dual_add_nc_u32 v6, s40, v6 :: v_dual_add_nc_u32 v5, s58, v5
	s_mov_b32 s55, 0
	s_delay_alu instid0(VALU_DEP_1)
	v_cmp_le_u32_e32 vcc_lo, s80, v6
	s_or_not1_b32 s54, vcc_lo, exec_lo
	s_branch .LBB65_191
.LBB65_196:                             ;   in Loop: Header=BB65_15 Depth=1
	s_or_b32 exec_lo, exec_lo, s33
	v_lshrrev_b32_e32 v6, 16, v8
	s_and_not1_b32 s33, s38, exec_lo
	s_and_b32 s38, s53, exec_lo
	s_delay_alu instid0(SALU_CYCLE_1)
	s_or_b32 s38, s33, s38
.LBB65_197:                             ;   in Loop: Header=BB65_15 Depth=1
	s_or_b32 exec_lo, exec_lo, s31
	s_mov_b32 s31, 0
	s_mov_b32 s33, -1
.LBB65_198:                             ;   in Loop: Header=BB65_15 Depth=1
	s_or_not1_b32 s38, s38, exec_lo
.LBB65_199:                             ;   in Loop: Header=BB65_15 Depth=1
	s_or_b32 exec_lo, exec_lo, s34
	s_mov_b32 s53, 0
	s_and_saveexec_b32 s34, s38
	s_cbranch_execz .LBB65_249
; %bb.200:                              ;   in Loop: Header=BB65_15 Depth=1
	v_dual_mov_b32 v5, 1 :: v_dual_mov_b32 v2, 1
	s_xor_b32 s52, s52, -1
	s_delay_alu instid0(SALU_CYCLE_1)
	s_and_saveexec_b32 s38, s52
	s_cbranch_execz .LBB65_209
; %bb.201:                              ;   in Loop: Header=BB65_15 Depth=1
	s_mov_b32 s52, exec_lo
	v_cmpx_ge_u32_e64 s21, v7
	s_xor_b32 s52, exec_lo, s52
	s_cbranch_execz .LBB65_206
; %bb.202:                              ;   in Loop: Header=BB65_15 Depth=1
	ds_load_b32 v2, v17 offset:4096
	s_lshl_b32 s53, 2, s84
	v_or_b32_e32 v4, s18, v4
	v_and_or_b32 v3, v3, s19, s53
	s_wait_dscnt 0x0
	v_cmp_ne_u32_e32 vcc_lo, 0, v2
	s_cbranch_vccnz .LBB65_206
; %bb.203:                              ;   in Loop: Header=BB65_15 Depth=1
	s_and_saveexec_b32 s53, s5
; %bb.204:                              ;   in Loop: Header=BB65_15 Depth=1
	v_mov_b32_e32 v2, s21
	ds_store_b32 v17, v2 offset:4100
; %bb.205:                              ;   in Loop: Header=BB65_15 Depth=1
	s_or_b32 exec_lo, exec_lo, s53
	s_wait_dscnt 0x0
	s_barrier_signal -1
	s_barrier_wait -1
.LBB65_206:                             ;   in Loop: Header=BB65_15 Depth=1
	s_or_saveexec_b32 s52, s52
	v_mov_b32_e32 v2, 8
	s_mov_b32 s53, 0
	s_xor_b32 exec_lo, exec_lo, s52
; %bb.207:                              ;   in Loop: Header=BB65_15 Depth=1
	v_subrev_nc_u32_e32 v7, s21, v7
	v_mov_b32_e32 v2, 0
	s_mov_b32 s53, exec_lo
; %bb.208:                              ;   in Loop: Header=BB65_15 Depth=1
	s_or_b32 exec_lo, exec_lo, s52
	s_delay_alu instid0(VALU_DEP_2)
	v_mov_b32_e32 v5, v7
	s_and_b32 s53, s53, exec_lo
.LBB65_209:                             ;   in Loop: Header=BB65_15 Depth=1
	s_or_b32 exec_lo, exec_lo, s38
	s_mov_b32 s38, -1
                                        ; implicit-def: $sgpr55
                                        ; implicit-def: $sgpr54
	s_and_saveexec_b32 s52, s53
	s_cbranch_execz .LBB65_248
; %bb.210:                              ;   in Loop: Header=BB65_15 Depth=1
	v_cmp_eq_u32_e32 vcc_lo, 1, v5
	s_cmp_eq_u32 s22, 1
	s_mov_b32 s98, -1
	s_cselect_b32 s38, -1, 0
                                        ; implicit-def: $sgpr55
                                        ; implicit-def: $sgpr54
	s_delay_alu instid0(SALU_CYCLE_1) | instskip(NEXT) | instid1(SALU_CYCLE_1)
	s_and_b32 s53, s38, vcc_lo
	s_and_saveexec_b32 s97, s53
	s_cbranch_execz .LBB65_236
; %bb.211:                              ;   in Loop: Header=BB65_15 Depth=1
	ds_load_b32 v6, v17 offset:4096
	s_wait_dscnt 0x0
	s_barrier_signal -1
	s_barrier_wait -1
	v_readfirstlane_b32 s98, v6
	s_and_saveexec_b32 s38, s6
; %bb.212:                              ;   in Loop: Header=BB65_15 Depth=1
	ds_store_b16 v19, v17
; %bb.213:                              ;   in Loop: Header=BB65_15 Depth=1
	s_or_b32 exec_lo, exec_lo, s38
	v_or_b32_e32 v3, s18, v3
	v_or_b32_e32 v4, s18, v4
	s_mov_b32 s54, -1
	s_mov_b32 s55, 0
	s_cmp_eq_u32 s98, 0
	s_mov_b32 s38, 0
	s_mov_b32 s99, -1
	s_wait_dscnt 0x0
	s_barrier_signal -1
	s_barrier_wait -1
                                        ; implicit-def: $vgpr6
	s_cbranch_scc1 .LBB65_224
; %bb.214:                              ;   in Loop: Header=BB65_15 Depth=1
	s_add_co_i32 s38, s98, s67
                                        ; implicit-def: $vgpr6
	s_delay_alu instid0(SALU_CYCLE_1) | instskip(NEXT) | instid1(SALU_CYCLE_1)
	s_mul_u64 s[100:101], s[38:39], s[48:49]
	s_mul_i32 s99, s101, s40
	s_delay_alu instid0(SALU_CYCLE_1) | instskip(NEXT) | instid1(SALU_CYCLE_1)
	s_sub_co_i32 s99, s38, s99
	s_sub_co_i32 s100, s99, s40
	s_cmp_ge_u32 s99, s40
	s_cselect_b32 s99, s100, s99
	s_delay_alu instid0(SALU_CYCLE_1)
	s_sub_co_i32 s100, s99, s40
	s_cmp_ge_u32 s99, s40
	s_cselect_b32 s99, s100, s99
	s_mov_b32 s100, exec_lo
	s_sub_co_i32 s101, s38, s99
	s_mov_b32 s99, 0
	s_mov_b32 s38, 0
	v_cmpx_gt_u32_e64 s101, v0
	s_cbranch_execz .LBB65_223
; %bb.215:                              ;   in Loop: Header=BB65_15 Depth=1
	v_dual_mov_b32 v6, v22 :: v_dual_mov_b32 v7, v0
                                        ; implicit-def: $sgpr102
	s_branch .LBB65_218
.LBB65_216:                             ;   in Loop: Header=BB65_218 Depth=2
	s_or_b32 exec_lo, exec_lo, s103
	s_wait_dscnt 0x0
	s_barrier_signal -1
	s_barrier_wait -1
	ds_load_b32 v8, v17 offset:3072
	s_mov_b32 s103, -1
	s_mov_b32 s104, -1
	s_wait_dscnt 0x0
	s_barrier_signal -1
	s_barrier_wait -1
	v_and_b32_e32 v9, 0xffff, v8
	s_delay_alu instid0(VALU_DEP_1)
	v_cmp_ne_u32_e32 vcc_lo, 0, v9
	s_cbranch_vccz .LBB65_221
.LBB65_217:                             ;   in Loop: Header=BB65_218 Depth=2
	s_and_b32 s103, exec_lo, s103
	s_delay_alu instid0(SALU_CYCLE_1) | instskip(SKIP_2) | instid1(SALU_CYCLE_1)
	s_or_b32 s38, s103, s38
	s_and_not1_b32 s102, s102, exec_lo
	s_and_b32 s103, s104, exec_lo
	s_or_b32 s102, s102, s103
	s_and_not1_b32 exec_lo, exec_lo, s38
	s_cbranch_execz .LBB65_222
.LBB65_218:                             ;   Parent Loop BB65_15 Depth=1
                                        ; =>  This Inner Loop Header: Depth=2
	s_mov_b32 s103, exec_lo
	s_delay_alu instid0(VALU_DEP_1)
	v_cmpx_gt_u32_e64 s98, v7
	s_cbranch_execz .LBB65_216
; %bb.219:                              ;   in Loop: Header=BB65_218 Depth=2
	ds_load_u16 v8, v6
	s_wait_dscnt 0x0
	v_bfe_i32 v9, v8, 0, 16
	s_delay_alu instid0(VALU_DEP_1) | instskip(NEXT) | instid1(VALU_DEP_1)
	v_add_nc_u32_e32 v9, 0x8000, v9
	v_and_b32_e32 v9, v9, v4
	s_delay_alu instid0(VALU_DEP_1)
	v_cmp_eq_u32_e32 vcc_lo, v9, v3
	s_and_b32 exec_lo, exec_lo, vcc_lo
	s_cbranch_execz .LBB65_216
; %bb.220:                              ;   in Loop: Header=BB65_218 Depth=2
	v_perm_b32 v8, v8, 1, 0x5040100
	ds_store_b32 v17, v8 offset:3072
	s_branch .LBB65_216
.LBB65_221:                             ;   in Loop: Header=BB65_218 Depth=2
	v_dual_add_nc_u32 v7, s40, v7 :: v_dual_add_nc_u32 v6, s83, v6
	s_mov_b32 s104, 0
	s_delay_alu instid0(VALU_DEP_1)
	v_cmp_le_u32_e32 vcc_lo, s101, v7
	s_or_not1_b32 s103, vcc_lo, exec_lo
	s_branch .LBB65_217
.LBB65_222:                             ;   in Loop: Header=BB65_15 Depth=1
	s_or_b32 exec_lo, exec_lo, s38
	v_lshrrev_b32_e32 v6, 16, v8
	s_and_b32 s38, s102, exec_lo
.LBB65_223:                             ;   in Loop: Header=BB65_15 Depth=1
	s_or_b32 exec_lo, exec_lo, s100
.LBB65_224:                             ;   in Loop: Header=BB65_15 Depth=1
	s_delay_alu instid0(SALU_CYCLE_1)
	s_and_b32 vcc_lo, exec_lo, s99
	s_cbranch_vccz .LBB65_235
; %bb.225:                              ;   in Loop: Header=BB65_15 Depth=1
                                        ; implicit-def: $vgpr6
	s_and_saveexec_b32 s54, s13
	s_cbranch_execz .LBB65_234
; %bb.226:                              ;   in Loop: Header=BB65_15 Depth=1
	v_dual_mov_b32 v6, v18 :: v_dual_mov_b32 v7, v0
	s_mov_b32 s55, 0
                                        ; implicit-def: $sgpr98
	s_branch .LBB65_229
.LBB65_227:                             ;   in Loop: Header=BB65_229 Depth=2
	s_or_b32 exec_lo, exec_lo, s99
	s_wait_dscnt 0x0
	s_barrier_signal -1
	s_barrier_wait -1
	ds_load_b32 v8, v17 offset:3072
	s_mov_b32 s99, -1
	s_mov_b32 s100, -1
	s_wait_dscnt 0x0
	s_barrier_signal -1
	s_barrier_wait -1
	v_and_b32_e32 v9, 0xffff, v8
	s_delay_alu instid0(VALU_DEP_1)
	v_cmp_eq_u32_e32 vcc_lo, 0, v9
	s_cbranch_vccnz .LBB65_232
.LBB65_228:                             ;   in Loop: Header=BB65_229 Depth=2
	s_and_b32 s99, exec_lo, s99
	s_delay_alu instid0(SALU_CYCLE_1) | instskip(SKIP_2) | instid1(SALU_CYCLE_1)
	s_or_b32 s55, s99, s55
	s_and_not1_b32 s98, s98, exec_lo
	s_and_b32 s99, s100, exec_lo
	s_or_b32 s98, s98, s99
	s_and_not1_b32 exec_lo, exec_lo, s55
	s_cbranch_execz .LBB65_233
.LBB65_229:                             ;   Parent Loop BB65_15 Depth=1
                                        ; =>  This Inner Loop Header: Depth=2
	s_mov_b32 s99, exec_lo
	s_delay_alu instid0(VALU_DEP_1)
	v_cmpx_gt_u32_e64 s36, v7
	s_cbranch_execz .LBB65_227
; %bb.230:                              ;   in Loop: Header=BB65_229 Depth=2
	v_readfirstlane_b32 s100, v10
	v_readfirstlane_b32 s101, v11
	global_load_u16 v8, v6, s[100:101] scale_offset
	s_wait_loadcnt 0x0
	v_bfe_i32 v9, v8, 0, 16
	s_delay_alu instid0(VALU_DEP_1) | instskip(NEXT) | instid1(VALU_DEP_1)
	v_add_nc_u32_e32 v9, 0x8000, v9
	v_and_b32_e32 v9, v9, v4
	s_delay_alu instid0(VALU_DEP_1)
	v_cmp_eq_u32_e32 vcc_lo, v9, v3
	s_and_b32 exec_lo, exec_lo, vcc_lo
	s_cbranch_execz .LBB65_227
; %bb.231:                              ;   in Loop: Header=BB65_229 Depth=2
	v_perm_b32 v8, v8, 1, 0x5040100
	ds_store_b32 v17, v8 offset:3072
	s_branch .LBB65_227
.LBB65_232:                             ;   in Loop: Header=BB65_229 Depth=2
	v_dual_add_nc_u32 v7, s40, v7 :: v_dual_add_nc_u32 v6, s58, v6
	s_mov_b32 s100, 0
	s_delay_alu instid0(VALU_DEP_1)
	v_cmp_le_u32_e32 vcc_lo, s80, v7
	s_or_not1_b32 s99, vcc_lo, exec_lo
	s_branch .LBB65_228
.LBB65_233:                             ;   in Loop: Header=BB65_15 Depth=1
	s_or_b32 exec_lo, exec_lo, s55
	v_lshrrev_b32_e32 v6, 16, v8
	s_and_not1_b32 s38, s38, exec_lo
	s_and_b32 s55, s98, exec_lo
	s_delay_alu instid0(SALU_CYCLE_1)
	s_or_b32 s38, s38, s55
.LBB65_234:                             ;   in Loop: Header=BB65_15 Depth=1
	s_or_b32 exec_lo, exec_lo, s54
	s_mov_b32 s54, 0
	s_mov_b32 s55, -1
.LBB65_235:                             ;   in Loop: Header=BB65_15 Depth=1
	s_or_not1_b32 s98, s38, exec_lo
.LBB65_236:                             ;   in Loop: Header=BB65_15 Depth=1
	s_or_b32 exec_lo, exec_lo, s97
	s_mov_b32 s97, 0
	s_and_saveexec_b32 s38, s98
	s_cbranch_execz .LBB65_247
; %bb.237:                              ;   in Loop: Header=BB65_15 Depth=1
	v_dual_mov_b32 v2, 1 :: v_dual_mov_b32 v7, 1
	s_xor_b32 s97, s53, -1
	s_delay_alu instid0(SALU_CYCLE_1)
	s_and_saveexec_b32 s53, s97
	s_cbranch_execz .LBB65_246
; %bb.238:                              ;   in Loop: Header=BB65_15 Depth=1
	s_mov_b32 s97, exec_lo
	v_cmpx_ge_u32_e64 s22, v5
	s_xor_b32 s97, exec_lo, s97
	s_cbranch_execz .LBB65_243
; %bb.239:                              ;   in Loop: Header=BB65_15 Depth=1
	ds_load_b32 v2, v17 offset:4096
	v_or_b32_e32 v3, s18, v3
	v_or_b32_e32 v4, s18, v4
	s_wait_dscnt 0x0
	v_cmp_ne_u32_e32 vcc_lo, 0, v2
	s_cbranch_vccnz .LBB65_243
; %bb.240:                              ;   in Loop: Header=BB65_15 Depth=1
	s_and_saveexec_b32 s98, s5
; %bb.241:                              ;   in Loop: Header=BB65_15 Depth=1
	v_mov_b32_e32 v2, s22
	ds_store_b32 v17, v2 offset:4100
; %bb.242:                              ;   in Loop: Header=BB65_15 Depth=1
	s_or_b32 exec_lo, exec_lo, s98
	s_wait_dscnt 0x0
	s_barrier_signal -1
	s_barrier_wait -1
.LBB65_243:                             ;   in Loop: Header=BB65_15 Depth=1
	s_and_not1_saveexec_b32 s97, s97
; %bb.244:                              ;   in Loop: Header=BB65_15 Depth=1
	v_subrev_nc_u32_e32 v5, s22, v5
; %bb.245:                              ;   in Loop: Header=BB65_15 Depth=1
	s_or_b32 exec_lo, exec_lo, s97
	s_delay_alu instid0(VALU_DEP_1)
	v_dual_mov_b32 v2, 8 :: v_dual_mov_b32 v7, v5
.LBB65_246:                             ;   in Loop: Header=BB65_15 Depth=1
	s_or_b32 exec_lo, exec_lo, s53
	s_delay_alu instid0(VALU_DEP_1)
	v_mov_b32_e32 v5, v7
	s_mov_b32 s97, exec_lo
.LBB65_247:                             ;   in Loop: Header=BB65_15 Depth=1
	s_or_b32 exec_lo, exec_lo, s38
	s_delay_alu instid0(SALU_CYCLE_1)
	s_or_not1_b32 s38, s97, exec_lo
.LBB65_248:                             ;   in Loop: Header=BB65_15 Depth=1
	s_or_b32 exec_lo, exec_lo, s52
	v_mov_b32_e32 v7, v5
	s_and_not1_b32 s33, s33, exec_lo
	s_and_b32 s52, s55, exec_lo
	s_and_not1_b32 s31, s31, exec_lo
	s_and_b32 s53, s54, exec_lo
	s_or_b32 s33, s33, s52
	s_or_b32 s31, s31, s53
	s_and_b32 s53, s38, exec_lo
.LBB65_249:                             ;   in Loop: Header=BB65_15 Depth=1
	s_or_b32 exec_lo, exec_lo, s34
	s_delay_alu instid0(SALU_CYCLE_1)
	s_or_not1_b32 s34, s53, exec_lo
.LBB65_250:                             ;   in Loop: Header=BB65_15 Depth=1
	s_or_b32 exec_lo, exec_lo, s30
	v_mov_b32_e32 v5, v7
	s_and_not1_b32 s28, s28, exec_lo
	s_and_b32 s30, s33, exec_lo
	s_and_not1_b32 s23, s23, exec_lo
	s_and_b32 s31, s31, exec_lo
	s_or_b32 s28, s28, s30
	s_or_b32 s23, s23, s31
	s_and_b32 s33, s34, exec_lo
.LBB65_251:                             ;   in Loop: Header=BB65_15 Depth=1
	s_or_b32 exec_lo, exec_lo, s29
	s_delay_alu instid0(SALU_CYCLE_1)
	s_or_not1_b32 s29, s33, exec_lo
.LBB65_252:                             ;   in Loop: Header=BB65_15 Depth=1
	s_or_b32 exec_lo, exec_lo, s15
	s_mov_b32 s30, 0
	s_mov_b32 s31, 0
	s_and_saveexec_b32 s15, s29
	s_delay_alu instid0(SALU_CYCLE_1)
	s_xor_b32 s29, exec_lo, s15
; %bb.253:                              ;   in Loop: Header=BB65_15 Depth=1
	v_cmp_ne_u32_e32 vcc_lo, 8, v2
	v_cmp_eq_u32_e64 s15, 8, v2
	s_and_b32 s31, vcc_lo, exec_lo
	s_and_b32 s30, s15, exec_lo
; %bb.254:                              ;   in Loop: Header=BB65_15 Depth=1
	s_or_b32 exec_lo, exec_lo, s29
	s_delay_alu instid0(SALU_CYCLE_1)
	s_and_not1_b32 s15, s25, exec_lo
	s_and_b32 s25, s28, exec_lo
	s_and_not1_b32 s24, s24, exec_lo
	s_and_b32 s23, s23, exec_lo
	s_or_b32 s25, s15, s25
	s_or_b32 s24, s24, s23
	s_and_b32 s15, s31, exec_lo
	s_and_b32 s23, s30, exec_lo
.LBB65_255:                             ;   in Loop: Header=BB65_15 Depth=1
	s_or_b32 exec_lo, exec_lo, s27
.LBB65_256:                             ;   in Loop: Header=BB65_15 Depth=1
	s_delay_alu instid0(SALU_CYCLE_1)
	s_and_b32 vcc_lo, exec_lo, s26
	s_cbranch_vccz .LBB65_269
; %bb.257:                              ;   in Loop: Header=BB65_15 Depth=1
	s_cmp_eq_u32 s22, 1
	s_mov_b32 s25, -1
	s_cselect_b32 s16, -1, 0
                                        ; implicit-def: $sgpr26
	s_delay_alu instid0(SALU_CYCLE_1) | instskip(NEXT) | instid1(SALU_CYCLE_1)
	s_and_b32 s14, s16, s14
                                        ; implicit-def: $sgpr16
	s_and_saveexec_b32 s24, s14
	s_cbranch_execz .LBB65_284
; %bb.258:                              ;   in Loop: Header=BB65_15 Depth=1
	ds_load_b32 v2, v17 offset:4096
	s_wait_dscnt 0x0
	s_barrier_signal -1
	s_barrier_wait -1
	v_readfirstlane_b32 s27, v2
	s_and_saveexec_b32 s16, s6
; %bb.259:                              ;   in Loop: Header=BB65_15 Depth=1
	ds_store_b16 v19, v17
; %bb.260:                              ;   in Loop: Header=BB65_15 Depth=1
	s_or_b32 exec_lo, exec_lo, s16
	v_or_b32_e32 v29, s18, v29
	v_or_b32_e32 v37, s18, v37
	s_mov_b32 s16, -1
	s_mov_b32 s26, 0
	s_cmp_eq_u32 s27, 0
	s_mov_b32 s25, 0
	s_mov_b32 s28, -1
	s_wait_dscnt 0x0
	s_barrier_signal -1
	s_barrier_wait -1
                                        ; implicit-def: $vgpr38
	s_cbranch_scc1 .LBB65_272
; %bb.261:                              ;   in Loop: Header=BB65_15 Depth=1
	s_add_co_i32 s38, s27, s67
                                        ; implicit-def: $vgpr38
	s_delay_alu instid0(SALU_CYCLE_1) | instskip(NEXT) | instid1(SALU_CYCLE_1)
	s_mul_u64 s[28:29], s[38:39], s[48:49]
	s_mul_i32 s25, s29, s40
	s_mov_b32 s29, exec_lo
	s_sub_co_i32 s25, s38, s25
	s_delay_alu instid0(SALU_CYCLE_1) | instskip(SKIP_2) | instid1(SALU_CYCLE_1)
	s_sub_co_i32 s28, s25, s40
	s_cmp_ge_u32 s25, s40
	s_cselect_b32 s25, s28, s25
	s_sub_co_i32 s28, s25, s40
	s_cmp_ge_u32 s25, s40
	s_cselect_b32 s25, s28, s25
	s_mov_b32 s28, 0
	s_sub_co_i32 s30, s38, s25
	s_mov_b32 s25, 0
	v_cmpx_gt_u32_e64 s30, v0
	s_cbranch_execz .LBB65_271
; %bb.262:                              ;   in Loop: Header=BB65_15 Depth=1
	v_dual_mov_b32 v2, v22 :: v_dual_mov_b32 v3, v0
                                        ; implicit-def: $sgpr31
	s_branch .LBB65_265
.LBB65_263:                             ;   in Loop: Header=BB65_265 Depth=2
	s_or_b32 exec_lo, exec_lo, s33
	s_wait_dscnt 0x0
	s_barrier_signal -1
	s_barrier_wait -1
	ds_load_b32 v4, v17 offset:3072
	s_mov_b32 s33, -1
	s_mov_b32 s34, -1
	s_wait_dscnt 0x0
	s_barrier_signal -1
	s_barrier_wait -1
	v_and_b32_e32 v5, 0xffff, v4
	s_delay_alu instid0(VALU_DEP_1)
	v_cmp_ne_u32_e32 vcc_lo, 0, v5
	s_cbranch_vccz .LBB65_268
.LBB65_264:                             ;   in Loop: Header=BB65_265 Depth=2
	s_and_b32 s33, exec_lo, s33
	s_delay_alu instid0(SALU_CYCLE_1) | instskip(SKIP_2) | instid1(SALU_CYCLE_1)
	s_or_b32 s25, s33, s25
	s_and_not1_b32 s31, s31, exec_lo
	s_and_b32 s33, s34, exec_lo
	s_or_b32 s31, s31, s33
	s_and_not1_b32 exec_lo, exec_lo, s25
	s_cbranch_execz .LBB65_270
.LBB65_265:                             ;   Parent Loop BB65_15 Depth=1
                                        ; =>  This Inner Loop Header: Depth=2
	s_mov_b32 s33, exec_lo
	s_delay_alu instid0(VALU_DEP_1)
	v_cmpx_gt_u32_e64 s27, v3
	s_cbranch_execz .LBB65_263
; %bb.266:                              ;   in Loop: Header=BB65_265 Depth=2
	ds_load_u16 v4, v2
	s_wait_dscnt 0x0
	v_bfe_i32 v5, v4, 0, 16
	s_delay_alu instid0(VALU_DEP_1) | instskip(NEXT) | instid1(VALU_DEP_1)
	v_add_nc_u32_e32 v5, 0x8000, v5
	v_and_b32_e32 v5, v5, v37
	s_delay_alu instid0(VALU_DEP_1)
	v_cmp_eq_u32_e32 vcc_lo, v5, v29
	s_and_b32 exec_lo, exec_lo, vcc_lo
	s_cbranch_execz .LBB65_263
; %bb.267:                              ;   in Loop: Header=BB65_265 Depth=2
	v_perm_b32 v4, v4, 1, 0x5040100
	ds_store_b32 v17, v4 offset:3072
	s_branch .LBB65_263
.LBB65_268:                             ;   in Loop: Header=BB65_265 Depth=2
	v_dual_add_nc_u32 v3, s40, v3 :: v_dual_add_nc_u32 v2, s83, v2
	s_mov_b32 s34, 0
	s_delay_alu instid0(VALU_DEP_1)
	v_cmp_le_u32_e32 vcc_lo, s30, v3
	s_or_not1_b32 s33, vcc_lo, exec_lo
	s_branch .LBB65_264
.LBB65_269:                             ;   in Loop: Header=BB65_15 Depth=1
	v_dual_mov_b32 v29, v3 :: v_dual_mov_b32 v37, v4
	v_mov_b32_e32 v38, v6
	s_mov_b32 s26, 0
	s_and_saveexec_b32 s14, s23
	s_cbranch_execnz .LBB65_415
	s_branch .LBB65_416
.LBB65_270:                             ;   in Loop: Header=BB65_15 Depth=1
	s_or_b32 exec_lo, exec_lo, s25
	v_lshrrev_b32_e32 v38, 16, v4
	s_and_b32 s25, s31, exec_lo
.LBB65_271:                             ;   in Loop: Header=BB65_15 Depth=1
	s_or_b32 exec_lo, exec_lo, s29
.LBB65_272:                             ;   in Loop: Header=BB65_15 Depth=1
	s_delay_alu instid0(SALU_CYCLE_1)
	s_and_b32 vcc_lo, exec_lo, s28
	s_cbranch_vccz .LBB65_283
; %bb.273:                              ;   in Loop: Header=BB65_15 Depth=1
                                        ; implicit-def: $vgpr38
	s_and_saveexec_b32 s16, s13
	s_cbranch_execz .LBB65_282
; %bb.274:                              ;   in Loop: Header=BB65_15 Depth=1
	v_dual_mov_b32 v2, v18 :: v_dual_mov_b32 v3, v0
	s_mov_b32 s26, 0
                                        ; implicit-def: $sgpr27
	s_branch .LBB65_277
.LBB65_275:                             ;   in Loop: Header=BB65_277 Depth=2
	s_or_b32 exec_lo, exec_lo, s28
	s_wait_dscnt 0x0
	s_barrier_signal -1
	s_barrier_wait -1
	ds_load_b32 v4, v17 offset:3072
	s_mov_b32 s28, -1
	s_mov_b32 s29, -1
	s_wait_dscnt 0x0
	s_barrier_signal -1
	s_barrier_wait -1
	v_and_b32_e32 v5, 0xffff, v4
	s_delay_alu instid0(VALU_DEP_1)
	v_cmp_ne_u32_e32 vcc_lo, 0, v5
	s_cbranch_vccz .LBB65_280
.LBB65_276:                             ;   in Loop: Header=BB65_277 Depth=2
	s_and_b32 s28, exec_lo, s28
	s_delay_alu instid0(SALU_CYCLE_1) | instskip(SKIP_2) | instid1(SALU_CYCLE_1)
	s_or_b32 s26, s28, s26
	s_and_not1_b32 s27, s27, exec_lo
	s_and_b32 s28, s29, exec_lo
	s_or_b32 s27, s27, s28
	s_and_not1_b32 exec_lo, exec_lo, s26
	s_cbranch_execz .LBB65_281
.LBB65_277:                             ;   Parent Loop BB65_15 Depth=1
                                        ; =>  This Inner Loop Header: Depth=2
	s_mov_b32 s28, exec_lo
	s_delay_alu instid0(VALU_DEP_1)
	v_cmpx_gt_u32_e64 s36, v3
	s_cbranch_execz .LBB65_275
; %bb.278:                              ;   in Loop: Header=BB65_277 Depth=2
	v_readfirstlane_b32 s30, v10
	v_readfirstlane_b32 s31, v11
	global_load_u16 v4, v2, s[30:31] scale_offset
	s_wait_loadcnt 0x0
	v_bfe_i32 v5, v4, 0, 16
	s_delay_alu instid0(VALU_DEP_1) | instskip(NEXT) | instid1(VALU_DEP_1)
	v_add_nc_u32_e32 v5, 0x8000, v5
	v_and_b32_e32 v5, v5, v37
	s_delay_alu instid0(VALU_DEP_1)
	v_cmp_eq_u32_e32 vcc_lo, v5, v29
	s_and_b32 exec_lo, exec_lo, vcc_lo
	s_cbranch_execz .LBB65_275
; %bb.279:                              ;   in Loop: Header=BB65_277 Depth=2
	v_perm_b32 v4, v4, 1, 0x5040100
	ds_store_b32 v17, v4 offset:3072
	s_branch .LBB65_275
.LBB65_280:                             ;   in Loop: Header=BB65_277 Depth=2
	v_dual_add_nc_u32 v3, s40, v3 :: v_dual_add_nc_u32 v2, s58, v2
	s_mov_b32 s29, 0
	s_delay_alu instid0(VALU_DEP_1)
	v_cmp_le_u32_e32 vcc_lo, s80, v3
	s_or_not1_b32 s28, vcc_lo, exec_lo
	s_branch .LBB65_276
.LBB65_281:                             ;   in Loop: Header=BB65_15 Depth=1
	s_or_b32 exec_lo, exec_lo, s26
	v_lshrrev_b32_e32 v38, 16, v4
	s_and_not1_b32 s25, s25, exec_lo
	s_and_b32 s26, s27, exec_lo
	s_delay_alu instid0(SALU_CYCLE_1)
	s_or_b32 s25, s25, s26
.LBB65_282:                             ;   in Loop: Header=BB65_15 Depth=1
	s_or_b32 exec_lo, exec_lo, s16
	s_mov_b32 s16, 0
	s_mov_b32 s26, -1
.LBB65_283:                             ;   in Loop: Header=BB65_15 Depth=1
	s_or_not1_b32 s25, s25, exec_lo
.LBB65_284:                             ;   in Loop: Header=BB65_15 Depth=1
	s_or_b32 exec_lo, exec_lo, s24
                                        ; implicit-def: $vgpr5
                                        ; implicit-def: $vgpr2
	s_and_saveexec_b32 s24, s25
	s_cbranch_execz .LBB65_414
; %bb.285:                              ;   in Loop: Header=BB65_15 Depth=1
	v_dual_mov_b32 v5, 1 :: v_dual_mov_b32 v2, 1
	s_xor_b32 s25, s14, -1
	s_mov_b32 s28, 0
	s_and_saveexec_b32 s14, s25
	s_cbranch_execz .LBB65_294
; %bb.286:                              ;   in Loop: Header=BB65_15 Depth=1
	s_mov_b32 s25, exec_lo
	v_cmpx_ge_u32_e64 s22, v39
	s_xor_b32 s25, exec_lo, s25
	s_cbranch_execz .LBB65_291
; %bb.287:                              ;   in Loop: Header=BB65_15 Depth=1
	ds_load_b32 v2, v17 offset:4096
	v_or_b32_e32 v29, s18, v29
	v_or_b32_e32 v37, s18, v37
	s_wait_dscnt 0x0
	v_cmp_ne_u32_e32 vcc_lo, 0, v2
	s_cbranch_vccnz .LBB65_291
; %bb.288:                              ;   in Loop: Header=BB65_15 Depth=1
	s_and_saveexec_b32 s27, s5
; %bb.289:                              ;   in Loop: Header=BB65_15 Depth=1
	v_mov_b32_e32 v2, s22
	ds_store_b32 v17, v2 offset:4100
; %bb.290:                              ;   in Loop: Header=BB65_15 Depth=1
	s_or_b32 exec_lo, exec_lo, s27
	s_wait_dscnt 0x0
	s_barrier_signal -1
	s_barrier_wait -1
.LBB65_291:                             ;   in Loop: Header=BB65_15 Depth=1
	s_or_saveexec_b32 s25, s25
	v_mov_b32_e32 v2, 5
	s_mov_b32 s27, 0
	s_xor_b32 exec_lo, exec_lo, s25
; %bb.292:                              ;   in Loop: Header=BB65_15 Depth=1
	v_subrev_nc_u32_e32 v39, s22, v39
	v_mov_b32_e32 v2, 0
	s_mov_b32 s27, exec_lo
; %bb.293:                              ;   in Loop: Header=BB65_15 Depth=1
	s_or_b32 exec_lo, exec_lo, s25
	s_delay_alu instid0(VALU_DEP_2)
	v_mov_b32_e32 v5, v39
	s_and_b32 s28, s27, exec_lo
.LBB65_294:                             ;   in Loop: Header=BB65_15 Depth=1
	s_or_b32 exec_lo, exec_lo, s14
	s_mov_b32 s27, -1
                                        ; implicit-def: $sgpr22
                                        ; implicit-def: $sgpr25
	s_and_saveexec_b32 s14, s28
	s_delay_alu instid0(SALU_CYCLE_1)
	s_xor_b32 s14, exec_lo, s14
	s_cbranch_execz .LBB65_411
; %bb.295:                              ;   in Loop: Header=BB65_15 Depth=1
	v_cmp_eq_u32_e32 vcc_lo, 1, v5
	s_cmp_eq_u32 s21, 1
	s_mov_b32 s29, -1
	s_cselect_b32 s22, -1, 0
                                        ; implicit-def: $sgpr25
	s_delay_alu instid0(SALU_CYCLE_1) | instskip(NEXT) | instid1(SALU_CYCLE_1)
	s_and_b32 s28, s22, vcc_lo
                                        ; implicit-def: $sgpr22
	s_and_saveexec_b32 s27, s28
	s_cbranch_execz .LBB65_321
; %bb.296:                              ;   in Loop: Header=BB65_15 Depth=1
	ds_load_b32 v3, v17 offset:4096
	s_wait_dscnt 0x0
	s_barrier_signal -1
	s_barrier_wait -1
	v_readfirstlane_b32 s30, v3
	s_and_saveexec_b32 s22, s6
; %bb.297:                              ;   in Loop: Header=BB65_15 Depth=1
	ds_store_b16 v19, v17
; %bb.298:                              ;   in Loop: Header=BB65_15 Depth=1
	s_or_b32 exec_lo, exec_lo, s22
	s_lshl_b32 s22, 2, s84
	v_or_b32_e32 v37, s18, v37
	v_and_or_b32 v29, v29, s19, s22
	s_mov_b32 s22, -1
	s_mov_b32 s25, 0
	s_cmp_eq_u32 s30, 0
	s_mov_b32 s29, 0
	s_mov_b32 s31, -1
	s_wait_dscnt 0x0
	s_barrier_signal -1
	s_barrier_wait -1
                                        ; implicit-def: $vgpr38
	s_cbranch_scc1 .LBB65_309
; %bb.299:                              ;   in Loop: Header=BB65_15 Depth=1
	s_add_co_i32 s38, s30, s67
	s_mov_b32 s33, exec_lo
	s_mul_u64 s[52:53], s[38:39], s[48:49]
                                        ; implicit-def: $vgpr38
	s_delay_alu instid0(SALU_CYCLE_1) | instskip(NEXT) | instid1(SALU_CYCLE_1)
	s_mul_i32 s29, s53, s40
	s_sub_co_i32 s29, s38, s29
	s_delay_alu instid0(SALU_CYCLE_1) | instskip(SKIP_2) | instid1(SALU_CYCLE_1)
	s_sub_co_i32 s31, s29, s40
	s_cmp_ge_u32 s29, s40
	s_cselect_b32 s29, s31, s29
	s_sub_co_i32 s31, s29, s40
	s_cmp_ge_u32 s29, s40
	s_cselect_b32 s29, s31, s29
	s_mov_b32 s31, 0
	s_sub_co_i32 s34, s38, s29
	s_mov_b32 s29, 0
	v_cmpx_gt_u32_e64 s34, v0
	s_cbranch_execz .LBB65_308
; %bb.300:                              ;   in Loop: Header=BB65_15 Depth=1
	v_dual_mov_b32 v3, v22 :: v_dual_mov_b32 v4, v0
                                        ; implicit-def: $sgpr38
	s_branch .LBB65_303
.LBB65_301:                             ;   in Loop: Header=BB65_303 Depth=2
	s_or_b32 exec_lo, exec_lo, s52
	s_wait_dscnt 0x0
	s_barrier_signal -1
	s_barrier_wait -1
	ds_load_b32 v6, v17 offset:3072
	s_mov_b32 s52, -1
	s_mov_b32 s53, -1
	s_wait_dscnt 0x0
	s_barrier_signal -1
	s_barrier_wait -1
	v_and_b32_e32 v7, 0xffff, v6
	s_delay_alu instid0(VALU_DEP_1)
	v_cmp_ne_u32_e32 vcc_lo, 0, v7
	s_cbranch_vccz .LBB65_306
.LBB65_302:                             ;   in Loop: Header=BB65_303 Depth=2
	s_and_b32 s52, exec_lo, s52
	s_delay_alu instid0(SALU_CYCLE_1) | instskip(SKIP_2) | instid1(SALU_CYCLE_1)
	s_or_b32 s29, s52, s29
	s_and_not1_b32 s38, s38, exec_lo
	s_and_b32 s52, s53, exec_lo
	s_or_b32 s38, s38, s52
	s_and_not1_b32 exec_lo, exec_lo, s29
	s_cbranch_execz .LBB65_307
.LBB65_303:                             ;   Parent Loop BB65_15 Depth=1
                                        ; =>  This Inner Loop Header: Depth=2
	s_mov_b32 s52, exec_lo
	s_delay_alu instid0(VALU_DEP_1)
	v_cmpx_gt_u32_e64 s30, v4
	s_cbranch_execz .LBB65_301
; %bb.304:                              ;   in Loop: Header=BB65_303 Depth=2
	ds_load_u16 v6, v3
	s_wait_dscnt 0x0
	v_bfe_i32 v7, v6, 0, 16
	s_delay_alu instid0(VALU_DEP_1) | instskip(NEXT) | instid1(VALU_DEP_1)
	v_add_nc_u32_e32 v7, 0x8000, v7
	v_and_b32_e32 v7, v7, v37
	s_delay_alu instid0(VALU_DEP_1)
	v_cmp_eq_u32_e32 vcc_lo, v7, v29
	s_and_b32 exec_lo, exec_lo, vcc_lo
	s_cbranch_execz .LBB65_301
; %bb.305:                              ;   in Loop: Header=BB65_303 Depth=2
	v_perm_b32 v6, v6, 1, 0x5040100
	ds_store_b32 v17, v6 offset:3072
	s_branch .LBB65_301
.LBB65_306:                             ;   in Loop: Header=BB65_303 Depth=2
	v_dual_add_nc_u32 v4, s40, v4 :: v_dual_add_nc_u32 v3, s83, v3
	s_mov_b32 s53, 0
	s_delay_alu instid0(VALU_DEP_1)
	v_cmp_le_u32_e32 vcc_lo, s34, v4
	s_or_not1_b32 s52, vcc_lo, exec_lo
	s_branch .LBB65_302
.LBB65_307:                             ;   in Loop: Header=BB65_15 Depth=1
	s_or_b32 exec_lo, exec_lo, s29
	v_lshrrev_b32_e32 v38, 16, v6
	s_and_b32 s29, s38, exec_lo
.LBB65_308:                             ;   in Loop: Header=BB65_15 Depth=1
	s_or_b32 exec_lo, exec_lo, s33
.LBB65_309:                             ;   in Loop: Header=BB65_15 Depth=1
	s_delay_alu instid0(SALU_CYCLE_1)
	s_and_b32 vcc_lo, exec_lo, s31
	s_cbranch_vccz .LBB65_320
; %bb.310:                              ;   in Loop: Header=BB65_15 Depth=1
                                        ; implicit-def: $vgpr38
	s_and_saveexec_b32 s22, s13
	s_cbranch_execz .LBB65_319
; %bb.311:                              ;   in Loop: Header=BB65_15 Depth=1
	v_dual_mov_b32 v3, v18 :: v_dual_mov_b32 v4, v0
	s_mov_b32 s25, 0
                                        ; implicit-def: $sgpr30
	s_branch .LBB65_314
.LBB65_312:                             ;   in Loop: Header=BB65_314 Depth=2
	s_or_b32 exec_lo, exec_lo, s31
	s_wait_dscnt 0x0
	s_barrier_signal -1
	s_barrier_wait -1
	ds_load_b32 v6, v17 offset:3072
	s_mov_b32 s31, -1
	s_mov_b32 s33, -1
	s_wait_dscnt 0x0
	s_barrier_signal -1
	s_barrier_wait -1
	v_and_b32_e32 v7, 0xffff, v6
	s_delay_alu instid0(VALU_DEP_1)
	v_cmp_eq_u32_e32 vcc_lo, 0, v7
	s_cbranch_vccnz .LBB65_317
.LBB65_313:                             ;   in Loop: Header=BB65_314 Depth=2
	s_and_b32 s31, exec_lo, s31
	s_delay_alu instid0(SALU_CYCLE_1) | instskip(SKIP_2) | instid1(SALU_CYCLE_1)
	s_or_b32 s25, s31, s25
	s_and_not1_b32 s30, s30, exec_lo
	s_and_b32 s31, s33, exec_lo
	s_or_b32 s30, s30, s31
	s_and_not1_b32 exec_lo, exec_lo, s25
	s_cbranch_execz .LBB65_318
.LBB65_314:                             ;   Parent Loop BB65_15 Depth=1
                                        ; =>  This Inner Loop Header: Depth=2
	s_mov_b32 s31, exec_lo
	s_delay_alu instid0(VALU_DEP_1)
	v_cmpx_gt_u32_e64 s36, v4
	s_cbranch_execz .LBB65_312
; %bb.315:                              ;   in Loop: Header=BB65_314 Depth=2
	v_readfirstlane_b32 s52, v10
	v_readfirstlane_b32 s53, v11
	global_load_u16 v6, v3, s[52:53] scale_offset
	s_wait_loadcnt 0x0
	v_bfe_i32 v7, v6, 0, 16
	s_delay_alu instid0(VALU_DEP_1) | instskip(NEXT) | instid1(VALU_DEP_1)
	v_add_nc_u32_e32 v7, 0x8000, v7
	v_and_b32_e32 v7, v7, v37
	s_delay_alu instid0(VALU_DEP_1)
	v_cmp_eq_u32_e32 vcc_lo, v7, v29
	s_and_b32 exec_lo, exec_lo, vcc_lo
	s_cbranch_execz .LBB65_312
; %bb.316:                              ;   in Loop: Header=BB65_314 Depth=2
	v_perm_b32 v6, v6, 1, 0x5040100
	ds_store_b32 v17, v6 offset:3072
	s_branch .LBB65_312
.LBB65_317:                             ;   in Loop: Header=BB65_314 Depth=2
	v_dual_add_nc_u32 v4, s40, v4 :: v_dual_add_nc_u32 v3, s58, v3
	s_mov_b32 s33, 0
	s_delay_alu instid0(VALU_DEP_1)
	v_cmp_le_u32_e32 vcc_lo, s80, v4
	s_or_not1_b32 s31, vcc_lo, exec_lo
	s_branch .LBB65_313
.LBB65_318:                             ;   in Loop: Header=BB65_15 Depth=1
	s_or_b32 exec_lo, exec_lo, s25
	v_lshrrev_b32_e32 v38, 16, v6
	s_and_not1_b32 s25, s29, exec_lo
	s_and_b32 s29, s30, exec_lo
	s_delay_alu instid0(SALU_CYCLE_1)
	s_or_b32 s29, s25, s29
.LBB65_319:                             ;   in Loop: Header=BB65_15 Depth=1
	s_or_b32 exec_lo, exec_lo, s22
	s_mov_b32 s22, 0
	s_mov_b32 s25, -1
.LBB65_320:                             ;   in Loop: Header=BB65_15 Depth=1
	s_or_not1_b32 s29, s29, exec_lo
.LBB65_321:                             ;   in Loop: Header=BB65_15 Depth=1
	s_or_b32 exec_lo, exec_lo, s27
	s_mov_b32 s30, 0
	s_and_saveexec_b32 s27, s29
	s_cbranch_execz .LBB65_410
; %bb.322:                              ;   in Loop: Header=BB65_15 Depth=1
	v_dual_mov_b32 v3, 1 :: v_dual_mov_b32 v2, 1
	s_xor_b32 s29, s28, -1
	s_mov_b32 s31, 0
	s_and_saveexec_b32 s28, s29
	s_cbranch_execz .LBB65_331
; %bb.323:                              ;   in Loop: Header=BB65_15 Depth=1
	s_mov_b32 s29, exec_lo
	v_cmpx_ge_u32_e64 s21, v5
	s_xor_b32 s29, exec_lo, s29
	s_cbranch_execz .LBB65_328
; %bb.324:                              ;   in Loop: Header=BB65_15 Depth=1
	ds_load_b32 v2, v17 offset:4096
	s_lshl_b32 s30, 2, s84
	v_or_b32_e32 v37, s18, v37
	v_and_or_b32 v29, v29, s19, s30
	s_wait_dscnt 0x0
	v_cmp_ne_u32_e32 vcc_lo, 0, v2
	s_cbranch_vccnz .LBB65_328
; %bb.325:                              ;   in Loop: Header=BB65_15 Depth=1
	s_and_saveexec_b32 s30, s5
; %bb.326:                              ;   in Loop: Header=BB65_15 Depth=1
	v_mov_b32_e32 v2, s21
	ds_store_b32 v17, v2 offset:4100
; %bb.327:                              ;   in Loop: Header=BB65_15 Depth=1
	s_or_b32 exec_lo, exec_lo, s30
	s_wait_dscnt 0x0
	s_barrier_signal -1
	s_barrier_wait -1
.LBB65_328:                             ;   in Loop: Header=BB65_15 Depth=1
	s_or_saveexec_b32 s29, s29
	v_mov_b32_e32 v2, 5
	s_mov_b32 s30, 0
	s_xor_b32 exec_lo, exec_lo, s29
; %bb.329:                              ;   in Loop: Header=BB65_15 Depth=1
	v_subrev_nc_u32_e32 v5, s21, v5
	v_mov_b32_e32 v2, 0
	s_mov_b32 s30, exec_lo
; %bb.330:                              ;   in Loop: Header=BB65_15 Depth=1
	s_or_b32 exec_lo, exec_lo, s29
	s_delay_alu instid0(VALU_DEP_2)
	v_mov_b32_e32 v3, v5
	s_and_b32 s31, s30, exec_lo
.LBB65_331:                             ;   in Loop: Header=BB65_15 Depth=1
	s_or_b32 exec_lo, exec_lo, s28
	s_mov_b32 s30, -1
                                        ; implicit-def: $sgpr28
                                        ; implicit-def: $sgpr29
	s_and_saveexec_b32 s21, s31
	s_cbranch_execz .LBB65_409
; %bb.332:                              ;   in Loop: Header=BB65_15 Depth=1
	v_cmp_eq_u32_e32 vcc_lo, 1, v3
	s_cmp_eq_u32 s20, 1
	s_mov_b32 s33, -1
	s_cselect_b32 s28, -1, 0
                                        ; implicit-def: $sgpr29
	s_delay_alu instid0(SALU_CYCLE_1) | instskip(NEXT) | instid1(SALU_CYCLE_1)
	s_and_b32 s31, s28, vcc_lo
                                        ; implicit-def: $sgpr28
	s_and_saveexec_b32 s30, s31
	s_cbranch_execz .LBB65_358
; %bb.333:                              ;   in Loop: Header=BB65_15 Depth=1
	ds_load_b32 v4, v17 offset:4096
	s_wait_dscnt 0x0
	s_barrier_signal -1
	s_barrier_wait -1
	v_readfirstlane_b32 s34, v4
	s_and_saveexec_b32 s28, s6
; %bb.334:                              ;   in Loop: Header=BB65_15 Depth=1
	ds_store_b16 v19, v17
; %bb.335:                              ;   in Loop: Header=BB65_15 Depth=1
	s_or_b32 exec_lo, exec_lo, s28
	s_lshl_b32 s28, 1, s84
	v_or_b32_e32 v37, s18, v37
	v_and_or_b32 v29, v29, s19, s28
	s_mov_b32 s28, -1
	s_mov_b32 s29, 0
	s_cmp_eq_u32 s34, 0
	s_mov_b32 s33, 0
	s_mov_b32 s38, -1
	s_wait_dscnt 0x0
	s_barrier_signal -1
	s_barrier_wait -1
                                        ; implicit-def: $vgpr38
	s_cbranch_scc1 .LBB65_346
; %bb.336:                              ;   in Loop: Header=BB65_15 Depth=1
	s_add_co_i32 s38, s34, s67
                                        ; implicit-def: $vgpr38
	s_delay_alu instid0(SALU_CYCLE_1) | instskip(NEXT) | instid1(SALU_CYCLE_1)
	s_mul_u64 s[52:53], s[38:39], s[48:49]
	s_mul_i32 s33, s53, s40
	s_delay_alu instid0(SALU_CYCLE_1) | instskip(NEXT) | instid1(SALU_CYCLE_1)
	s_sub_co_i32 s33, s38, s33
	s_sub_co_i32 s52, s33, s40
	s_cmp_ge_u32 s33, s40
	s_cselect_b32 s33, s52, s33
	s_delay_alu instid0(SALU_CYCLE_1)
	s_sub_co_i32 s52, s33, s40
	s_cmp_ge_u32 s33, s40
	s_cselect_b32 s33, s52, s33
	s_mov_b32 s52, exec_lo
	s_sub_co_i32 s53, s38, s33
	s_mov_b32 s38, 0
	s_mov_b32 s33, 0
	v_cmpx_gt_u32_e64 s53, v0
	s_cbranch_execz .LBB65_345
; %bb.337:                              ;   in Loop: Header=BB65_15 Depth=1
	v_dual_mov_b32 v4, v22 :: v_dual_mov_b32 v5, v0
                                        ; implicit-def: $sgpr54
	s_branch .LBB65_340
.LBB65_338:                             ;   in Loop: Header=BB65_340 Depth=2
	s_or_b32 exec_lo, exec_lo, s55
	s_wait_dscnt 0x0
	s_barrier_signal -1
	s_barrier_wait -1
	ds_load_b32 v6, v17 offset:3072
	s_mov_b32 s55, -1
	s_mov_b32 s97, -1
	s_wait_dscnt 0x0
	s_barrier_signal -1
	s_barrier_wait -1
	v_and_b32_e32 v7, 0xffff, v6
	s_delay_alu instid0(VALU_DEP_1)
	v_cmp_ne_u32_e32 vcc_lo, 0, v7
	s_cbranch_vccz .LBB65_343
.LBB65_339:                             ;   in Loop: Header=BB65_340 Depth=2
	s_and_b32 s55, exec_lo, s55
	s_delay_alu instid0(SALU_CYCLE_1) | instskip(SKIP_2) | instid1(SALU_CYCLE_1)
	s_or_b32 s33, s55, s33
	s_and_not1_b32 s54, s54, exec_lo
	s_and_b32 s55, s97, exec_lo
	s_or_b32 s54, s54, s55
	s_and_not1_b32 exec_lo, exec_lo, s33
	s_cbranch_execz .LBB65_344
.LBB65_340:                             ;   Parent Loop BB65_15 Depth=1
                                        ; =>  This Inner Loop Header: Depth=2
	s_mov_b32 s55, exec_lo
	s_delay_alu instid0(VALU_DEP_1)
	v_cmpx_gt_u32_e64 s34, v5
	s_cbranch_execz .LBB65_338
; %bb.341:                              ;   in Loop: Header=BB65_340 Depth=2
	ds_load_u16 v6, v4
	s_wait_dscnt 0x0
	v_bfe_i32 v7, v6, 0, 16
	s_delay_alu instid0(VALU_DEP_1) | instskip(NEXT) | instid1(VALU_DEP_1)
	v_add_nc_u32_e32 v7, 0x8000, v7
	v_and_b32_e32 v7, v7, v37
	s_delay_alu instid0(VALU_DEP_1)
	v_cmp_eq_u32_e32 vcc_lo, v7, v29
	s_and_b32 exec_lo, exec_lo, vcc_lo
	s_cbranch_execz .LBB65_338
; %bb.342:                              ;   in Loop: Header=BB65_340 Depth=2
	v_perm_b32 v6, v6, 1, 0x5040100
	ds_store_b32 v17, v6 offset:3072
	s_branch .LBB65_338
.LBB65_343:                             ;   in Loop: Header=BB65_340 Depth=2
	v_dual_add_nc_u32 v5, s40, v5 :: v_dual_add_nc_u32 v4, s83, v4
	s_mov_b32 s97, 0
	s_delay_alu instid0(VALU_DEP_1)
	v_cmp_le_u32_e32 vcc_lo, s53, v5
	s_or_not1_b32 s55, vcc_lo, exec_lo
	s_branch .LBB65_339
.LBB65_344:                             ;   in Loop: Header=BB65_15 Depth=1
	s_or_b32 exec_lo, exec_lo, s33
	v_lshrrev_b32_e32 v38, 16, v6
	s_and_b32 s33, s54, exec_lo
.LBB65_345:                             ;   in Loop: Header=BB65_15 Depth=1
	s_or_b32 exec_lo, exec_lo, s52
.LBB65_346:                             ;   in Loop: Header=BB65_15 Depth=1
	s_delay_alu instid0(SALU_CYCLE_1)
	s_and_b32 vcc_lo, exec_lo, s38
	s_cbranch_vccz .LBB65_357
; %bb.347:                              ;   in Loop: Header=BB65_15 Depth=1
                                        ; implicit-def: $vgpr38
	s_and_saveexec_b32 s28, s13
	s_cbranch_execz .LBB65_356
; %bb.348:                              ;   in Loop: Header=BB65_15 Depth=1
	v_dual_mov_b32 v4, v18 :: v_dual_mov_b32 v5, v0
	s_mov_b32 s29, 0
                                        ; implicit-def: $sgpr34
	s_branch .LBB65_351
.LBB65_349:                             ;   in Loop: Header=BB65_351 Depth=2
	s_or_b32 exec_lo, exec_lo, s38
	s_wait_dscnt 0x0
	s_barrier_signal -1
	s_barrier_wait -1
	ds_load_b32 v6, v17 offset:3072
	s_mov_b32 s38, -1
	s_mov_b32 s52, -1
	s_wait_dscnt 0x0
	s_barrier_signal -1
	s_barrier_wait -1
	v_and_b32_e32 v7, 0xffff, v6
	s_delay_alu instid0(VALU_DEP_1)
	v_cmp_eq_u32_e32 vcc_lo, 0, v7
	s_cbranch_vccnz .LBB65_354
.LBB65_350:                             ;   in Loop: Header=BB65_351 Depth=2
	s_and_b32 s38, exec_lo, s38
	s_delay_alu instid0(SALU_CYCLE_1) | instskip(SKIP_2) | instid1(SALU_CYCLE_1)
	s_or_b32 s29, s38, s29
	s_and_not1_b32 s34, s34, exec_lo
	s_and_b32 s38, s52, exec_lo
	s_or_b32 s34, s34, s38
	s_and_not1_b32 exec_lo, exec_lo, s29
	s_cbranch_execz .LBB65_355
.LBB65_351:                             ;   Parent Loop BB65_15 Depth=1
                                        ; =>  This Inner Loop Header: Depth=2
	s_mov_b32 s38, exec_lo
	s_delay_alu instid0(VALU_DEP_1)
	v_cmpx_gt_u32_e64 s36, v5
	s_cbranch_execz .LBB65_349
; %bb.352:                              ;   in Loop: Header=BB65_351 Depth=2
	v_readfirstlane_b32 s52, v10
	v_readfirstlane_b32 s53, v11
	global_load_u16 v6, v4, s[52:53] scale_offset
	s_wait_loadcnt 0x0
	v_bfe_i32 v7, v6, 0, 16
	s_delay_alu instid0(VALU_DEP_1) | instskip(NEXT) | instid1(VALU_DEP_1)
	v_add_nc_u32_e32 v7, 0x8000, v7
	v_and_b32_e32 v7, v7, v37
	s_delay_alu instid0(VALU_DEP_1)
	v_cmp_eq_u32_e32 vcc_lo, v7, v29
	s_and_b32 exec_lo, exec_lo, vcc_lo
	s_cbranch_execz .LBB65_349
; %bb.353:                              ;   in Loop: Header=BB65_351 Depth=2
	v_perm_b32 v6, v6, 1, 0x5040100
	ds_store_b32 v17, v6 offset:3072
	s_branch .LBB65_349
.LBB65_354:                             ;   in Loop: Header=BB65_351 Depth=2
	v_dual_add_nc_u32 v5, s40, v5 :: v_dual_add_nc_u32 v4, s58, v4
	s_mov_b32 s52, 0
	s_delay_alu instid0(VALU_DEP_1)
	v_cmp_le_u32_e32 vcc_lo, s80, v5
	s_or_not1_b32 s38, vcc_lo, exec_lo
	s_branch .LBB65_350
.LBB65_355:                             ;   in Loop: Header=BB65_15 Depth=1
	s_or_b32 exec_lo, exec_lo, s29
	v_lshrrev_b32_e32 v38, 16, v6
	s_and_not1_b32 s29, s33, exec_lo
	s_and_b32 s33, s34, exec_lo
	s_delay_alu instid0(SALU_CYCLE_1)
	s_or_b32 s33, s29, s33
.LBB65_356:                             ;   in Loop: Header=BB65_15 Depth=1
	s_or_b32 exec_lo, exec_lo, s28
	s_mov_b32 s28, 0
	s_mov_b32 s29, -1
.LBB65_357:                             ;   in Loop: Header=BB65_15 Depth=1
	s_or_not1_b32 s33, s33, exec_lo
.LBB65_358:                             ;   in Loop: Header=BB65_15 Depth=1
	s_or_b32 exec_lo, exec_lo, s30
	s_mov_b32 s34, 0
	s_and_saveexec_b32 s30, s33
	s_cbranch_execz .LBB65_408
; %bb.359:                              ;   in Loop: Header=BB65_15 Depth=1
	v_dual_mov_b32 v4, 1 :: v_dual_mov_b32 v2, 1
	s_xor_b32 s33, s31, -1
	s_mov_b32 s38, 0
	s_and_saveexec_b32 s31, s33
	s_cbranch_execz .LBB65_368
; %bb.360:                              ;   in Loop: Header=BB65_15 Depth=1
	s_mov_b32 s33, exec_lo
	v_cmpx_ge_u32_e64 s20, v3
	s_xor_b32 s33, exec_lo, s33
	s_cbranch_execz .LBB65_365
; %bb.361:                              ;   in Loop: Header=BB65_15 Depth=1
	ds_load_b32 v2, v17 offset:4096
	s_lshl_b32 s34, 1, s84
	v_or_b32_e32 v37, s18, v37
	v_and_or_b32 v29, v29, s19, s34
	s_wait_dscnt 0x0
	v_cmp_ne_u32_e32 vcc_lo, 0, v2
	s_cbranch_vccnz .LBB65_365
; %bb.362:                              ;   in Loop: Header=BB65_15 Depth=1
	s_and_saveexec_b32 s34, s5
; %bb.363:                              ;   in Loop: Header=BB65_15 Depth=1
	v_mov_b32_e32 v2, s20
	ds_store_b32 v17, v2 offset:4100
; %bb.364:                              ;   in Loop: Header=BB65_15 Depth=1
	s_or_b32 exec_lo, exec_lo, s34
	s_wait_dscnt 0x0
	s_barrier_signal -1
	s_barrier_wait -1
.LBB65_365:                             ;   in Loop: Header=BB65_15 Depth=1
	s_or_saveexec_b32 s33, s33
	v_mov_b32_e32 v2, 5
	s_mov_b32 s34, 0
	s_xor_b32 exec_lo, exec_lo, s33
; %bb.366:                              ;   in Loop: Header=BB65_15 Depth=1
	v_subrev_nc_u32_e32 v3, s20, v3
	v_mov_b32_e32 v2, 0
	s_mov_b32 s34, exec_lo
; %bb.367:                              ;   in Loop: Header=BB65_15 Depth=1
	s_or_b32 exec_lo, exec_lo, s33
	s_delay_alu instid0(VALU_DEP_2)
	v_mov_b32_e32 v4, v3
	s_and_b32 s38, s34, exec_lo
.LBB65_368:                             ;   in Loop: Header=BB65_15 Depth=1
	s_or_b32 exec_lo, exec_lo, s31
	s_mov_b32 s31, -1
                                        ; implicit-def: $sgpr34
                                        ; implicit-def: $sgpr33
	s_and_saveexec_b32 s20, s38
	s_cbranch_execz .LBB65_407
; %bb.369:                              ;   in Loop: Header=BB65_15 Depth=1
	v_cmp_eq_u32_e32 vcc_lo, 1, v4
	s_cmp_eq_u32 s17, 1
	s_mov_b32 s53, -1
	s_cselect_b32 s31, -1, 0
                                        ; implicit-def: $sgpr34
                                        ; implicit-def: $sgpr33
	s_delay_alu instid0(SALU_CYCLE_1) | instskip(NEXT) | instid1(SALU_CYCLE_1)
	s_and_b32 s31, s31, vcc_lo
	s_and_saveexec_b32 s52, s31
	s_cbranch_execz .LBB65_395
; %bb.370:                              ;   in Loop: Header=BB65_15 Depth=1
	ds_load_b32 v3, v17 offset:4096
	s_wait_dscnt 0x0
	s_barrier_signal -1
	s_barrier_wait -1
	v_readfirstlane_b32 s53, v3
	s_and_saveexec_b32 s33, s6
; %bb.371:                              ;   in Loop: Header=BB65_15 Depth=1
	ds_store_b16 v19, v17
; %bb.372:                              ;   in Loop: Header=BB65_15 Depth=1
	s_or_b32 exec_lo, exec_lo, s33
	v_and_b32_e32 v29, s19, v29
	v_or_b32_e32 v37, s18, v37
	s_mov_b32 s33, -1
	s_mov_b32 s34, 0
	s_cmp_eq_u32 s53, 0
	s_mov_b32 s38, 0
	s_mov_b32 s54, -1
	s_wait_dscnt 0x0
	s_barrier_signal -1
	s_barrier_wait -1
                                        ; implicit-def: $vgpr38
	s_cbranch_scc1 .LBB65_383
; %bb.373:                              ;   in Loop: Header=BB65_15 Depth=1
	s_add_co_i32 s38, s53, s67
                                        ; implicit-def: $vgpr38
	s_delay_alu instid0(SALU_CYCLE_1) | instskip(NEXT) | instid1(SALU_CYCLE_1)
	s_mul_u64 s[54:55], s[38:39], s[48:49]
	s_mul_i32 s54, s55, s40
	s_delay_alu instid0(SALU_CYCLE_1) | instskip(NEXT) | instid1(SALU_CYCLE_1)
	s_sub_co_i32 s54, s38, s54
	s_sub_co_i32 s55, s54, s40
	s_cmp_ge_u32 s54, s40
	s_cselect_b32 s54, s55, s54
	s_delay_alu instid0(SALU_CYCLE_1)
	s_sub_co_i32 s55, s54, s40
	s_cmp_ge_u32 s54, s40
	s_cselect_b32 s54, s55, s54
	s_mov_b32 s55, exec_lo
	s_sub_co_i32 s97, s38, s54
	s_mov_b32 s54, 0
	s_mov_b32 s38, 0
	v_cmpx_gt_u32_e64 s97, v0
	s_cbranch_execz .LBB65_382
; %bb.374:                              ;   in Loop: Header=BB65_15 Depth=1
	v_dual_mov_b32 v3, v22 :: v_dual_mov_b32 v5, v0
                                        ; implicit-def: $sgpr98
	s_branch .LBB65_377
.LBB65_375:                             ;   in Loop: Header=BB65_377 Depth=2
	s_or_b32 exec_lo, exec_lo, s99
	s_wait_dscnt 0x0
	s_barrier_signal -1
	s_barrier_wait -1
	ds_load_b32 v6, v17 offset:3072
	s_mov_b32 s99, -1
	s_mov_b32 s100, -1
	s_wait_dscnt 0x0
	s_barrier_signal -1
	s_barrier_wait -1
	v_and_b32_e32 v7, 0xffff, v6
	s_delay_alu instid0(VALU_DEP_1)
	v_cmp_ne_u32_e32 vcc_lo, 0, v7
	s_cbranch_vccz .LBB65_380
.LBB65_376:                             ;   in Loop: Header=BB65_377 Depth=2
	s_and_b32 s99, exec_lo, s99
	s_delay_alu instid0(SALU_CYCLE_1) | instskip(SKIP_2) | instid1(SALU_CYCLE_1)
	s_or_b32 s38, s99, s38
	s_and_not1_b32 s98, s98, exec_lo
	s_and_b32 s99, s100, exec_lo
	s_or_b32 s98, s98, s99
	s_and_not1_b32 exec_lo, exec_lo, s38
	s_cbranch_execz .LBB65_381
.LBB65_377:                             ;   Parent Loop BB65_15 Depth=1
                                        ; =>  This Inner Loop Header: Depth=2
	s_mov_b32 s99, exec_lo
	s_delay_alu instid0(VALU_DEP_1)
	v_cmpx_gt_u32_e64 s53, v5
	s_cbranch_execz .LBB65_375
; %bb.378:                              ;   in Loop: Header=BB65_377 Depth=2
	ds_load_u16 v6, v3
	s_wait_dscnt 0x0
	v_bfe_i32 v7, v6, 0, 16
	s_delay_alu instid0(VALU_DEP_1) | instskip(NEXT) | instid1(VALU_DEP_1)
	v_add_nc_u32_e32 v7, 0x8000, v7
	v_and_b32_e32 v7, v7, v37
	s_delay_alu instid0(VALU_DEP_1)
	v_cmp_eq_u32_e32 vcc_lo, v7, v29
	s_and_b32 exec_lo, exec_lo, vcc_lo
	s_cbranch_execz .LBB65_375
; %bb.379:                              ;   in Loop: Header=BB65_377 Depth=2
	v_perm_b32 v6, v6, 1, 0x5040100
	ds_store_b32 v17, v6 offset:3072
	s_branch .LBB65_375
.LBB65_380:                             ;   in Loop: Header=BB65_377 Depth=2
	v_dual_add_nc_u32 v5, s40, v5 :: v_dual_add_nc_u32 v3, s83, v3
	s_mov_b32 s100, 0
	s_delay_alu instid0(VALU_DEP_1)
	v_cmp_le_u32_e32 vcc_lo, s97, v5
	s_or_not1_b32 s99, vcc_lo, exec_lo
	s_branch .LBB65_376
.LBB65_381:                             ;   in Loop: Header=BB65_15 Depth=1
	s_or_b32 exec_lo, exec_lo, s38
	v_lshrrev_b32_e32 v38, 16, v6
	s_and_b32 s38, s98, exec_lo
.LBB65_382:                             ;   in Loop: Header=BB65_15 Depth=1
	s_or_b32 exec_lo, exec_lo, s55
.LBB65_383:                             ;   in Loop: Header=BB65_15 Depth=1
	s_delay_alu instid0(SALU_CYCLE_1)
	s_and_b32 vcc_lo, exec_lo, s54
	s_cbranch_vccz .LBB65_394
; %bb.384:                              ;   in Loop: Header=BB65_15 Depth=1
                                        ; implicit-def: $vgpr38
	s_and_saveexec_b32 s33, s13
	s_cbranch_execz .LBB65_393
; %bb.385:                              ;   in Loop: Header=BB65_15 Depth=1
	v_dual_mov_b32 v3, v18 :: v_dual_mov_b32 v5, v0
	s_mov_b32 s34, 0
                                        ; implicit-def: $sgpr53
	s_branch .LBB65_388
.LBB65_386:                             ;   in Loop: Header=BB65_388 Depth=2
	s_or_b32 exec_lo, exec_lo, s54
	s_wait_dscnt 0x0
	s_barrier_signal -1
	s_barrier_wait -1
	ds_load_b32 v6, v17 offset:3072
	s_mov_b32 s54, -1
	s_mov_b32 s55, -1
	s_wait_dscnt 0x0
	s_barrier_signal -1
	s_barrier_wait -1
	v_and_b32_e32 v7, 0xffff, v6
	s_delay_alu instid0(VALU_DEP_1)
	v_cmp_eq_u32_e32 vcc_lo, 0, v7
	s_cbranch_vccnz .LBB65_391
.LBB65_387:                             ;   in Loop: Header=BB65_388 Depth=2
	s_and_b32 s54, exec_lo, s54
	s_delay_alu instid0(SALU_CYCLE_1) | instskip(SKIP_2) | instid1(SALU_CYCLE_1)
	s_or_b32 s34, s54, s34
	s_and_not1_b32 s53, s53, exec_lo
	s_and_b32 s54, s55, exec_lo
	s_or_b32 s53, s53, s54
	s_and_not1_b32 exec_lo, exec_lo, s34
	s_cbranch_execz .LBB65_392
.LBB65_388:                             ;   Parent Loop BB65_15 Depth=1
                                        ; =>  This Inner Loop Header: Depth=2
	s_mov_b32 s54, exec_lo
	s_delay_alu instid0(VALU_DEP_1)
	v_cmpx_gt_u32_e64 s36, v5
	s_cbranch_execz .LBB65_386
; %bb.389:                              ;   in Loop: Header=BB65_388 Depth=2
	v_readfirstlane_b32 s98, v10
	v_readfirstlane_b32 s99, v11
	global_load_u16 v6, v3, s[98:99] scale_offset
	s_wait_loadcnt 0x0
	v_bfe_i32 v7, v6, 0, 16
	s_delay_alu instid0(VALU_DEP_1) | instskip(NEXT) | instid1(VALU_DEP_1)
	v_add_nc_u32_e32 v7, 0x8000, v7
	v_and_b32_e32 v7, v7, v37
	s_delay_alu instid0(VALU_DEP_1)
	v_cmp_eq_u32_e32 vcc_lo, v7, v29
	s_and_b32 exec_lo, exec_lo, vcc_lo
	s_cbranch_execz .LBB65_386
; %bb.390:                              ;   in Loop: Header=BB65_388 Depth=2
	v_perm_b32 v6, v6, 1, 0x5040100
	ds_store_b32 v17, v6 offset:3072
	s_branch .LBB65_386
.LBB65_391:                             ;   in Loop: Header=BB65_388 Depth=2
	v_dual_add_nc_u32 v5, s40, v5 :: v_dual_add_nc_u32 v3, s58, v3
	s_mov_b32 s55, 0
	s_delay_alu instid0(VALU_DEP_1)
	v_cmp_le_u32_e32 vcc_lo, s80, v5
	s_or_not1_b32 s54, vcc_lo, exec_lo
	s_branch .LBB65_387
.LBB65_392:                             ;   in Loop: Header=BB65_15 Depth=1
	s_or_b32 exec_lo, exec_lo, s34
	v_lshrrev_b32_e32 v38, 16, v6
	s_and_not1_b32 s34, s38, exec_lo
	s_and_b32 s38, s53, exec_lo
	s_delay_alu instid0(SALU_CYCLE_1)
	s_or_b32 s38, s34, s38
.LBB65_393:                             ;   in Loop: Header=BB65_15 Depth=1
	s_or_b32 exec_lo, exec_lo, s33
	s_mov_b32 s33, 0
	s_mov_b32 s34, -1
.LBB65_394:                             ;   in Loop: Header=BB65_15 Depth=1
	s_or_not1_b32 s53, s38, exec_lo
.LBB65_395:                             ;   in Loop: Header=BB65_15 Depth=1
	s_or_b32 exec_lo, exec_lo, s52
	s_mov_b32 s52, 0
	s_and_saveexec_b32 s38, s53
	s_cbranch_execz .LBB65_406
; %bb.396:                              ;   in Loop: Header=BB65_15 Depth=1
	v_dual_mov_b32 v2, 1 :: v_dual_mov_b32 v3, 1
	s_xor_b32 s52, s31, -1
	s_delay_alu instid0(SALU_CYCLE_1)
	s_and_saveexec_b32 s31, s52
	s_cbranch_execz .LBB65_405
; %bb.397:                              ;   in Loop: Header=BB65_15 Depth=1
	s_mov_b32 s52, exec_lo
	v_cmpx_ge_u32_e64 s17, v4
	s_xor_b32 s52, exec_lo, s52
	s_cbranch_execz .LBB65_402
; %bb.398:                              ;   in Loop: Header=BB65_15 Depth=1
	ds_load_b32 v2, v17 offset:4096
	v_and_b32_e32 v29, s19, v29
	v_or_b32_e32 v37, s18, v37
	s_wait_dscnt 0x0
	v_cmp_ne_u32_e32 vcc_lo, 0, v2
	s_cbranch_vccnz .LBB65_402
; %bb.399:                              ;   in Loop: Header=BB65_15 Depth=1
	s_and_saveexec_b32 s18, s5
; %bb.400:                              ;   in Loop: Header=BB65_15 Depth=1
	v_mov_b32_e32 v2, s17
	ds_store_b32 v17, v2 offset:4100
; %bb.401:                              ;   in Loop: Header=BB65_15 Depth=1
	s_or_b32 exec_lo, exec_lo, s18
	s_wait_dscnt 0x0
	s_barrier_signal -1
	s_barrier_wait -1
.LBB65_402:                             ;   in Loop: Header=BB65_15 Depth=1
	s_and_not1_saveexec_b32 s18, s52
; %bb.403:                              ;   in Loop: Header=BB65_15 Depth=1
	v_subrev_nc_u32_e32 v4, s17, v4
; %bb.404:                              ;   in Loop: Header=BB65_15 Depth=1
	s_or_b32 exec_lo, exec_lo, s18
	s_delay_alu instid0(VALU_DEP_1)
	v_dual_mov_b32 v2, 5 :: v_dual_mov_b32 v3, v4
.LBB65_405:                             ;   in Loop: Header=BB65_15 Depth=1
	s_or_b32 exec_lo, exec_lo, s31
	s_delay_alu instid0(VALU_DEP_1)
	v_mov_b32_e32 v4, v3
	s_mov_b32 s52, exec_lo
.LBB65_406:                             ;   in Loop: Header=BB65_15 Depth=1
	s_or_b32 exec_lo, exec_lo, s38
	s_delay_alu instid0(SALU_CYCLE_1)
	s_or_not1_b32 s31, s52, exec_lo
.LBB65_407:                             ;   in Loop: Header=BB65_15 Depth=1
	s_or_b32 exec_lo, exec_lo, s20
	v_mov_b32_e32 v3, v4
	s_and_not1_b32 s17, s29, exec_lo
	s_and_b32 s18, s34, exec_lo
	s_and_not1_b32 s19, s28, exec_lo
	s_and_b32 s20, s33, exec_lo
	s_or_b32 s29, s17, s18
	s_or_b32 s28, s19, s20
	s_and_b32 s34, s31, exec_lo
.LBB65_408:                             ;   in Loop: Header=BB65_15 Depth=1
	s_or_b32 exec_lo, exec_lo, s30
	s_delay_alu instid0(SALU_CYCLE_1)
	s_or_not1_b32 s30, s34, exec_lo
.LBB65_409:                             ;   in Loop: Header=BB65_15 Depth=1
	s_or_b32 exec_lo, exec_lo, s21
	v_mov_b32_e32 v5, v3
	s_and_not1_b32 s17, s25, exec_lo
	s_and_b32 s18, s29, exec_lo
	s_and_not1_b32 s19, s22, exec_lo
	s_and_b32 s20, s28, exec_lo
	s_or_b32 s25, s17, s18
	s_or_b32 s22, s19, s20
	s_and_b32 s30, s30, exec_lo
.LBB65_410:                             ;   in Loop: Header=BB65_15 Depth=1
	s_or_b32 exec_lo, exec_lo, s27
	s_delay_alu instid0(SALU_CYCLE_1)
	s_or_not1_b32 s27, s30, exec_lo
.LBB65_411:                             ;   in Loop: Header=BB65_15 Depth=1
	s_or_b32 exec_lo, exec_lo, s14
	s_mov_b32 s14, s23
	s_mov_b32 s17, s15
	s_and_saveexec_b32 s18, s27
; %bb.412:                              ;   in Loop: Header=BB65_15 Depth=1
	v_cmp_ne_u32_e32 vcc_lo, 5, v2
	v_cmp_eq_u32_e64 s14, 5, v2
	s_and_not1_b32 s17, s15, exec_lo
	s_and_not1_b32 s19, s23, exec_lo
	s_and_b32 s20, vcc_lo, exec_lo
	s_and_b32 s14, s14, exec_lo
	s_or_b32 s17, s17, s20
	s_or_b32 s14, s19, s14
; %bb.413:                              ;   in Loop: Header=BB65_15 Depth=1
	s_or_b32 exec_lo, exec_lo, s18
	s_delay_alu instid0(SALU_CYCLE_1)
	s_and_not1_b32 s18, s26, exec_lo
	s_and_b32 s19, s25, exec_lo
	s_and_not1_b32 s16, s16, exec_lo
	s_and_b32 s20, s22, exec_lo
	s_or_b32 s26, s18, s19
	s_and_not1_b32 s15, s15, exec_lo
	s_and_b32 s17, s17, exec_lo
	s_and_not1_b32 s18, s23, exec_lo
	s_and_b32 s14, s14, exec_lo
	s_or_b32 s16, s16, s20
	s_or_b32 s15, s15, s17
	;; [unrolled: 1-line block ×3, first 2 shown]
.LBB65_414:                             ;   in Loop: Header=BB65_15 Depth=1
	s_or_b32 exec_lo, exec_lo, s24
	s_mov_b32 s24, 0
	s_mov_b32 s25, 0
	s_and_saveexec_b32 s14, s23
.LBB65_415:                             ;   in Loop: Header=BB65_15 Depth=1
	v_mov_b32_e32 v2, 0
	s_or_b32 s15, s15, exec_lo
.LBB65_416:                             ;   in Loop: Header=BB65_15 Depth=1
	s_or_b32 exec_lo, exec_lo, s14
	s_delay_alu instid0(SALU_CYCLE_1)
	s_and_not1_b32 s14, s94, exec_lo
	s_and_b32 s18, s26, exec_lo
	s_and_not1_b32 s19, s92, exec_lo
	s_and_b32 s16, s16, exec_lo
	v_mov_b32_e32 v39, v5
	s_or_b32 s94, s14, s18
	s_or_b32 s92, s19, s16
	s_and_not1_b32 s14, s96, exec_lo
	s_and_b32 s16, s25, exec_lo
	s_and_not1_b32 s18, s95, exec_lo
	s_and_b32 s19, s24, exec_lo
	s_mov_b32 s17, -1
	s_and_not1_b32 s93, s93, exec_lo
	s_or_b32 s96, s14, s16
	s_or_b32 s95, s18, s19
	s_and_saveexec_b32 s14, s15
	s_delay_alu instid0(SALU_CYCLE_1)
	s_xor_b32 s14, exec_lo, s14
	s_cbranch_execz .LBB65_14
; %bb.417:                              ;   in Loop: Header=BB65_15 Depth=1
	s_mov_b32 s15, -1
	s_mov_b32 s16, -1
	s_mov_b32 s17, exec_lo
	v_cmpx_eq_u32_e32 0, v2
	s_cbranch_execz .LBB65_13
; %bb.418:                              ;   in Loop: Header=BB65_15 Depth=1
	s_xor_b32 s87, s87, 1
	s_add_co_i32 s18, s84, -2
	s_cmp_eq_u32 s84, 0
	s_mov_b32 s84, s18
	s_cselect_b32 s15, -1, 0
	s_xor_b32 s16, exec_lo, -1
	s_or_not1_b32 s15, s15, exec_lo
	s_branch .LBB65_13
.LBB65_419:
	s_or_b32 exec_lo, exec_lo, s85
	s_xor_b32 s7, s91, -1
	s_xor_b32 s9, s89, -1
	;; [unrolled: 1-line block ×5, first 2 shown]
	s_mov_b32 s8, 0
	s_and_saveexec_b32 s12, s11
	s_delay_alu instid0(SALU_CYCLE_1)
	s_xor_b32 s12, exec_lo, s12
	s_cbranch_execnz .LBB65_424
; %bb.420:
	s_and_not1_saveexec_b32 s0, s12
	s_cbranch_execnz .LBB65_443
.LBB65_421:
	s_or_b32 exec_lo, exec_lo, s0
	s_and_saveexec_b32 s0, s8
.LBB65_422:
	; divergent unreachable
.LBB65_423:
	s_sendmsg sendmsg(MSG_DEALLOC_VGPRS)
	s_endpgm
.LBB65_424:
	s_and_saveexec_b32 s11, s10
	s_delay_alu instid0(SALU_CYCLE_1)
	s_xor_b32 s13, exec_lo, s11
	s_cbranch_execz .LBB65_441
; %bb.425:
	s_and_saveexec_b32 s10, s9
	s_delay_alu instid0(SALU_CYCLE_1)
	s_xor_b32 s14, exec_lo, s10
	s_cbranch_execz .LBB65_439
; %bb.426:
	;; [unrolled: 5-line block ×3, first 2 shown]
	s_and_saveexec_b32 s7, s6
	s_delay_alu instid0(SALU_CYCLE_1)
	s_xor_b32 s6, exec_lo, s7
; %bb.428:
	v_xor_b32_e32 v38, 0xffff8000, v29
; %bb.429:
	s_or_b32 exec_lo, exec_lo, s6
	s_and_saveexec_b32 s6, s5
; %bb.430:
	v_mov_b32_e32 v1, 0
	ds_store_b32 v1, v1 offset:4108
; %bb.431:
	s_or_b32 exec_lo, exec_lo, s6
	v_mov_b32_e32 v1, 0
	s_wait_dscnt 0x0
	s_barrier_signal -1
	s_barrier_wait -1
	s_and_saveexec_b32 s5, s3
	s_cbranch_execz .LBB65_433
; %bb.432:
	global_load_u16 v1, v[14:15], off
.LBB65_433:
	s_wait_xcnt 0x0
	s_or_b32 exec_lo, exec_lo, s5
	s_clause 0x1
	s_load_b32 s5, s[0:1], 0x1c8
	s_load_b32 s16, s[0:1], 0x2a8
	s_wait_xcnt 0x0
	s_mul_i32 s0, s60, s59
	s_add_co_i32 s17, s36, 31
	s_add_co_i32 s10, s0, s35
	s_mul_i32 s0, s61, s57
	s_mov_b32 s11, 0
	s_and_not1_b32 s17, s17, 31
	s_add_co_i32 s0, s0, s41
	s_mov_b32 s1, s11
	v_cmp_gt_u32_e32 vcc_lo, s17, v0
	s_lshl_b64 s[6:7], s[10:11], 1
	s_lshl_b64 s[0:1], s[0:1], 3
	s_add_nc_u64 s[6:7], s[44:45], s[6:7]
	s_add_nc_u64 s[8:9], s[42:43], s[0:1]
	s_mov_b32 s0, -1
	s_mov_b32 s1, 0
	s_and_saveexec_b32 s10, vcc_lo
	s_cbranch_execnz .LBB65_444
; %bb.434:
	s_or_b32 exec_lo, exec_lo, s10
	s_and_saveexec_b32 s4, s0
	s_cbranch_execnz .LBB65_459
.LBB65_435:
	s_or_b32 exec_lo, exec_lo, s4
	s_and_saveexec_b32 s0, s1
	s_delay_alu instid0(SALU_CYCLE_1)
	s_xor_b32 s0, exec_lo, s0
	s_cbranch_execnz .LBB65_482
.LBB65_436:
	s_or_b32 exec_lo, exec_lo, s0
	s_delay_alu instid0(SALU_CYCLE_1)
	s_and_b32 s8, s11, exec_lo
.LBB65_437:
	s_and_not1_saveexec_b32 s0, s15
	s_cbranch_execnz .LBB65_484
.LBB65_438:
	s_or_b32 exec_lo, exec_lo, s0
	s_delay_alu instid0(SALU_CYCLE_1)
	s_and_b32 s8, s8, exec_lo
.LBB65_439:
	s_and_not1_saveexec_b32 s0, s14
	s_cbranch_execnz .LBB65_483
.LBB65_440:
	s_or_b32 exec_lo, exec_lo, s0
	s_delay_alu instid0(SALU_CYCLE_1)
	s_and_b32 s8, s8, exec_lo
.LBB65_441:
	s_and_not1_saveexec_b32 s0, s13
	s_cbranch_execnz .LBB65_478
.LBB65_442:
	s_or_b32 exec_lo, exec_lo, s0
	s_delay_alu instid0(SALU_CYCLE_1)
	s_and_b32 s8, s8, exec_lo
	s_and_not1_saveexec_b32 s0, s12
	s_cbranch_execz .LBB65_421
.LBB65_443:
	s_or_b32 s8, s8, exec_lo
	s_trap 2
	s_or_b32 exec_lo, exec_lo, s0
	s_and_saveexec_b32 s0, s8
	s_cbranch_execnz .LBB65_422
	s_branch .LBB65_423
.LBB65_444:
	v_add_nc_u32_e32 v2, s40, v0
	v_bfe_i32 v3, v38, 0, 16
	s_mov_b32 s18, 0
                                        ; implicit-def: $sgpr19
                                        ; implicit-def: $vgpr7
	s_delay_alu instid0(VALU_DEP_1)
	v_add_nc_u32_e32 v5, 0x8000, v3
	v_mov_b32_e32 v3, 0
	v_mul_lo_u32 v4, s56, v2
	v_mov_b32_e32 v2, v0
	s_branch .LBB65_446
.LBB65_445:                             ;   in Loop: Header=BB65_446 Depth=1
	s_or_b32 exec_lo, exec_lo, s21
	s_xor_b32 s0, s20, -1
	s_and_b32 s1, exec_lo, s1
	v_dual_mov_b32 v1, v8 :: v_dual_mov_b32 v2, v6
	s_or_b32 s18, s1, s18
	s_and_not1_b32 s1, s19, exec_lo
	s_and_b32 s0, s0, exec_lo
	s_delay_alu instid0(SALU_CYCLE_1)
	s_or_b32 s19, s1, s0
	s_and_not1_b32 exec_lo, exec_lo, s18
	s_cbranch_execz .LBB65_458
.LBB65_446:                             ; =>This Inner Loop Header: Depth=1
	s_delay_alu instid0(VALU_DEP_1) | instskip(SKIP_1) | instid1(VALU_DEP_1)
	v_dual_add_nc_u32 v6, s40, v2 :: v_dual_mov_b32 v8, 0
	s_mov_b32 s1, exec_lo
	v_cmpx_gt_u32_e64 s36, v6
	s_cbranch_execz .LBB65_448
; %bb.447:                              ;   in Loop: Header=BB65_446 Depth=1
	v_readfirstlane_b32 s20, v10
	v_readfirstlane_b32 s21, v11
	global_load_u16 v8, v4, s[20:21] scale_offset
.LBB65_448:                             ;   in Loop: Header=BB65_446 Depth=1
	s_wait_xcnt 0x0
	s_or_b32 exec_lo, exec_lo, s1
	s_wait_loadcnt 0x0
	v_bfe_i32 v9, v1, 0, 16
	s_delay_alu instid0(VALU_DEP_1) | instskip(NEXT) | instid1(VALU_DEP_1)
	v_add_nc_u32_e32 v9, 0x8000, v9
	v_cmp_gt_u32_e64 s0, v9, v5
	s_delay_alu instid0(VALU_DEP_1) | instskip(SKIP_1) | instid1(VALU_DEP_1)
	v_cndmask_b32_e64 v13, 0, 1, s0
	v_cmp_lt_u32_e64 s0, v9, v5
	v_cndmask_b32_e64 v9, 0, 1, s0
	v_cmp_gt_u32_e64 s0, s36, v2
	s_delay_alu instid0(VALU_DEP_2) | instskip(NEXT) | instid1(VALU_DEP_1)
	v_cndmask_b32_e64 v9, v9, v13, s4
	v_and_b32_e32 v9, 1, v9
	s_delay_alu instid0(VALU_DEP_1) | instskip(SKIP_1) | instid1(SALU_CYCLE_1)
	v_cmp_eq_u32_e64 s1, 1, v9
	s_and_b32 s20, s0, s1
	v_cndmask_b32_e64 v9, 0, 1, s20
	s_delay_alu instid0(VALU_DEP_1) | instskip(SKIP_2) | instid1(SALU_CYCLE_1)
	v_cmp_ne_u32_e64 s0, 0, v9
	s_cmp_lg_u32 s0, 0
	s_cselect_b32 s1, -1, 0
	s_and_b32 s1, s2, s1
	s_delay_alu instid0(SALU_CYCLE_1)
	s_and_saveexec_b32 s21, s1
	s_cbranch_execz .LBB65_452
; %bb.449:                              ;   in Loop: Header=BB65_446 Depth=1
	s_mov_b32 s24, exec_lo
	s_bcnt1_i32_b32 s22, s0
	s_wait_dscnt 0x0
	v_mbcnt_lo_u32_b32 v7, s24, 0
	s_mov_b32 s23, exec_lo
                                        ; implicit-def: $vgpr9
	s_delay_alu instid0(VALU_DEP_1)
	v_cmpx_eq_u32_e32 0, v7
; %bb.450:                              ;   in Loop: Header=BB65_446 Depth=1
	s_bcnt1_i32_b32 s1, s24
	s_delay_alu instid0(SALU_CYCLE_1) | instskip(NEXT) | instid1(SALU_CYCLE_1)
	s_mul_i32 s1, s22, s1
	v_mov_b32_e32 v9, s1
	ds_add_rtn_u32 v9, v3, v9 offset:4108
; %bb.451:                              ;   in Loop: Header=BB65_446 Depth=1
	s_or_b32 exec_lo, exec_lo, s23
	s_wait_dscnt 0x0
	v_readfirstlane_b32 s1, v9
	s_delay_alu instid0(VALU_DEP_1)
	v_mad_u32_u24 v7, s22, v7, s1
.LBB65_452:                             ;   in Loop: Header=BB65_446 Depth=1
	s_or_b32 exec_lo, exec_lo, s21
	s_wait_dscnt 0x0
	ds_bpermute_b32 v7, v3, v7
	s_mov_b32 s1, -1
	s_mov_b32 s22, -1
	s_and_saveexec_b32 s21, s20
	s_cbranch_execz .LBB65_456
; %bb.453:                              ;   in Loop: Header=BB65_446 Depth=1
	v_and_b32_e32 v9, s0, v12
	s_mov_b32 s20, 0
	s_mov_b32 s22, exec_lo
	s_wait_dscnt 0x0
	s_delay_alu instid0(VALU_DEP_1) | instskip(NEXT) | instid1(VALU_DEP_1)
	v_bcnt_u32_b32 v9, v9, v7
	v_cmpx_gt_u32_e64 s37, v9
	s_cbranch_execz .LBB65_455
; %bb.454:                              ;   in Loop: Header=BB65_446 Depth=1
	s_wait_kmcnt 0x0
	v_mul_lo_u32 v13, v9, s5
	v_mul_lo_u32 v9, v9, s16
	s_mov_b32 s20, exec_lo
	global_store_b16 v13, v1, s[6:7] scale_offset
	global_store_b64 v9, v[2:3], s[8:9] scale_offset
.LBB65_455:                             ;   in Loop: Header=BB65_446 Depth=1
	s_wait_xcnt 0x0
	s_or_b32 exec_lo, exec_lo, s22
	s_delay_alu instid0(SALU_CYCLE_1)
	s_or_not1_b32 s22, s20, exec_lo
.LBB65_456:                             ;   in Loop: Header=BB65_446 Depth=1
	s_or_b32 exec_lo, exec_lo, s21
	s_mov_b32 s20, -1
	s_and_saveexec_b32 s21, s22
	s_cbranch_execz .LBB65_445
; %bb.457:                              ;   in Loop: Header=BB65_446 Depth=1
	v_cmp_le_u32_e64 s0, s17, v6
	v_add_nc_u32_e32 v4, s58, v4
	s_xor_b32 s20, exec_lo, -1
	s_or_not1_b32 s1, s0, exec_lo
	s_branch .LBB65_445
.LBB65_458:
	s_or_b32 exec_lo, exec_lo, s18
	s_delay_alu instid0(SALU_CYCLE_1)
	s_mov_b32 s1, exec_lo
	s_or_not1_b32 s0, s19, exec_lo
	s_or_b32 exec_lo, exec_lo, s10
	s_and_saveexec_b32 s4, s0
	s_cbranch_execz .LBB65_435
.LBB65_459:
	v_mov_b32_e32 v6, 0
	s_wait_storecnt 0x0
	s_wait_loadcnt_dscnt 0x0
	s_barrier_signal -1
	s_barrier_wait -1
	s_and_saveexec_b32 s0, s3
	s_cbranch_execz .LBB65_461
; %bb.460:
	global_load_u16 v6, v[14:15], off
.LBB65_461:
	s_wait_xcnt 0x0
	s_or_b32 exec_lo, exec_lo, s0
	s_mov_b32 s0, 0
	s_and_saveexec_b32 s3, vcc_lo
	s_cbranch_execz .LBB65_481
; %bb.462:
	v_add_nc_u32_e32 v1, s40, v0
	s_mov_b32 s10, 0
                                        ; implicit-def: $sgpr11
                                        ; implicit-def: $vgpr5
	s_delay_alu instid0(VALU_DEP_1)
	v_mul_lo_u32 v2, s56, v1
	v_mov_b32_e32 v1, 0
	s_branch .LBB65_465
.LBB65_463:                             ;   in Loop: Header=BB65_465 Depth=1
	s_or_b32 exec_lo, exec_lo, s20
	s_delay_alu instid0(SALU_CYCLE_1)
	s_or_not1_b32 s20, s18, exec_lo
	s_or_not1_b32 s19, s19, exec_lo
.LBB65_464:                             ;   in Loop: Header=BB65_465 Depth=1
	s_or_b32 exec_lo, exec_lo, s0
	s_xor_b32 s0, s20, -1
	s_and_b32 s18, exec_lo, s19
	v_dual_mov_b32 v0, v3 :: v_dual_mov_b32 v6, v4
	s_or_b32 s10, s18, s10
	s_and_not1_b32 s11, s11, exec_lo
	s_and_b32 s0, s0, exec_lo
	s_delay_alu instid0(SALU_CYCLE_1)
	s_or_b32 s11, s11, s0
	s_and_not1_b32 exec_lo, exec_lo, s10
	s_cbranch_execz .LBB65_479
.LBB65_465:                             ; =>This Inner Loop Header: Depth=1
	v_dual_mov_b32 v4, 0 :: v_dual_add_nc_u32 v3, s40, v0
	s_mov_b32 s0, exec_lo
	s_delay_alu instid0(VALU_DEP_1)
	v_cmpx_gt_u32_e64 s36, v3
	s_cbranch_execz .LBB65_467
; %bb.466:                              ;   in Loop: Header=BB65_465 Depth=1
	v_readfirstlane_b32 s18, v10
	v_readfirstlane_b32 s19, v11
	global_load_u16 v4, v2, s[18:19] scale_offset
.LBB65_467:                             ;   in Loop: Header=BB65_465 Depth=1
	s_wait_xcnt 0x0
	s_or_b32 exec_lo, exec_lo, s0
	v_cmp_gt_u32_e32 vcc_lo, s36, v0
	s_wait_loadcnt 0x0
	v_cmp_eq_u16_e64 s0, v6, v38
	s_and_b32 s18, vcc_lo, s0
	s_delay_alu instid0(SALU_CYCLE_1) | instskip(NEXT) | instid1(VALU_DEP_1)
	v_cndmask_b32_e64 v6, 0, 1, s18
	v_cmp_ne_u32_e32 vcc_lo, 0, v6
	s_cmp_lg_u32 vcc_lo, 0
	s_cselect_b32 s0, -1, 0
	s_delay_alu instid0(SALU_CYCLE_1) | instskip(NEXT) | instid1(SALU_CYCLE_1)
	s_and_b32 s0, s2, s0
	s_and_saveexec_b32 s19, s0
	s_cbranch_execz .LBB65_471
; %bb.468:                              ;   in Loop: Header=BB65_465 Depth=1
	s_mov_b32 s22, exec_lo
	s_bcnt1_i32_b32 s20, vcc_lo
	v_mbcnt_lo_u32_b32 v5, s22, 0
	s_mov_b32 s21, exec_lo
                                        ; implicit-def: $vgpr6
	s_delay_alu instid0(VALU_DEP_1)
	v_cmpx_eq_u32_e32 0, v5
; %bb.469:                              ;   in Loop: Header=BB65_465 Depth=1
	s_bcnt1_i32_b32 s0, s22
	s_delay_alu instid0(SALU_CYCLE_1) | instskip(NEXT) | instid1(SALU_CYCLE_1)
	s_mul_i32 s0, s20, s0
	v_mov_b32_e32 v6, s0
	ds_add_rtn_u32 v6, v1, v6 offset:4108
; %bb.470:                              ;   in Loop: Header=BB65_465 Depth=1
	s_or_b32 exec_lo, exec_lo, s21
	s_wait_dscnt 0x0
	v_readfirstlane_b32 s0, v6
	s_delay_alu instid0(VALU_DEP_1)
	v_mad_u32_u24 v5, s20, v5, s0
.LBB65_471:                             ;   in Loop: Header=BB65_465 Depth=1
	s_or_b32 exec_lo, exec_lo, s19
	ds_bpermute_b32 v5, v1, v5
	s_cmp_eq_u32 vcc_lo, 0
	s_mov_b32 s19, -1
	s_cselect_b32 s20, -1, 0
	s_wait_dscnt 0x0
	v_cmp_gt_u32_e64 s0, s37, v5
	s_or_b32 s21, s20, s0
	s_mov_b32 s20, -1
	s_and_saveexec_b32 s0, s21
	s_cbranch_execz .LBB65_464
; %bb.472:                              ;   in Loop: Header=BB65_465 Depth=1
	v_dual_sub_nc_u32 v7, s37, v5 :: v_dual_bitop2_b32 v6, vcc_lo, v12 bitop3:0x40
	s_mov_b32 s21, -1
	s_delay_alu instid0(VALU_DEP_1) | instskip(NEXT) | instid1(VALU_DEP_1)
	v_bcnt_u32_b32 v6, v6, 0
	v_bcnt_u32_b32 v6, 0, v6
	s_delay_alu instid0(VALU_DEP_1)
	v_cmp_gt_u32_e32 vcc_lo, v7, v6
	s_and_b32 s22, s18, vcc_lo
	s_mov_b32 s18, -1
	s_and_saveexec_b32 s20, s22
	s_cbranch_execz .LBB65_476
; %bb.473:                              ;   in Loop: Header=BB65_465 Depth=1
	v_add_nc_u32_e32 v6, v5, v6
	s_mov_b32 s21, 0
	s_mov_b32 s18, exec_lo
	s_delay_alu instid0(VALU_DEP_1)
	v_cmpx_gt_u32_e64 s37, v6
	s_cbranch_execz .LBB65_475
; %bb.474:                              ;   in Loop: Header=BB65_465 Depth=1
	s_wait_kmcnt 0x0
	v_mul_lo_u32 v7, v6, s5
	v_mul_lo_u32 v6, v6, s16
	s_mov_b32 s21, exec_lo
	global_store_b16 v7, v38, s[6:7] scale_offset
	global_store_b64 v6, v[0:1], s[8:9] scale_offset
.LBB65_475:                             ;   in Loop: Header=BB65_465 Depth=1
	s_wait_xcnt 0x0
	s_or_b32 exec_lo, exec_lo, s18
	s_delay_alu instid0(SALU_CYCLE_1)
	s_xor_b32 s18, exec_lo, -1
	s_or_not1_b32 s21, s21, exec_lo
.LBB65_476:                             ;   in Loop: Header=BB65_465 Depth=1
	s_or_b32 exec_lo, exec_lo, s20
	s_and_saveexec_b32 s20, s21
	s_cbranch_execz .LBB65_463
; %bb.477:                              ;   in Loop: Header=BB65_465 Depth=1
	v_cmp_le_u32_e32 vcc_lo, s17, v3
	v_add_nc_u32_e32 v2, s58, v2
	s_or_b32 s18, s18, exec_lo
	s_or_not1_b32 s19, vcc_lo, exec_lo
	s_branch .LBB65_463
.LBB65_478:
	s_or_b32 s8, s8, exec_lo
	s_trap 2
	s_branch .LBB65_442
.LBB65_479:
	s_or_b32 exec_lo, exec_lo, s10
	s_mov_b32 s0, 0
	s_and_saveexec_b32 s2, s11
	s_delay_alu instid0(SALU_CYCLE_1)
	s_xor_b32 s2, exec_lo, s2
	s_cbranch_execnz .LBB65_485
.LBB65_480:
	s_or_b32 exec_lo, exec_lo, s2
	s_delay_alu instid0(SALU_CYCLE_1)
	s_and_b32 s0, s0, exec_lo
.LBB65_481:
	s_or_b32 exec_lo, exec_lo, s3
	s_delay_alu instid0(SALU_CYCLE_1) | instskip(SKIP_3) | instid1(SALU_CYCLE_1)
	s_and_b32 s11, s0, exec_lo
	s_and_not1_b32 s1, s1, exec_lo
	s_or_b32 exec_lo, exec_lo, s4
	s_and_saveexec_b32 s0, s1
	s_xor_b32 s0, exec_lo, s0
	s_cbranch_execz .LBB65_436
.LBB65_482:
	s_or_b32 s11, s11, exec_lo
	s_trap 2
	s_branch .LBB65_436
.LBB65_483:
	s_or_b32 s8, s8, exec_lo
	s_trap 2
	s_branch .LBB65_440
.LBB65_484:
	s_or_b32 s8, s8, exec_lo
	s_trap 2
	s_branch .LBB65_438
.LBB65_485:
	s_mov_b32 s0, exec_lo
	s_trap 2
	s_branch .LBB65_480
	.section	.rodata,"a",@progbits
	.p2align	6, 0x0
	.amdhsa_kernel _ZN2at6native6sbtopk10gatherTopKIsjLin1ELb0EEEvNS_4cuda6detail10TensorInfoIKT_T0_EES8_S8_bS8_S8_NS5_IS6_S8_EES8_NS5_IlS8_EES8_PS6_
		.amdhsa_group_segment_fixed_size 4112
		.amdhsa_private_segment_fixed_size 0
		.amdhsa_kernarg_size 952
		.amdhsa_user_sgpr_count 2
		.amdhsa_user_sgpr_dispatch_ptr 0
		.amdhsa_user_sgpr_queue_ptr 0
		.amdhsa_user_sgpr_kernarg_segment_ptr 1
		.amdhsa_user_sgpr_dispatch_id 0
		.amdhsa_user_sgpr_kernarg_preload_length 0
		.amdhsa_user_sgpr_kernarg_preload_offset 0
		.amdhsa_user_sgpr_private_segment_size 0
		.amdhsa_wavefront_size32 1
		.amdhsa_uses_dynamic_stack 0
		.amdhsa_enable_private_segment 0
		.amdhsa_system_sgpr_workgroup_id_x 1
		.amdhsa_system_sgpr_workgroup_id_y 1
		.amdhsa_system_sgpr_workgroup_id_z 1
		.amdhsa_system_sgpr_workgroup_info 0
		.amdhsa_system_vgpr_workitem_id 0
		.amdhsa_next_free_vgpr 71
		.amdhsa_next_free_sgpr 105
		.amdhsa_named_barrier_count 0
		.amdhsa_reserve_vcc 1
		.amdhsa_float_round_mode_32 0
		.amdhsa_float_round_mode_16_64 0
		.amdhsa_float_denorm_mode_32 3
		.amdhsa_float_denorm_mode_16_64 3
		.amdhsa_fp16_overflow 0
		.amdhsa_memory_ordered 1
		.amdhsa_forward_progress 1
		.amdhsa_inst_pref_size 136
		.amdhsa_round_robin_scheduling 0
		.amdhsa_exception_fp_ieee_invalid_op 0
		.amdhsa_exception_fp_denorm_src 0
		.amdhsa_exception_fp_ieee_div_zero 0
		.amdhsa_exception_fp_ieee_overflow 0
		.amdhsa_exception_fp_ieee_underflow 0
		.amdhsa_exception_fp_ieee_inexact 0
		.amdhsa_exception_int_div_zero 0
	.end_amdhsa_kernel
	.section	.text._ZN2at6native6sbtopk10gatherTopKIsjLin1ELb0EEEvNS_4cuda6detail10TensorInfoIKT_T0_EES8_S8_bS8_S8_NS5_IS6_S8_EES8_NS5_IlS8_EES8_PS6_,"axG",@progbits,_ZN2at6native6sbtopk10gatherTopKIsjLin1ELb0EEEvNS_4cuda6detail10TensorInfoIKT_T0_EES8_S8_bS8_S8_NS5_IS6_S8_EES8_NS5_IlS8_EES8_PS6_,comdat
.Lfunc_end65:
	.size	_ZN2at6native6sbtopk10gatherTopKIsjLin1ELb0EEEvNS_4cuda6detail10TensorInfoIKT_T0_EES8_S8_bS8_S8_NS5_IS6_S8_EES8_NS5_IlS8_EES8_PS6_, .Lfunc_end65-_ZN2at6native6sbtopk10gatherTopKIsjLin1ELb0EEEvNS_4cuda6detail10TensorInfoIKT_T0_EES8_S8_bS8_S8_NS5_IS6_S8_EES8_NS5_IlS8_EES8_PS6_
                                        ; -- End function
	.set _ZN2at6native6sbtopk10gatherTopKIsjLin1ELb0EEEvNS_4cuda6detail10TensorInfoIKT_T0_EES8_S8_bS8_S8_NS5_IS6_S8_EES8_NS5_IlS8_EES8_PS6_.num_vgpr, 71
	.set _ZN2at6native6sbtopk10gatherTopKIsjLin1ELb0EEEvNS_4cuda6detail10TensorInfoIKT_T0_EES8_S8_bS8_S8_NS5_IS6_S8_EES8_NS5_IlS8_EES8_PS6_.num_agpr, 0
	.set _ZN2at6native6sbtopk10gatherTopKIsjLin1ELb0EEEvNS_4cuda6detail10TensorInfoIKT_T0_EES8_S8_bS8_S8_NS5_IS6_S8_EES8_NS5_IlS8_EES8_PS6_.numbered_sgpr, 105
	.set _ZN2at6native6sbtopk10gatherTopKIsjLin1ELb0EEEvNS_4cuda6detail10TensorInfoIKT_T0_EES8_S8_bS8_S8_NS5_IS6_S8_EES8_NS5_IlS8_EES8_PS6_.num_named_barrier, 0
	.set _ZN2at6native6sbtopk10gatherTopKIsjLin1ELb0EEEvNS_4cuda6detail10TensorInfoIKT_T0_EES8_S8_bS8_S8_NS5_IS6_S8_EES8_NS5_IlS8_EES8_PS6_.private_seg_size, 0
	.set _ZN2at6native6sbtopk10gatherTopKIsjLin1ELb0EEEvNS_4cuda6detail10TensorInfoIKT_T0_EES8_S8_bS8_S8_NS5_IS6_S8_EES8_NS5_IlS8_EES8_PS6_.uses_vcc, 1
	.set _ZN2at6native6sbtopk10gatherTopKIsjLin1ELb0EEEvNS_4cuda6detail10TensorInfoIKT_T0_EES8_S8_bS8_S8_NS5_IS6_S8_EES8_NS5_IlS8_EES8_PS6_.uses_flat_scratch, 0
	.set _ZN2at6native6sbtopk10gatherTopKIsjLin1ELb0EEEvNS_4cuda6detail10TensorInfoIKT_T0_EES8_S8_bS8_S8_NS5_IS6_S8_EES8_NS5_IlS8_EES8_PS6_.has_dyn_sized_stack, 0
	.set _ZN2at6native6sbtopk10gatherTopKIsjLin1ELb0EEEvNS_4cuda6detail10TensorInfoIKT_T0_EES8_S8_bS8_S8_NS5_IS6_S8_EES8_NS5_IlS8_EES8_PS6_.has_recursion, 0
	.set _ZN2at6native6sbtopk10gatherTopKIsjLin1ELb0EEEvNS_4cuda6detail10TensorInfoIKT_T0_EES8_S8_bS8_S8_NS5_IS6_S8_EES8_NS5_IlS8_EES8_PS6_.has_indirect_call, 0
	.section	.AMDGPU.csdata,"",@progbits
; Kernel info:
; codeLenInByte = 17360
; TotalNumSgprs: 107
; NumVgprs: 71
; ScratchSize: 0
; MemoryBound: 0
; FloatMode: 240
; IeeeMode: 1
; LDSByteSize: 4112 bytes/workgroup (compile time only)
; SGPRBlocks: 0
; VGPRBlocks: 4
; NumSGPRsForWavesPerEU: 107
; NumVGPRsForWavesPerEU: 71
; NamedBarCnt: 0
; Occupancy: 12
; WaveLimiterHint : 1
; COMPUTE_PGM_RSRC2:SCRATCH_EN: 0
; COMPUTE_PGM_RSRC2:USER_SGPR: 2
; COMPUTE_PGM_RSRC2:TRAP_HANDLER: 0
; COMPUTE_PGM_RSRC2:TGID_X_EN: 1
; COMPUTE_PGM_RSRC2:TGID_Y_EN: 1
; COMPUTE_PGM_RSRC2:TGID_Z_EN: 1
; COMPUTE_PGM_RSRC2:TIDIG_COMP_CNT: 0
	.section	.text._ZN2at6native6mbtopk23computeBlockDigitCountsIdjmLi1EEEvNS_4cuda6detail10TensorInfoIKT_T0_EEjPjjS8_iijT1_PSB_Ps,"axG",@progbits,_ZN2at6native6mbtopk23computeBlockDigitCountsIdjmLi1EEEvNS_4cuda6detail10TensorInfoIKT_T0_EEjPjjS8_iijT1_PSB_Ps,comdat
	.protected	_ZN2at6native6mbtopk23computeBlockDigitCountsIdjmLi1EEEvNS_4cuda6detail10TensorInfoIKT_T0_EEjPjjS8_iijT1_PSB_Ps ; -- Begin function _ZN2at6native6mbtopk23computeBlockDigitCountsIdjmLi1EEEvNS_4cuda6detail10TensorInfoIKT_T0_EEjPjjS8_iijT1_PSB_Ps
	.globl	_ZN2at6native6mbtopk23computeBlockDigitCountsIdjmLi1EEEvNS_4cuda6detail10TensorInfoIKT_T0_EEjPjjS8_iijT1_PSB_Ps
	.p2align	8
	.type	_ZN2at6native6mbtopk23computeBlockDigitCountsIdjmLi1EEEvNS_4cuda6detail10TensorInfoIKT_T0_EEjPjjS8_iijT1_PSB_Ps,@function
_ZN2at6native6mbtopk23computeBlockDigitCountsIdjmLi1EEEvNS_4cuda6detail10TensorInfoIKT_T0_EEjPjjS8_iijT1_PSB_Ps: ; @_ZN2at6native6mbtopk23computeBlockDigitCountsIdjmLi1EEEvNS_4cuda6detail10TensorInfoIKT_T0_EEjPjjS8_iijT1_PSB_Ps
; %bb.0:
	s_load_b32 s12, s[0:1], 0xf8
	s_bfe_u32 s2, ttmp6, 0x40010
	s_and_b32 s8, ttmp7, 0xffff
	s_add_co_i32 s4, s2, 1
	s_bfe_u32 s5, ttmp6, 0x40004
	s_mul_i32 s4, s8, s4
	s_load_b64 s[2:3], s[0:1], 0x118
	s_add_co_i32 s9, s5, s4
	s_bfe_u32 s6, ttmp6, 0x4000c
	s_bfe_u32 s7, ttmp6, 0x40014
	s_add_co_i32 s6, s6, 1
	s_and_b32 s5, ttmp6, 15
	s_mul_i32 s6, ttmp9, s6
	s_add_co_i32 s7, s7, 1
	s_add_co_i32 s10, s5, s6
	s_bfe_u32 s6, ttmp6, 0x40008
	s_wait_kmcnt 0x0
	s_cvt_f32_u32 s4, s12
	s_delay_alu instid0(SALU_CYCLE_3) | instskip(SKIP_1) | instid1(SALU_CYCLE_1)
	v_rcp_iflag_f32_e32 v1, s4
	s_lshr_b32 s4, ttmp7, 16
	s_mul_i32 s5, s4, s7
	s_getreg_b32 s7, hwreg(HW_REG_IB_STS2, 6, 4)
	s_add_co_i32 s6, s6, s5
	s_cmp_eq_u32 s7, 0
	v_nop
	v_readfirstlane_b32 s11, v1
	s_cselect_b32 s13, s4, s6
	s_load_b128 s[4:7], s[0:1], 0xe8
	s_mul_i32 s3, s3, s13
	s_cselect_b32 s10, ttmp9, s10
	s_mul_f32 s11, s11, 0x4f7ffffe
	s_cselect_b32 s8, s8, s9
	s_sub_co_i32 s9, 0, s12
	s_add_co_i32 s3, s3, s8
	s_cvt_u32_f32 s11, s11
	s_mul_i32 s16, s3, s2
	s_delay_alu instid0(SALU_CYCLE_1) | instskip(NEXT) | instid1(SALU_CYCLE_1)
	s_add_co_i32 s16, s16, s10
	s_mul_i32 s9, s9, s11
	s_delay_alu instid0(SALU_CYCLE_1) | instskip(NEXT) | instid1(SALU_CYCLE_1)
	s_mul_hi_u32 s2, s11, s9
	s_add_co_i32 s11, s11, s2
	s_delay_alu instid0(SALU_CYCLE_1) | instskip(NEXT) | instid1(SALU_CYCLE_1)
	s_mul_hi_u32 s2, s16, s11
	s_mul_i32 s3, s2, s12
	s_add_co_i32 s8, s2, 1
	s_sub_co_i32 s3, s16, s3
	s_delay_alu instid0(SALU_CYCLE_1)
	s_sub_co_i32 s9, s3, s12
	s_cmp_ge_u32 s3, s12
	s_cselect_b32 s2, s8, s2
	s_cselect_b32 s3, s9, s3
	s_add_co_i32 s8, s2, 1
	s_cmp_ge_u32 s3, s12
	s_cselect_b32 s18, s8, s2
	s_wait_kmcnt 0x0
	s_cmp_ge_u32 s18, s4
	s_cbranch_scc1 .LBB66_21
; %bb.1:
	s_clause 0x1
	s_load_b64 s[2:3], s[0:1], 0x110
	s_load_b128 s[8:11], s[0:1], 0x100
	v_cmp_gt_u32_e32 vcc_lo, 0x100, v0
	v_lshlrev_b32_e32 v1, 2, v0
	s_and_saveexec_b32 s4, vcc_lo
; %bb.2:
	v_mov_b32_e32 v2, 0
	ds_store_b32 v1, v2
; %bb.3:
	s_or_b32 exec_lo, exec_lo, s4
	s_load_b32 s4, s[0:1], 0xd8
	s_mul_i32 s13, s18, s12
	s_mov_b32 s15, 0
	s_sub_co_i32 s13, s16, s13
	s_wait_dscnt 0x0
	s_mul_i32 s14, s7, s13
	s_add_co_i32 s13, s13, 1
	s_lshl_b32 s19, s14, 8
	s_barrier_signal -1
	s_barrier_wait -1
	s_wait_kmcnt 0x0
	s_sub_co_i32 s14, s4, s19
	s_delay_alu instid0(SALU_CYCLE_1) | instskip(NEXT) | instid1(SALU_CYCLE_1)
	s_add_nc_u64 s[20:21], s[14:15], 0xff
	s_lshr_b64 s[20:21], s[20:21], 8
	s_cmp_lt_u32 s13, s12
	s_cselect_b32 s17, s7, s20
	s_delay_alu instid0(SALU_CYCLE_1)
	s_cmp_lt_i32 s17, 1
	s_cbranch_scc1 .LBB66_19
; %bb.4:
	s_clause 0x1
	s_load_b32 s7, s[0:1], 0x6c
	s_load_b64 s[20:21], s[0:1], 0x0
	s_load_b64 s[12:13], s[10:11], s18 offset:0x0 scale_offset
	v_add_nc_u32_e32 v4, s19, v0
	s_wait_xcnt 0x0
	s_and_b32 s1, s6, 0xff
	s_wait_kmcnt 0x0
	s_mul_i32 s14, s7, s18
	s_delay_alu instid0(SALU_CYCLE_1)
	s_lshl_b64 s[10:11], s[14:15], 3
	s_cmp_eq_u32 s17, 1
	s_add_nc_u64 s[6:7], s[20:21], s[10:11]
	s_cbranch_scc1 .LBB66_14
; %bb.5:
	v_dual_mov_b32 v7, 1 :: v_dual_add_nc_u32 v2, 0x100, v4
	v_mul_lo_u32 v6, s5, v4
	v_mov_b32_e32 v8, v4
	s_and_b32 s10, s17, 0x7ffffffe
	s_delay_alu instid0(VALU_DEP_3)
	v_mul_lo_u32 v5, s5, v2
	s_lshl_b32 s11, s5, 9
	s_mov_b32 s14, 0
	s_branch .LBB66_7
.LBB66_6:                               ;   in Loop: Header=BB66_7 Depth=1
	s_or_b32 exec_lo, exec_lo, s18
	v_add_nc_u32_e32 v8, 0x200, v8
	s_add_co_i32 s15, s15, 2
	s_add_co_i32 s14, s14, s11
	s_cmp_eq_u32 s10, s15
	s_cbranch_scc1 .LBB66_13
.LBB66_7:                               ; =>This Inner Loop Header: Depth=1
	s_mov_b32 s18, exec_lo
	v_cmpx_gt_u32_e64 s4, v8
	s_cbranch_execz .LBB66_10
; %bb.8:                                ;   in Loop: Header=BB66_7 Depth=1
	s_delay_alu instid0(VALU_DEP_4) | instskip(SKIP_4) | instid1(VALU_DEP_1)
	v_add_nc_u32_e32 v2, s14, v6
	global_load_b64 v[2:3], v2, s[6:7] scale_offset
	s_wait_loadcnt 0x0
	v_cmp_o_f64_e64 s0, v[2:3], v[2:3]
	v_ashrrev_i32_e32 v9, 31, v3
	v_or_b32_e32 v10, 0x80000000, v9
	s_wait_xcnt 0x0
	v_xor_b32_e32 v2, v9, v2
	s_delay_alu instid0(VALU_DEP_1) | instskip(NEXT) | instid1(VALU_DEP_1)
	v_dual_cndmask_b32 v2, -1, v2, s0 :: v_dual_bitop2_b32 v10, v10, v3 bitop3:0x14
	v_cndmask_b32_e64 v3, -1, v10, s0
	s_delay_alu instid0(VALU_DEP_2) | instskip(NEXT) | instid1(VALU_DEP_2)
	v_xor_b32_e32 v10, s12, v2
	v_xor_b32_e32 v9, s13, v3
	s_delay_alu instid0(VALU_DEP_2) | instskip(NEXT) | instid1(VALU_DEP_2)
	v_and_b32_e32 v10, s8, v10
	v_and_b32_e32 v11, s9, v9
	s_delay_alu instid0(VALU_DEP_1)
	v_cmp_eq_u64_e64 s0, 0, v[10:11]
	s_and_b32 exec_lo, exec_lo, s0
	s_cbranch_execz .LBB66_10
; %bb.9:                                ;   in Loop: Header=BB66_7 Depth=1
	v_lshrrev_b64 v[2:3], s1, v[2:3]
	s_delay_alu instid0(VALU_DEP_1) | instskip(NEXT) | instid1(VALU_DEP_1)
	v_and_b32_e32 v2, 0xff, v2
	v_lshlrev_b32_e32 v2, 2, v2
	ds_add_u32 v2, v7
.LBB66_10:                              ;   in Loop: Header=BB66_7 Depth=1
	s_or_b32 exec_lo, exec_lo, s18
	v_add_nc_u32_e32 v2, 0x100, v8
	s_mov_b32 s18, exec_lo
	s_delay_alu instid0(VALU_DEP_1)
	v_cmpx_gt_u32_e64 s4, v2
	s_cbranch_execz .LBB66_6
; %bb.11:                               ;   in Loop: Header=BB66_7 Depth=1
	v_add_nc_u32_e32 v2, s14, v5
	global_load_b64 v[2:3], v2, s[6:7] scale_offset
	s_wait_loadcnt 0x0
	v_cmp_o_f64_e64 s0, v[2:3], v[2:3]
	v_ashrrev_i32_e32 v9, 31, v3
	s_delay_alu instid0(VALU_DEP_1) | instskip(SKIP_1) | instid1(VALU_DEP_1)
	v_or_b32_e32 v10, 0x80000000, v9
	v_xor_b32_e32 v2, v9, v2
	v_dual_cndmask_b32 v2, -1, v2, s0 :: v_dual_bitop2_b32 v10, v10, v3 bitop3:0x14
	s_delay_alu instid0(VALU_DEP_1) | instskip(NEXT) | instid1(VALU_DEP_2)
	v_cndmask_b32_e64 v3, -1, v10, s0
	v_xor_b32_e32 v10, s12, v2
	s_delay_alu instid0(VALU_DEP_2) | instskip(NEXT) | instid1(VALU_DEP_2)
	v_xor_b32_e32 v9, s13, v3
	v_and_b32_e32 v10, s8, v10
	s_delay_alu instid0(VALU_DEP_2) | instskip(NEXT) | instid1(VALU_DEP_1)
	v_and_b32_e32 v11, s9, v9
	v_cmp_eq_u64_e64 s0, 0, v[10:11]
	s_and_b32 exec_lo, exec_lo, s0
	s_cbranch_execz .LBB66_6
; %bb.12:                               ;   in Loop: Header=BB66_7 Depth=1
	v_lshrrev_b64 v[2:3], s1, v[2:3]
	s_delay_alu instid0(VALU_DEP_1) | instskip(NEXT) | instid1(VALU_DEP_1)
	v_and_b32_e32 v2, 0xff, v2
	v_lshlrev_b32_e32 v2, 2, v2
	ds_add_u32 v2, v7
	s_branch .LBB66_6
.LBB66_13:
	s_lshl_b32 s15, s10, 8
.LBB66_14:
	s_bitcmp0_b32 s17, 0
	s_cbranch_scc1 .LBB66_19
; %bb.15:
	v_add_nc_u32_e32 v2, s15, v4
	s_delay_alu instid0(VALU_DEP_1)
	v_cmp_gt_u32_e64 s0, s4, v2
	s_and_saveexec_b32 s4, s0
	s_cbranch_execz .LBB66_18
; %bb.16:
	v_mul_lo_u32 v2, v2, s5
	global_load_b64 v[2:3], v2, s[6:7] scale_offset
	s_wait_loadcnt 0x0
	v_cmp_o_f64_e64 s0, v[2:3], v[2:3]
	v_ashrrev_i32_e32 v4, 31, v3
	s_delay_alu instid0(VALU_DEP_1) | instskip(NEXT) | instid1(VALU_DEP_1)
	v_or_b32_e32 v5, 0x80000000, v4
	v_xor_b32_e32 v5, v5, v3
	s_delay_alu instid0(VALU_DEP_1) | instskip(NEXT) | instid1(VALU_DEP_1)
	v_dual_cndmask_b32 v3, -1, v5, s0 :: v_dual_bitop2_b32 v2, v4, v2 bitop3:0x14
	v_dual_cndmask_b32 v2, -1, v2, s0 :: v_dual_bitop2_b32 v4, s13, v3 bitop3:0x14
	s_delay_alu instid0(VALU_DEP_1) | instskip(NEXT) | instid1(VALU_DEP_2)
	v_xor_b32_e32 v6, s12, v2
	v_and_b32_e32 v5, s9, v4
	s_delay_alu instid0(VALU_DEP_2) | instskip(NEXT) | instid1(VALU_DEP_1)
	v_and_b32_e32 v4, s8, v6
	v_cmp_eq_u64_e64 s0, 0, v[4:5]
	s_and_b32 exec_lo, exec_lo, s0
	s_cbranch_execz .LBB66_18
; %bb.17:
	v_lshrrev_b64 v[2:3], s1, v[2:3]
	v_mov_b32_e32 v3, 1
	s_delay_alu instid0(VALU_DEP_2) | instskip(NEXT) | instid1(VALU_DEP_1)
	v_and_b32_e32 v2, 0xff, v2
	v_lshlrev_b32_e32 v2, 2, v2
	ds_add_u32 v2, v3
.LBB66_18:
	s_or_b32 exec_lo, exec_lo, s4
.LBB66_19:
	s_wait_dscnt 0x0
	s_barrier_signal -1
	s_barrier_wait -1
	s_and_saveexec_b32 s0, vcc_lo
	s_cbranch_execz .LBB66_21
; %bb.20:
	ds_load_b32 v1, v1
	v_lshl_or_b32 v0, s16, 8, v0
	s_wait_dscnt 0x0
	global_store_b16 v0, v1, s[2:3] scale_offset
.LBB66_21:
	s_endpgm
	.section	.rodata,"a",@progbits
	.p2align	6, 0x0
	.amdhsa_kernel _ZN2at6native6mbtopk23computeBlockDigitCountsIdjmLi1EEEvNS_4cuda6detail10TensorInfoIKT_T0_EEjPjjS8_iijT1_PSB_Ps
		.amdhsa_group_segment_fixed_size 1024
		.amdhsa_private_segment_fixed_size 0
		.amdhsa_kernarg_size 536
		.amdhsa_user_sgpr_count 2
		.amdhsa_user_sgpr_dispatch_ptr 0
		.amdhsa_user_sgpr_queue_ptr 0
		.amdhsa_user_sgpr_kernarg_segment_ptr 1
		.amdhsa_user_sgpr_dispatch_id 0
		.amdhsa_user_sgpr_kernarg_preload_length 0
		.amdhsa_user_sgpr_kernarg_preload_offset 0
		.amdhsa_user_sgpr_private_segment_size 0
		.amdhsa_wavefront_size32 1
		.amdhsa_uses_dynamic_stack 0
		.amdhsa_enable_private_segment 0
		.amdhsa_system_sgpr_workgroup_id_x 1
		.amdhsa_system_sgpr_workgroup_id_y 1
		.amdhsa_system_sgpr_workgroup_id_z 1
		.amdhsa_system_sgpr_workgroup_info 0
		.amdhsa_system_vgpr_workitem_id 0
		.amdhsa_next_free_vgpr 12
		.amdhsa_next_free_sgpr 22
		.amdhsa_named_barrier_count 0
		.amdhsa_reserve_vcc 1
		.amdhsa_float_round_mode_32 0
		.amdhsa_float_round_mode_16_64 0
		.amdhsa_float_denorm_mode_32 3
		.amdhsa_float_denorm_mode_16_64 3
		.amdhsa_fp16_overflow 0
		.amdhsa_memory_ordered 1
		.amdhsa_forward_progress 1
		.amdhsa_inst_pref_size 10
		.amdhsa_round_robin_scheduling 0
		.amdhsa_exception_fp_ieee_invalid_op 0
		.amdhsa_exception_fp_denorm_src 0
		.amdhsa_exception_fp_ieee_div_zero 0
		.amdhsa_exception_fp_ieee_overflow 0
		.amdhsa_exception_fp_ieee_underflow 0
		.amdhsa_exception_fp_ieee_inexact 0
		.amdhsa_exception_int_div_zero 0
	.end_amdhsa_kernel
	.section	.text._ZN2at6native6mbtopk23computeBlockDigitCountsIdjmLi1EEEvNS_4cuda6detail10TensorInfoIKT_T0_EEjPjjS8_iijT1_PSB_Ps,"axG",@progbits,_ZN2at6native6mbtopk23computeBlockDigitCountsIdjmLi1EEEvNS_4cuda6detail10TensorInfoIKT_T0_EEjPjjS8_iijT1_PSB_Ps,comdat
.Lfunc_end66:
	.size	_ZN2at6native6mbtopk23computeBlockDigitCountsIdjmLi1EEEvNS_4cuda6detail10TensorInfoIKT_T0_EEjPjjS8_iijT1_PSB_Ps, .Lfunc_end66-_ZN2at6native6mbtopk23computeBlockDigitCountsIdjmLi1EEEvNS_4cuda6detail10TensorInfoIKT_T0_EEjPjjS8_iijT1_PSB_Ps
                                        ; -- End function
	.set _ZN2at6native6mbtopk23computeBlockDigitCountsIdjmLi1EEEvNS_4cuda6detail10TensorInfoIKT_T0_EEjPjjS8_iijT1_PSB_Ps.num_vgpr, 12
	.set _ZN2at6native6mbtopk23computeBlockDigitCountsIdjmLi1EEEvNS_4cuda6detail10TensorInfoIKT_T0_EEjPjjS8_iijT1_PSB_Ps.num_agpr, 0
	.set _ZN2at6native6mbtopk23computeBlockDigitCountsIdjmLi1EEEvNS_4cuda6detail10TensorInfoIKT_T0_EEjPjjS8_iijT1_PSB_Ps.numbered_sgpr, 22
	.set _ZN2at6native6mbtopk23computeBlockDigitCountsIdjmLi1EEEvNS_4cuda6detail10TensorInfoIKT_T0_EEjPjjS8_iijT1_PSB_Ps.num_named_barrier, 0
	.set _ZN2at6native6mbtopk23computeBlockDigitCountsIdjmLi1EEEvNS_4cuda6detail10TensorInfoIKT_T0_EEjPjjS8_iijT1_PSB_Ps.private_seg_size, 0
	.set _ZN2at6native6mbtopk23computeBlockDigitCountsIdjmLi1EEEvNS_4cuda6detail10TensorInfoIKT_T0_EEjPjjS8_iijT1_PSB_Ps.uses_vcc, 1
	.set _ZN2at6native6mbtopk23computeBlockDigitCountsIdjmLi1EEEvNS_4cuda6detail10TensorInfoIKT_T0_EEjPjjS8_iijT1_PSB_Ps.uses_flat_scratch, 0
	.set _ZN2at6native6mbtopk23computeBlockDigitCountsIdjmLi1EEEvNS_4cuda6detail10TensorInfoIKT_T0_EEjPjjS8_iijT1_PSB_Ps.has_dyn_sized_stack, 0
	.set _ZN2at6native6mbtopk23computeBlockDigitCountsIdjmLi1EEEvNS_4cuda6detail10TensorInfoIKT_T0_EEjPjjS8_iijT1_PSB_Ps.has_recursion, 0
	.set _ZN2at6native6mbtopk23computeBlockDigitCountsIdjmLi1EEEvNS_4cuda6detail10TensorInfoIKT_T0_EEjPjjS8_iijT1_PSB_Ps.has_indirect_call, 0
	.section	.AMDGPU.csdata,"",@progbits
; Kernel info:
; codeLenInByte = 1168
; TotalNumSgprs: 24
; NumVgprs: 12
; ScratchSize: 0
; MemoryBound: 0
; FloatMode: 240
; IeeeMode: 1
; LDSByteSize: 1024 bytes/workgroup (compile time only)
; SGPRBlocks: 0
; VGPRBlocks: 0
; NumSGPRsForWavesPerEU: 24
; NumVGPRsForWavesPerEU: 12
; NamedBarCnt: 0
; Occupancy: 16
; WaveLimiterHint : 1
; COMPUTE_PGM_RSRC2:SCRATCH_EN: 0
; COMPUTE_PGM_RSRC2:USER_SGPR: 2
; COMPUTE_PGM_RSRC2:TRAP_HANDLER: 0
; COMPUTE_PGM_RSRC2:TGID_X_EN: 1
; COMPUTE_PGM_RSRC2:TGID_Y_EN: 1
; COMPUTE_PGM_RSRC2:TGID_Z_EN: 1
; COMPUTE_PGM_RSRC2:TIDIG_COMP_CNT: 0
	.section	.text._ZN2at6native6mbtopk29computeBlockwiseWithinKCountsImdEEvPT_PsPjjibS6_PT0_S6_S4_S6_j,"axG",@progbits,_ZN2at6native6mbtopk29computeBlockwiseWithinKCountsImdEEvPT_PsPjjibS6_PT0_S6_S4_S6_j,comdat
	.protected	_ZN2at6native6mbtopk29computeBlockwiseWithinKCountsImdEEvPT_PsPjjibS6_PT0_S6_S4_S6_j ; -- Begin function _ZN2at6native6mbtopk29computeBlockwiseWithinKCountsImdEEvPT_PsPjjibS6_PT0_S6_S4_S6_j
	.globl	_ZN2at6native6mbtopk29computeBlockwiseWithinKCountsImdEEvPT_PsPjjibS6_PT0_S6_S4_S6_j
	.p2align	8
	.type	_ZN2at6native6mbtopk29computeBlockwiseWithinKCountsImdEEvPT_PsPjjibS6_PT0_S6_S4_S6_j,@function
_ZN2at6native6mbtopk29computeBlockwiseWithinKCountsImdEEvPT_PsPjjibS6_PT0_S6_S4_S6_j: ; @_ZN2at6native6mbtopk29computeBlockwiseWithinKCountsImdEEvPT_PsPjjibS6_PT0_S6_S4_S6_j
; %bb.0:
	s_bfe_u32 s2, ttmp6, 0x40010
	s_and_b32 s4, ttmp7, 0xffff
	s_add_co_i32 s5, s2, 1
	s_clause 0x2
	s_load_b96 s[16:18], s[0:1], 0x18
	s_load_b32 s6, s[0:1], 0x50
	s_load_b64 s[2:3], s[0:1], 0x58
	s_bfe_u32 s8, ttmp6, 0x4000c
	s_mul_i32 s5, s4, s5
	s_bfe_u32 s7, ttmp6, 0x40004
	s_add_co_i32 s8, s8, 1
	s_bfe_u32 s9, ttmp6, 0x40014
	s_add_co_i32 s7, s7, s5
	s_and_b32 s5, ttmp6, 15
	s_mul_i32 s8, ttmp9, s8
	s_lshr_b32 s10, ttmp7, 16
	s_add_co_i32 s9, s9, 1
	s_add_co_i32 s5, s5, s8
	s_mul_i32 s8, s10, s9
	s_bfe_u32 s9, ttmp6, 0x40008
	s_getreg_b32 s11, hwreg(HW_REG_IB_STS2, 6, 4)
	s_add_co_i32 s9, s9, s8
	s_cmp_eq_u32 s11, 0
	s_mov_b32 s21, 0
	s_cselect_b32 s8, s10, s9
	s_wait_kmcnt 0x0
	s_cvt_f32_u32 s9, s16
	s_mul_i32 s3, s3, s8
	s_cselect_b32 s4, s4, s7
	s_cselect_b32 s5, ttmp9, s5
	v_rcp_iflag_f32_e32 v1, s9
	s_add_co_i32 s3, s3, s4
	s_delay_alu instid0(SALU_CYCLE_1) | instskip(NEXT) | instid1(SALU_CYCLE_1)
	s_mul_i32 s2, s3, s2
	s_add_co_i32 s20, s2, s5
	v_nop
	s_delay_alu instid0(TRANS32_DEP_1)
	v_readfirstlane_b32 s2, v1
	s_cmp_ge_u32 s20, s6
	s_cbranch_scc1 .LBB67_49
; %bb.1:
	s_mul_f32 s2, s2, 0x4f7ffffe
	s_delay_alu instid0(SALU_CYCLE_3) | instskip(SKIP_1) | instid1(SALU_CYCLE_2)
	s_cvt_u32_f32 s4, s2
	s_sub_co_i32 s2, 0, s16
	s_mul_i32 s2, s2, s4
	s_delay_alu instid0(SALU_CYCLE_1) | instskip(SKIP_3) | instid1(SALU_CYCLE_1)
	s_mul_hi_u32 s5, s4, s2
	s_load_b64 s[2:3], s[0:1], 0x10
	s_add_co_i32 s4, s4, s5
	s_mov_b32 s5, s21
	s_mul_u64 s[4:5], s[20:21], s[4:5]
	s_delay_alu instid0(SALU_CYCLE_1) | instskip(SKIP_2) | instid1(SALU_CYCLE_1)
	s_mul_i32 s4, s5, s16
	s_add_co_i32 s6, s5, 1
	s_sub_co_i32 s4, s20, s4
	s_sub_co_i32 s7, s4, s16
	s_cmp_ge_u32 s4, s16
	s_cselect_b32 s5, s6, s5
	s_cselect_b32 s4, s7, s4
	s_add_co_i32 s6, s5, 1
	s_cmp_ge_u32 s4, s16
	s_cselect_b32 s22, s6, s5
	s_load_b128 s[12:15], s[0:1], 0x0
	s_wait_kmcnt 0x0
	s_load_b32 s19, s[2:3], s22 offset:0x0 scale_offset
	s_wait_xcnt 0x0
	v_cmp_gt_u32_e64 s2, 0x100, v0
	s_and_saveexec_b32 s3, s2
	s_cbranch_execz .LBB67_17
; %bb.2:
	s_mul_i32 s4, s22, s16
	s_mov_b32 s5, 0
	s_lshl_b32 s4, s4, 8
	v_dual_mov_b32 v3, 0 :: v_dual_lshlrev_b32 v2, 1, v0
	s_lshl_b64 s[6:7], s[4:5], 1
	s_cmp_lt_u32 s16, 4
	s_add_nc_u64 s[6:7], s[14:15], s[6:7]
	s_delay_alu instid0(VALU_DEP_1) | instid1(SALU_CYCLE_1)
	v_add_nc_u64_e32 v[4:5], s[6:7], v[2:3]
	s_cbranch_scc1 .LBB67_10
; %bb.3:
	v_readfirstlane_b32 s5, v0
	v_mov_b32_e32 v3, 0
	s_add_co_i32 s4, s16, -4
	s_delay_alu instid0(SALU_CYCLE_1)
	s_cmp_lt_u32 s4, 4
	s_cbranch_scc1 .LBB67_7
; %bb.4:
	s_delay_alu instid0(VALU_DEP_1)
	v_add_nc_u64_e32 v[6:7], s[6:7], v[2:3]
	s_lshr_b32 s4, s4, 2
	s_mov_b32 s7, 0
	s_add_co_i32 s6, s4, 1
	v_mov_b32_e32 v1, v3
	s_and_b64 s[8:9], s[6:7], 0x7ffffffe
	s_delay_alu instid0(SALU_CYCLE_1)
	s_mov_b64 s[4:5], s[8:9]
	v_add_nc_u64_e32 v[6:7], 0x800, v[6:7]
.LBB67_5:                               ; =>This Inner Loop Header: Depth=1
	s_clause 0x7
	global_load_i16 v2, v[6:7], off offset:-2048
	global_load_i16 v8, v[6:7], off
	global_load_i16 v9, v[6:7], off offset:512
	global_load_i16 v10, v[6:7], off offset:-1536
	global_load_i16 v11, v[6:7], off offset:-1024
	global_load_i16 v12, v[6:7], off offset:1024
	global_load_i16 v13, v[6:7], off offset:1536
	global_load_i16 v14, v[6:7], off offset:-512
	s_wait_xcnt 0x0
	v_add_nc_u64_e32 v[6:7], 0x1000, v[6:7]
	s_add_nc_u64 s[4:5], s[4:5], -2
	s_delay_alu instid0(SALU_CYCLE_1)
	s_cmp_lg_u64 s[4:5], 0
	s_wait_loadcnt 0x5
	v_add3_u32 v1, v1, v8, v9
	s_wait_loadcnt 0x4
	v_add3_u32 v2, v3, v2, v10
	s_wait_loadcnt 0x1
	s_delay_alu instid0(VALU_DEP_2) | instskip(SKIP_1) | instid1(VALU_DEP_2)
	v_add3_u32 v1, v1, v12, v13
	s_wait_loadcnt 0x0
	v_add3_u32 v3, v2, v11, v14
	s_cbranch_scc1 .LBB67_5
; %bb.6:
	s_lshl_b64 s[4:5], s[8:9], 11
	s_delay_alu instid0(VALU_DEP_1)
	v_add_nc_u32_e32 v3, v3, v1
	v_add_nc_u64_e32 v[4:5], s[4:5], v[4:5]
	s_lshl_b32 s5, s8, 2
	s_cmp_lg_u64 s[8:9], s[6:7]
	s_mov_b32 s4, s5
	s_cselect_b32 s6, -1, 0
	s_delay_alu instid0(SALU_CYCLE_1)
	s_and_b32 vcc_lo, exec_lo, s6
	s_cbranch_vccnz .LBB67_8
	s_branch .LBB67_10
.LBB67_7:
	s_mov_b32 s4, 0
	s_cbranch_execz .LBB67_10
.LBB67_8:                               ; =>This Inner Loop Header: Depth=1
	s_clause 0x3
	global_load_i16 v1, v[4:5], off
	global_load_i16 v2, v[4:5], off offset:512
	global_load_i16 v6, v[4:5], off offset:1024
	;; [unrolled: 1-line block ×3, first 2 shown]
	s_wait_xcnt 0x0
	v_add_nc_u64_e32 v[4:5], 0x800, v[4:5]
	s_add_co_i32 s5, s4, 7
	s_add_co_i32 s4, s4, 4
	s_cmp_ge_u32 s5, s16
	s_wait_loadcnt 0x2
	v_add3_u32 v1, v3, v1, v2
	s_wait_loadcnt 0x0
	s_delay_alu instid0(VALU_DEP_1)
	v_add3_u32 v3, v1, v6, v7
	s_cbranch_scc0 .LBB67_8
; %bb.9:
	s_mov_b32 s5, s4
.LBB67_10:
	s_delay_alu instid0(SALU_CYCLE_1)
	s_cmp_ge_u32 s5, s16
	s_cbranch_scc1 .LBB67_16
; %bb.11:
	s_not_b32 s4, s5
	s_mov_b32 s7, 0
	s_add_co_i32 s6, s16, s4
	s_delay_alu instid0(SALU_CYCLE_1)
	s_cmp_eq_u32 s6, 0
	s_cbranch_scc1 .LBB67_50
; %bb.12:
	v_add_nc_u64_e32 v[6:7], 0x200, v[4:5]
	s_add_nc_u64 s[6:7], s[6:7], 1
	v_mov_b32_e32 v1, 0
	s_and_b64 s[8:9], s[6:7], 0x1fffffffe
	s_delay_alu instid0(SALU_CYCLE_1)
	s_mov_b64 s[10:11], s[8:9]
.LBB67_13:                              ; =>This Inner Loop Header: Depth=1
	s_clause 0x1
	global_load_i16 v2, v[6:7], off
	global_load_i16 v8, v[6:7], off offset:-512
	s_wait_xcnt 0x0
	v_add_nc_u64_e32 v[6:7], 0x400, v[6:7]
	s_add_nc_u64 s[10:11], s[10:11], -2
	s_delay_alu instid0(SALU_CYCLE_1)
	s_cmp_lg_u64 s[10:11], 0
	s_wait_loadcnt 0x0
	v_dual_add_nc_u32 v1, v1, v2 :: v_dual_add_nc_u32 v3, v3, v8
	s_cbranch_scc1 .LBB67_13
; %bb.14:
	s_lshl_b64 s[10:11], s[8:9], 9
	s_add_co_i32 s5, s5, s8
	v_add_nc_u64_e32 v[4:5], s[10:11], v[4:5]
	v_add_nc_u32_e32 v3, v3, v1
	s_cmp_lg_u64 s[6:7], s[8:9]
	s_cselect_b32 s4, -1, 0
	s_delay_alu instid0(SALU_CYCLE_1)
	s_and_b32 vcc_lo, exec_lo, s4
	s_cbranch_vccz .LBB67_16
.LBB67_15:                              ; =>This Inner Loop Header: Depth=1
	global_load_i16 v1, v[4:5], off
	s_wait_xcnt 0x0
	v_add_nc_u64_e32 v[4:5], 0x200, v[4:5]
	s_add_co_i32 s5, s5, 1
	s_delay_alu instid0(SALU_CYCLE_1)
	s_cmp_lt_u32 s5, s16
	s_wait_loadcnt 0x0
	v_add_nc_u32_e32 v3, v3, v1
	s_cbranch_scc1 .LBB67_15
.LBB67_16:
	v_lshlrev_b32_e32 v1, 2, v0
	ds_store_b32 v1, v3 offset:1056
.LBB67_17:
	s_or_b32 exec_lo, exec_lo, s3
	v_dual_mov_b32 v2, 0 :: v_dual_lshlrev_b32 v4, 2, v0
	s_mov_b32 s23, s21
	s_wait_dscnt 0x0
	s_barrier_signal -1
	s_barrier_wait -1
	s_and_saveexec_b32 s3, s2
; %bb.18:
	ds_load_b32 v2, v4 offset:1056
; %bb.19:
	s_or_b32 exec_lo, exec_lo, s3
	v_lshrrev_b32_e32 v6, 5, v0
	v_cmp_gt_u32_e64 s3, 32, v0
	v_mbcnt_lo_u32_b32 v5, -1, 0
	s_delay_alu instid0(VALU_DEP_3)
	v_lshl_add_u32 v1, v6, 2, v4
	s_wait_dscnt 0x0
	ds_store_b32 v1, v2
	s_wait_dscnt 0x0
	s_barrier_signal -1
	s_barrier_wait -1
	s_and_saveexec_b32 s4, s3
	s_cbranch_execz .LBB67_21
; %bb.20:
	v_and_b32_e32 v3, 0xfc, v0
	s_delay_alu instid0(VALU_DEP_1)
	v_lshl_add_u32 v7, v0, 5, v3
	ds_load_2addr_b32 v[8:9], v7 offset1:1
	ds_load_2addr_b32 v[10:11], v7 offset0:2 offset1:3
	ds_load_2addr_b32 v[12:13], v7 offset0:4 offset1:5
	ds_load_2addr_b32 v[14:15], v7 offset0:6 offset1:7
	; wave barrier
	s_wait_dscnt 0x3
	v_dual_add_nc_u32 v3, v9, v8 :: v_dual_bitop2_b32 v9, 15, v5 bitop3:0x40
	s_wait_dscnt 0x2
	s_delay_alu instid0(VALU_DEP_1) | instskip(NEXT) | instid1(VALU_DEP_2)
	v_add3_u32 v3, v3, v10, v11
	v_cmp_ne_u32_e32 vcc_lo, 0, v9
	v_bfe_i32 v11, v5, 4, 1
	s_wait_dscnt 0x1
	s_delay_alu instid0(VALU_DEP_3) | instskip(SKIP_1) | instid1(VALU_DEP_1)
	v_add3_u32 v3, v3, v12, v13
	s_wait_dscnt 0x0
	v_add3_u32 v3, v3, v14, v15
	s_delay_alu instid0(VALU_DEP_1) | instskip(NEXT) | instid1(VALU_DEP_1)
	v_mov_b32_dpp v10, v3 row_shr:1 row_mask:0xf bank_mask:0xf
	v_cndmask_b32_e32 v10, 0, v10, vcc_lo
	v_cmp_lt_u32_e32 vcc_lo, 1, v9
	s_delay_alu instid0(VALU_DEP_2) | instskip(NEXT) | instid1(VALU_DEP_1)
	v_add_nc_u32_e32 v3, v10, v3
	v_mov_b32_dpp v10, v3 row_shr:2 row_mask:0xf bank_mask:0xf
	s_delay_alu instid0(VALU_DEP_1) | instskip(SKIP_1) | instid1(VALU_DEP_2)
	v_cndmask_b32_e32 v10, 0, v10, vcc_lo
	v_cmp_lt_u32_e32 vcc_lo, 3, v9
	v_add_nc_u32_e32 v3, v3, v10
	s_delay_alu instid0(VALU_DEP_1) | instskip(NEXT) | instid1(VALU_DEP_1)
	v_mov_b32_dpp v10, v3 row_shr:4 row_mask:0xf bank_mask:0xf
	v_cndmask_b32_e32 v10, 0, v10, vcc_lo
	v_cmp_lt_u32_e32 vcc_lo, 7, v9
	s_delay_alu instid0(VALU_DEP_2) | instskip(NEXT) | instid1(VALU_DEP_1)
	v_add_nc_u32_e32 v3, v3, v10
	v_mov_b32_dpp v10, v3 row_shr:8 row_mask:0xf bank_mask:0xf
	s_delay_alu instid0(VALU_DEP_1) | instskip(NEXT) | instid1(VALU_DEP_1)
	v_dual_cndmask_b32 v9, 0, v10 :: v_dual_add_nc_u32 v10, -1, v5
	v_add_nc_u32_e32 v3, v3, v9
	s_delay_alu instid0(VALU_DEP_2) | instskip(SKIP_4) | instid1(VALU_DEP_2)
	v_cmp_gt_i32_e32 vcc_lo, 0, v10
	ds_swizzle_b32 v9, v3 offset:swizzle(BROADCAST,32,15)
	v_cndmask_b32_e32 v10, v10, v5, vcc_lo
	v_cmp_eq_u32_e32 vcc_lo, 0, v0
	s_wait_dscnt 0x0
	v_dual_lshlrev_b32 v10, 2, v10 :: v_dual_bitop2_b32 v9, v11, v9 bitop3:0x40
	s_delay_alu instid0(VALU_DEP_1) | instskip(SKIP_3) | instid1(VALU_DEP_1)
	v_add_nc_u32_e32 v3, v3, v9
	ds_bpermute_b32 v3, v10, v3
	s_wait_dscnt 0x0
	v_add_nc_u32_e32 v3, v3, v8
	v_cndmask_b32_e32 v12, v3, v2, vcc_lo
	ds_store_b32 v7, v12
	; wave barrier
	ds_load_2addr_b32 v[2:3], v7 offset0:1 offset1:2
	ds_load_2addr_b32 v[8:9], v7 offset0:3 offset1:4
	;; [unrolled: 1-line block ×3, first 2 shown]
	ds_load_b32 v13, v7 offset:28
	s_wait_dscnt 0x3
	v_add_nc_u32_e32 v2, v2, v12
	s_delay_alu instid0(VALU_DEP_1) | instskip(SKIP_1) | instid1(VALU_DEP_1)
	v_add_nc_u32_e32 v3, v3, v2
	s_wait_dscnt 0x2
	v_add_nc_u32_e32 v8, v8, v3
	s_delay_alu instid0(VALU_DEP_1) | instskip(SKIP_1) | instid1(VALU_DEP_1)
	v_add_nc_u32_e32 v9, v9, v8
	;; [unrolled: 4-line block ×3, first 2 shown]
	s_wait_dscnt 0x0
	v_add_nc_u32_e32 v12, v13, v11
	ds_store_2addr_b32 v7, v2, v3 offset0:1 offset1:2
	ds_store_2addr_b32 v7, v8, v9 offset0:3 offset1:4
	;; [unrolled: 1-line block ×3, first 2 shown]
	ds_store_b32 v7, v12 offset:28
.LBB67_21:
	s_or_b32 exec_lo, exec_lo, s4
	s_wait_dscnt 0x0
	s_barrier_signal -1
	s_barrier_wait -1
	ds_load_b32 v1, v1
	s_wait_dscnt 0x0
	s_barrier_signal -1
	s_barrier_wait -1
	s_and_saveexec_b32 s4, s2
; %bb.22:
	ds_store_b32 v4, v1 offset:1056
; %bb.23:
	s_or_b32 exec_lo, exec_lo, s4
	s_clause 0x1
	s_load_b256 s[4:11], s[0:1], 0x28
	s_load_b64 s[24:25], s[0:1], 0x48
	s_wait_dscnt 0x0
	s_barrier_signal -1
	s_barrier_wait -1
	s_and_saveexec_b32 s26, s2
	s_cbranch_execz .LBB67_32
; %bb.24:
	v_mov_b32_e32 v7, 0
	s_wait_xcnt 0x0
	s_mov_b32 s0, exec_lo
	v_cmpx_ne_u32_e32 0, v0
; %bb.25:
	ds_load_b32 v7, v4 offset:1052
; %bb.26:
	s_or_b32 exec_lo, exec_lo, s0
	s_wait_dscnt 0x0
	s_wait_kmcnt 0x0
	v_cmp_gt_u32_e32 vcc_lo, s19, v7
	v_cmp_le_u32_e64 s0, s19, v1
	s_and_b32 s0, vcc_lo, s0
	s_delay_alu instid0(SALU_CYCLE_1)
	s_and_b32 exec_lo, exec_lo, s0
	s_cbranch_execz .LBB67_32
; %bb.27:
	v_mov_b32_e32 v1, 0
	s_lshl_b64 s[0:1], s[22:23], 3
	s_mul_i32 s2, s22, s16
	s_add_nc_u64 s[12:13], s[12:13], s[0:1]
	global_load_b64 v[2:3], v1, s[12:13]
	s_wait_xcnt 0x0
	s_lshl_b64 s[12:13], 0xff, s17
	s_cmp_lg_u32 s20, s2
	v_not_b32_e32 v10, s13
	v_not_b32_e32 v11, s12
	s_wait_loadcnt 0x0
	s_delay_alu instid0(VALU_DEP_2) | instskip(SKIP_1) | instid1(VALU_DEP_3)
	v_and_b32_e32 v3, v3, v10
	v_lshlrev_b64_e32 v[8:9], s17, v[0:1]
	v_and_b32_e32 v2, v2, v11
	s_delay_alu instid0(VALU_DEP_2) | instskip(NEXT) | instid1(VALU_DEP_2)
	v_or_b32_e32 v3, v3, v9
	v_or_b32_e32 v2, v2, v8
	ds_store_b64 v1, v[2:3] offset:2112
	s_cbranch_scc1 .LBB67_32
; %bb.28:
	s_add_nc_u64 s[10:11], s[10:11], s[0:1]
	s_cmp_lt_i32 s17, 1
	s_mov_b32 s2, -1
	global_store_b64 v1, v[2:3], s[10:11]
	s_cbranch_scc0 .LBB67_30
; %bb.29:
	v_dual_mov_b32 v9, 0 :: v_dual_lshrrev_b32 v8, 31, v3
	s_add_nc_u64 s[0:1], s[6:7], s[0:1]
	s_mov_b32 s2, 0
	s_delay_alu instid0(VALU_DEP_1) | instskip(SKIP_1) | instid1(VALU_DEP_1)
	v_add_nc_u64_e32 v[10:11], -1, v[8:9]
	s_wait_xcnt 0x0
	v_or_b32_e32 v1, 0x80000000, v11
	s_delay_alu instid0(VALU_DEP_2) | instskip(NEXT) | instid1(VALU_DEP_2)
	v_xor_b32_e32 v2, v10, v2
	v_xor_b32_e32 v3, v1, v3
	global_store_b64 v9, v[2:3], s[0:1]
.LBB67_30:
	s_and_not1_b32 vcc_lo, exec_lo, s2
	s_cbranch_vccnz .LBB67_32
; %bb.31:
	s_wait_xcnt 0x0
	v_dual_mov_b32 v2, 0 :: v_dual_sub_nc_u32 v1, s19, v7
	s_lshl_b64 s[0:1], s[22:23], 2
	s_delay_alu instid0(SALU_CYCLE_1)
	s_add_nc_u64 s[0:1], s[8:9], s[0:1]
	global_store_b32 v2, v1, s[0:1]
.LBB67_32:
	s_wait_xcnt 0x0
	s_or_b32 exec_lo, exec_lo, s26
	v_mov_b32_e32 v3, 0
	s_wait_storecnt_dscnt 0x0
	s_barrier_signal -1
	s_barrier_wait -1
	ds_load_b64 v[8:9], v3 offset:2112
	v_mov_b32_e32 v1, v3
	s_bitcmp0_b32 s18, 0
	s_mov_b32 s0, 0
	s_wait_dscnt 0x0
	v_lshrrev_b64 v[8:9], s17, v[8:9]
	s_delay_alu instid0(VALU_DEP_1)
	v_and_b32_e32 v2, 0xff, v8
	s_cbranch_scc0 .LBB67_34
; %bb.33:
	v_and_b32_e32 v8, 0xe0, v0
	v_mov_b32_e32 v9, v3
	s_delay_alu instid0(VALU_DEP_3) | instskip(NEXT) | instid1(VALU_DEP_2)
	v_cmp_gt_u64_e64 s1, v[2:3], v[0:1]
	v_cmp_gt_u64_e64 s2, v[2:3], v[8:9]
	s_and_not1_b32 vcc_lo, exec_lo, s0
	s_cbranch_vccz .LBB67_35
	s_branch .LBB67_36
.LBB67_34:
                                        ; implicit-def: $sgpr1
                                        ; implicit-def: $sgpr2
.LBB67_35:
	v_dual_mov_b32 v9, 0 :: v_dual_bitop2_b32 v8, 31, v0 bitop3:0x54
	s_delay_alu instid0(VALU_DEP_2) | instskip(SKIP_2) | instid1(VALU_DEP_2)
	v_cmp_lt_u64_e32 vcc_lo, v[2:3], v[0:1]
	s_and_not1_b32 s1, s1, exec_lo
	s_and_not1_b32 s2, s2, exec_lo
	v_cmp_lt_u64_e64 s0, v[2:3], v[8:9]
	s_wait_kmcnt 0x0
	s_and_b32 s6, vcc_lo, exec_lo
	s_delay_alu instid0(SALU_CYCLE_1) | instskip(SKIP_1) | instid1(SALU_CYCLE_1)
	s_or_b32 s1, s1, s6
	s_and_b32 s0, s0, exec_lo
	s_or_b32 s2, s2, s0
.LBB67_36:
	v_mov_b32_e32 v1, 0
	s_and_saveexec_b32 s0, s2
	s_cbranch_execz .LBB67_40
; %bb.37:
	v_mov_b32_e32 v1, 0
	s_and_saveexec_b32 s2, s1
	s_cbranch_execz .LBB67_39
; %bb.38:
	s_wait_kmcnt 0x0
	s_lshl_b32 s6, s20, 8
	s_mov_b32 s7, 0
	s_delay_alu instid0(SALU_CYCLE_1) | instskip(NEXT) | instid1(SALU_CYCLE_1)
	s_lshl_b64 s[6:7], s[6:7], 1
	s_add_nc_u64 s[6:7], s[14:15], s[6:7]
	global_load_i16 v1, v0, s[6:7] scale_offset
.LBB67_39:
	s_wait_xcnt 0x0
	s_or_b32 exec_lo, exec_lo, s2
	v_lshl_or_b32 v2, v5, 2, 64
	v_cmp_gt_u32_e32 vcc_lo, 24, v5
	s_wait_loadcnt 0x0
	ds_bpermute_b32 v2, v2, v1
	v_cndmask_b32_e64 v3, 0, 8, vcc_lo
	v_cmp_gt_u32_e32 vcc_lo, 28, v5
	s_delay_alu instid0(VALU_DEP_2)
	v_add_lshl_u32 v3, v3, v5, 2
	s_wait_dscnt 0x0
	v_add_nc_u32_e32 v1, v2, v1
	ds_bpermute_b32 v2, v3, v1
	v_cndmask_b32_e64 v3, 0, 4, vcc_lo
	v_cmp_gt_u32_e32 vcc_lo, 30, v5
	s_delay_alu instid0(VALU_DEP_2)
	v_add_lshl_u32 v3, v3, v5, 2
	s_wait_dscnt 0x0
	v_add_nc_u32_e32 v1, v2, v1
	ds_bpermute_b32 v2, v3, v1
	v_cndmask_b32_e64 v3, 0, 2, vcc_lo
	v_cmp_ne_u32_e32 vcc_lo, 31, v5
	s_delay_alu instid0(VALU_DEP_2)
	v_add_lshl_u32 v3, v3, v5, 2
	s_wait_dscnt 0x0
	v_add_nc_u32_e32 v1, v2, v1
	ds_bpermute_b32 v2, v3, v1
	v_add_co_ci_u32_e64 v3, null, 0, v5, vcc_lo
	s_wait_dscnt 0x0
	s_delay_alu instid0(VALU_DEP_1)
	v_dual_add_nc_u32 v1, v2, v1 :: v_dual_lshlrev_b32 v2, 2, v3
	ds_bpermute_b32 v2, v2, v1
	s_wait_dscnt 0x0
	v_add_nc_u32_e32 v1, v2, v1
.LBB67_40:
	s_or_b32 exec_lo, exec_lo, s0
	v_and_b32_e32 v2, 31, v0
	s_mov_b32 s0, exec_lo
	s_delay_alu instid0(VALU_DEP_1)
	v_cmpx_eq_u32_e32 0, v2
; %bb.41:
	v_lshlrev_b32_e32 v2, 2, v6
	ds_store_b32 v2, v1 offset:2080
; %bb.42:
	s_or_b32 exec_lo, exec_lo, s0
	s_wait_dscnt 0x0
	s_barrier_signal -1
	s_barrier_wait -1
	s_and_saveexec_b32 s0, s3
	s_cbranch_execz .LBB67_49
; %bb.43:
	v_mov_b32_e32 v1, 0
	s_mov_b32 s0, exec_lo
	v_cmpx_gt_u32_e32 8, v0
; %bb.44:
	ds_load_b32 v1, v4 offset:2080
; %bb.45:
	s_or_b32 exec_lo, exec_lo, s0
	v_cmp_gt_u32_e32 vcc_lo, 28, v5
	s_mov_b32 s0, exec_lo
	v_cndmask_b32_e64 v2, 0, 4, vcc_lo
	v_cmp_gt_u32_e32 vcc_lo, 30, v5
	s_delay_alu instid0(VALU_DEP_2)
	v_add_lshl_u32 v2, v2, v5, 2
	v_cndmask_b32_e64 v3, 0, 2, vcc_lo
	v_cmp_ne_u32_e32 vcc_lo, 31, v5
	s_wait_dscnt 0x0
	ds_bpermute_b32 v2, v2, v1
	v_add_lshl_u32 v3, v3, v5, 2
	s_wait_dscnt 0x0
	v_add_nc_u32_e32 v1, v2, v1
	ds_bpermute_b32 v2, v3, v1
	v_add_co_ci_u32_e64 v3, null, 0, v5, vcc_lo
	s_wait_dscnt 0x0
	s_delay_alu instid0(VALU_DEP_1)
	v_dual_add_nc_u32 v1, v2, v1 :: v_dual_lshlrev_b32 v2, 2, v3
	ds_bpermute_b32 v2, v2, v1
	v_cmpx_eq_u32_e32 0, v0
	s_cbranch_execz .LBB67_47
; %bb.46:
	v_mov_b32_e32 v3, 0
	s_lshl_b64 s[2:3], s[20:21], 2
	s_wait_kmcnt 0x0
	s_add_nc_u64 s[2:3], s[4:5], s[2:3]
	global_load_b32 v4, v3, s[2:3]
	s_wait_loadcnt_dscnt 0x0
	v_add3_u32 v1, v2, v1, v4
	global_store_b32 v3, v1, s[2:3]
.LBB67_47:
	s_wait_xcnt 0x0
	s_or_b32 exec_lo, exec_lo, s0
	v_or_b32_e32 v0, s17, v0
	s_delay_alu instid0(VALU_DEP_1)
	v_cmp_eq_u32_e32 vcc_lo, 0, v0
	s_and_b32 exec_lo, exec_lo, vcc_lo
	s_cbranch_execz .LBB67_49
; %bb.48:
	v_mov_b32_e32 v0, 0
	s_lshl_b32 s0, s20, 8
	s_mov_b32 s1, 0
	s_delay_alu instid0(SALU_CYCLE_1)
	s_lshl_b64 s[0:1], s[0:1], 1
	ds_load_b32 v1, v0 offset:2112
	s_add_nc_u64 s[0:1], s[14:15], s[0:1]
	s_wait_dscnt 0x0
	v_and_b32_e32 v1, 0xff, v1
	global_load_i16 v1, v1, s[0:1] scale_offset
	s_wait_xcnt 0x0
	s_lshl_b64 s[0:1], s[20:21], 2
	s_wait_kmcnt 0x0
	s_add_nc_u64 s[0:1], s[24:25], s[0:1]
	s_wait_loadcnt 0x0
	global_store_b32 v0, v1, s[0:1]
.LBB67_49:
	s_endpgm
.LBB67_50:
	s_cbranch_execnz .LBB67_15
	s_branch .LBB67_16
	.section	.rodata,"a",@progbits
	.p2align	6, 0x0
	.amdhsa_kernel _ZN2at6native6mbtopk29computeBlockwiseWithinKCountsImdEEvPT_PsPjjibS6_PT0_S6_S4_S6_j
		.amdhsa_group_segment_fixed_size 2120
		.amdhsa_private_segment_fixed_size 0
		.amdhsa_kernarg_size 344
		.amdhsa_user_sgpr_count 2
		.amdhsa_user_sgpr_dispatch_ptr 0
		.amdhsa_user_sgpr_queue_ptr 0
		.amdhsa_user_sgpr_kernarg_segment_ptr 1
		.amdhsa_user_sgpr_dispatch_id 0
		.amdhsa_user_sgpr_kernarg_preload_length 0
		.amdhsa_user_sgpr_kernarg_preload_offset 0
		.amdhsa_user_sgpr_private_segment_size 0
		.amdhsa_wavefront_size32 1
		.amdhsa_uses_dynamic_stack 0
		.amdhsa_enable_private_segment 0
		.amdhsa_system_sgpr_workgroup_id_x 1
		.amdhsa_system_sgpr_workgroup_id_y 1
		.amdhsa_system_sgpr_workgroup_id_z 1
		.amdhsa_system_sgpr_workgroup_info 0
		.amdhsa_system_vgpr_workitem_id 0
		.amdhsa_next_free_vgpr 16
		.amdhsa_next_free_sgpr 27
		.amdhsa_named_barrier_count 0
		.amdhsa_reserve_vcc 1
		.amdhsa_float_round_mode_32 0
		.amdhsa_float_round_mode_16_64 0
		.amdhsa_float_denorm_mode_32 3
		.amdhsa_float_denorm_mode_16_64 3
		.amdhsa_fp16_overflow 0
		.amdhsa_memory_ordered 1
		.amdhsa_forward_progress 1
		.amdhsa_inst_pref_size 22
		.amdhsa_round_robin_scheduling 0
		.amdhsa_exception_fp_ieee_invalid_op 0
		.amdhsa_exception_fp_denorm_src 0
		.amdhsa_exception_fp_ieee_div_zero 0
		.amdhsa_exception_fp_ieee_overflow 0
		.amdhsa_exception_fp_ieee_underflow 0
		.amdhsa_exception_fp_ieee_inexact 0
		.amdhsa_exception_int_div_zero 0
	.end_amdhsa_kernel
	.section	.text._ZN2at6native6mbtopk29computeBlockwiseWithinKCountsImdEEvPT_PsPjjibS6_PT0_S6_S4_S6_j,"axG",@progbits,_ZN2at6native6mbtopk29computeBlockwiseWithinKCountsImdEEvPT_PsPjjibS6_PT0_S6_S4_S6_j,comdat
.Lfunc_end67:
	.size	_ZN2at6native6mbtopk29computeBlockwiseWithinKCountsImdEEvPT_PsPjjibS6_PT0_S6_S4_S6_j, .Lfunc_end67-_ZN2at6native6mbtopk29computeBlockwiseWithinKCountsImdEEvPT_PsPjjibS6_PT0_S6_S4_S6_j
                                        ; -- End function
	.set _ZN2at6native6mbtopk29computeBlockwiseWithinKCountsImdEEvPT_PsPjjibS6_PT0_S6_S4_S6_j.num_vgpr, 16
	.set _ZN2at6native6mbtopk29computeBlockwiseWithinKCountsImdEEvPT_PsPjjibS6_PT0_S6_S4_S6_j.num_agpr, 0
	.set _ZN2at6native6mbtopk29computeBlockwiseWithinKCountsImdEEvPT_PsPjjibS6_PT0_S6_S4_S6_j.numbered_sgpr, 27
	.set _ZN2at6native6mbtopk29computeBlockwiseWithinKCountsImdEEvPT_PsPjjibS6_PT0_S6_S4_S6_j.num_named_barrier, 0
	.set _ZN2at6native6mbtopk29computeBlockwiseWithinKCountsImdEEvPT_PsPjjibS6_PT0_S6_S4_S6_j.private_seg_size, 0
	.set _ZN2at6native6mbtopk29computeBlockwiseWithinKCountsImdEEvPT_PsPjjibS6_PT0_S6_S4_S6_j.uses_vcc, 1
	.set _ZN2at6native6mbtopk29computeBlockwiseWithinKCountsImdEEvPT_PsPjjibS6_PT0_S6_S4_S6_j.uses_flat_scratch, 0
	.set _ZN2at6native6mbtopk29computeBlockwiseWithinKCountsImdEEvPT_PsPjjibS6_PT0_S6_S4_S6_j.has_dyn_sized_stack, 0
	.set _ZN2at6native6mbtopk29computeBlockwiseWithinKCountsImdEEvPT_PsPjjibS6_PT0_S6_S4_S6_j.has_recursion, 0
	.set _ZN2at6native6mbtopk29computeBlockwiseWithinKCountsImdEEvPT_PsPjjibS6_PT0_S6_S4_S6_j.has_indirect_call, 0
	.section	.AMDGPU.csdata,"",@progbits
; Kernel info:
; codeLenInByte = 2776
; TotalNumSgprs: 29
; NumVgprs: 16
; ScratchSize: 0
; MemoryBound: 0
; FloatMode: 240
; IeeeMode: 1
; LDSByteSize: 2120 bytes/workgroup (compile time only)
; SGPRBlocks: 0
; VGPRBlocks: 0
; NumSGPRsForWavesPerEU: 29
; NumVGPRsForWavesPerEU: 16
; NamedBarCnt: 0
; Occupancy: 16
; WaveLimiterHint : 1
; COMPUTE_PGM_RSRC2:SCRATCH_EN: 0
; COMPUTE_PGM_RSRC2:USER_SGPR: 2
; COMPUTE_PGM_RSRC2:TRAP_HANDLER: 0
; COMPUTE_PGM_RSRC2:TGID_X_EN: 1
; COMPUTE_PGM_RSRC2:TGID_Y_EN: 1
; COMPUTE_PGM_RSRC2:TGID_Z_EN: 1
; COMPUTE_PGM_RSRC2:TIDIG_COMP_CNT: 0
	.section	.text._ZN2at6native6mbtopk10gatherTopKIdjLi1EEEvNS_4cuda6detail10TensorInfoIKT_T0_EES8_S8_bjS8_NS5_IS6_S8_EES8_NS5_IlS8_EES8_jjPS6_PjSD_j,"axG",@progbits,_ZN2at6native6mbtopk10gatherTopKIdjLi1EEEvNS_4cuda6detail10TensorInfoIKT_T0_EES8_S8_bjS8_NS5_IS6_S8_EES8_NS5_IlS8_EES8_jjPS6_PjSD_j,comdat
	.protected	_ZN2at6native6mbtopk10gatherTopKIdjLi1EEEvNS_4cuda6detail10TensorInfoIKT_T0_EES8_S8_bjS8_NS5_IS6_S8_EES8_NS5_IlS8_EES8_jjPS6_PjSD_j ; -- Begin function _ZN2at6native6mbtopk10gatherTopKIdjLi1EEEvNS_4cuda6detail10TensorInfoIKT_T0_EES8_S8_bjS8_NS5_IS6_S8_EES8_NS5_IlS8_EES8_jjPS6_PjSD_j
	.globl	_ZN2at6native6mbtopk10gatherTopKIdjLi1EEEvNS_4cuda6detail10TensorInfoIKT_T0_EES8_S8_bjS8_NS5_IS6_S8_EES8_NS5_IlS8_EES8_jjPS6_PjSD_j
	.p2align	8
	.type	_ZN2at6native6mbtopk10gatherTopKIdjLi1EEEvNS_4cuda6detail10TensorInfoIKT_T0_EES8_S8_bjS8_NS5_IS6_S8_EES8_NS5_IlS8_EES8_jjPS6_PjSD_j,@function
_ZN2at6native6mbtopk10gatherTopKIdjLi1EEEvNS_4cuda6detail10TensorInfoIKT_T0_EES8_S8_bjS8_NS5_IS6_S8_EES8_NS5_IlS8_EES8_jjPS6_PjSD_j: ; @_ZN2at6native6mbtopk10gatherTopKIdjLi1EEEvNS_4cuda6detail10TensorInfoIKT_T0_EES8_S8_bjS8_NS5_IS6_S8_EES8_NS5_IlS8_EES8_jjPS6_PjSD_j
; %bb.0:
	s_bfe_u32 s2, ttmp6, 0x40010
	s_and_b32 s4, ttmp7, 0xffff
	s_add_co_i32 s5, s2, 1
	s_clause 0x1
	s_load_b32 s6, s[0:1], 0x2d0
	s_load_b64 s[2:3], s[0:1], 0x2d8
	s_bfe_u32 s8, ttmp6, 0x4000c
	s_mul_i32 s5, s4, s5
	s_bfe_u32 s7, ttmp6, 0x40004
	s_add_co_i32 s8, s8, 1
	s_bfe_u32 s9, ttmp6, 0x40014
	s_add_co_i32 s7, s7, s5
	s_and_b32 s5, ttmp6, 15
	s_mul_i32 s8, ttmp9, s8
	s_lshr_b32 s10, ttmp7, 16
	s_add_co_i32 s9, s9, 1
	s_add_co_i32 s5, s5, s8
	s_mul_i32 s8, s10, s9
	s_bfe_u32 s9, ttmp6, 0x40008
	s_getreg_b32 s11, hwreg(HW_REG_IB_STS2, 6, 4)
	s_add_co_i32 s9, s9, s8
	s_cmp_eq_u32 s11, 0
	s_cselect_b32 s8, s10, s9
	s_cselect_b32 s4, s4, s7
	s_wait_kmcnt 0x0
	s_mul_i32 s3, s3, s8
	s_cselect_b32 s5, ttmp9, s5
	s_add_co_i32 s3, s3, s4
	s_delay_alu instid0(SALU_CYCLE_1) | instskip(NEXT) | instid1(SALU_CYCLE_1)
	s_mul_i32 s8, s3, s2
	s_add_co_i32 s8, s8, s5
	s_delay_alu instid0(SALU_CYCLE_1)
	s_cmp_ge_u32 s8, s6
	s_cbranch_scc1 .LBB68_40
; %bb.1:
	s_clause 0x1
	s_load_b96 s[12:14], s[0:1], 0x2a8
	s_load_b128 s[4:7], s[0:1], 0x2b8
	s_wait_kmcnt 0x0
	s_cvt_f32_u32 s2, s14
	s_sub_co_i32 s3, 0, s14
	s_delay_alu instid0(SALU_CYCLE_2) | instskip(SKIP_1) | instid1(TRANS32_DEP_1)
	v_rcp_iflag_f32_e32 v1, s2
	v_nop
	v_readfirstlane_b32 s2, v1
	s_mul_f32 s2, s2, 0x4f7ffffe
	s_delay_alu instid0(SALU_CYCLE_3) | instskip(NEXT) | instid1(SALU_CYCLE_3)
	s_cvt_u32_f32 s2, s2
	s_mul_i32 s3, s3, s2
	s_delay_alu instid0(SALU_CYCLE_1) | instskip(NEXT) | instid1(SALU_CYCLE_1)
	s_mul_hi_u32 s3, s2, s3
	s_add_co_i32 s2, s2, s3
	s_delay_alu instid0(SALU_CYCLE_1) | instskip(NEXT) | instid1(SALU_CYCLE_1)
	s_mul_hi_u32 s2, s8, s2
	s_mul_i32 s3, s2, s14
	s_add_co_i32 s9, s2, 1
	s_sub_co_i32 s3, s8, s3
	s_delay_alu instid0(SALU_CYCLE_1)
	s_sub_co_i32 s10, s3, s14
	s_cmp_ge_u32 s3, s14
	s_cselect_b32 s2, s9, s2
	s_cselect_b32 s3, s10, s3
	s_add_co_i32 s9, s2, 1
	s_cmp_ge_u32 s3, s14
	v_cmp_eq_u32_e64 s3, 0, v0
	s_cselect_b32 s15, s9, s2
	v_cmp_ne_u32_e64 s2, 0, v0
	s_load_b64 s[16:17], s[4:5], s15 offset:0x0 scale_offset
	s_wait_xcnt 0x0
	s_mul_i32 s4, s15, s14
	s_delay_alu instid0(SALU_CYCLE_1)
	s_sub_co_i32 s26, s8, s4
	s_and_saveexec_b32 s27, s3
	s_cbranch_execz .LBB68_17
; %bb.2:
	s_load_b64 s[20:21], s[0:1], 0x2c8
	s_mov_b32 s5, 0
	s_delay_alu instid0(SALU_CYCLE_1)
	s_lshl_b64 s[22:23], s[4:5], 2
	s_cmp_lt_u32 s14, 4
	s_cbranch_scc1 .LBB68_14
; %bb.3:
	s_mov_b64 s[18:19], 0
	s_mov_b32 s4, 0
.LBB68_4:                               ; =>This Inner Loop Header: Depth=1
	s_add_nc_u64 s[24:25], s[6:7], s[22:23]
	s_cmp_ge_u32 s4, s26
	s_load_b128 s[8:11], s[24:25], 0x0
	s_wait_kmcnt 0x0
	s_add_nc_u64 s[24:25], s[20:21], s[22:23]
	s_cbranch_scc0 .LBB68_11
; %bb.5:                                ;   in Loop: Header=BB68_4 Depth=1
	s_add_co_i32 s28, s4, 1
	s_delay_alu instid0(SALU_CYCLE_1)
	s_cmp_ge_u32 s28, s26
	s_cbranch_scc0 .LBB68_12
.LBB68_6:                               ;   in Loop: Header=BB68_4 Depth=1
	s_add_co_i32 s28, s28, 1
	s_delay_alu instid0(SALU_CYCLE_1)
	s_cmp_ge_u32 s28, s26
	s_cbranch_scc0 .LBB68_13
.LBB68_7:                               ;   in Loop: Header=BB68_4 Depth=1
	s_add_co_i32 s28, s28, 1
	s_delay_alu instid0(SALU_CYCLE_1)
	s_cmp_ge_u32 s28, s26
	s_cbranch_scc1 .LBB68_9
.LBB68_8:                               ;   in Loop: Header=BB68_4 Depth=1
	s_load_b32 s24, s[24:25], 0xc
	s_add_co_i32 s19, s11, s19
	s_wait_kmcnt 0x0
	s_add_co_i32 s18, s24, s18
.LBB68_9:                               ;   in Loop: Header=BB68_4 Depth=1
	s_add_co_i32 s5, s8, s5
	s_add_co_i32 s8, s28, 1
	;; [unrolled: 1-line block ×5, first 2 shown]
	s_add_nc_u64 s[6:7], s[6:7], 16
	s_add_co_i32 s5, s5, s11
	s_cmp_ge_u32 s9, s14
	s_add_nc_u64 s[20:21], s[20:21], 16
	s_cbranch_scc1 .LBB68_15
; %bb.10:                               ;   in Loop: Header=BB68_4 Depth=1
	s_mov_b32 s4, s8
	s_branch .LBB68_4
.LBB68_11:                              ;   in Loop: Header=BB68_4 Depth=1
	s_load_b32 s28, s[24:25], 0x0
	s_add_co_i32 s19, s8, s19
	s_wait_kmcnt 0x0
	s_add_co_i32 s18, s28, s18
	s_add_co_i32 s28, s4, 1
	s_delay_alu instid0(SALU_CYCLE_1)
	s_cmp_ge_u32 s28, s26
	s_cbranch_scc1 .LBB68_6
.LBB68_12:                              ;   in Loop: Header=BB68_4 Depth=1
	s_load_b32 s29, s[24:25], 0x4
	s_add_co_i32 s19, s9, s19
	s_wait_kmcnt 0x0
	s_add_co_i32 s18, s29, s18
	s_add_co_i32 s28, s28, 1
	s_delay_alu instid0(SALU_CYCLE_1)
	s_cmp_ge_u32 s28, s26
	s_cbranch_scc1 .LBB68_7
.LBB68_13:                              ;   in Loop: Header=BB68_4 Depth=1
	s_load_b32 s29, s[24:25], 0x8
	s_add_co_i32 s19, s10, s19
	s_wait_kmcnt 0x0
	s_add_co_i32 s18, s29, s18
	s_add_co_i32 s28, s28, 1
	s_delay_alu instid0(SALU_CYCLE_1)
	s_cmp_ge_u32 s28, s26
	s_cbranch_scc0 .LBB68_8
	s_branch .LBB68_9
.LBB68_14:
	s_mov_b64 s[18:19], 0
	s_add_nc_u64 s[6:7], s[6:7], s[22:23]
	s_wait_kmcnt 0x0
	s_add_nc_u64 s[8:9], s[20:21], s[22:23]
	s_mov_b32 s4, 0
	s_delay_alu instid0(SALU_CYCLE_1)
	s_cmp_ge_u32 s4, s14
	s_cbranch_scc0 .LBB68_38
	s_branch .LBB68_16
.LBB68_15:
	s_add_co_i32 s4, s4, 4
	s_add_nc_u64 s[8:9], s[20:21], s[22:23]
	s_add_nc_u64 s[6:7], s[6:7], s[22:23]
	s_cmp_ge_u32 s4, s14
	s_cbranch_scc0 .LBB68_38
.LBB68_16:
	v_dual_mov_b32 v2, s18 :: v_dual_mov_b32 v3, s5
	v_dual_mov_b32 v4, s19 :: v_dual_mov_b32 v1, 0
	ds_store_b96 v1, v[2:4] offset:1056
.LBB68_17:
	s_or_b32 exec_lo, exec_lo, s27
	s_clause 0x6
	s_load_b32 s22, s[0:1], 0x23c
	s_load_b64 s[18:19], s[0:1], 0x1d0
	s_load_b32 s23, s[0:1], 0x15c
	s_load_b64 s[10:11], s[0:1], 0xf0
	;; [unrolled: 2-line block ×3, first 2 shown]
	s_load_b96 s[4:6], s[0:1], 0xd8
	s_mul_i32 s7, s13, s26
	s_mov_b32 s21, 0
	s_lshl_b32 s7, s7, 8
	s_wait_dscnt 0x0
	s_barrier_signal -1
	s_barrier_wait -1
	s_wait_kmcnt 0x0
	s_sub_co_i32 s20, s4, s7
	s_delay_alu instid0(SALU_CYCLE_1) | instskip(SKIP_4) | instid1(SALU_CYCLE_1)
	s_add_nc_u64 s[28:29], s[20:21], 0xff
	s_add_co_i32 s20, s26, 1
	s_lshr_b64 s[26:27], s[28:29], 8
	s_cmp_lt_u32 s20, s14
	s_cselect_b32 s13, s13, s26
	s_cmp_eq_u32 s13, 0
	s_cbranch_scc1 .LBB68_40
; %bb.18:
	v_cmp_o_f64_e64 s28, s[16:17], s[16:17]
	v_dual_mov_b32 v7, 0 :: v_dual_lshrrev_b32 v1, 3, v0
	s_mul_i32 s20, s15, s24
	s_mul_i32 s14, s15, s23
	s_mul_i32 s24, s15, s22
	ds_load_b96 v[2:4], v7 offset:1056
	s_clause 0x1
	s_load_b32 s23, s[0:1], 0xe8
	s_load_b32 s22, s[0:1], 0x1c8
	v_dual_lshlrev_b32 v11, 5, v0 :: v_dual_add_nc_u32 v9, -1, v0
	v_dual_add_nc_u32 v6, s7, v0 :: v_dual_bitop2_b32 v1, 28, v1 bitop3:0x40
	s_ashr_i32 s26, s17, 31
	s_wait_xcnt 0x0
	s_lshl_b64 s[0:1], s[20:21], 3
	v_lshrrev_b32_e32 v12, 3, v9
	s_mov_b32 s27, s26
	v_and_b32_e32 v10, 0xfc, v0
	v_mbcnt_lo_u32_b32 v5, -1, 0
	v_lshl_add_u32 v8, v0, 2, v1
	s_mov_b32 s15, s21
	s_mov_b32 s25, s21
	s_add_nc_u64 s[8:9], s[8:9], s[0:1]
	s_or_b64 s[0:1], s[26:27], 0x8000000000000000
	s_lshl_b64 s[14:15], s[14:15], 3
	s_lshl_b64 s[20:21], s[24:25], 3
	s_xor_b64 s[0:1], s[0:1], s[16:17]
	s_wait_dscnt 0x0
	v_add_nc_u32_e32 v2, v2, v3
	s_wait_kmcnt 0x0
	v_mul_lo_u32 v3, s23, v6
	v_and_b32_e32 v1, 0x1ffffffc, v12
	s_add_nc_u64 s[10:11], s[10:11], s[14:15]
	v_dual_add_nc_u32 v10, v10, v11 :: v_dual_bitop2_b32 v11, 15, v5 bitop3:0x40
	s_and_b32 s7, s28, exec_lo
	s_cselect_b32 s14, s0, -1
	v_cmp_gt_u32_e64 s0, 32, v0
	v_lshl_add_u32 v9, v9, 2, v1
	v_bfe_i32 v12, v5, 4, 1
	v_add_nc_u32_e32 v13, -1, v5
	s_cselect_b32 s15, s1, -1
	s_bitcmp1_b32 s6, 0
	s_add_nc_u64 s[6:7], s[18:19], s[20:21]
	s_cselect_b32 s1, -1, 0
	s_lshl_b32 s16, s23, 8
                                        ; implicit-def: $vgpr0_vgpr1
	s_branch .LBB68_21
.LBB68_19:                              ;   in Loop: Header=BB68_21 Depth=1
	s_wait_xcnt 0x0
	s_or_b32 exec_lo, exec_lo, s17
	v_add_nc_u32_e32 v2, v16, v2
.LBB68_20:                              ;   in Loop: Header=BB68_21 Depth=1
	v_dual_add_nc_u32 v4, v15, v4 :: v_dual_add_nc_u32 v3, s16, v3
	v_add_nc_u32_e32 v6, 0x100, v6
	s_add_co_i32 s13, s13, -1
	s_delay_alu instid0(SALU_CYCLE_1)
	s_cmp_lg_u32 s13, 0
	s_cbranch_scc0 .LBB68_40
.LBB68_21:                              ; =>This Inner Loop Header: Depth=1
	v_dual_mov_b32 v16, 0 :: v_dual_mov_b32 v14, 0
	s_mov_b32 s17, exec_lo
	v_cmpx_gt_u32_e64 s4, v6
	s_cbranch_execz .LBB68_23
; %bb.22:                               ;   in Loop: Header=BB68_21 Depth=1
	global_load_b64 v[0:1], v3, s[8:9] scale_offset
	s_wait_loadcnt 0x0
	v_cmp_o_f64_e32 vcc_lo, v[0:1], v[0:1]
	v_ashrrev_i32_e32 v14, 31, v1
	s_delay_alu instid0(VALU_DEP_1) | instskip(NEXT) | instid1(VALU_DEP_1)
	v_or_b32_e32 v15, 0x80000000, v14
	v_xor_b32_e32 v15, v15, v1
	s_delay_alu instid0(VALU_DEP_1) | instskip(NEXT) | instid1(VALU_DEP_1)
	v_dual_cndmask_b32 v15, -1, v15, vcc_lo :: v_dual_bitop2_b32 v14, v14, v0 bitop3:0x14
	v_cndmask_b32_e32 v14, -1, v14, vcc_lo
	s_delay_alu instid0(VALU_DEP_1) | instskip(SKIP_3) | instid1(VALU_DEP_1)
	v_cmp_lt_u64_e32 vcc_lo, s[14:15], v[14:15]
	v_cndmask_b32_e64 v16, 0, 1, vcc_lo
	v_cmp_gt_u64_e32 vcc_lo, s[14:15], v[14:15]
	v_cndmask_b32_e64 v17, 0, 1, vcc_lo
	v_cndmask_b32_e64 v16, v17, v16, s1
	v_cmp_eq_u64_e32 vcc_lo, s[14:15], v[14:15]
	s_delay_alu instid0(VALU_DEP_2)
	v_and_b32_e32 v16, 1, v16
	v_cndmask_b32_e64 v14, 0, 1, vcc_lo
.LBB68_23:                              ;   in Loop: Header=BB68_21 Depth=1
	s_wait_xcnt 0x0
	s_or_b32 exec_lo, exec_lo, s17
	ds_store_b32 v8, v16
	s_wait_dscnt 0x0
	s_barrier_signal -1
	s_barrier_wait -1
	s_and_saveexec_b32 s17, s0
	s_cbranch_execz .LBB68_25
; %bb.24:                               ;   in Loop: Header=BB68_21 Depth=1
	ds_load_2addr_b32 v[18:19], v10 offset1:1
	ds_load_2addr_b32 v[20:21], v10 offset0:2 offset1:3
	ds_load_2addr_b32 v[22:23], v10 offset0:4 offset1:5
	ds_load_2addr_b32 v[24:25], v10 offset0:6 offset1:7
	v_cmp_ne_u32_e32 vcc_lo, 0, v11
	; wave barrier
	s_wait_dscnt 0x3
	v_add_nc_u32_e32 v15, v19, v18
	s_wait_dscnt 0x2
	s_delay_alu instid0(VALU_DEP_1) | instskip(SKIP_1) | instid1(VALU_DEP_1)
	v_add3_u32 v15, v15, v20, v21
	s_wait_dscnt 0x1
	v_add3_u32 v15, v15, v22, v23
	s_wait_dscnt 0x0
	s_delay_alu instid0(VALU_DEP_1) | instskip(NEXT) | instid1(VALU_DEP_1)
	v_add3_u32 v15, v15, v24, v25
	v_mov_b32_dpp v17, v15 row_shr:1 row_mask:0xf bank_mask:0xf
	s_delay_alu instid0(VALU_DEP_1) | instskip(SKIP_1) | instid1(VALU_DEP_2)
	v_cndmask_b32_e32 v17, 0, v17, vcc_lo
	v_cmp_lt_u32_e32 vcc_lo, 1, v11
	v_add_nc_u32_e32 v15, v17, v15
	s_delay_alu instid0(VALU_DEP_1) | instskip(NEXT) | instid1(VALU_DEP_1)
	v_mov_b32_dpp v17, v15 row_shr:2 row_mask:0xf bank_mask:0xf
	v_cndmask_b32_e32 v17, 0, v17, vcc_lo
	v_cmp_lt_u32_e32 vcc_lo, 3, v11
	s_delay_alu instid0(VALU_DEP_2) | instskip(NEXT) | instid1(VALU_DEP_1)
	v_add_nc_u32_e32 v15, v15, v17
	v_mov_b32_dpp v17, v15 row_shr:4 row_mask:0xf bank_mask:0xf
	s_delay_alu instid0(VALU_DEP_1) | instskip(SKIP_1) | instid1(VALU_DEP_2)
	v_cndmask_b32_e32 v17, 0, v17, vcc_lo
	v_cmp_lt_u32_e32 vcc_lo, 7, v11
	v_add_nc_u32_e32 v15, v15, v17
	s_delay_alu instid0(VALU_DEP_1) | instskip(NEXT) | instid1(VALU_DEP_1)
	v_mov_b32_dpp v17, v15 row_shr:8 row_mask:0xf bank_mask:0xf
	v_cndmask_b32_e32 v17, 0, v17, vcc_lo
	v_cmp_gt_i32_e32 vcc_lo, 0, v13
	s_delay_alu instid0(VALU_DEP_2) | instskip(SKIP_4) | instid1(VALU_DEP_1)
	v_add_nc_u32_e32 v15, v15, v17
	v_cndmask_b32_e32 v19, v13, v5, vcc_lo
	ds_swizzle_b32 v17, v15 offset:swizzle(BROADCAST,32,15)
	s_wait_dscnt 0x0
	v_dual_lshlrev_b32 v19, 2, v19 :: v_dual_bitop2_b32 v17, v12, v17 bitop3:0x40
	v_add_nc_u32_e32 v15, v15, v17
	ds_bpermute_b32 v15, v19, v15
	s_wait_dscnt 0x0
	v_add_nc_u32_e32 v15, v15, v18
	s_delay_alu instid0(VALU_DEP_1)
	v_cndmask_b32_e64 v15, v15, v16, s3
	ds_store_b32 v10, v15
	; wave barrier
	ds_load_2addr_b32 v[18:19], v10 offset0:1 offset1:2
	ds_load_2addr_b32 v[20:21], v10 offset0:3 offset1:4
	;; [unrolled: 1-line block ×3, first 2 shown]
	ds_load_b32 v17, v10 offset:28
	s_wait_dscnt 0x3
	v_add_nc_u32_e32 v15, v18, v15
	s_delay_alu instid0(VALU_DEP_1) | instskip(SKIP_1) | instid1(VALU_DEP_1)
	v_add_nc_u32_e32 v18, v19, v15
	s_wait_dscnt 0x2
	v_add_nc_u32_e32 v19, v20, v18
	s_delay_alu instid0(VALU_DEP_1) | instskip(SKIP_1) | instid1(VALU_DEP_1)
	v_add_nc_u32_e32 v20, v21, v19
	;; [unrolled: 4-line block ×3, first 2 shown]
	s_wait_dscnt 0x0
	v_add_nc_u32_e32 v17, v17, v22
	ds_store_2addr_b32 v10, v15, v18 offset0:1 offset1:2
	ds_store_2addr_b32 v10, v19, v20 offset0:3 offset1:4
	;; [unrolled: 1-line block ×3, first 2 shown]
	ds_store_b32 v10, v17 offset:28
.LBB68_25:                              ;   in Loop: Header=BB68_21 Depth=1
	s_or_b32 exec_lo, exec_lo, s17
	v_mov_b32_e32 v17, 0
	s_wait_dscnt 0x0
	s_barrier_signal -1
	s_barrier_wait -1
	s_and_saveexec_b32 s17, s2
; %bb.26:                               ;   in Loop: Header=BB68_21 Depth=1
	ds_load_b32 v17, v9
; %bb.27:                               ;   in Loop: Header=BB68_21 Depth=1
	s_or_b32 exec_lo, exec_lo, s17
	ds_load_b32 v15, v7 offset:1048
	s_mov_b32 s17, exec_lo
	s_wait_dscnt 0x0
	s_barrier_signal -1
	s_barrier_wait -1
	v_cmpx_ne_u32_e32 0, v16
	s_cbranch_execz .LBB68_29
; %bb.28:                               ;   in Loop: Header=BB68_21 Depth=1
	v_add_nc_u32_e32 v16, v17, v4
	s_delay_alu instid0(VALU_DEP_1)
	v_mul_lo_u32 v17, v16, s22
	v_mul_lo_u32 v16, v16, s12
	global_store_b64 v17, v[0:1], s[10:11] scale_offset
	global_store_b64 v16, v[6:7], s[6:7] scale_offset
.LBB68_29:                              ;   in Loop: Header=BB68_21 Depth=1
	s_wait_xcnt 0x0
	s_or_b32 exec_lo, exec_lo, s17
	v_cmp_le_u32_e32 vcc_lo, s5, v2
	s_cbranch_vccnz .LBB68_20
; %bb.30:                               ;   in Loop: Header=BB68_21 Depth=1
	ds_store_b32 v8, v14
	s_wait_storecnt_dscnt 0x0
	s_barrier_signal -1
	s_barrier_wait -1
	s_and_saveexec_b32 s17, s0
	s_cbranch_execz .LBB68_32
; %bb.31:                               ;   in Loop: Header=BB68_21 Depth=1
	ds_load_2addr_b32 v[16:17], v10 offset1:1
	ds_load_2addr_b32 v[18:19], v10 offset0:2 offset1:3
	ds_load_2addr_b32 v[20:21], v10 offset0:4 offset1:5
	;; [unrolled: 1-line block ×3, first 2 shown]
	v_cmp_ne_u32_e32 vcc_lo, 0, v11
	; wave barrier
	s_wait_dscnt 0x3
	v_add_nc_u32_e32 v17, v17, v16
	s_wait_dscnt 0x2
	s_delay_alu instid0(VALU_DEP_1) | instskip(SKIP_1) | instid1(VALU_DEP_1)
	v_add3_u32 v17, v17, v18, v19
	s_wait_dscnt 0x1
	v_add3_u32 v17, v17, v20, v21
	s_wait_dscnt 0x0
	s_delay_alu instid0(VALU_DEP_1) | instskip(NEXT) | instid1(VALU_DEP_1)
	v_add3_u32 v17, v17, v22, v23
	v_mov_b32_dpp v18, v17 row_shr:1 row_mask:0xf bank_mask:0xf
	s_delay_alu instid0(VALU_DEP_1) | instskip(SKIP_1) | instid1(VALU_DEP_2)
	v_cndmask_b32_e32 v18, 0, v18, vcc_lo
	v_cmp_lt_u32_e32 vcc_lo, 1, v11
	v_add_nc_u32_e32 v17, v18, v17
	s_delay_alu instid0(VALU_DEP_1) | instskip(NEXT) | instid1(VALU_DEP_1)
	v_mov_b32_dpp v18, v17 row_shr:2 row_mask:0xf bank_mask:0xf
	v_cndmask_b32_e32 v18, 0, v18, vcc_lo
	v_cmp_lt_u32_e32 vcc_lo, 3, v11
	s_delay_alu instid0(VALU_DEP_2) | instskip(NEXT) | instid1(VALU_DEP_1)
	v_add_nc_u32_e32 v17, v17, v18
	v_mov_b32_dpp v18, v17 row_shr:4 row_mask:0xf bank_mask:0xf
	s_delay_alu instid0(VALU_DEP_1) | instskip(SKIP_1) | instid1(VALU_DEP_2)
	v_cndmask_b32_e32 v18, 0, v18, vcc_lo
	v_cmp_lt_u32_e32 vcc_lo, 7, v11
	v_add_nc_u32_e32 v17, v17, v18
	s_delay_alu instid0(VALU_DEP_1) | instskip(NEXT) | instid1(VALU_DEP_1)
	v_mov_b32_dpp v18, v17 row_shr:8 row_mask:0xf bank_mask:0xf
	v_cndmask_b32_e32 v18, 0, v18, vcc_lo
	v_cmp_gt_i32_e32 vcc_lo, 0, v13
	s_delay_alu instid0(VALU_DEP_2) | instskip(SKIP_4) | instid1(VALU_DEP_1)
	v_add_nc_u32_e32 v17, v17, v18
	v_cndmask_b32_e32 v19, v13, v5, vcc_lo
	ds_swizzle_b32 v18, v17 offset:swizzle(BROADCAST,32,15)
	s_wait_dscnt 0x0
	v_dual_lshlrev_b32 v19, 2, v19 :: v_dual_bitop2_b32 v18, v12, v18 bitop3:0x40
	v_add_nc_u32_e32 v17, v17, v18
	ds_bpermute_b32 v17, v19, v17
	s_wait_dscnt 0x0
	v_add_nc_u32_e32 v16, v17, v16
	s_delay_alu instid0(VALU_DEP_1)
	v_cndmask_b32_e64 v22, v16, v14, s3
	ds_store_b32 v10, v22
	; wave barrier
	ds_load_2addr_b32 v[16:17], v10 offset0:1 offset1:2
	ds_load_2addr_b32 v[18:19], v10 offset0:3 offset1:4
	;; [unrolled: 1-line block ×3, first 2 shown]
	ds_load_b32 v23, v10 offset:28
	s_wait_dscnt 0x3
	v_add_nc_u32_e32 v16, v16, v22
	s_delay_alu instid0(VALU_DEP_1) | instskip(SKIP_1) | instid1(VALU_DEP_1)
	v_add_nc_u32_e32 v17, v17, v16
	s_wait_dscnt 0x2
	v_add_nc_u32_e32 v18, v18, v17
	s_delay_alu instid0(VALU_DEP_1) | instskip(SKIP_1) | instid1(VALU_DEP_1)
	v_add_nc_u32_e32 v19, v19, v18
	;; [unrolled: 4-line block ×3, first 2 shown]
	s_wait_dscnt 0x0
	v_add_nc_u32_e32 v22, v23, v21
	ds_store_2addr_b32 v10, v16, v17 offset0:1 offset1:2
	ds_store_2addr_b32 v10, v18, v19 offset0:3 offset1:4
	;; [unrolled: 1-line block ×3, first 2 shown]
	ds_store_b32 v10, v22 offset:28
.LBB68_32:                              ;   in Loop: Header=BB68_21 Depth=1
	s_or_b32 exec_lo, exec_lo, s17
	v_mov_b32_e32 v17, 0
	s_wait_dscnt 0x0
	s_barrier_signal -1
	s_barrier_wait -1
	s_and_saveexec_b32 s17, s2
; %bb.33:                               ;   in Loop: Header=BB68_21 Depth=1
	ds_load_b32 v17, v9
; %bb.34:                               ;   in Loop: Header=BB68_21 Depth=1
	s_or_b32 exec_lo, exec_lo, s17
	ds_load_b32 v16, v7 offset:1048
	s_mov_b32 s17, exec_lo
	s_wait_dscnt 0x0
	s_barrier_signal -1
	s_barrier_wait -1
	v_cmpx_ne_u32_e32 0, v14
	s_cbranch_execz .LBB68_19
; %bb.35:                               ;   in Loop: Header=BB68_21 Depth=1
	v_add_nc_u32_e32 v14, v17, v2
	s_delay_alu instid0(VALU_DEP_1)
	v_cmp_gt_u32_e32 vcc_lo, s5, v14
	s_and_b32 exec_lo, exec_lo, vcc_lo
	s_cbranch_execz .LBB68_19
; %bb.36:                               ;   in Loop: Header=BB68_21 Depth=1
	v_mul_lo_u32 v17, v14, s22
	v_mul_lo_u32 v14, v14, s12
	global_store_b64 v17, v[0:1], s[10:11] scale_offset
	global_store_b64 v14, v[6:7], s[6:7] scale_offset
	s_branch .LBB68_19
.LBB68_37:                              ;   in Loop: Header=BB68_38 Depth=1
	s_add_co_i32 s4, s4, 1
	s_wait_kmcnt 0x0
	s_add_co_i32 s5, s10, s5
	s_add_nc_u64 s[6:7], s[6:7], 4
	s_cmp_lt_u32 s4, s14
	s_add_nc_u64 s[8:9], s[8:9], 4
	s_cbranch_scc0 .LBB68_16
.LBB68_38:                              ; =>This Inner Loop Header: Depth=1
	s_load_b32 s10, s[6:7], 0x0
	s_cmp_ge_u32 s4, s26
	s_cbranch_scc1 .LBB68_37
; %bb.39:                               ;   in Loop: Header=BB68_38 Depth=1
	s_load_b32 s11, s[8:9], 0x0
	s_wait_kmcnt 0x0
	s_add_co_i32 s19, s10, s19
	s_add_co_i32 s18, s11, s18
	s_branch .LBB68_37
.LBB68_40:
	s_endpgm
	.section	.rodata,"a",@progbits
	.p2align	6, 0x0
	.amdhsa_kernel _ZN2at6native6mbtopk10gatherTopKIdjLi1EEEvNS_4cuda6detail10TensorInfoIKT_T0_EES8_S8_bjS8_NS5_IS6_S8_EES8_NS5_IlS8_EES8_jjPS6_PjSD_j
		.amdhsa_group_segment_fixed_size 1068
		.amdhsa_private_segment_fixed_size 0
		.amdhsa_kernarg_size 984
		.amdhsa_user_sgpr_count 2
		.amdhsa_user_sgpr_dispatch_ptr 0
		.amdhsa_user_sgpr_queue_ptr 0
		.amdhsa_user_sgpr_kernarg_segment_ptr 1
		.amdhsa_user_sgpr_dispatch_id 0
		.amdhsa_user_sgpr_kernarg_preload_length 0
		.amdhsa_user_sgpr_kernarg_preload_offset 0
		.amdhsa_user_sgpr_private_segment_size 0
		.amdhsa_wavefront_size32 1
		.amdhsa_uses_dynamic_stack 0
		.amdhsa_enable_private_segment 0
		.amdhsa_system_sgpr_workgroup_id_x 1
		.amdhsa_system_sgpr_workgroup_id_y 1
		.amdhsa_system_sgpr_workgroup_id_z 1
		.amdhsa_system_sgpr_workgroup_info 0
		.amdhsa_system_vgpr_workitem_id 0
		.amdhsa_next_free_vgpr 26
		.amdhsa_next_free_sgpr 30
		.amdhsa_named_barrier_count 0
		.amdhsa_reserve_vcc 1
		.amdhsa_float_round_mode_32 0
		.amdhsa_float_round_mode_16_64 0
		.amdhsa_float_denorm_mode_32 3
		.amdhsa_float_denorm_mode_16_64 3
		.amdhsa_fp16_overflow 0
		.amdhsa_memory_ordered 1
		.amdhsa_forward_progress 1
		.amdhsa_inst_pref_size 20
		.amdhsa_round_robin_scheduling 0
		.amdhsa_exception_fp_ieee_invalid_op 0
		.amdhsa_exception_fp_denorm_src 0
		.amdhsa_exception_fp_ieee_div_zero 0
		.amdhsa_exception_fp_ieee_overflow 0
		.amdhsa_exception_fp_ieee_underflow 0
		.amdhsa_exception_fp_ieee_inexact 0
		.amdhsa_exception_int_div_zero 0
	.end_amdhsa_kernel
	.section	.text._ZN2at6native6mbtopk10gatherTopKIdjLi1EEEvNS_4cuda6detail10TensorInfoIKT_T0_EES8_S8_bjS8_NS5_IS6_S8_EES8_NS5_IlS8_EES8_jjPS6_PjSD_j,"axG",@progbits,_ZN2at6native6mbtopk10gatherTopKIdjLi1EEEvNS_4cuda6detail10TensorInfoIKT_T0_EES8_S8_bjS8_NS5_IS6_S8_EES8_NS5_IlS8_EES8_jjPS6_PjSD_j,comdat
.Lfunc_end68:
	.size	_ZN2at6native6mbtopk10gatherTopKIdjLi1EEEvNS_4cuda6detail10TensorInfoIKT_T0_EES8_S8_bjS8_NS5_IS6_S8_EES8_NS5_IlS8_EES8_jjPS6_PjSD_j, .Lfunc_end68-_ZN2at6native6mbtopk10gatherTopKIdjLi1EEEvNS_4cuda6detail10TensorInfoIKT_T0_EES8_S8_bjS8_NS5_IS6_S8_EES8_NS5_IlS8_EES8_jjPS6_PjSD_j
                                        ; -- End function
	.set _ZN2at6native6mbtopk10gatherTopKIdjLi1EEEvNS_4cuda6detail10TensorInfoIKT_T0_EES8_S8_bjS8_NS5_IS6_S8_EES8_NS5_IlS8_EES8_jjPS6_PjSD_j.num_vgpr, 26
	.set _ZN2at6native6mbtopk10gatherTopKIdjLi1EEEvNS_4cuda6detail10TensorInfoIKT_T0_EES8_S8_bjS8_NS5_IS6_S8_EES8_NS5_IlS8_EES8_jjPS6_PjSD_j.num_agpr, 0
	.set _ZN2at6native6mbtopk10gatherTopKIdjLi1EEEvNS_4cuda6detail10TensorInfoIKT_T0_EES8_S8_bjS8_NS5_IS6_S8_EES8_NS5_IlS8_EES8_jjPS6_PjSD_j.numbered_sgpr, 30
	.set _ZN2at6native6mbtopk10gatherTopKIdjLi1EEEvNS_4cuda6detail10TensorInfoIKT_T0_EES8_S8_bjS8_NS5_IS6_S8_EES8_NS5_IlS8_EES8_jjPS6_PjSD_j.num_named_barrier, 0
	.set _ZN2at6native6mbtopk10gatherTopKIdjLi1EEEvNS_4cuda6detail10TensorInfoIKT_T0_EES8_S8_bjS8_NS5_IS6_S8_EES8_NS5_IlS8_EES8_jjPS6_PjSD_j.private_seg_size, 0
	.set _ZN2at6native6mbtopk10gatherTopKIdjLi1EEEvNS_4cuda6detail10TensorInfoIKT_T0_EES8_S8_bjS8_NS5_IS6_S8_EES8_NS5_IlS8_EES8_jjPS6_PjSD_j.uses_vcc, 1
	.set _ZN2at6native6mbtopk10gatherTopKIdjLi1EEEvNS_4cuda6detail10TensorInfoIKT_T0_EES8_S8_bjS8_NS5_IS6_S8_EES8_NS5_IlS8_EES8_jjPS6_PjSD_j.uses_flat_scratch, 0
	.set _ZN2at6native6mbtopk10gatherTopKIdjLi1EEEvNS_4cuda6detail10TensorInfoIKT_T0_EES8_S8_bjS8_NS5_IS6_S8_EES8_NS5_IlS8_EES8_jjPS6_PjSD_j.has_dyn_sized_stack, 0
	.set _ZN2at6native6mbtopk10gatherTopKIdjLi1EEEvNS_4cuda6detail10TensorInfoIKT_T0_EES8_S8_bjS8_NS5_IS6_S8_EES8_NS5_IlS8_EES8_jjPS6_PjSD_j.has_recursion, 0
	.set _ZN2at6native6mbtopk10gatherTopKIdjLi1EEEvNS_4cuda6detail10TensorInfoIKT_T0_EES8_S8_bjS8_NS5_IS6_S8_EES8_NS5_IlS8_EES8_jjPS6_PjSD_j.has_indirect_call, 0
	.section	.AMDGPU.csdata,"",@progbits
; Kernel info:
; codeLenInByte = 2472
; TotalNumSgprs: 32
; NumVgprs: 26
; ScratchSize: 0
; MemoryBound: 0
; FloatMode: 240
; IeeeMode: 1
; LDSByteSize: 1068 bytes/workgroup (compile time only)
; SGPRBlocks: 0
; VGPRBlocks: 1
; NumSGPRsForWavesPerEU: 32
; NumVGPRsForWavesPerEU: 26
; NamedBarCnt: 0
; Occupancy: 16
; WaveLimiterHint : 1
; COMPUTE_PGM_RSRC2:SCRATCH_EN: 0
; COMPUTE_PGM_RSRC2:USER_SGPR: 2
; COMPUTE_PGM_RSRC2:TRAP_HANDLER: 0
; COMPUTE_PGM_RSRC2:TGID_X_EN: 1
; COMPUTE_PGM_RSRC2:TGID_Y_EN: 1
; COMPUTE_PGM_RSRC2:TGID_Z_EN: 1
; COMPUTE_PGM_RSRC2:TIDIG_COMP_CNT: 0
	.section	.text._ZN2at6native6sbtopk10gatherTopKIdjLi1ELb0EEEvNS_4cuda6detail10TensorInfoIKT_T0_EES8_S8_bS8_S8_NS5_IS6_S8_EES8_NS5_IlS8_EES8_PS6_,"axG",@progbits,_ZN2at6native6sbtopk10gatherTopKIdjLi1ELb0EEEvNS_4cuda6detail10TensorInfoIKT_T0_EES8_S8_bS8_S8_NS5_IS6_S8_EES8_NS5_IlS8_EES8_PS6_,comdat
	.protected	_ZN2at6native6sbtopk10gatherTopKIdjLi1ELb0EEEvNS_4cuda6detail10TensorInfoIKT_T0_EES8_S8_bS8_S8_NS5_IS6_S8_EES8_NS5_IlS8_EES8_PS6_ ; -- Begin function _ZN2at6native6sbtopk10gatherTopKIdjLi1ELb0EEEvNS_4cuda6detail10TensorInfoIKT_T0_EES8_S8_bS8_S8_NS5_IS6_S8_EES8_NS5_IlS8_EES8_PS6_
	.globl	_ZN2at6native6sbtopk10gatherTopKIdjLi1ELb0EEEvNS_4cuda6detail10TensorInfoIKT_T0_EES8_S8_bS8_S8_NS5_IS6_S8_EES8_NS5_IlS8_EES8_PS6_
	.p2align	8
	.type	_ZN2at6native6sbtopk10gatherTopKIdjLi1ELb0EEEvNS_4cuda6detail10TensorInfoIKT_T0_EES8_S8_bS8_S8_NS5_IS6_S8_EES8_NS5_IlS8_EES8_PS6_,@function
_ZN2at6native6sbtopk10gatherTopKIdjLi1ELb0EEEvNS_4cuda6detail10TensorInfoIKT_T0_EES8_S8_bS8_S8_NS5_IS6_S8_EES8_NS5_IlS8_EES8_PS6_: ; @_ZN2at6native6sbtopk10gatherTopKIdjLi1ELb0EEEvNS_4cuda6detail10TensorInfoIKT_T0_EES8_S8_bS8_S8_NS5_IS6_S8_EES8_NS5_IlS8_EES8_PS6_
; %bb.0:
	s_clause 0x1
	s_load_b128 s[36:39], s[0:1], 0xd8
	s_load_b64 s[4:5], s[0:1], 0x2b8
	s_bfe_u32 s2, ttmp6, 0x40010
	s_and_b32 s3, ttmp7, 0xffff
	s_add_co_i32 s2, s2, 1
	s_bfe_u32 s7, ttmp6, 0x4000c
	s_mul_i32 s2, s3, s2
	s_bfe_u32 s6, ttmp6, 0x40004
	s_add_co_i32 s7, s7, 1
	s_bfe_u32 s8, ttmp6, 0x40014
	s_add_co_i32 s6, s6, s2
	s_and_b32 s2, ttmp6, 15
	s_mul_i32 s7, ttmp9, s7
	s_lshr_b32 s9, ttmp7, 16
	s_add_co_i32 s8, s8, 1
	s_add_co_i32 s2, s2, s7
	s_mul_i32 s7, s9, s8
	s_bfe_u32 s8, ttmp6, 0x40008
	s_getreg_b32 s10, hwreg(HW_REG_IB_STS2, 6, 4)
	s_add_co_i32 s8, s8, s7
	s_cmp_eq_u32 s10, 0
	s_cselect_b32 s7, s9, s8
	s_cselect_b32 s3, s3, s6
	s_wait_kmcnt 0x0
	s_mul_i32 s5, s5, s7
	s_cselect_b32 s8, ttmp9, s2
	s_add_co_i32 s2, s5, s3
	s_delay_alu instid0(SALU_CYCLE_1) | instskip(NEXT) | instid1(SALU_CYCLE_1)
	s_mul_i32 s54, s2, s4
	s_add_co_i32 s54, s54, s8
	s_delay_alu instid0(SALU_CYCLE_1)
	s_cmp_ge_u32 s54, s39
	s_cbranch_scc1 .LBB69_415
; %bb.1:
	s_clause 0x2
	s_load_b32 s53, s[0:1], 0xe8
	s_load_b32 s2, s[0:1], 0x6c
	s_load_b64 s[6:7], s[0:1], 0x0
	v_cmp_eq_u32_e64 s5, 0, v0
	s_add_nc_u64 s[10:11], s[0:1], 0x2b8
	s_and_saveexec_b32 s3, s5
; %bb.2:
	v_dual_mov_b32 v2, 0 :: v_dual_mov_b32 v3, s36
	s_delay_alu instid0(VALU_DEP_1)
	v_mov_b32_e32 v4, v2
	ds_store_b96 v2, v[2:4] offset:4096
; %bb.3:
	s_or_b32 exec_lo, exec_lo, s3
	s_wait_dscnt 0x0
	s_barrier_signal -1
	s_barrier_wait -1
	s_load_b32 s9, s[10:11], 0xc
	v_mbcnt_lo_u32_b32 v1, -1, 0
	s_wait_kmcnt 0x0
	s_mul_i32 s40, s2, s54
	s_mov_b32 s41, 0
	v_cmp_gt_u32_e32 vcc_lo, 32, v0
	s_lshl_b64 s[12:13], s[40:41], 3
	v_cmp_gt_i32_e64 s2, 4, v1
	s_bitcmp1_b32 s38, 0
	s_add_nc_u64 s[30:31], s[6:7], s[12:13]
	s_cselect_b32 s3, -1, 0
	v_mul_lo_u32 v20, s53, v0
	s_xor_b32 s57, s3, -1
	s_and_b32 s58, vcc_lo, s2
	v_dual_lshlrev_b32 v17, 2, v0 :: v_dual_mov_b32 v23, 0
	s_clause 0x3
	s_load_b32 s55, s[0:1], 0x23c
	s_load_b64 s[34:35], s[0:1], 0x1d0
	s_load_b32 s56, s[0:1], 0x15c
	s_load_b64 s[38:39], s[0:1], 0xf0
	v_lshlrev_b32_e32 v40, 5, v0
	v_mov_b64_e32 v[28:29], 0
	v_or_b32_e32 v4, 3, v17
	v_mad_u32 v35, s53, v17, s53
	s_and_b32 s33, s9, 0xffff
	v_mov_b64_e32 v[6:7], 0
	s_lshl_b32 s59, s33, 2
	s_cmp_gt_u32 s36, 0x180
	s_cvt_f32_u32 s2, s59
	s_cselect_b32 s60, -1, 0
	s_cmp_gt_u32 s33, 31
	s_cvt_f32_u32 s7, s33
	s_cselect_b32 s61, -1, 0
	s_add_co_i32 s62, s33, -1
	v_rcp_iflag_f32_e32 v2, s2
	s_add_co_i32 s14, s62, s36
	s_cmp_lt_u32 s8, s4
	v_mul_lo_u32 v37, s53, v4
	s_cselect_b32 s40, 12, 18
	s_bfe_u32 s63, s9, 0xb0005
	v_mov_b64_e32 v[26:27], 0
	s_add_co_i32 s4, s63, -2
	v_mov_b64_e32 v[30:31], 0
	s_lshr_b32 s6, s4, 1
	v_cmp_eq_u32_e64 s2, 0, v1
	s_add_co_i32 s6, s6, 1
	s_cmp_gt_u32 s33, 63
	v_lshl_or_b32 v41, v1, 2, 0xc00
	s_cselect_b32 s64, -1, 0
	s_and_b32 s65, s63, 0x7fe
	s_and_b32 s66, s6, 7
	s_cmp_gt_u32 s4, 13
	v_readfirstlane_b32 s4, v2
	s_cselect_b32 s67, -1, 0
	s_and_b32 s68, s6, -8
	s_cmp_lg_u32 s66, 0
	v_rcp_iflag_f32_e32 v2, s7
	s_mul_f32 s4, s4, 0x4f7ffffe
	s_cselect_b32 s69, -1, 0
	s_cmp_lg_u32 s65, s63
	v_lshlrev_b32_e32 v38, 2, v20
	s_cvt_u32_f32 s6, s4
	s_cselect_b32 s70, -1, 0
	s_sub_co_i32 s4, 0, s59
	v_mov_b32_e32 v42, s37
	s_mul_i32 s4, s4, s6
	s_mul_i32 s52, s53, s33
	s_mul_hi_u32 s8, s6, s4
	v_cmp_gt_u32_e64 s4, s36, v0
	s_add_co_i32 s42, s6, s8
	v_readfirstlane_b32 s8, v2
	s_mul_hi_u32 s7, s36, s42
	v_lshlrev_b64_e64 v[2:3], v1, -1
	s_mul_i32 s7, s7, s59
	v_or_b32_e32 v3, 2, v17
	s_sub_co_i32 s7, s36, s7
	s_mul_f32 s8, s8, 0x4f7ffffe
	s_sub_co_i32 s9, s7, s59
	s_cmp_ge_u32 s7, s59
	v_not_b32_e32 v16, v2
	s_cselect_b32 s7, s9, s7
	s_cvt_u32_f32 s8, s8
	s_sub_co_i32 s9, s7, s59
	s_cmp_ge_u32 s7, s59
	v_lshrrev_b32_e32 v2, 1, v0
	s_cselect_b32 s12, s9, s7
	s_sub_co_i32 s7, 0, s33
	s_sub_co_i32 s71, s36, s12
	s_delay_alu instid0(SALU_CYCLE_1) | instskip(SKIP_3) | instid1(VALU_DEP_2)
	v_dual_mov_b32 v21, v23 :: v_dual_add_nc_u32 v33, s71, v0
	s_mul_i32 s7, s7, s8
	v_mul_lo_u32 v36, s53, v3
	s_mul_hi_u32 s7, s8, s7
	v_lshl_add_u64 v[18:19], v[20:21], 3, s[30:31]
	v_lshlrev_b32_e32 v21, 3, v0
	s_add_co_i32 s44, s8, s7
	s_movk_i32 s8, 0x1f0
	s_mul_hi_u32 s7, s14, s44
	v_and_or_b32 v34, v2, s8, 0xc00
	s_mul_i32 s7, s7, s33
	v_add3_u32 v2, s33, s36, v0
	s_sub_co_i32 s7, s14, s7
	v_mul_lo_u32 v22, v33, s53
	s_sub_co_i32 s8, s7, s33
	s_cmp_ge_u32 s7, s33
	v_subrev_nc_u32_e32 v2, s12, v2
	s_cselect_b32 s9, s8, s7
	v_cmp_gt_u32_e64 s6, 2, v0
	s_sub_co_i32 s13, s9, s33
	s_cmp_ge_u32 s9, s33
	v_mul_lo_u32 v39, s53, v2
	s_cselect_b32 s9, s13, s9
	v_add_nc_u32_e32 v32, 0xc00, v21
	s_sub_co_i32 s72, s14, s9
	v_cmp_gt_u32_e64 s7, s71, v17
	v_cmp_gt_u32_e64 s8, s36, v33
	v_lshl_add_u64 v[24:25], v[22:23], 3, s[30:31]
	v_cmp_gt_u32_e64 s9, s72, v0
	v_mov_b32_e32 v3, 0x3ff00000
	s_mov_b32 s43, s41
	s_mov_b32 s45, s41
	s_lshl_b32 s73, s52, 2
	s_lshl_b32 s74, s33, 5
	;; [unrolled: 1-line block ×3, first 2 shown]
	s_mov_b32 s76, 62
	s_add_nc_u64 s[46:47], s[10:11], s[40:41]
	s_mov_b32 s77, 0
	s_mov_b32 s79, 0
                                        ; implicit-def: $sgpr78
                                        ; implicit-def: $sgpr82
                                        ; implicit-def: $sgpr81
                                        ; implicit-def: $sgpr83
                                        ; implicit-def: $sgpr80
                                        ; implicit-def: $sgpr87
                                        ; implicit-def: $sgpr88
                                        ; implicit-def: $sgpr84
                                        ; implicit-def: $sgpr86
                                        ; implicit-def: $sgpr85
	s_branch .LBB69_6
.LBB69_4:                               ;   in Loop: Header=BB69_6 Depth=1
	s_or_b32 exec_lo, exec_lo, s13
	v_mov_b32_e32 v42, v43
	s_and_not1_b32 s13, s85, exec_lo
	s_and_b32 s12, s12, exec_lo
	s_and_not1_b32 s86, s86, exec_lo
	s_or_b32 s85, s13, s12
	s_and_not1_b32 s84, s84, exec_lo
	s_and_not1_b32 s88, s88, exec_lo
	;; [unrolled: 1-line block ×3, first 2 shown]
	s_or_not1_b32 s12, s11, exec_lo
.LBB69_5:                               ;   in Loop: Header=BB69_6 Depth=1
	s_or_b32 exec_lo, exec_lo, s10
	s_delay_alu instid0(SALU_CYCLE_1) | instskip(NEXT) | instid1(SALU_CYCLE_1)
	s_and_b32 s10, exec_lo, s12
	s_or_b32 s77, s10, s77
	s_and_not1_b32 s10, s80, exec_lo
	s_and_b32 s11, s85, exec_lo
	s_and_not1_b32 s12, s83, exec_lo
	s_or_b32 s80, s10, s11
	s_and_b32 s10, s86, exec_lo
	s_and_not1_b32 s11, s81, exec_lo
	s_and_b32 s13, s84, exec_lo
	s_or_b32 s83, s12, s10
	s_or_b32 s81, s11, s13
	s_and_not1_b32 s10, s82, exec_lo
	s_and_b32 s11, s88, exec_lo
	s_and_not1_b32 s12, s78, exec_lo
	s_and_b32 s13, s87, exec_lo
	s_or_b32 s82, s10, s11
	s_or_b32 s78, s12, s13
	s_and_not1_b32 exec_lo, exec_lo, s77
	s_cbranch_execz .LBB69_411
.LBB69_6:                               ; =>This Loop Header: Depth=1
                                        ;     Child Loop BB69_12 Depth 2
                                        ;     Child Loop BB69_25 Depth 2
	;; [unrolled: 1-line block ×25, first 2 shown]
	ds_load_b64 v[4:5], v23 offset:4096
	s_wait_dscnt 0x0
	v_readfirstlane_b32 s40, v4
	s_cmp_lg_u32 s40, 0
	s_cbranch_scc1 .LBB69_33
; %bb.7:                                ;   in Loop: Header=BB69_6 Depth=1
	s_and_b32 vcc_lo, exec_lo, s60
	s_cbranch_vccz .LBB69_20
; %bb.8:                                ;   in Loop: Header=BB69_6 Depth=1
	v_cmp_gt_u32_e32 vcc_lo, 0x181, v5
	s_mov_b32 s12, 0
	s_mov_b32 s10, 0
	s_cbranch_vccz .LBB69_21
; %bb.9:                                ;   in Loop: Header=BB69_6 Depth=1
	s_and_saveexec_b32 s13, s4
	s_cbranch_execz .LBB69_84
; %bb.10:                               ;   in Loop: Header=BB69_6 Depth=1
	global_load_b64 v[4:5], v[18:19], off
	s_load_u16 s14, s[46:47], 0x0
	s_mov_b32 s16, 0
	s_wait_kmcnt 0x0
	v_dual_mov_b32 v10, v0 :: v_dual_add_nc_u32 v2, s14, v0
	s_mul_i32 s15, s53, s14
	s_delay_alu instid0(VALU_DEP_1)
	v_mul_lo_u32 v2, s53, v2
	s_branch .LBB69_12
.LBB69_11:                              ;   in Loop: Header=BB69_12 Depth=2
	s_or_b32 exec_lo, exec_lo, s11
	v_mov_b64_e32 v[4:5], v[8:9]
	v_add_nc_u32_e32 v2, s15, v2
	s_and_not1_b32 exec_lo, exec_lo, s16
	s_cbranch_execz .LBB69_84
.LBB69_12:                              ;   Parent Loop BB69_6 Depth=1
                                        ; =>  This Inner Loop Header: Depth=2
	v_mov_b64_e32 v[8:9], 0
	v_add_nc_u32_e32 v10, s14, v10
	s_mov_b32 s11, exec_lo
	s_delay_alu instid0(VALU_DEP_1)
	v_cmp_le_u32_e32 vcc_lo, s36, v10
	v_cmpx_gt_u32_e64 s36, v10
	s_cbranch_execz .LBB69_14
; %bb.13:                               ;   in Loop: Header=BB69_12 Depth=2
	global_load_b64 v[8:9], v2, s[30:31] scale_offset
.LBB69_14:                              ;   in Loop: Header=BB69_12 Depth=2
	s_wait_xcnt 0x0
	s_or_b32 exec_lo, exec_lo, s11
	s_wait_loadcnt 0x0
	v_cmp_o_f64_e64 s10, v[4:5], v[4:5]
	s_wait_dscnt 0x0
	v_ashrrev_i32_e32 v11, 31, v5
	s_delay_alu instid0(VALU_DEP_1) | instskip(NEXT) | instid1(VALU_DEP_1)
	v_or_b32_e32 v12, 0x80000000, v11
	v_xor_b32_e32 v12, v12, v5
	v_xor_b32_e32 v11, v11, v4
	s_delay_alu instid0(VALU_DEP_1) | instskip(NEXT) | instid1(VALU_DEP_1)
	v_dual_cndmask_b32 v12, -1, v12, s10 :: v_dual_cndmask_b32 v11, -1, v11, s10
	v_and_b32_e32 v13, v12, v31
	s_delay_alu instid0(VALU_DEP_2) | instskip(NEXT) | instid1(VALU_DEP_1)
	v_dual_mov_b32 v11, 0 :: v_dual_bitop2_b32 v12, v11, v30 bitop3:0x40
	v_cmp_eq_u64_e64 s10, v[12:13], v[26:27]
	s_cmp_lg_u32 s10, 0
	s_cselect_b32 s11, -1, 0
	s_delay_alu instid0(SALU_CYCLE_1) | instskip(NEXT) | instid1(SALU_CYCLE_1)
	s_and_b32 s11, s2, s11
	s_and_saveexec_b32 s17, s11
	s_cbranch_execz .LBB69_18
; %bb.15:                               ;   in Loop: Header=BB69_12 Depth=2
	s_mov_b32 s20, exec_lo
	s_bcnt1_i32_b32 s18, s10
	v_mbcnt_lo_u32_b32 v11, s20, 0
	s_mov_b32 s19, exec_lo
                                        ; implicit-def: $vgpr12
	s_delay_alu instid0(VALU_DEP_1)
	v_cmpx_eq_u32_e32 0, v11
; %bb.16:                               ;   in Loop: Header=BB69_12 Depth=2
	s_bcnt1_i32_b32 s11, s20
	s_delay_alu instid0(SALU_CYCLE_1) | instskip(NEXT) | instid1(SALU_CYCLE_1)
	s_mul_i32 s11, s18, s11
	v_mov_b32_e32 v12, s11
	ds_add_rtn_u32 v12, v23, v12 offset:4104
; %bb.17:                               ;   in Loop: Header=BB69_12 Depth=2
	s_or_b32 exec_lo, exec_lo, s19
	s_wait_dscnt 0x0
	v_readfirstlane_b32 s11, v12
	s_delay_alu instid0(VALU_DEP_1)
	v_mad_u32_u24 v11, s18, v11, s11
.LBB69_18:                              ;   in Loop: Header=BB69_12 Depth=2
	s_or_b32 exec_lo, exec_lo, s17
	ds_bpermute_b32 v11, v23, v11
	s_and_b32 s11, exec_lo, vcc_lo
	s_delay_alu instid0(SALU_CYCLE_1)
	s_or_b32 s16, s11, s16
	s_and_saveexec_b32 s11, s10
	s_cbranch_execz .LBB69_11
; %bb.19:                               ;   in Loop: Header=BB69_12 Depth=2
	v_and_b32_e32 v12, s10, v16
	s_delay_alu instid0(VALU_DEP_1) | instskip(NEXT) | instid1(VALU_DEP_1)
	v_bcnt_u32_b32 v12, v12, 0
	v_lshlrev_b32_e32 v12, 3, v12
	s_wait_dscnt 0x0
	s_delay_alu instid0(VALU_DEP_1)
	v_lshl_add_u32 v11, v11, 3, v12
	ds_store_b64 v11, v[4:5]
	s_branch .LBB69_11
.LBB69_20:                              ;   in Loop: Header=BB69_6 Depth=1
	s_mov_b32 s12, -1
	s_mov_b32 s10, 0
.LBB69_21:                              ;   in Loop: Header=BB69_6 Depth=1
	s_and_b32 vcc_lo, exec_lo, s12
	s_cbranch_vccz .LBB69_31
.LBB69_22:                              ;   in Loop: Header=BB69_6 Depth=1
	s_and_saveexec_b32 s10, s4
	s_cbranch_execz .LBB69_28
; %bb.23:                               ;   in Loop: Header=BB69_6 Depth=1
	global_load_b64 v[4:5], v[18:19], off
	s_load_u16 s12, s[46:47], 0x0
	s_mov_b32 s11, exec_lo
	s_wait_kmcnt 0x0
	v_dual_mov_b32 v2, v0 :: v_dual_add_nc_u32 v8, s12, v0
	s_delay_alu instid0(VALU_DEP_1)
	v_cmpx_gt_u32_e64 s36, v8
	s_cbranch_execz .LBB69_27
; %bb.24:                               ;   in Loop: Header=BB69_6 Depth=1
	v_mul_lo_u32 v10, s53, v8
	v_dual_mov_b32 v11, v21 :: v_dual_mov_b32 v2, v0
	s_lshl_b32 s13, s12, 3
	s_mul_i32 s15, s53, s12
	s_mov_b32 s14, 0
.LBB69_25:                              ;   Parent Loop BB69_6 Depth=1
                                        ; =>  This Inner Loop Header: Depth=2
	global_load_b64 v[8:9], v10, s[30:31] scale_offset
	v_add_nc_u32_e32 v2, s12, v2
	s_wait_loadcnt 0x1
	ds_store_b64 v11, v[4:5]
	s_wait_xcnt 0x0
	v_dual_add_nc_u32 v11, s13, v11 :: v_dual_add_nc_u32 v10, s15, v10
	v_add_nc_u32_e32 v12, s12, v2
	s_delay_alu instid0(VALU_DEP_1)
	v_cmp_le_u32_e32 vcc_lo, s36, v12
	s_or_b32 s14, vcc_lo, s14
	s_wait_loadcnt 0x0
	v_mov_b64_e32 v[4:5], v[8:9]
	s_and_not1_b32 exec_lo, exec_lo, s14
	s_cbranch_execnz .LBB69_25
; %bb.26:                               ;   in Loop: Header=BB69_6 Depth=1
	s_or_b32 exec_lo, exec_lo, s14
	v_mov_b64_e32 v[4:5], v[8:9]
.LBB69_27:                              ;   in Loop: Header=BB69_6 Depth=1
	s_or_b32 exec_lo, exec_lo, s11
	s_delay_alu instid0(VALU_DEP_2)
	v_lshlrev_b32_e32 v2, 3, v2
	s_wait_loadcnt 0x0
	ds_store_b64 v2, v[4:5]
.LBB69_28:                              ;   in Loop: Header=BB69_6 Depth=1
	s_or_b32 exec_lo, exec_lo, s10
	s_wait_dscnt 0x0
	s_barrier_signal -1
	s_barrier_wait -1
	s_and_saveexec_b32 s10, s5
; %bb.29:                               ;   in Loop: Header=BB69_6 Depth=1
	v_mov_b32_e32 v2, s36
	ds_store_b32 v23, v2 offset:4096
; %bb.30:                               ;   in Loop: Header=BB69_6 Depth=1
	s_or_b32 exec_lo, exec_lo, s10
	s_mov_b32 s10, -1
	s_wait_dscnt 0x0
	s_barrier_signal -1
	s_barrier_wait -1
.LBB69_31:                              ;   in Loop: Header=BB69_6 Depth=1
	s_and_b32 vcc_lo, exec_lo, s10
	s_mov_b32 s40, 0
	s_cbranch_vccz .LBB69_33
; %bb.32:                               ;   in Loop: Header=BB69_6 Depth=1
	ds_load_b32 v2, v23 offset:4096
	s_wait_dscnt 0x0
	v_readfirstlane_b32 s40, v2
.LBB69_33:                              ;   in Loop: Header=BB69_6 Depth=1
	s_delay_alu instid0(VALU_DEP_1)
	s_cmp_lt_i32 s40, 1
	s_mov_b32 s10, -1
                                        ; implicit-def: $vgpr10_vgpr11
	s_cbranch_scc1 .LBB69_46
; %bb.34:                               ;   in Loop: Header=BB69_6 Depth=1
	s_and_b32 vcc_lo, exec_lo, s10
	s_cbranch_vccnz .LBB69_57
.LBB69_35:                              ;   in Loop: Header=BB69_6 Depth=1
	s_lshl_b32 s12, s79, 7
	s_and_saveexec_b32 s10, s2
.LBB69_36:                              ;   in Loop: Header=BB69_6 Depth=1
	v_lshl_add_u32 v2, s12, 2, v34
	ds_store_b128 v2, v[8:11]
.LBB69_37:                              ;   in Loop: Header=BB69_6 Depth=1
	s_or_b32 exec_lo, exec_lo, s10
	s_wait_dscnt 0x0
	s_barrier_signal -1
	s_barrier_wait -1
	s_and_saveexec_b32 s13, s58
	s_cbranch_execz .LBB69_70
; %bb.38:                               ;   in Loop: Header=BB69_6 Depth=1
	v_dual_add_nc_u32 v2, s12, v1 :: v_dual_mov_b32 v4, 0
	s_and_not1_b32 vcc_lo, exec_lo, s61
	s_cbranch_vccnz .LBB69_69
; %bb.39:                               ;   in Loop: Header=BB69_6 Depth=1
	s_and_not1_b32 vcc_lo, exec_lo, s64
	s_cbranch_vccnz .LBB69_66
; %bb.40:                               ;   in Loop: Header=BB69_6 Depth=1
	v_lshl_add_u32 v8, v2, 2, 0xc00
	s_and_not1_b32 vcc_lo, exec_lo, s67
	s_cbranch_vccnz .LBB69_99
; %bb.41:                               ;   in Loop: Header=BB69_6 Depth=1
	v_dual_mov_b32 v4, 0 :: v_dual_mov_b32 v5, 0
	s_mov_b32 s11, 1
	s_mov_b32 s10, 0
	;; [unrolled: 1-line block ×3, first 2 shown]
.LBB69_42:                              ;   Parent Loop BB69_6 Depth=1
                                        ; =>  This Inner Loop Header: Depth=2
	v_lshl_add_u32 v9, s11, 4, v8
	v_lshl_add_u32 v22, s10, 4, v8
	s_add_co_i32 s14, s14, -8
	s_add_co_i32 s11, s11, 16
	s_add_co_i32 s10, s10, 16
	ds_load_2addr_b32 v[10:11], v9 offset1:8
	ds_load_2addr_b32 v[12:13], v22 offset1:8
	ds_load_2addr_b32 v[14:15], v9 offset0:16 offset1:24
	ds_load_2addr_b32 v[44:45], v22 offset0:16 offset1:24
	;; [unrolled: 1-line block ×6, first 2 shown]
	s_cmp_lg_u32 s14, 0
	s_wait_dscnt 0x7
	v_add3_u32 v5, v10, v5, v11
	s_wait_dscnt 0x6
	v_add3_u32 v4, v12, v4, v13
	s_wait_dscnt 0x5
	s_delay_alu instid0(VALU_DEP_2) | instskip(SKIP_1) | instid1(VALU_DEP_2)
	v_add3_u32 v5, v14, v5, v15
	s_wait_dscnt 0x4
	v_add3_u32 v4, v44, v4, v45
	s_wait_dscnt 0x3
	s_delay_alu instid0(VALU_DEP_2) | instskip(SKIP_1) | instid1(VALU_DEP_2)
	;; [unrolled: 5-line block ×3, first 2 shown]
	v_add3_u32 v5, v50, v5, v51
	s_wait_dscnt 0x0
	v_add3_u32 v4, v52, v4, v53
	s_cbranch_scc1 .LBB69_42
; %bb.43:                               ;   in Loop: Header=BB69_6 Depth=1
	s_and_not1_b32 vcc_lo, exec_lo, s69
	s_mov_b32 s14, s66
	s_cbranch_vccnz .LBB69_45
.LBB69_44:                              ;   Parent Loop BB69_6 Depth=1
                                        ; =>  This Inner Loop Header: Depth=2
	v_lshl_add_u32 v9, s11, 4, v8
	v_lshl_add_u32 v10, s10, 4, v8
	s_add_co_i32 s14, s14, -1
	s_add_co_i32 s11, s11, 2
	s_add_co_i32 s10, s10, 2
	ds_load_b32 v9, v9
	ds_load_b32 v10, v10
	s_cmp_lg_u32 s14, 0
	s_wait_dscnt 0x0
	v_dual_add_nc_u32 v5, v9, v5 :: v_dual_add_nc_u32 v4, v10, v4
	s_cbranch_scc1 .LBB69_44
.LBB69_45:                              ;   in Loop: Header=BB69_6 Depth=1
	s_delay_alu instid0(VALU_DEP_1) | instskip(SKIP_2) | instid1(SALU_CYCLE_1)
	v_add_nc_u32_e32 v4, v4, v5
	s_mov_b32 s10, s65
	s_mov_b32 s11, s70
	s_and_b32 vcc_lo, exec_lo, s11
	s_cbranch_vccnz .LBB69_67
	s_branch .LBB69_69
.LBB69_46:                              ;   in Loop: Header=BB69_6 Depth=1
	v_mov_b64_e32 v[10:11], 0
	v_mov_b64_e32 v[8:9], 0
	s_and_saveexec_b32 s89, s7
	s_cbranch_execz .LBB69_50
; %bb.47:                               ;   in Loop: Header=BB69_6 Depth=1
	v_mov_b32_e32 v2, v17
	s_mov_b32 s90, 0
	s_mov_b32 s91, 0
	;; [unrolled: 1-line block ×6, first 2 shown]
.LBB69_48:                              ;   Parent Loop BB69_6 Depth=1
                                        ; =>  This Inner Loop Header: Depth=2
	v_dual_add_nc_u32 v4, s91, v38 :: v_dual_add_nc_u32 v5, s91, v35
	v_dual_add_nc_u32 v8, s91, v36 :: v_dual_add_nc_u32 v14, s91, v37
	v_dual_mov_b32 v15, v23 :: v_dual_add_nc_u32 v2, s59, v2
	s_clause 0x3
	global_load_b64 v[12:13], v4, s[30:31] scale_offset
	global_load_b64 v[10:11], v5, s[30:31] scale_offset
	;; [unrolled: 1-line block ×4, first 2 shown]
	v_dual_mov_b32 v45, v23 :: v_dual_mov_b32 v47, v23
	v_cmp_le_u32_e32 vcc_lo, s71, v2
	s_add_co_i32 s91, s91, s73
	s_wait_loadcnt 0x3
	v_cmp_o_f64_e64 s10, v[12:13], v[12:13]
	s_wait_loadcnt 0x2
	v_cmp_o_f64_e64 s11, v[10:11], v[10:11]
	;; [unrolled: 2-line block ×4, first 2 shown]
	v_dual_ashrrev_i32 v14, 31, v13 :: v_dual_ashrrev_i32 v22, 31, v11
	v_ashrrev_i32_e32 v43, 31, v9
	v_ashrrev_i32_e32 v44, 31, v5
	s_delay_alu instid0(VALU_DEP_3) | instskip(NEXT) | instid1(VALU_DEP_4)
	v_or_b32_e32 v46, 0x80000000, v14
	v_or_b32_e32 v48, 0x80000000, v22
	v_xor_b32_e32 v14, v14, v12
	v_xor_b32_e32 v22, v22, v10
	v_or_b32_e32 v49, 0x80000000, v43
	v_or_b32_e32 v50, 0x80000000, v44
	v_xor_b32_e32 v12, v48, v11
	v_xor_b32_e32 v46, v46, v13
	s_delay_alu instid0(VALU_DEP_4) | instskip(SKIP_1) | instid1(VALU_DEP_4)
	v_xor_b32_e32 v10, v49, v9
	v_dual_cndmask_b32 v4, -1, v14, s10 :: v_dual_bitop2_b32 v44, v44, v4 bitop3:0x14
	v_cndmask_b32_e64 v9, -1, v12, s11
	v_xor_b32_e32 v43, v43, v8
	v_dual_cndmask_b32 v5, -1, v46, s10 :: v_dual_bitop2_b32 v8, v50, v5 bitop3:0x14
	v_cndmask_b32_e64 v11, -1, v10, s12
	s_delay_alu instid0(VALU_DEP_3) | instskip(NEXT) | instid1(VALU_DEP_3)
	v_dual_cndmask_b32 v10, -1, v43, s12 :: v_dual_bitop2_b32 v48, v4, v30 bitop3:0x40
	v_dual_cndmask_b32 v13, -1, v8, s13 :: v_dual_bitop2_b32 v49, v5, v31 bitop3:0x40
	v_cndmask_b32_e64 v8, -1, v22, s11
	v_lshrrev_b64 v[4:5], s76, v[4:5]
	v_dual_cndmask_b32 v12, -1, v44, s13 :: v_dual_bitop2_b32 v51, v9, v31 bitop3:0x40
	v_and_b32_e32 v53, v11, v31
	s_delay_alu instid0(VALU_DEP_4)
	v_and_b32_e32 v50, v8, v30
	v_lshrrev_b64 v[8:9], s76, v[8:9]
	v_and_b32_e32 v52, v10, v30
	v_lshrrev_b64 v[10:11], s76, v[10:11]
	v_and_b32_e32 v55, v13, v31
	v_and_b32_e32 v54, v12, v30
	v_lshrrev_b64 v[12:13], s76, v[12:13]
	v_and_b32_e32 v22, 3, v4
	v_and_b32_e32 v14, 3, v8
	v_cmp_eq_u64_e64 s10, v[48:49], v[26:27]
	v_and_b32_e32 v44, 3, v10
	v_cmp_eq_u64_e64 s11, v[50:51], v[26:27]
	v_cmp_eq_u64_e64 s14, 0, v[22:23]
	v_and_b32_e32 v46, 3, v12
	v_cmp_eq_u64_e64 s15, 0, v[14:15]
	v_cmp_eq_u64_e64 s12, v[52:53], v[26:27]
	;; [unrolled: 1-line block ×5, first 2 shown]
	s_and_b32 s14, s10, s14
	v_cmp_eq_u64_e64 s18, 1, v[22:23]
	v_cndmask_b32_e64 v4, 0, 1, s14
	s_and_b32 s14, s11, s15
	v_cmp_eq_u64_e64 s19, 1, v[14:15]
	v_cndmask_b32_e64 v5, 0, 1, s14
	;; [unrolled: 3-line block ×4, first 2 shown]
	s_and_b32 s14, s10, s18
	v_cmp_eq_u64_e64 s22, 2, v[22:23]
	v_cmp_eq_u64_e64 s26, 3, v[22:23]
	v_cndmask_b32_e64 v10, 0, 1, s14
	s_and_b32 s14, s11, s19
	v_cmp_eq_u64_e64 s23, 2, v[14:15]
	v_cmp_eq_u64_e64 s27, 3, v[14:15]
	v_cndmask_b32_e64 v11, 0, 1, s14
	;; [unrolled: 4-line block ×4, first 2 shown]
	s_and_b32 s14, s10, s22
	s_and_b32 s10, s10, s26
	v_cndmask_b32_e64 v14, 0, 1, s14
	s_and_b32 s14, s11, s23
	v_cndmask_b32_e64 v44, 0, 1, s10
	;; [unrolled: 2-line block ×7, first 2 shown]
	v_cndmask_b32_e64 v47, 0, 1, s10
	v_cmp_ne_u32_e64 s10, 0, v4
	v_cmp_ne_u32_e64 s14, 0, v10
	;; [unrolled: 1-line block ×12, first 2 shown]
	s_bcnt1_i32_b32 s10, s10
	s_bcnt1_i32_b32 s14, s14
	;; [unrolled: 1-line block ×4, first 2 shown]
	v_cmp_ne_u32_e64 s13, 0, v9
	v_cmp_ne_u32_e64 s17, 0, v13
	;; [unrolled: 1-line block ×4, first 2 shown]
	s_bcnt1_i32_b32 s11, s11
	s_bcnt1_i32_b32 s15, s15
	s_bcnt1_i32_b32 s19, s19
	s_bcnt1_i32_b32 s23, s23
	s_add_co_i32 s10, s10, s48
	s_add_co_i32 s14, s14, s49
	s_add_co_i32 s18, s18, s50
	s_add_co_i32 s22, s22, s51
	s_bcnt1_i32_b32 s12, s12
	s_bcnt1_i32_b32 s16, s16
	s_bcnt1_i32_b32 s20, s20
	s_bcnt1_i32_b32 s24, s24
	s_add_co_i32 s14, s14, s15
	s_add_co_i32 s10, s10, s11
	s_add_co_i32 s11, s22, s23
	s_add_co_i32 s15, s18, s19
	;; [unrolled: 8-line block ×3, first 2 shown]
	s_add_co_i32 s49, s12, s17
	s_add_co_i32 s48, s10, s13
	;; [unrolled: 1-line block ×4, first 2 shown]
	v_mov_b64_e32 v[8:9], s[48:49]
	v_mov_b64_e32 v[10:11], s[50:51]
	s_or_b32 s90, vcc_lo, s90
	s_delay_alu instid0(SALU_CYCLE_1)
	s_and_not1_b32 exec_lo, exec_lo, s90
	s_cbranch_execnz .LBB69_48
; %bb.49:                               ;   in Loop: Header=BB69_6 Depth=1
	s_or_b32 exec_lo, exec_lo, s90
.LBB69_50:                              ;   in Loop: Header=BB69_6 Depth=1
	s_delay_alu instid0(SALU_CYCLE_1)
	s_or_b32 exec_lo, exec_lo, s89
	s_and_saveexec_b32 s14, s8
	s_cbranch_execz .LBB69_56
; %bb.51:                               ;   in Loop: Header=BB69_6 Depth=1
	global_load_b64 v[12:13], v[24:25], off
	v_dual_mov_b32 v2, v39 :: v_dual_mov_b32 v14, v33
	s_mov_b32 s15, 0
	s_branch .LBB69_53
.LBB69_52:                              ;   in Loop: Header=BB69_53 Depth=2
	s_wait_xcnt 0x0
	s_or_b32 exec_lo, exec_lo, s11
	s_wait_loadcnt 0x0
	v_cmp_o_f64_e64 s10, v[12:13], v[12:13]
	v_ashrrev_i32_e32 v15, 31, v13
	s_and_b32 s13, exec_lo, vcc_lo
	v_add_nc_u32_e32 v2, s52, v2
	s_or_b32 s15, s13, s15
	s_delay_alu instid0(VALU_DEP_2) | instskip(NEXT) | instid1(VALU_DEP_1)
	v_or_b32_e32 v22, 0x80000000, v15
	v_xor_b32_e32 v22, v22, v13
	s_delay_alu instid0(VALU_DEP_1) | instskip(NEXT) | instid1(VALU_DEP_1)
	v_dual_cndmask_b32 v13, -1, v22, s10 :: v_dual_bitop2_b32 v12, v15, v12 bitop3:0x14
	v_cndmask_b32_e64 v12, -1, v12, s10
	s_delay_alu instid0(VALU_DEP_1) | instskip(SKIP_2) | instid1(VALU_DEP_3)
	v_lshrrev_b64 v[44:45], s76, v[12:13]
	v_and_b32_e32 v13, v13, v31
	v_and_b32_e32 v12, v12, v30
	;; [unrolled: 1-line block ×3, first 2 shown]
	s_delay_alu instid0(VALU_DEP_2) | instskip(NEXT) | instid1(VALU_DEP_2)
	v_cmp_eq_u64_e64 s10, v[12:13], v[26:27]
	v_cmp_eq_u64_e64 s11, 0, v[22:23]
	;; [unrolled: 1-line block ×3, first 2 shown]
	v_cmp_eq_u64_e32 vcc_lo, 2, v[22:23]
	v_cmp_eq_u64_e64 s13, 3, v[22:23]
	s_and_b32 s11, s10, s11
	s_delay_alu instid0(SALU_CYCLE_1) | instskip(SKIP_1) | instid1(SALU_CYCLE_1)
	v_cndmask_b32_e64 v12, 0, 1, s11
	s_and_b32 s11, s10, s12
	v_cndmask_b32_e64 v13, 0, 1, s11
	s_and_b32 s11, s10, vcc_lo
	s_and_b32 s10, s10, s13
	v_cndmask_b32_e64 v15, 0, 1, s11
	v_cndmask_b32_e64 v22, 0, 1, s10
	v_cmp_ne_u32_e32 vcc_lo, 0, v12
	v_cmp_ne_u32_e64 s10, 0, v13
	v_mov_b64_e32 v[12:13], v[4:5]
	v_cmp_ne_u32_e64 s11, 0, v15
	v_cmp_ne_u32_e64 s12, 0, v22
	s_bcnt1_i32_b32 s13, vcc_lo
	s_bcnt1_i32_b32 s10, s10
	s_bcnt1_i32_b32 s11, s11
	;; [unrolled: 1-line block ×3, first 2 shown]
	v_dual_add_nc_u32 v9, s10, v9 :: v_dual_add_nc_u32 v8, s13, v8
	v_dual_add_nc_u32 v11, s12, v11 :: v_dual_add_nc_u32 v10, s11, v10
	s_and_not1_b32 exec_lo, exec_lo, s15
	s_cbranch_execz .LBB69_55
.LBB69_53:                              ;   Parent Loop BB69_6 Depth=1
                                        ; =>  This Inner Loop Header: Depth=2
	v_mov_b64_e32 v[4:5], 0
	s_delay_alu instid0(VALU_DEP_2) | instskip(SKIP_1) | instid1(VALU_DEP_1)
	v_add_nc_u32_e32 v14, s33, v14
	s_mov_b32 s11, exec_lo
	v_cmp_le_u32_e32 vcc_lo, s36, v14
	s_wait_xcnt 0x0
	v_cmpx_gt_u32_e64 s36, v14
	s_cbranch_execz .LBB69_52
; %bb.54:                               ;   in Loop: Header=BB69_53 Depth=2
	global_load_b64 v[4:5], v2, s[30:31] scale_offset
	s_branch .LBB69_52
.LBB69_55:                              ;   in Loop: Header=BB69_6 Depth=1
	s_or_b32 exec_lo, exec_lo, s15
.LBB69_56:                              ;   in Loop: Header=BB69_6 Depth=1
	s_delay_alu instid0(SALU_CYCLE_1)
	s_or_b32 exec_lo, exec_lo, s14
	s_branch .LBB69_35
.LBB69_57:                              ;   in Loop: Header=BB69_6 Depth=1
	s_mul_u64 s[10:11], s[40:41], s[42:43]
	v_mov_b64_e32 v[10:11], 0
	s_mul_i32 s10, s11, s59
	v_mov_b64_e32 v[8:9], 0
	s_sub_co_i32 s10, s40, s10
	s_mov_b32 s90, exec_lo
	s_sub_co_i32 s11, s10, s59
	s_cmp_ge_u32 s10, s59
	s_cselect_b32 s10, s11, s10
	s_delay_alu instid0(SALU_CYCLE_1) | instskip(SKIP_2) | instid1(SALU_CYCLE_1)
	s_sub_co_i32 s11, s10, s59
	s_cmp_ge_u32 s10, s59
	s_cselect_b32 s10, s11, s10
	s_sub_co_i32 s89, s40, s10
	s_delay_alu instid0(SALU_CYCLE_1)
	v_cmpx_gt_u32_e64 s89, v17
	s_cbranch_execz .LBB69_61
; %bb.58:                               ;   in Loop: Header=BB69_6 Depth=1
	v_dual_mov_b32 v2, v40 :: v_dual_mov_b32 v4, v17
	s_mov_b32 s91, 0
	s_mov_b32 s48, 0
	;; [unrolled: 1-line block ×5, first 2 shown]
.LBB69_59:                              ;   Parent Loop BB69_6 Depth=1
                                        ; =>  This Inner Loop Header: Depth=2
	ds_load_b128 v[12:15], v2
	ds_load_b128 v[8:11], v2 offset:16
	v_dual_add_nc_u32 v2, s74, v2 :: v_dual_add_nc_u32 v4, s59, v4
	v_dual_mov_b32 v45, v23 :: v_dual_mov_b32 v47, v23
	v_mov_b32_e32 v49, v23
	s_delay_alu instid0(VALU_DEP_3)
	v_cmp_le_u32_e32 vcc_lo, s89, v4
	s_wait_dscnt 0x1
	v_cmp_o_f64_e64 s10, v[12:13], v[12:13]
	s_wait_dscnt 0x0
	v_cmp_o_f64_e64 s13, v[10:11], v[10:11]
	v_cmp_o_f64_e64 s11, v[14:15], v[14:15]
	;; [unrolled: 1-line block ×3, first 2 shown]
	v_dual_ashrrev_i32 v5, 31, v13 :: v_dual_ashrrev_i32 v44, 31, v11
	v_dual_ashrrev_i32 v22, 31, v15 :: v_dual_ashrrev_i32 v43, 31, v9
	s_delay_alu instid0(VALU_DEP_2) | instskip(SKIP_1) | instid1(VALU_DEP_4)
	v_or_b32_e32 v46, 0x80000000, v5
	v_xor_b32_e32 v5, v5, v12
	v_or_b32_e32 v51, 0x80000000, v44
	s_delay_alu instid0(VALU_DEP_4) | instskip(SKIP_4) | instid1(VALU_DEP_1)
	v_or_b32_e32 v48, 0x80000000, v22
	v_or_b32_e32 v50, 0x80000000, v43
	v_xor_b32_e32 v46, v46, v13
	v_xor_b32_e32 v43, v43, v8
	;; [unrolled: 1-line block ×3, first 2 shown]
	v_dual_cndmask_b32 v15, -1, v8, s13 :: v_dual_bitop2_b32 v12, v48, v15 bitop3:0x14
	v_dual_cndmask_b32 v8, -1, v5, s10 :: v_dual_bitop2_b32 v22, v22, v14 bitop3:0x14
	s_delay_alu instid0(VALU_DEP_2) | instskip(SKIP_2) | instid1(VALU_DEP_4)
	v_dual_cndmask_b32 v11, -1, v12, s11 :: v_dual_bitop2_b32 v13, v50, v9 bitop3:0x14
	v_cndmask_b32_e64 v9, -1, v46, s10
	v_xor_b32_e32 v44, v44, v10
	v_dual_cndmask_b32 v10, -1, v22, s11 :: v_dual_cndmask_b32 v12, -1, v43, s12
	s_delay_alu instid0(VALU_DEP_4) | instskip(NEXT) | instid1(VALU_DEP_4)
	v_dual_cndmask_b32 v13, -1, v13, s12 :: v_dual_bitop2_b32 v50, v8, v30 bitop3:0x40
	v_and_b32_e32 v51, v9, v31
	v_lshrrev_b64 v[8:9], s76, v[8:9]
	v_dual_cndmask_b32 v14, -1, v44, s13 :: v_dual_bitop2_b32 v53, v11, v31 bitop3:0x40
	v_and_b32_e32 v52, v10, v30
	v_lshrrev_b64 v[10:11], s76, v[10:11]
	v_and_b32_e32 v55, v13, v31
	v_and_b32_e32 v54, v12, v30
	v_lshrrev_b64 v[12:13], s76, v[12:13]
	v_and_b32_e32 v57, v15, v31
	;; [unrolled: 3-line block ×3, first 2 shown]
	v_and_b32_e32 v44, 3, v10
	v_cmp_eq_u64_e64 s10, v[50:51], v[26:27]
	v_and_b32_e32 v46, 3, v12
	v_cmp_eq_u64_e64 s11, v[52:53], v[26:27]
	v_cmp_eq_u64_e64 s14, 0, v[22:23]
	v_and_b32_e32 v48, 3, v14
	v_cmp_eq_u64_e64 s15, 0, v[44:45]
	v_cmp_eq_u64_e64 s12, v[54:55], v[26:27]
	;; [unrolled: 1-line block ×5, first 2 shown]
	s_and_b32 s14, s10, s14
	v_cmp_eq_u64_e64 s18, 1, v[22:23]
	v_cndmask_b32_e64 v5, 0, 1, s14
	s_and_b32 s14, s11, s15
	v_cmp_eq_u64_e64 s19, 1, v[44:45]
	v_cndmask_b32_e64 v8, 0, 1, s14
	;; [unrolled: 3-line block ×4, first 2 shown]
	s_and_b32 s14, s10, s18
	v_cmp_eq_u64_e64 s22, 2, v[22:23]
	v_cmp_eq_u64_e64 s26, 3, v[22:23]
	v_cndmask_b32_e64 v11, 0, 1, s14
	s_and_b32 s14, s11, s19
	v_cmp_eq_u64_e64 s23, 2, v[44:45]
	v_cmp_eq_u64_e64 s27, 3, v[44:45]
	v_cndmask_b32_e64 v12, 0, 1, s14
	;; [unrolled: 4-line block ×4, first 2 shown]
	s_and_b32 s14, s10, s22
	s_and_b32 s10, s10, s26
	v_cndmask_b32_e64 v15, 0, 1, s14
	s_and_b32 s14, s11, s23
	v_cndmask_b32_e64 v45, 0, 1, s10
	;; [unrolled: 2-line block ×7, first 2 shown]
	v_cndmask_b32_e64 v48, 0, 1, s10
	v_cmp_ne_u32_e64 s10, 0, v5
	v_cmp_ne_u32_e64 s14, 0, v11
	;; [unrolled: 1-line block ×12, first 2 shown]
	s_bcnt1_i32_b32 s10, s10
	s_bcnt1_i32_b32 s14, s14
	;; [unrolled: 1-line block ×4, first 2 shown]
	v_cmp_ne_u32_e64 s13, 0, v10
	v_cmp_ne_u32_e64 s17, 0, v14
	;; [unrolled: 1-line block ×4, first 2 shown]
	s_bcnt1_i32_b32 s11, s11
	s_bcnt1_i32_b32 s15, s15
	s_bcnt1_i32_b32 s19, s19
	s_bcnt1_i32_b32 s23, s23
	s_add_co_i32 s10, s10, s48
	s_add_co_i32 s14, s14, s49
	s_add_co_i32 s18, s18, s50
	s_add_co_i32 s22, s22, s51
	s_bcnt1_i32_b32 s12, s12
	s_bcnt1_i32_b32 s16, s16
	s_bcnt1_i32_b32 s20, s20
	s_bcnt1_i32_b32 s24, s24
	s_add_co_i32 s14, s14, s15
	s_add_co_i32 s10, s10, s11
	s_add_co_i32 s11, s22, s23
	s_add_co_i32 s15, s18, s19
	;; [unrolled: 8-line block ×3, first 2 shown]
	s_add_co_i32 s49, s12, s17
	s_add_co_i32 s48, s10, s13
	;; [unrolled: 1-line block ×4, first 2 shown]
	v_mov_b64_e32 v[8:9], s[48:49]
	v_mov_b64_e32 v[10:11], s[50:51]
	s_or_b32 s91, vcc_lo, s91
	s_delay_alu instid0(SALU_CYCLE_1)
	s_and_not1_b32 exec_lo, exec_lo, s91
	s_cbranch_execnz .LBB69_59
; %bb.60:                               ;   in Loop: Header=BB69_6 Depth=1
	s_or_b32 exec_lo, exec_lo, s91
.LBB69_61:                              ;   in Loop: Header=BB69_6 Depth=1
	s_delay_alu instid0(SALU_CYCLE_1) | instskip(SKIP_2) | instid1(VALU_DEP_1)
	s_or_b32 exec_lo, exec_lo, s90
	v_add_nc_u32_e32 v2, s89, v0
	s_mov_b32 s15, exec_lo
	v_cmpx_gt_u32_e64 s40, v2
	s_cbranch_execz .LBB69_65
; %bb.62:                               ;   in Loop: Header=BB69_6 Depth=1
	v_lshlrev_b32_e32 v4, 3, v2
	s_mov_b32 s16, 0
.LBB69_63:                              ;   Parent Loop BB69_6 Depth=1
                                        ; =>  This Inner Loop Header: Depth=2
	ds_load_b64 v[12:13], v4
	v_dual_add_nc_u32 v2, s33, v2 :: v_dual_add_nc_u32 v4, s75, v4
	s_delay_alu instid0(VALU_DEP_1) | instskip(SKIP_3) | instid1(VALU_DEP_1)
	v_cmp_le_u32_e64 s10, s40, v2
	s_wait_dscnt 0x0
	v_cmp_o_f64_e32 vcc_lo, v[12:13], v[12:13]
	v_ashrrev_i32_e32 v5, 31, v13
	v_or_b32_e32 v14, 0x80000000, v5
	s_delay_alu instid0(VALU_DEP_1) | instskip(NEXT) | instid1(VALU_DEP_1)
	v_xor_b32_e32 v14, v14, v13
	v_dual_cndmask_b32 v13, -1, v14, vcc_lo :: v_dual_bitop2_b32 v5, v5, v12 bitop3:0x14
	s_delay_alu instid0(VALU_DEP_1) | instskip(NEXT) | instid1(VALU_DEP_1)
	v_dual_cndmask_b32 v12, -1, v5, vcc_lo :: v_dual_bitop2_b32 v15, v13, v31 bitop3:0x40
	v_lshrrev_b64 v[44:45], s76, v[12:13]
	v_and_b32_e32 v14, v12, v30
	s_delay_alu instid0(VALU_DEP_1) | instskip(NEXT) | instid1(VALU_DEP_3)
	v_cmp_eq_u64_e32 vcc_lo, v[14:15], v[26:27]
	v_and_b32_e32 v22, 3, v44
	s_delay_alu instid0(VALU_DEP_1) | instskip(SKIP_4) | instid1(SALU_CYCLE_1)
	v_cmp_eq_u64_e64 s11, 0, v[22:23]
	v_cmp_eq_u64_e64 s12, 1, v[22:23]
	;; [unrolled: 1-line block ×4, first 2 shown]
	s_and_b32 s11, vcc_lo, s11
	v_cndmask_b32_e64 v5, 0, 1, s11
	s_and_b32 s11, vcc_lo, s12
	s_delay_alu instid0(SALU_CYCLE_1) | instskip(SKIP_1) | instid1(SALU_CYCLE_1)
	v_cndmask_b32_e64 v12, 0, 1, s11
	s_and_b32 s11, vcc_lo, s13
	v_cndmask_b32_e64 v13, 0, 1, s11
	s_and_b32 s11, vcc_lo, s14
	v_cmp_ne_u32_e32 vcc_lo, 0, v5
	v_cndmask_b32_e64 v14, 0, 1, s11
	v_cmp_ne_u32_e64 s11, 0, v12
	v_cmp_ne_u32_e64 s12, 0, v13
	s_bcnt1_i32_b32 s14, vcc_lo
	v_cmp_ne_u32_e64 s13, 0, v14
	s_bcnt1_i32_b32 s11, s11
	s_bcnt1_i32_b32 s12, s12
	v_dual_add_nc_u32 v9, s11, v9 :: v_dual_add_nc_u32 v8, s14, v8
	v_add_nc_u32_e32 v10, s12, v10
	s_bcnt1_i32_b32 s13, s13
	s_or_b32 s16, s10, s16
	v_add_nc_u32_e32 v11, s13, v11
	s_and_not1_b32 exec_lo, exec_lo, s16
	s_cbranch_execnz .LBB69_63
; %bb.64:                               ;   in Loop: Header=BB69_6 Depth=1
	s_or_b32 exec_lo, exec_lo, s16
.LBB69_65:                              ;   in Loop: Header=BB69_6 Depth=1
	s_delay_alu instid0(SALU_CYCLE_1)
	s_or_b32 exec_lo, exec_lo, s15
	s_lshl_b32 s12, s79, 7
	s_and_saveexec_b32 s10, s2
	s_cbranch_execnz .LBB69_36
	s_branch .LBB69_37
.LBB69_66:                              ;   in Loop: Header=BB69_6 Depth=1
	v_mov_b32_e32 v4, 0
	s_mov_b32 s10, 0
	s_cbranch_execz .LBB69_69
.LBB69_67:                              ;   in Loop: Header=BB69_6 Depth=1
	s_lshl_b32 s11, s79, 9
	s_lshl_b32 s14, s10, 4
	s_sub_co_i32 s10, s63, s10
	v_add3_u32 v5, s11, s14, v41
.LBB69_68:                              ;   Parent Loop BB69_6 Depth=1
                                        ; =>  This Inner Loop Header: Depth=2
	ds_load_b32 v8, v5
	v_add_nc_u32_e32 v5, 16, v5
	s_add_co_i32 s10, s10, -1
	s_delay_alu instid0(SALU_CYCLE_1)
	s_cmp_eq_u32 s10, 0
	s_wait_dscnt 0x0
	v_add_nc_u32_e32 v4, v8, v4
	s_cbranch_scc0 .LBB69_68
.LBB69_69:                              ;   in Loop: Header=BB69_6 Depth=1
	s_delay_alu instid0(VALU_DEP_1)
	v_lshlrev_b32_e32 v2, 2, v2
	ds_store_b32 v2, v4 offset:3072
.LBB69_70:                              ;   in Loop: Header=BB69_6 Depth=1
	s_or_b32 exec_lo, exec_lo, s13
	s_lshl_b32 s10, s12, 2
	s_wait_dscnt 0x0
	v_mov_b32_e32 v2, s10
	s_barrier_signal -1
	s_barrier_wait -1
	v_cmp_eq_u32_e64 s10, 1, v42
	ds_load_b128 v[8:11], v2 offset:3072
	s_lshl_b64 s[12:13], 3, s76
	s_mov_b32 s24, -1
	s_not_b64 s[14:15], s[12:13]
	s_mov_b32 s16, 0
	s_and_not1_b32 vcc_lo, exec_lo, s57
	s_mov_b32 s21, 0
	s_mov_b32 s11, 0
                                        ; implicit-def: $sgpr22
                                        ; implicit-def: $sgpr23
                                        ; implicit-def: $vgpr43
                                        ; implicit-def: $vgpr22
                                        ; implicit-def: $vgpr14_vgpr15
                                        ; implicit-def: $vgpr12_vgpr13
	s_wait_dscnt 0x0
	v_readfirstlane_b32 s17, v8
	v_readfirstlane_b32 s18, v9
	;; [unrolled: 1-line block ×4, first 2 shown]
                                        ; implicit-def: $vgpr10_vgpr11
	s_cbranch_vccnz .LBB69_240
; %bb.71:                               ;   in Loop: Header=BB69_6 Depth=1
	v_mov_b64_e32 v[14:15], v[26:27]
	v_mov_b64_e32 v[12:13], v[30:31]
	;; [unrolled: 1-line block ×3, first 2 shown]
	s_cmp_eq_u32 s17, 1
	s_mov_b32 s27, -1
	s_cselect_b32 s11, -1, 0
                                        ; implicit-def: $sgpr23
                                        ; implicit-def: $sgpr22
	s_delay_alu instid0(SALU_CYCLE_1) | instskip(NEXT) | instid1(SALU_CYCLE_1)
	s_and_b32 s26, s11, s10
	s_and_saveexec_b32 s11, s26
	s_cbranch_execz .LBB69_103
; %bb.72:                               ;   in Loop: Header=BB69_6 Depth=1
	ds_load_b32 v2, v23 offset:4096
	s_wait_dscnt 0x0
	s_barrier_signal -1
	s_barrier_wait -1
	v_readfirstlane_b32 s24, v2
	s_and_saveexec_b32 s21, s6
; %bb.73:                               ;   in Loop: Header=BB69_6 Depth=1
	ds_store_b64 v32, v[28:29]
; %bb.74:                               ;   in Loop: Header=BB69_6 Depth=1
	s_or_b32 exec_lo, exec_lo, s21
	v_and_b32_e32 v15, s15, v27
	v_and_b32_e32 v14, s14, v26
	v_or_b32_e32 v13, s13, v31
	v_or_b32_e32 v12, s12, v30
	s_mov_b32 s22, -1
	s_mov_b32 s23, 0
	s_cmp_eq_u32 s24, 0
	s_mov_b32 s21, 0
	s_mov_b32 s25, -1
	s_wait_dscnt 0x0
	s_barrier_signal -1
	s_barrier_wait -1
                                        ; implicit-def: $vgpr10_vgpr11
	s_cbranch_scc1 .LBB69_89
; %bb.75:                               ;   in Loop: Header=BB69_6 Depth=1
	s_add_co_i32 s40, s24, s62
	s_mov_b32 s27, exec_lo
	s_mul_u64 s[28:29], s[40:41], s[44:45]
                                        ; implicit-def: $vgpr10_vgpr11
	s_delay_alu instid0(SALU_CYCLE_1) | instskip(NEXT) | instid1(SALU_CYCLE_1)
	s_mul_i32 s21, s29, s33
	s_sub_co_i32 s21, s40, s21
	s_delay_alu instid0(SALU_CYCLE_1) | instskip(SKIP_2) | instid1(SALU_CYCLE_1)
	s_sub_co_i32 s25, s21, s33
	s_cmp_ge_u32 s21, s33
	s_cselect_b32 s21, s25, s21
	s_sub_co_i32 s25, s21, s33
	s_cmp_ge_u32 s21, s33
	s_cselect_b32 s21, s25, s21
	s_mov_b32 s25, 0
	s_sub_co_i32 s28, s40, s21
	s_mov_b32 s21, 0
	v_cmpx_gt_u32_e64 s28, v0
	s_cbranch_execz .LBB69_88
; %bb.76:                               ;   in Loop: Header=BB69_6 Depth=1
	v_dual_mov_b32 v22, v21 :: v_dual_mov_b32 v43, v0
                                        ; implicit-def: $sgpr29
	s_branch .LBB69_80
.LBB69_77:                              ;   in Loop: Header=BB69_80 Depth=2
	s_or_b32 exec_lo, exec_lo, s40
	s_wait_dscnt 0x0
	s_barrier_signal -1
	s_barrier_wait -1
	ds_load_b128 v[8:11], v23 offset:3072
	s_wait_dscnt 0x0
	s_barrier_signal -1
	s_barrier_wait -1
	v_cmp_neq_f64_e32 vcc_lo, 0, v[8:9]
	s_cbranch_vccnz .LBB69_83
; %bb.78:                               ;   in Loop: Header=BB69_80 Depth=2
	v_dual_add_nc_u32 v43, s33, v43 :: v_dual_add_nc_u32 v22, s75, v22
	s_mov_b32 s40, 0
	s_delay_alu instid0(VALU_DEP_1)
	v_cmp_le_u32_e32 vcc_lo, s28, v43
	s_or_not1_b32 s48, vcc_lo, exec_lo
.LBB69_79:                              ;   in Loop: Header=BB69_80 Depth=2
	s_delay_alu instid0(SALU_CYCLE_1) | instskip(NEXT) | instid1(SALU_CYCLE_1)
	s_and_b32 s48, exec_lo, s48
	s_or_b32 s21, s48, s21
	s_and_not1_b32 s29, s29, exec_lo
	s_and_b32 s40, s40, exec_lo
	s_delay_alu instid0(SALU_CYCLE_1)
	s_or_b32 s29, s29, s40
	s_and_not1_b32 exec_lo, exec_lo, s21
	s_cbranch_execz .LBB69_87
.LBB69_80:                              ;   Parent Loop BB69_6 Depth=1
                                        ; =>  This Inner Loop Header: Depth=2
	s_mov_b32 s40, exec_lo
	s_delay_alu instid0(VALU_DEP_1)
	v_cmpx_gt_u32_e64 s24, v43
	s_cbranch_execz .LBB69_77
; %bb.81:                               ;   in Loop: Header=BB69_80 Depth=2
	ds_load_b64 v[4:5], v22
	s_wait_dscnt 0x0
	v_cmp_o_f64_e32 vcc_lo, v[4:5], v[4:5]
	v_ashrrev_i32_e32 v2, 31, v5
	s_delay_alu instid0(VALU_DEP_1) | instskip(NEXT) | instid1(VALU_DEP_1)
	v_or_b32_e32 v8, 0x80000000, v2
	v_xor_b32_e32 v8, v8, v5
	v_xor_b32_e32 v2, v2, v4
	s_delay_alu instid0(VALU_DEP_1) | instskip(NEXT) | instid1(VALU_DEP_1)
	v_dual_cndmask_b32 v8, -1, v8, vcc_lo :: v_dual_cndmask_b32 v2, -1, v2, vcc_lo
	v_and_b32_e32 v9, v8, v13
	s_delay_alu instid0(VALU_DEP_2) | instskip(NEXT) | instid1(VALU_DEP_1)
	v_and_b32_e32 v8, v2, v12
	v_cmp_eq_u64_e32 vcc_lo, v[8:9], v[14:15]
	s_and_b32 exec_lo, exec_lo, vcc_lo
	s_cbranch_execz .LBB69_77
; %bb.82:                               ;   in Loop: Header=BB69_80 Depth=2
	v_mov_b32_e32 v2, v23
	ds_store_b128 v23, v[2:5] offset:3072
	s_branch .LBB69_77
.LBB69_83:                              ;   in Loop: Header=BB69_80 Depth=2
	s_mov_b32 s48, -1
	s_mov_b32 s40, -1
                                        ; implicit-def: $vgpr43
                                        ; implicit-def: $vgpr22
	s_branch .LBB69_79
.LBB69_84:                              ;   in Loop: Header=BB69_6 Depth=1
	s_or_b32 exec_lo, exec_lo, s13
	s_wait_dscnt 0x0
	s_barrier_signal -1
	s_barrier_wait -1
	s_and_saveexec_b32 s10, s5
	s_cbranch_execz .LBB69_86
; %bb.85:                               ;   in Loop: Header=BB69_6 Depth=1
	ds_load_b32 v2, v23 offset:4104
	s_wait_dscnt 0x0
	ds_store_b32 v23, v2 offset:4096
.LBB69_86:                              ;   in Loop: Header=BB69_6 Depth=1
	s_or_b32 exec_lo, exec_lo, s10
	s_wait_dscnt 0x0
	s_barrier_signal -1
	s_mov_b32 s10, -1
	s_barrier_wait -1
	s_and_b32 vcc_lo, exec_lo, s12
	s_cbranch_vccnz .LBB69_22
	s_branch .LBB69_31
.LBB69_87:                              ;   in Loop: Header=BB69_6 Depth=1
	s_or_b32 exec_lo, exec_lo, s21
	s_delay_alu instid0(SALU_CYCLE_1)
	s_and_b32 s21, s29, exec_lo
.LBB69_88:                              ;   in Loop: Header=BB69_6 Depth=1
	s_or_b32 exec_lo, exec_lo, s27
.LBB69_89:                              ;   in Loop: Header=BB69_6 Depth=1
	s_delay_alu instid0(SALU_CYCLE_1)
	s_and_b32 vcc_lo, exec_lo, s25
	s_cbranch_vccz .LBB69_102
; %bb.90:                               ;   in Loop: Header=BB69_6 Depth=1
                                        ; implicit-def: $vgpr10_vgpr11
	s_and_saveexec_b32 s22, s9
	s_cbranch_execz .LBB69_101
; %bb.91:                               ;   in Loop: Header=BB69_6 Depth=1
	v_dual_mov_b32 v22, v20 :: v_dual_mov_b32 v43, v0
	s_mov_b32 s24, 0
                                        ; implicit-def: $sgpr23
	s_branch .LBB69_95
.LBB69_92:                              ;   in Loop: Header=BB69_95 Depth=2
	s_or_b32 exec_lo, exec_lo, s25
	s_wait_dscnt 0x0
	s_barrier_signal -1
	s_barrier_wait -1
	ds_load_b128 v[8:11], v23 offset:3072
	s_wait_dscnt 0x0
	s_barrier_signal -1
	s_barrier_wait -1
	v_cmp_neq_f64_e32 vcc_lo, 0, v[8:9]
	s_cbranch_vccnz .LBB69_98
; %bb.93:                               ;   in Loop: Header=BB69_95 Depth=2
	v_dual_add_nc_u32 v43, s33, v43 :: v_dual_add_nc_u32 v22, s52, v22
	s_mov_b32 s25, 0
	s_delay_alu instid0(VALU_DEP_1)
	v_cmp_le_u32_e32 vcc_lo, s72, v43
	s_or_not1_b32 s27, vcc_lo, exec_lo
.LBB69_94:                              ;   in Loop: Header=BB69_95 Depth=2
	s_delay_alu instid0(SALU_CYCLE_1) | instskip(NEXT) | instid1(SALU_CYCLE_1)
	s_and_b32 s27, exec_lo, s27
	s_or_b32 s24, s27, s24
	s_and_not1_b32 s23, s23, exec_lo
	s_and_b32 s25, s25, exec_lo
	s_delay_alu instid0(SALU_CYCLE_1)
	s_or_b32 s23, s23, s25
	s_and_not1_b32 exec_lo, exec_lo, s24
	s_cbranch_execz .LBB69_100
.LBB69_95:                              ;   Parent Loop BB69_6 Depth=1
                                        ; =>  This Inner Loop Header: Depth=2
	s_mov_b32 s25, exec_lo
	s_delay_alu instid0(VALU_DEP_1)
	v_cmpx_gt_u32_e64 s36, v43
	s_cbranch_execz .LBB69_92
; %bb.96:                               ;   in Loop: Header=BB69_95 Depth=2
	global_load_b64 v[4:5], v22, s[30:31] scale_offset
	s_wait_loadcnt 0x0
	v_cmp_o_f64_e32 vcc_lo, v[4:5], v[4:5]
	v_ashrrev_i32_e32 v2, 31, v5
	s_delay_alu instid0(VALU_DEP_1) | instskip(NEXT) | instid1(VALU_DEP_1)
	v_or_b32_e32 v8, 0x80000000, v2
	v_xor_b32_e32 v8, v8, v5
	v_xor_b32_e32 v2, v2, v4
	s_delay_alu instid0(VALU_DEP_1) | instskip(NEXT) | instid1(VALU_DEP_1)
	v_dual_cndmask_b32 v8, -1, v8, vcc_lo :: v_dual_cndmask_b32 v2, -1, v2, vcc_lo
	v_and_b32_e32 v9, v8, v13
	s_delay_alu instid0(VALU_DEP_2) | instskip(NEXT) | instid1(VALU_DEP_1)
	v_and_b32_e32 v8, v2, v12
	v_cmp_eq_u64_e32 vcc_lo, v[8:9], v[14:15]
	s_and_b32 exec_lo, exec_lo, vcc_lo
	s_cbranch_execz .LBB69_92
; %bb.97:                               ;   in Loop: Header=BB69_95 Depth=2
	v_mov_b32_e32 v2, v23
	ds_store_b128 v23, v[2:5] offset:3072
	s_branch .LBB69_92
.LBB69_98:                              ;   in Loop: Header=BB69_95 Depth=2
	s_mov_b32 s27, -1
	s_mov_b32 s25, -1
                                        ; implicit-def: $vgpr43
                                        ; implicit-def: $vgpr22
	s_branch .LBB69_94
.LBB69_99:                              ;   in Loop: Header=BB69_6 Depth=1
	s_mov_b64 s[10:11], 0x100000000
	v_mov_b64_e32 v[4:5], 0
	s_and_not1_b32 vcc_lo, exec_lo, s69
	s_mov_b32 s14, s66
	s_cbranch_vccz .LBB69_44
	s_branch .LBB69_45
.LBB69_100:                             ;   in Loop: Header=BB69_6 Depth=1
	s_or_b32 exec_lo, exec_lo, s24
	s_delay_alu instid0(SALU_CYCLE_1) | instskip(SKIP_1) | instid1(SALU_CYCLE_1)
	s_and_not1_b32 s21, s21, exec_lo
	s_and_b32 s23, s23, exec_lo
	s_or_b32 s21, s21, s23
.LBB69_101:                             ;   in Loop: Header=BB69_6 Depth=1
	s_or_b32 exec_lo, exec_lo, s22
	s_mov_b32 s22, 0
	s_mov_b32 s23, -1
.LBB69_102:                             ;   in Loop: Header=BB69_6 Depth=1
	s_or_not1_b32 s27, s21, exec_lo
.LBB69_103:                             ;   in Loop: Header=BB69_6 Depth=1
	s_or_b32 exec_lo, exec_lo, s11
	s_mov_b32 s24, 0
	s_mov_b32 s21, 0
	;; [unrolled: 1-line block ×3, first 2 shown]
                                        ; implicit-def: $vgpr43
                                        ; implicit-def: $vgpr22
	s_and_saveexec_b32 s25, s27
	s_cbranch_execz .LBB69_239
; %bb.104:                              ;   in Loop: Header=BB69_6 Depth=1
	v_dual_mov_b32 v43, 1 :: v_dual_mov_b32 v22, 1
	s_xor_b32 s21, s26, -1
	s_mov_b32 s28, 0
	s_and_saveexec_b32 s11, s21
	s_cbranch_execz .LBB69_113
; %bb.105:                              ;   in Loop: Header=BB69_6 Depth=1
	s_mov_b32 s21, exec_lo
	v_cmpx_ge_u32_e64 s17, v42
	s_xor_b32 s21, exec_lo, s21
	s_cbranch_execz .LBB69_110
; %bb.106:                              ;   in Loop: Header=BB69_6 Depth=1
	ds_load_b32 v2, v23 offset:4096
	v_and_b32_e32 v15, s15, v15
	v_and_b32_e32 v14, s14, v14
	v_or_b32_e32 v13, s13, v13
	v_or_b32_e32 v12, s12, v12
	s_wait_dscnt 0x0
	v_cmp_ne_u32_e32 vcc_lo, 0, v2
	s_cbranch_vccnz .LBB69_110
; %bb.107:                              ;   in Loop: Header=BB69_6 Depth=1
	s_and_saveexec_b32 s26, s5
; %bb.108:                              ;   in Loop: Header=BB69_6 Depth=1
	v_mov_b32_e32 v2, s17
	ds_store_b32 v23, v2 offset:4100
; %bb.109:                              ;   in Loop: Header=BB69_6 Depth=1
	s_or_b32 exec_lo, exec_lo, s26
	s_wait_dscnt 0x0
	s_barrier_signal -1
	s_barrier_wait -1
.LBB69_110:                             ;   in Loop: Header=BB69_6 Depth=1
	s_or_saveexec_b32 s21, s21
	v_dual_mov_b32 v22, 8 :: v_dual_mov_b32 v43, v42
	s_mov_b32 s26, 0
	s_xor_b32 exec_lo, exec_lo, s21
; %bb.111:                              ;   in Loop: Header=BB69_6 Depth=1
	v_subrev_nc_u32_e32 v43, s17, v42
	v_mov_b32_e32 v22, 0
	s_mov_b32 s26, exec_lo
; %bb.112:                              ;   in Loop: Header=BB69_6 Depth=1
	s_or_b32 exec_lo, exec_lo, s21
	s_delay_alu instid0(SALU_CYCLE_1)
	s_and_b32 s28, s26, exec_lo
.LBB69_113:                             ;   in Loop: Header=BB69_6 Depth=1
	s_or_b32 exec_lo, exec_lo, s11
	s_mov_b32 s27, -1
                                        ; implicit-def: $sgpr21
                                        ; implicit-def: $sgpr26
	s_and_saveexec_b32 s11, s28
	s_delay_alu instid0(SALU_CYCLE_1)
	s_xor_b32 s11, exec_lo, s11
	s_cbranch_execz .LBB69_236
; %bb.114:                              ;   in Loop: Header=BB69_6 Depth=1
	v_cmp_eq_u32_e32 vcc_lo, 1, v43
	s_cmp_eq_u32 s18, 1
	s_mov_b32 s29, -1
	s_cselect_b32 s21, -1, 0
                                        ; implicit-def: $sgpr26
	s_delay_alu instid0(SALU_CYCLE_1) | instskip(NEXT) | instid1(SALU_CYCLE_1)
	s_and_b32 s28, s21, vcc_lo
                                        ; implicit-def: $sgpr21
	s_and_saveexec_b32 s27, s28
	s_cbranch_execz .LBB69_142
; %bb.115:                              ;   in Loop: Header=BB69_6 Depth=1
	ds_load_b32 v2, v23 offset:4096
	s_wait_dscnt 0x0
	s_barrier_signal -1
	s_barrier_wait -1
	v_readfirstlane_b32 s48, v2
	s_and_saveexec_b32 s21, s6
; %bb.116:                              ;   in Loop: Header=BB69_6 Depth=1
	ds_store_b64 v32, v[28:29]
; %bb.117:                              ;   in Loop: Header=BB69_6 Depth=1
	s_or_b32 exec_lo, exec_lo, s21
	v_and_b32_e32 v2, s15, v15
	v_and_b32_e32 v4, s14, v14
	s_lshl_b64 s[50:51], 1, s76
	v_or_b32_e32 v13, s13, v13
	v_or_b32_e32 v12, s12, v12
	;; [unrolled: 1-line block ×4, first 2 shown]
	s_mov_b32 s21, -1
	s_mov_b32 s26, 0
	s_cmp_eq_u32 s48, 0
	s_mov_b32 s29, 0
	s_mov_b32 s40, -1
	s_wait_dscnt 0x0
	s_barrier_signal -1
	s_barrier_wait -1
                                        ; implicit-def: $vgpr10_vgpr11
	s_cbranch_scc1 .LBB69_129
; %bb.118:                              ;   in Loop: Header=BB69_6 Depth=1
	s_add_co_i32 s40, s48, s62
                                        ; implicit-def: $vgpr10_vgpr11
	s_delay_alu instid0(SALU_CYCLE_1) | instskip(NEXT) | instid1(SALU_CYCLE_1)
	s_mul_u64 s[50:51], s[40:41], s[44:45]
	s_mul_i32 s29, s51, s33
	s_delay_alu instid0(SALU_CYCLE_1) | instskip(NEXT) | instid1(SALU_CYCLE_1)
	s_sub_co_i32 s29, s40, s29
	s_sub_co_i32 s49, s29, s33
	s_cmp_ge_u32 s29, s33
	s_cselect_b32 s29, s49, s29
	s_delay_alu instid0(SALU_CYCLE_1)
	s_sub_co_i32 s49, s29, s33
	s_cmp_ge_u32 s29, s33
	s_cselect_b32 s29, s49, s29
	s_mov_b32 s49, exec_lo
	s_sub_co_i32 s50, s40, s29
	s_mov_b32 s40, 0
	s_mov_b32 s29, 0
	v_cmpx_gt_u32_e64 s50, v0
	s_cbranch_execz .LBB69_128
; %bb.119:                              ;   in Loop: Header=BB69_6 Depth=1
	v_dual_mov_b32 v44, v21 :: v_dual_mov_b32 v45, v0
                                        ; implicit-def: $sgpr51
	s_branch .LBB69_123
.LBB69_120:                             ;   in Loop: Header=BB69_123 Depth=2
	s_or_b32 exec_lo, exec_lo, s89
	s_wait_dscnt 0x0
	s_barrier_signal -1
	s_barrier_wait -1
	ds_load_b128 v[8:11], v23 offset:3072
	s_wait_dscnt 0x0
	s_barrier_signal -1
	s_barrier_wait -1
	v_cmp_neq_f64_e32 vcc_lo, 0, v[8:9]
	s_cbranch_vccnz .LBB69_126
; %bb.121:                              ;   in Loop: Header=BB69_123 Depth=2
	v_dual_add_nc_u32 v45, s33, v45 :: v_dual_add_nc_u32 v44, s75, v44
	s_mov_b32 s89, 0
	s_delay_alu instid0(VALU_DEP_1)
	v_cmp_le_u32_e32 vcc_lo, s50, v45
	s_or_not1_b32 s90, vcc_lo, exec_lo
.LBB69_122:                             ;   in Loop: Header=BB69_123 Depth=2
	s_delay_alu instid0(SALU_CYCLE_1) | instskip(NEXT) | instid1(SALU_CYCLE_1)
	s_and_b32 s90, exec_lo, s90
	s_or_b32 s29, s90, s29
	s_and_not1_b32 s51, s51, exec_lo
	s_and_b32 s89, s89, exec_lo
	s_delay_alu instid0(SALU_CYCLE_1)
	s_or_b32 s51, s51, s89
	s_and_not1_b32 exec_lo, exec_lo, s29
	s_cbranch_execz .LBB69_127
.LBB69_123:                             ;   Parent Loop BB69_6 Depth=1
                                        ; =>  This Inner Loop Header: Depth=2
	s_mov_b32 s89, exec_lo
	s_delay_alu instid0(VALU_DEP_1)
	v_cmpx_gt_u32_e64 s48, v45
	s_cbranch_execz .LBB69_120
; %bb.124:                              ;   in Loop: Header=BB69_123 Depth=2
	ds_load_b64 v[4:5], v44
	s_wait_dscnt 0x0
	v_cmp_o_f64_e32 vcc_lo, v[4:5], v[4:5]
	v_ashrrev_i32_e32 v2, 31, v5
	s_delay_alu instid0(VALU_DEP_1) | instskip(NEXT) | instid1(VALU_DEP_1)
	v_or_b32_e32 v8, 0x80000000, v2
	v_xor_b32_e32 v8, v8, v5
	v_xor_b32_e32 v2, v2, v4
	s_delay_alu instid0(VALU_DEP_1) | instskip(NEXT) | instid1(VALU_DEP_1)
	v_dual_cndmask_b32 v8, -1, v8, vcc_lo :: v_dual_cndmask_b32 v2, -1, v2, vcc_lo
	v_and_b32_e32 v9, v8, v13
	s_delay_alu instid0(VALU_DEP_2) | instskip(NEXT) | instid1(VALU_DEP_1)
	v_and_b32_e32 v8, v2, v12
	v_cmp_eq_u64_e32 vcc_lo, v[8:9], v[14:15]
	s_and_b32 exec_lo, exec_lo, vcc_lo
	s_cbranch_execz .LBB69_120
; %bb.125:                              ;   in Loop: Header=BB69_123 Depth=2
	v_mov_b32_e32 v2, v23
	ds_store_b128 v23, v[2:5] offset:3072
	s_branch .LBB69_120
.LBB69_126:                             ;   in Loop: Header=BB69_123 Depth=2
	s_mov_b32 s90, -1
	s_mov_b32 s89, -1
                                        ; implicit-def: $vgpr45
                                        ; implicit-def: $vgpr44
	s_branch .LBB69_122
.LBB69_127:                             ;   in Loop: Header=BB69_6 Depth=1
	s_or_b32 exec_lo, exec_lo, s29
	s_delay_alu instid0(SALU_CYCLE_1)
	s_and_b32 s29, s51, exec_lo
.LBB69_128:                             ;   in Loop: Header=BB69_6 Depth=1
	s_or_b32 exec_lo, exec_lo, s49
.LBB69_129:                             ;   in Loop: Header=BB69_6 Depth=1
	s_delay_alu instid0(SALU_CYCLE_1)
	s_and_b32 vcc_lo, exec_lo, s40
	s_cbranch_vccz .LBB69_141
; %bb.130:                              ;   in Loop: Header=BB69_6 Depth=1
                                        ; implicit-def: $vgpr10_vgpr11
	s_and_saveexec_b32 s21, s9
	s_cbranch_execz .LBB69_140
; %bb.131:                              ;   in Loop: Header=BB69_6 Depth=1
	v_dual_mov_b32 v44, v20 :: v_dual_mov_b32 v45, v0
	s_mov_b32 s26, 0
                                        ; implicit-def: $sgpr40
	s_branch .LBB69_135
.LBB69_132:                             ;   in Loop: Header=BB69_135 Depth=2
	s_or_b32 exec_lo, exec_lo, s48
	s_wait_dscnt 0x0
	s_barrier_signal -1
	s_barrier_wait -1
	ds_load_b128 v[8:11], v23 offset:3072
	s_wait_dscnt 0x0
	s_barrier_signal -1
	s_barrier_wait -1
	v_cmp_eq_f64_e32 vcc_lo, 0, v[8:9]
	s_cbranch_vccz .LBB69_138
; %bb.133:                              ;   in Loop: Header=BB69_135 Depth=2
	v_dual_add_nc_u32 v45, s33, v45 :: v_dual_add_nc_u32 v44, s52, v44
	s_mov_b32 s48, 0
	s_delay_alu instid0(VALU_DEP_1)
	v_cmp_le_u32_e32 vcc_lo, s72, v45
	s_or_not1_b32 s49, vcc_lo, exec_lo
.LBB69_134:                             ;   in Loop: Header=BB69_135 Depth=2
	s_delay_alu instid0(SALU_CYCLE_1) | instskip(NEXT) | instid1(SALU_CYCLE_1)
	s_and_b32 s49, exec_lo, s49
	s_or_b32 s26, s49, s26
	s_and_not1_b32 s40, s40, exec_lo
	s_and_b32 s48, s48, exec_lo
	s_delay_alu instid0(SALU_CYCLE_1)
	s_or_b32 s40, s40, s48
	s_and_not1_b32 exec_lo, exec_lo, s26
	s_cbranch_execz .LBB69_139
.LBB69_135:                             ;   Parent Loop BB69_6 Depth=1
                                        ; =>  This Inner Loop Header: Depth=2
	s_mov_b32 s48, exec_lo
	s_delay_alu instid0(VALU_DEP_1)
	v_cmpx_gt_u32_e64 s36, v45
	s_cbranch_execz .LBB69_132
; %bb.136:                              ;   in Loop: Header=BB69_135 Depth=2
	global_load_b64 v[4:5], v44, s[30:31] scale_offset
	s_wait_loadcnt 0x0
	v_cmp_o_f64_e32 vcc_lo, v[4:5], v[4:5]
	v_ashrrev_i32_e32 v2, 31, v5
	s_delay_alu instid0(VALU_DEP_1) | instskip(NEXT) | instid1(VALU_DEP_1)
	v_or_b32_e32 v8, 0x80000000, v2
	v_xor_b32_e32 v8, v8, v5
	v_xor_b32_e32 v2, v2, v4
	s_delay_alu instid0(VALU_DEP_1) | instskip(NEXT) | instid1(VALU_DEP_1)
	v_dual_cndmask_b32 v8, -1, v8, vcc_lo :: v_dual_cndmask_b32 v2, -1, v2, vcc_lo
	v_and_b32_e32 v9, v8, v13
	s_delay_alu instid0(VALU_DEP_2) | instskip(NEXT) | instid1(VALU_DEP_1)
	v_and_b32_e32 v8, v2, v12
	v_cmp_eq_u64_e32 vcc_lo, v[8:9], v[14:15]
	s_and_b32 exec_lo, exec_lo, vcc_lo
	s_cbranch_execz .LBB69_132
; %bb.137:                              ;   in Loop: Header=BB69_135 Depth=2
	v_mov_b32_e32 v2, v23
	ds_store_b128 v23, v[2:5] offset:3072
	s_branch .LBB69_132
.LBB69_138:                             ;   in Loop: Header=BB69_135 Depth=2
	s_mov_b32 s49, -1
	s_mov_b32 s48, -1
                                        ; implicit-def: $vgpr45
                                        ; implicit-def: $vgpr44
	s_branch .LBB69_134
.LBB69_139:                             ;   in Loop: Header=BB69_6 Depth=1
	s_or_b32 exec_lo, exec_lo, s26
	s_delay_alu instid0(SALU_CYCLE_1) | instskip(SKIP_1) | instid1(SALU_CYCLE_1)
	s_and_not1_b32 s26, s29, exec_lo
	s_and_b32 s29, s40, exec_lo
	s_or_b32 s29, s26, s29
.LBB69_140:                             ;   in Loop: Header=BB69_6 Depth=1
	s_or_b32 exec_lo, exec_lo, s21
	s_mov_b32 s21, 0
	s_mov_b32 s26, -1
.LBB69_141:                             ;   in Loop: Header=BB69_6 Depth=1
	s_or_not1_b32 s29, s29, exec_lo
.LBB69_142:                             ;   in Loop: Header=BB69_6 Depth=1
	s_or_b32 exec_lo, exec_lo, s27
	s_mov_b32 s40, 0
	s_and_saveexec_b32 s27, s29
	s_cbranch_execz .LBB69_235
; %bb.143:                              ;   in Loop: Header=BB69_6 Depth=1
	v_dual_mov_b32 v44, 1 :: v_dual_mov_b32 v22, 1
	s_xor_b32 s29, s28, -1
	s_mov_b32 s49, 0
	s_and_saveexec_b32 s28, s29
	s_cbranch_execz .LBB69_152
; %bb.144:                              ;   in Loop: Header=BB69_6 Depth=1
	s_mov_b32 s29, exec_lo
	v_cmpx_ge_u32_e64 s18, v43
	s_xor_b32 s29, exec_lo, s29
	s_cbranch_execz .LBB69_149
; %bb.145:                              ;   in Loop: Header=BB69_6 Depth=1
	ds_load_b32 v2, v23 offset:4096
	v_and_b32_e32 v4, s15, v15
	v_and_b32_e32 v5, s14, v14
	s_lshl_b64 s[48:49], 1, s76
	v_or_b32_e32 v13, s13, v13
	v_or_b32_e32 v12, s12, v12
	;; [unrolled: 1-line block ×4, first 2 shown]
	s_wait_dscnt 0x0
	v_cmp_ne_u32_e32 vcc_lo, 0, v2
	s_cbranch_vccnz .LBB69_149
; %bb.146:                              ;   in Loop: Header=BB69_6 Depth=1
	s_and_saveexec_b32 s40, s5
; %bb.147:                              ;   in Loop: Header=BB69_6 Depth=1
	v_mov_b32_e32 v2, s18
	ds_store_b32 v23, v2 offset:4100
; %bb.148:                              ;   in Loop: Header=BB69_6 Depth=1
	s_or_b32 exec_lo, exec_lo, s40
	s_wait_dscnt 0x0
	s_barrier_signal -1
	s_barrier_wait -1
.LBB69_149:                             ;   in Loop: Header=BB69_6 Depth=1
	s_or_saveexec_b32 s29, s29
	v_mov_b32_e32 v22, 8
	s_mov_b32 s40, 0
	s_xor_b32 exec_lo, exec_lo, s29
; %bb.150:                              ;   in Loop: Header=BB69_6 Depth=1
	v_subrev_nc_u32_e32 v43, s18, v43
	v_mov_b32_e32 v22, 0
	s_mov_b32 s40, exec_lo
; %bb.151:                              ;   in Loop: Header=BB69_6 Depth=1
	s_or_b32 exec_lo, exec_lo, s29
	s_delay_alu instid0(VALU_DEP_2)
	v_mov_b32_e32 v44, v43
	s_and_b32 s49, s40, exec_lo
.LBB69_152:                             ;   in Loop: Header=BB69_6 Depth=1
	s_or_b32 exec_lo, exec_lo, s28
	s_mov_b32 s40, -1
                                        ; implicit-def: $sgpr29
                                        ; implicit-def: $sgpr48
	s_and_saveexec_b32 s28, s49
	s_cbranch_execz .LBB69_234
; %bb.153:                              ;   in Loop: Header=BB69_6 Depth=1
	v_cmp_eq_u32_e32 vcc_lo, 1, v44
	s_cmp_eq_u32 s19, 1
                                        ; implicit-def: $sgpr48
	s_cselect_b32 s29, -1, 0
	s_delay_alu instid0(SALU_CYCLE_1) | instskip(NEXT) | instid1(SALU_CYCLE_1)
	s_and_b32 s50, s29, vcc_lo
                                        ; implicit-def: $sgpr29
	s_and_saveexec_b32 s49, s50
	s_cbranch_execz .LBB69_181
; %bb.154:                              ;   in Loop: Header=BB69_6 Depth=1
	ds_load_b32 v2, v23 offset:4096
	s_wait_dscnt 0x0
	s_barrier_signal -1
	s_barrier_wait -1
	v_readfirstlane_b32 s51, v2
	s_and_saveexec_b32 s29, s6
; %bb.155:                              ;   in Loop: Header=BB69_6 Depth=1
	ds_store_b64 v32, v[28:29]
; %bb.156:                              ;   in Loop: Header=BB69_6 Depth=1
	s_or_b32 exec_lo, exec_lo, s29
	v_and_b32_e32 v2, s15, v15
	v_and_b32_e32 v4, s14, v14
	s_lshl_b64 s[90:91], 2, s76
	v_or_b32_e32 v13, s13, v13
	v_or_b32_e32 v12, s12, v12
	;; [unrolled: 1-line block ×4, first 2 shown]
	s_mov_b32 s29, -1
	s_mov_b32 s48, 0
	s_cmp_eq_u32 s51, 0
	s_mov_b32 s40, 0
	s_mov_b32 s89, -1
	s_wait_dscnt 0x0
	s_barrier_signal -1
	s_barrier_wait -1
                                        ; implicit-def: $vgpr10_vgpr11
	s_cbranch_scc1 .LBB69_168
; %bb.157:                              ;   in Loop: Header=BB69_6 Depth=1
	s_add_co_i32 s40, s51, s62
                                        ; implicit-def: $vgpr10_vgpr11
	s_delay_alu instid0(SALU_CYCLE_1) | instskip(NEXT) | instid1(SALU_CYCLE_1)
	s_mul_u64 s[90:91], s[40:41], s[44:45]
	s_mul_i32 s89, s91, s33
	s_delay_alu instid0(SALU_CYCLE_1) | instskip(NEXT) | instid1(SALU_CYCLE_1)
	s_sub_co_i32 s89, s40, s89
	s_sub_co_i32 s90, s89, s33
	s_cmp_ge_u32 s89, s33
	s_cselect_b32 s89, s90, s89
	s_delay_alu instid0(SALU_CYCLE_1)
	s_sub_co_i32 s90, s89, s33
	s_cmp_ge_u32 s89, s33
	s_cselect_b32 s89, s90, s89
	s_mov_b32 s90, exec_lo
	s_sub_co_i32 s91, s40, s89
	s_mov_b32 s89, 0
	s_mov_b32 s40, 0
	v_cmpx_gt_u32_e64 s91, v0
	s_cbranch_execz .LBB69_167
; %bb.158:                              ;   in Loop: Header=BB69_6 Depth=1
	v_dual_mov_b32 v43, v21 :: v_dual_mov_b32 v45, v0
                                        ; implicit-def: $sgpr92
	s_branch .LBB69_162
.LBB69_159:                             ;   in Loop: Header=BB69_162 Depth=2
	s_or_b32 exec_lo, exec_lo, s93
	s_wait_dscnt 0x0
	s_barrier_signal -1
	s_barrier_wait -1
	ds_load_b128 v[8:11], v23 offset:3072
	s_wait_dscnt 0x0
	s_barrier_signal -1
	s_barrier_wait -1
	v_cmp_neq_f64_e32 vcc_lo, 0, v[8:9]
	s_cbranch_vccnz .LBB69_165
; %bb.160:                              ;   in Loop: Header=BB69_162 Depth=2
	v_dual_add_nc_u32 v45, s33, v45 :: v_dual_add_nc_u32 v43, s75, v43
	s_mov_b32 s93, 0
	s_delay_alu instid0(VALU_DEP_1)
	v_cmp_le_u32_e32 vcc_lo, s91, v45
	s_or_not1_b32 s94, vcc_lo, exec_lo
.LBB69_161:                             ;   in Loop: Header=BB69_162 Depth=2
	s_delay_alu instid0(SALU_CYCLE_1) | instskip(NEXT) | instid1(SALU_CYCLE_1)
	s_and_b32 s94, exec_lo, s94
	s_or_b32 s40, s94, s40
	s_and_not1_b32 s92, s92, exec_lo
	s_and_b32 s93, s93, exec_lo
	s_delay_alu instid0(SALU_CYCLE_1)
	s_or_b32 s92, s92, s93
	s_and_not1_b32 exec_lo, exec_lo, s40
	s_cbranch_execz .LBB69_166
.LBB69_162:                             ;   Parent Loop BB69_6 Depth=1
                                        ; =>  This Inner Loop Header: Depth=2
	s_mov_b32 s93, exec_lo
	s_delay_alu instid0(VALU_DEP_1)
	v_cmpx_gt_u32_e64 s51, v45
	s_cbranch_execz .LBB69_159
; %bb.163:                              ;   in Loop: Header=BB69_162 Depth=2
	ds_load_b64 v[4:5], v43
	s_wait_dscnt 0x0
	v_cmp_o_f64_e32 vcc_lo, v[4:5], v[4:5]
	v_ashrrev_i32_e32 v2, 31, v5
	s_delay_alu instid0(VALU_DEP_1) | instskip(NEXT) | instid1(VALU_DEP_1)
	v_or_b32_e32 v8, 0x80000000, v2
	v_xor_b32_e32 v8, v8, v5
	v_xor_b32_e32 v2, v2, v4
	s_delay_alu instid0(VALU_DEP_1) | instskip(NEXT) | instid1(VALU_DEP_1)
	v_dual_cndmask_b32 v8, -1, v8, vcc_lo :: v_dual_cndmask_b32 v2, -1, v2, vcc_lo
	v_and_b32_e32 v9, v8, v13
	s_delay_alu instid0(VALU_DEP_2) | instskip(NEXT) | instid1(VALU_DEP_1)
	v_and_b32_e32 v8, v2, v12
	v_cmp_eq_u64_e32 vcc_lo, v[8:9], v[14:15]
	s_and_b32 exec_lo, exec_lo, vcc_lo
	s_cbranch_execz .LBB69_159
; %bb.164:                              ;   in Loop: Header=BB69_162 Depth=2
	v_mov_b32_e32 v2, v23
	ds_store_b128 v23, v[2:5] offset:3072
	s_branch .LBB69_159
.LBB69_165:                             ;   in Loop: Header=BB69_162 Depth=2
	s_mov_b32 s94, -1
	s_mov_b32 s93, -1
                                        ; implicit-def: $vgpr45
                                        ; implicit-def: $vgpr43
	s_branch .LBB69_161
.LBB69_166:                             ;   in Loop: Header=BB69_6 Depth=1
	s_or_b32 exec_lo, exec_lo, s40
	s_delay_alu instid0(SALU_CYCLE_1)
	s_and_b32 s40, s92, exec_lo
.LBB69_167:                             ;   in Loop: Header=BB69_6 Depth=1
	s_or_b32 exec_lo, exec_lo, s90
.LBB69_168:                             ;   in Loop: Header=BB69_6 Depth=1
	s_delay_alu instid0(SALU_CYCLE_1)
	s_and_b32 vcc_lo, exec_lo, s89
	s_cbranch_vccz .LBB69_180
; %bb.169:                              ;   in Loop: Header=BB69_6 Depth=1
                                        ; implicit-def: $vgpr10_vgpr11
	s_and_saveexec_b32 s29, s9
	s_cbranch_execz .LBB69_179
; %bb.170:                              ;   in Loop: Header=BB69_6 Depth=1
	v_dual_mov_b32 v43, v20 :: v_dual_mov_b32 v45, v0
	s_mov_b32 s48, 0
                                        ; implicit-def: $sgpr51
	s_branch .LBB69_174
.LBB69_171:                             ;   in Loop: Header=BB69_174 Depth=2
	s_or_b32 exec_lo, exec_lo, s89
	s_wait_dscnt 0x0
	s_barrier_signal -1
	s_barrier_wait -1
	ds_load_b128 v[8:11], v23 offset:3072
	s_wait_dscnt 0x0
	s_barrier_signal -1
	s_barrier_wait -1
	v_cmp_eq_f64_e32 vcc_lo, 0, v[8:9]
	s_cbranch_vccz .LBB69_177
; %bb.172:                              ;   in Loop: Header=BB69_174 Depth=2
	v_dual_add_nc_u32 v45, s33, v45 :: v_dual_add_nc_u32 v43, s52, v43
	s_mov_b32 s89, 0
	s_delay_alu instid0(VALU_DEP_1)
	v_cmp_le_u32_e32 vcc_lo, s72, v45
	s_or_not1_b32 s90, vcc_lo, exec_lo
.LBB69_173:                             ;   in Loop: Header=BB69_174 Depth=2
	s_delay_alu instid0(SALU_CYCLE_1) | instskip(NEXT) | instid1(SALU_CYCLE_1)
	s_and_b32 s90, exec_lo, s90
	s_or_b32 s48, s90, s48
	s_and_not1_b32 s51, s51, exec_lo
	s_and_b32 s89, s89, exec_lo
	s_delay_alu instid0(SALU_CYCLE_1)
	s_or_b32 s51, s51, s89
	s_and_not1_b32 exec_lo, exec_lo, s48
	s_cbranch_execz .LBB69_178
.LBB69_174:                             ;   Parent Loop BB69_6 Depth=1
                                        ; =>  This Inner Loop Header: Depth=2
	s_mov_b32 s89, exec_lo
	s_delay_alu instid0(VALU_DEP_1)
	v_cmpx_gt_u32_e64 s36, v45
	s_cbranch_execz .LBB69_171
; %bb.175:                              ;   in Loop: Header=BB69_174 Depth=2
	global_load_b64 v[4:5], v43, s[30:31] scale_offset
	s_wait_loadcnt 0x0
	v_cmp_o_f64_e32 vcc_lo, v[4:5], v[4:5]
	v_ashrrev_i32_e32 v2, 31, v5
	s_delay_alu instid0(VALU_DEP_1) | instskip(NEXT) | instid1(VALU_DEP_1)
	v_or_b32_e32 v8, 0x80000000, v2
	v_xor_b32_e32 v8, v8, v5
	v_xor_b32_e32 v2, v2, v4
	s_delay_alu instid0(VALU_DEP_1) | instskip(NEXT) | instid1(VALU_DEP_1)
	v_dual_cndmask_b32 v8, -1, v8, vcc_lo :: v_dual_cndmask_b32 v2, -1, v2, vcc_lo
	v_and_b32_e32 v9, v8, v13
	s_delay_alu instid0(VALU_DEP_2) | instskip(NEXT) | instid1(VALU_DEP_1)
	v_and_b32_e32 v8, v2, v12
	v_cmp_eq_u64_e32 vcc_lo, v[8:9], v[14:15]
	s_and_b32 exec_lo, exec_lo, vcc_lo
	s_cbranch_execz .LBB69_171
; %bb.176:                              ;   in Loop: Header=BB69_174 Depth=2
	v_mov_b32_e32 v2, v23
	ds_store_b128 v23, v[2:5] offset:3072
	s_branch .LBB69_171
.LBB69_177:                             ;   in Loop: Header=BB69_174 Depth=2
	s_mov_b32 s90, -1
	s_mov_b32 s89, -1
                                        ; implicit-def: $vgpr45
                                        ; implicit-def: $vgpr43
	s_branch .LBB69_173
.LBB69_178:                             ;   in Loop: Header=BB69_6 Depth=1
	s_or_b32 exec_lo, exec_lo, s48
	s_delay_alu instid0(SALU_CYCLE_1) | instskip(SKIP_1) | instid1(SALU_CYCLE_1)
	s_and_not1_b32 s40, s40, exec_lo
	s_and_b32 s48, s51, exec_lo
	s_or_b32 s40, s40, s48
.LBB69_179:                             ;   in Loop: Header=BB69_6 Depth=1
	s_or_b32 exec_lo, exec_lo, s29
	s_mov_b32 s29, 0
	s_mov_b32 s48, -1
.LBB69_180:                             ;   in Loop: Header=BB69_6 Depth=1
	s_or_not1_b32 s40, s40, exec_lo
.LBB69_181:                             ;   in Loop: Header=BB69_6 Depth=1
	s_or_b32 exec_lo, exec_lo, s49
	s_mov_b32 s51, 0
	s_and_saveexec_b32 s49, s40
	s_cbranch_execz .LBB69_233
; %bb.182:                              ;   in Loop: Header=BB69_6 Depth=1
	v_dual_mov_b32 v43, 1 :: v_dual_mov_b32 v22, 1
	s_xor_b32 s50, s50, -1
	s_delay_alu instid0(SALU_CYCLE_1)
	s_and_saveexec_b32 s40, s50
	s_cbranch_execz .LBB69_191
; %bb.183:                              ;   in Loop: Header=BB69_6 Depth=1
	s_mov_b32 s50, exec_lo
	v_cmpx_ge_u32_e64 s19, v44
	s_xor_b32 s50, exec_lo, s50
	s_cbranch_execz .LBB69_188
; %bb.184:                              ;   in Loop: Header=BB69_6 Depth=1
	ds_load_b32 v2, v23 offset:4096
	v_and_b32_e32 v4, s15, v15
	v_and_b32_e32 v5, s14, v14
	s_lshl_b64 s[90:91], 2, s76
	v_or_b32_e32 v13, s13, v13
	v_or_b32_e32 v12, s12, v12
	;; [unrolled: 1-line block ×4, first 2 shown]
	s_wait_dscnt 0x0
	v_cmp_ne_u32_e32 vcc_lo, 0, v2
	s_cbranch_vccnz .LBB69_188
; %bb.185:                              ;   in Loop: Header=BB69_6 Depth=1
	s_and_saveexec_b32 s51, s5
; %bb.186:                              ;   in Loop: Header=BB69_6 Depth=1
	v_mov_b32_e32 v2, s19
	ds_store_b32 v23, v2 offset:4100
; %bb.187:                              ;   in Loop: Header=BB69_6 Depth=1
	s_or_b32 exec_lo, exec_lo, s51
	s_wait_dscnt 0x0
	s_barrier_signal -1
	s_barrier_wait -1
.LBB69_188:                             ;   in Loop: Header=BB69_6 Depth=1
	s_or_saveexec_b32 s50, s50
	v_mov_b32_e32 v22, 8
	s_mov_b32 s51, 0
	s_xor_b32 exec_lo, exec_lo, s50
; %bb.189:                              ;   in Loop: Header=BB69_6 Depth=1
	v_subrev_nc_u32_e32 v44, s19, v44
	v_mov_b32_e32 v22, 0
	s_mov_b32 s51, exec_lo
; %bb.190:                              ;   in Loop: Header=BB69_6 Depth=1
	s_or_b32 exec_lo, exec_lo, s50
	s_delay_alu instid0(VALU_DEP_2)
	v_mov_b32_e32 v43, v44
	s_and_b32 s51, s51, exec_lo
.LBB69_191:                             ;   in Loop: Header=BB69_6 Depth=1
	s_or_b32 exec_lo, exec_lo, s40
	s_mov_b32 s40, -1
                                        ; implicit-def: $sgpr90
                                        ; implicit-def: $sgpr89
	s_and_saveexec_b32 s50, s51
	s_cbranch_execz .LBB69_232
; %bb.192:                              ;   in Loop: Header=BB69_6 Depth=1
	v_cmp_eq_u32_e32 vcc_lo, 1, v43
	s_cmp_eq_u32 s20, 1
	s_mov_b32 s92, -1
	s_cselect_b32 s40, -1, 0
                                        ; implicit-def: $sgpr90
                                        ; implicit-def: $sgpr89
	s_delay_alu instid0(SALU_CYCLE_1) | instskip(NEXT) | instid1(SALU_CYCLE_1)
	s_and_b32 s51, s40, vcc_lo
	s_and_saveexec_b32 s91, s51
	s_cbranch_execz .LBB69_220
; %bb.193:                              ;   in Loop: Header=BB69_6 Depth=1
	ds_load_b32 v2, v23 offset:4096
	s_wait_dscnt 0x0
	s_barrier_signal -1
	s_barrier_wait -1
	v_readfirstlane_b32 s92, v2
	s_and_saveexec_b32 s40, s6
; %bb.194:                              ;   in Loop: Header=BB69_6 Depth=1
	ds_store_b64 v32, v[28:29]
; %bb.195:                              ;   in Loop: Header=BB69_6 Depth=1
	s_or_b32 exec_lo, exec_lo, s40
	v_or_b32_e32 v15, s13, v15
	v_or_b32_e32 v14, s12, v14
	;; [unrolled: 1-line block ×4, first 2 shown]
	s_mov_b32 s89, -1
	s_mov_b32 s90, 0
	s_cmp_eq_u32 s92, 0
	s_mov_b32 s40, 0
	s_mov_b32 s93, -1
	s_wait_dscnt 0x0
	s_barrier_signal -1
	s_barrier_wait -1
                                        ; implicit-def: $vgpr10_vgpr11
	s_cbranch_scc1 .LBB69_207
; %bb.196:                              ;   in Loop: Header=BB69_6 Depth=1
	s_add_co_i32 s40, s92, s62
                                        ; implicit-def: $vgpr10_vgpr11
	s_delay_alu instid0(SALU_CYCLE_1) | instskip(NEXT) | instid1(SALU_CYCLE_1)
	s_mul_u64 s[94:95], s[40:41], s[44:45]
	s_mul_i32 s93, s95, s33
	s_delay_alu instid0(SALU_CYCLE_1) | instskip(NEXT) | instid1(SALU_CYCLE_1)
	s_sub_co_i32 s93, s40, s93
	s_sub_co_i32 s94, s93, s33
	s_cmp_ge_u32 s93, s33
	s_cselect_b32 s93, s94, s93
	s_delay_alu instid0(SALU_CYCLE_1)
	s_sub_co_i32 s94, s93, s33
	s_cmp_ge_u32 s93, s33
	s_cselect_b32 s93, s94, s93
	s_mov_b32 s94, exec_lo
	s_sub_co_i32 s95, s40, s93
	s_mov_b32 s93, 0
	s_mov_b32 s40, 0
	v_cmpx_gt_u32_e64 s95, v0
	s_cbranch_execz .LBB69_206
; %bb.197:                              ;   in Loop: Header=BB69_6 Depth=1
	v_dual_mov_b32 v44, v21 :: v_dual_mov_b32 v45, v0
                                        ; implicit-def: $sgpr96
	s_branch .LBB69_201
.LBB69_198:                             ;   in Loop: Header=BB69_201 Depth=2
	s_or_b32 exec_lo, exec_lo, s97
	s_wait_dscnt 0x0
	s_barrier_signal -1
	s_barrier_wait -1
	ds_load_b128 v[8:11], v23 offset:3072
	s_wait_dscnt 0x0
	s_barrier_signal -1
	s_barrier_wait -1
	v_cmp_neq_f64_e32 vcc_lo, 0, v[8:9]
	s_cbranch_vccnz .LBB69_204
; %bb.199:                              ;   in Loop: Header=BB69_201 Depth=2
	v_dual_add_nc_u32 v45, s33, v45 :: v_dual_add_nc_u32 v44, s75, v44
	s_mov_b32 s97, 0
	s_delay_alu instid0(VALU_DEP_1)
	v_cmp_le_u32_e32 vcc_lo, s95, v45
	s_or_not1_b32 s98, vcc_lo, exec_lo
.LBB69_200:                             ;   in Loop: Header=BB69_201 Depth=2
	s_delay_alu instid0(SALU_CYCLE_1) | instskip(NEXT) | instid1(SALU_CYCLE_1)
	s_and_b32 s98, exec_lo, s98
	s_or_b32 s40, s98, s40
	s_and_not1_b32 s96, s96, exec_lo
	s_and_b32 s97, s97, exec_lo
	s_delay_alu instid0(SALU_CYCLE_1)
	s_or_b32 s96, s96, s97
	s_and_not1_b32 exec_lo, exec_lo, s40
	s_cbranch_execz .LBB69_205
.LBB69_201:                             ;   Parent Loop BB69_6 Depth=1
                                        ; =>  This Inner Loop Header: Depth=2
	s_mov_b32 s97, exec_lo
	s_delay_alu instid0(VALU_DEP_1)
	v_cmpx_gt_u32_e64 s92, v45
	s_cbranch_execz .LBB69_198
; %bb.202:                              ;   in Loop: Header=BB69_201 Depth=2
	ds_load_b64 v[4:5], v44
	s_wait_dscnt 0x0
	v_cmp_o_f64_e32 vcc_lo, v[4:5], v[4:5]
	v_ashrrev_i32_e32 v2, 31, v5
	s_delay_alu instid0(VALU_DEP_1) | instskip(NEXT) | instid1(VALU_DEP_1)
	v_or_b32_e32 v8, 0x80000000, v2
	v_xor_b32_e32 v8, v8, v5
	v_xor_b32_e32 v2, v2, v4
	s_delay_alu instid0(VALU_DEP_1) | instskip(NEXT) | instid1(VALU_DEP_1)
	v_dual_cndmask_b32 v8, -1, v8, vcc_lo :: v_dual_cndmask_b32 v2, -1, v2, vcc_lo
	v_and_b32_e32 v9, v8, v13
	s_delay_alu instid0(VALU_DEP_2) | instskip(NEXT) | instid1(VALU_DEP_1)
	v_and_b32_e32 v8, v2, v12
	v_cmp_eq_u64_e32 vcc_lo, v[8:9], v[14:15]
	s_and_b32 exec_lo, exec_lo, vcc_lo
	s_cbranch_execz .LBB69_198
; %bb.203:                              ;   in Loop: Header=BB69_201 Depth=2
	v_mov_b32_e32 v2, v23
	ds_store_b128 v23, v[2:5] offset:3072
	s_branch .LBB69_198
.LBB69_204:                             ;   in Loop: Header=BB69_201 Depth=2
	s_mov_b32 s98, -1
	s_mov_b32 s97, -1
                                        ; implicit-def: $vgpr45
                                        ; implicit-def: $vgpr44
	s_branch .LBB69_200
.LBB69_205:                             ;   in Loop: Header=BB69_6 Depth=1
	s_or_b32 exec_lo, exec_lo, s40
	s_delay_alu instid0(SALU_CYCLE_1)
	s_and_b32 s40, s96, exec_lo
.LBB69_206:                             ;   in Loop: Header=BB69_6 Depth=1
	s_or_b32 exec_lo, exec_lo, s94
.LBB69_207:                             ;   in Loop: Header=BB69_6 Depth=1
	s_delay_alu instid0(SALU_CYCLE_1)
	s_and_b32 vcc_lo, exec_lo, s93
	s_cbranch_vccz .LBB69_219
; %bb.208:                              ;   in Loop: Header=BB69_6 Depth=1
                                        ; implicit-def: $vgpr10_vgpr11
	s_and_saveexec_b32 s89, s9
	s_cbranch_execz .LBB69_218
; %bb.209:                              ;   in Loop: Header=BB69_6 Depth=1
	v_dual_mov_b32 v44, v20 :: v_dual_mov_b32 v45, v0
	s_mov_b32 s90, 0
                                        ; implicit-def: $sgpr92
	s_branch .LBB69_213
.LBB69_210:                             ;   in Loop: Header=BB69_213 Depth=2
	s_or_b32 exec_lo, exec_lo, s93
	s_wait_dscnt 0x0
	s_barrier_signal -1
	s_barrier_wait -1
	ds_load_b128 v[8:11], v23 offset:3072
	s_wait_dscnt 0x0
	s_barrier_signal -1
	s_barrier_wait -1
	v_cmp_eq_f64_e32 vcc_lo, 0, v[8:9]
	s_cbranch_vccz .LBB69_216
; %bb.211:                              ;   in Loop: Header=BB69_213 Depth=2
	v_dual_add_nc_u32 v45, s33, v45 :: v_dual_add_nc_u32 v44, s52, v44
	s_mov_b32 s93, 0
	s_delay_alu instid0(VALU_DEP_1)
	v_cmp_le_u32_e32 vcc_lo, s72, v45
	s_or_not1_b32 s94, vcc_lo, exec_lo
.LBB69_212:                             ;   in Loop: Header=BB69_213 Depth=2
	s_delay_alu instid0(SALU_CYCLE_1) | instskip(NEXT) | instid1(SALU_CYCLE_1)
	s_and_b32 s94, exec_lo, s94
	s_or_b32 s90, s94, s90
	s_and_not1_b32 s92, s92, exec_lo
	s_and_b32 s93, s93, exec_lo
	s_delay_alu instid0(SALU_CYCLE_1)
	s_or_b32 s92, s92, s93
	s_and_not1_b32 exec_lo, exec_lo, s90
	s_cbranch_execz .LBB69_217
.LBB69_213:                             ;   Parent Loop BB69_6 Depth=1
                                        ; =>  This Inner Loop Header: Depth=2
	s_mov_b32 s93, exec_lo
	s_delay_alu instid0(VALU_DEP_1)
	v_cmpx_gt_u32_e64 s36, v45
	s_cbranch_execz .LBB69_210
; %bb.214:                              ;   in Loop: Header=BB69_213 Depth=2
	global_load_b64 v[4:5], v44, s[30:31] scale_offset
	s_wait_loadcnt 0x0
	v_cmp_o_f64_e32 vcc_lo, v[4:5], v[4:5]
	v_ashrrev_i32_e32 v2, 31, v5
	s_delay_alu instid0(VALU_DEP_1) | instskip(NEXT) | instid1(VALU_DEP_1)
	v_or_b32_e32 v8, 0x80000000, v2
	v_xor_b32_e32 v8, v8, v5
	v_xor_b32_e32 v2, v2, v4
	s_delay_alu instid0(VALU_DEP_1) | instskip(NEXT) | instid1(VALU_DEP_1)
	v_dual_cndmask_b32 v8, -1, v8, vcc_lo :: v_dual_cndmask_b32 v2, -1, v2, vcc_lo
	v_and_b32_e32 v9, v8, v13
	s_delay_alu instid0(VALU_DEP_2) | instskip(NEXT) | instid1(VALU_DEP_1)
	v_and_b32_e32 v8, v2, v12
	v_cmp_eq_u64_e32 vcc_lo, v[8:9], v[14:15]
	s_and_b32 exec_lo, exec_lo, vcc_lo
	s_cbranch_execz .LBB69_210
; %bb.215:                              ;   in Loop: Header=BB69_213 Depth=2
	v_mov_b32_e32 v2, v23
	ds_store_b128 v23, v[2:5] offset:3072
	s_branch .LBB69_210
.LBB69_216:                             ;   in Loop: Header=BB69_213 Depth=2
	s_mov_b32 s94, -1
	s_mov_b32 s93, -1
                                        ; implicit-def: $vgpr45
                                        ; implicit-def: $vgpr44
	s_branch .LBB69_212
.LBB69_217:                             ;   in Loop: Header=BB69_6 Depth=1
	s_or_b32 exec_lo, exec_lo, s90
	s_delay_alu instid0(SALU_CYCLE_1) | instskip(SKIP_1) | instid1(SALU_CYCLE_1)
	s_and_not1_b32 s40, s40, exec_lo
	s_and_b32 s90, s92, exec_lo
	s_or_b32 s40, s40, s90
.LBB69_218:                             ;   in Loop: Header=BB69_6 Depth=1
	s_or_b32 exec_lo, exec_lo, s89
	s_mov_b32 s89, 0
	s_mov_b32 s90, -1
.LBB69_219:                             ;   in Loop: Header=BB69_6 Depth=1
	s_or_not1_b32 s92, s40, exec_lo
.LBB69_220:                             ;   in Loop: Header=BB69_6 Depth=1
	s_or_b32 exec_lo, exec_lo, s91
	s_mov_b32 s91, 0
	s_and_saveexec_b32 s40, s92
	s_cbranch_execz .LBB69_231
; %bb.221:                              ;   in Loop: Header=BB69_6 Depth=1
	v_dual_mov_b32 v22, 1 :: v_dual_mov_b32 v2, 1
	s_xor_b32 s91, s51, -1
	s_delay_alu instid0(SALU_CYCLE_1)
	s_and_saveexec_b32 s51, s91
	s_cbranch_execz .LBB69_230
; %bb.222:                              ;   in Loop: Header=BB69_6 Depth=1
	s_mov_b32 s91, exec_lo
	v_cmpx_ge_u32_e64 s20, v43
	s_xor_b32 s91, exec_lo, s91
	s_cbranch_execz .LBB69_227
; %bb.223:                              ;   in Loop: Header=BB69_6 Depth=1
	ds_load_b32 v2, v23 offset:4096
	v_or_b32_e32 v15, s13, v15
	v_or_b32_e32 v14, s12, v14
	;; [unrolled: 1-line block ×4, first 2 shown]
	s_wait_dscnt 0x0
	v_cmp_ne_u32_e32 vcc_lo, 0, v2
	s_cbranch_vccnz .LBB69_227
; %bb.224:                              ;   in Loop: Header=BB69_6 Depth=1
	s_and_saveexec_b32 s92, s5
; %bb.225:                              ;   in Loop: Header=BB69_6 Depth=1
	v_mov_b32_e32 v2, s20
	ds_store_b32 v23, v2 offset:4100
; %bb.226:                              ;   in Loop: Header=BB69_6 Depth=1
	s_or_b32 exec_lo, exec_lo, s92
	s_wait_dscnt 0x0
	s_barrier_signal -1
	s_barrier_wait -1
.LBB69_227:                             ;   in Loop: Header=BB69_6 Depth=1
	s_and_not1_saveexec_b32 s91, s91
; %bb.228:                              ;   in Loop: Header=BB69_6 Depth=1
	v_subrev_nc_u32_e32 v43, s20, v43
; %bb.229:                              ;   in Loop: Header=BB69_6 Depth=1
	s_or_b32 exec_lo, exec_lo, s91
	s_delay_alu instid0(VALU_DEP_1)
	v_dual_mov_b32 v22, 8 :: v_dual_mov_b32 v2, v43
.LBB69_230:                             ;   in Loop: Header=BB69_6 Depth=1
	s_or_b32 exec_lo, exec_lo, s51
	s_delay_alu instid0(VALU_DEP_1)
	v_mov_b32_e32 v43, v2
	s_mov_b32 s91, exec_lo
.LBB69_231:                             ;   in Loop: Header=BB69_6 Depth=1
	s_or_b32 exec_lo, exec_lo, s40
	s_delay_alu instid0(SALU_CYCLE_1)
	s_or_not1_b32 s40, s91, exec_lo
.LBB69_232:                             ;   in Loop: Header=BB69_6 Depth=1
	s_or_b32 exec_lo, exec_lo, s50
	v_mov_b32_e32 v44, v43
	s_and_not1_b32 s48, s48, exec_lo
	s_and_b32 s50, s90, exec_lo
	s_and_not1_b32 s29, s29, exec_lo
	s_and_b32 s51, s89, exec_lo
	s_or_b32 s48, s48, s50
	s_or_b32 s29, s29, s51
	s_and_b32 s51, s40, exec_lo
.LBB69_233:                             ;   in Loop: Header=BB69_6 Depth=1
	s_or_b32 exec_lo, exec_lo, s49
	s_delay_alu instid0(SALU_CYCLE_1)
	s_or_not1_b32 s40, s51, exec_lo
.LBB69_234:                             ;   in Loop: Header=BB69_6 Depth=1
	s_or_b32 exec_lo, exec_lo, s28
	v_mov_b32_e32 v43, v44
	s_and_not1_b32 s26, s26, exec_lo
	s_and_b32 s28, s48, exec_lo
	s_and_not1_b32 s21, s21, exec_lo
	s_and_b32 s29, s29, exec_lo
	s_or_b32 s26, s26, s28
	s_or_b32 s21, s21, s29
	s_and_b32 s40, s40, exec_lo
.LBB69_235:                             ;   in Loop: Header=BB69_6 Depth=1
	s_or_b32 exec_lo, exec_lo, s27
	s_delay_alu instid0(SALU_CYCLE_1)
	s_or_not1_b32 s27, s40, exec_lo
.LBB69_236:                             ;   in Loop: Header=BB69_6 Depth=1
	s_or_b32 exec_lo, exec_lo, s11
	s_mov_b32 s28, 0
	s_mov_b32 s29, 0
	s_and_saveexec_b32 s11, s27
	s_delay_alu instid0(SALU_CYCLE_1)
	s_xor_b32 s27, exec_lo, s11
; %bb.237:                              ;   in Loop: Header=BB69_6 Depth=1
	v_cmp_ne_u32_e32 vcc_lo, 8, v22
	v_cmp_eq_u32_e64 s11, 8, v22
	s_and_b32 s29, vcc_lo, exec_lo
	s_and_b32 s28, s11, exec_lo
; %bb.238:                              ;   in Loop: Header=BB69_6 Depth=1
	s_or_b32 exec_lo, exec_lo, s27
	s_delay_alu instid0(SALU_CYCLE_1)
	s_and_not1_b32 s11, s23, exec_lo
	s_and_b32 s23, s26, exec_lo
	s_and_not1_b32 s22, s22, exec_lo
	s_and_b32 s21, s21, exec_lo
	s_or_b32 s23, s11, s23
	s_or_b32 s22, s22, s21
	s_and_b32 s11, s29, exec_lo
	s_and_b32 s21, s28, exec_lo
.LBB69_239:                             ;   in Loop: Header=BB69_6 Depth=1
	s_or_b32 exec_lo, exec_lo, s25
.LBB69_240:                             ;   in Loop: Header=BB69_6 Depth=1
	s_delay_alu instid0(SALU_CYCLE_1)
	s_and_b32 vcc_lo, exec_lo, s24
	s_cbranch_vccz .LBB69_254
; %bb.241:                              ;   in Loop: Header=BB69_6 Depth=1
	s_cmp_eq_u32 s20, 1
	s_mov_b32 s23, -1
	s_cselect_b32 s16, -1, 0
                                        ; implicit-def: $sgpr24
	s_delay_alu instid0(SALU_CYCLE_1) | instskip(NEXT) | instid1(SALU_CYCLE_1)
	s_and_b32 s10, s16, s10
                                        ; implicit-def: $sgpr16
	s_and_saveexec_b32 s22, s10
	s_cbranch_execz .LBB69_270
; %bb.242:                              ;   in Loop: Header=BB69_6 Depth=1
	ds_load_b32 v2, v23 offset:4096
	s_wait_dscnt 0x0
	s_barrier_signal -1
	s_barrier_wait -1
	v_readfirstlane_b32 s25, v2
	s_and_saveexec_b32 s16, s6
; %bb.243:                              ;   in Loop: Header=BB69_6 Depth=1
	ds_store_b64 v32, v[28:29]
; %bb.244:                              ;   in Loop: Header=BB69_6 Depth=1
	s_or_b32 exec_lo, exec_lo, s16
	v_or_b32_e32 v27, s13, v27
	v_or_b32_e32 v26, s12, v26
	;; [unrolled: 1-line block ×4, first 2 shown]
	s_mov_b32 s16, -1
	s_mov_b32 s24, 0
	s_cmp_eq_u32 s25, 0
	s_mov_b32 s23, 0
	s_mov_b32 s26, -1
	s_wait_dscnt 0x0
	s_barrier_signal -1
	s_barrier_wait -1
                                        ; implicit-def: $vgpr6_vgpr7
	s_cbranch_scc1 .LBB69_257
; %bb.245:                              ;   in Loop: Header=BB69_6 Depth=1
	s_add_co_i32 s40, s25, s62
                                        ; implicit-def: $vgpr6_vgpr7
	s_delay_alu instid0(SALU_CYCLE_1) | instskip(NEXT) | instid1(SALU_CYCLE_1)
	s_mul_u64 s[26:27], s[40:41], s[44:45]
	s_mul_i32 s23, s27, s33
	s_mov_b32 s27, exec_lo
	s_sub_co_i32 s23, s40, s23
	s_delay_alu instid0(SALU_CYCLE_1) | instskip(SKIP_2) | instid1(SALU_CYCLE_1)
	s_sub_co_i32 s26, s23, s33
	s_cmp_ge_u32 s23, s33
	s_cselect_b32 s23, s26, s23
	s_sub_co_i32 s26, s23, s33
	s_cmp_ge_u32 s23, s33
	s_cselect_b32 s23, s26, s23
	s_mov_b32 s26, 0
	s_sub_co_i32 s28, s40, s23
	s_mov_b32 s23, 0
	v_cmpx_gt_u32_e64 s28, v0
	s_cbranch_execz .LBB69_256
; %bb.246:                              ;   in Loop: Header=BB69_6 Depth=1
	v_dual_mov_b32 v8, v21 :: v_dual_mov_b32 v9, v0
                                        ; implicit-def: $sgpr29
	s_branch .LBB69_250
.LBB69_247:                             ;   in Loop: Header=BB69_250 Depth=2
	s_or_b32 exec_lo, exec_lo, s40
	s_wait_dscnt 0x0
	s_barrier_signal -1
	s_barrier_wait -1
	ds_load_b128 v[4:7], v23 offset:3072
	s_wait_dscnt 0x0
	s_barrier_signal -1
	s_barrier_wait -1
	v_cmp_neq_f64_e32 vcc_lo, 0, v[4:5]
	s_cbranch_vccnz .LBB69_253
; %bb.248:                              ;   in Loop: Header=BB69_250 Depth=2
	v_dual_add_nc_u32 v9, s33, v9 :: v_dual_add_nc_u32 v8, s75, v8
	s_mov_b32 s40, 0
	s_delay_alu instid0(VALU_DEP_1)
	v_cmp_le_u32_e32 vcc_lo, s28, v9
	s_or_not1_b32 s48, vcc_lo, exec_lo
.LBB69_249:                             ;   in Loop: Header=BB69_250 Depth=2
	s_delay_alu instid0(SALU_CYCLE_1) | instskip(NEXT) | instid1(SALU_CYCLE_1)
	s_and_b32 s48, exec_lo, s48
	s_or_b32 s23, s48, s23
	s_and_not1_b32 s29, s29, exec_lo
	s_and_b32 s40, s40, exec_lo
	s_delay_alu instid0(SALU_CYCLE_1)
	s_or_b32 s29, s29, s40
	s_and_not1_b32 exec_lo, exec_lo, s23
	s_cbranch_execz .LBB69_255
.LBB69_250:                             ;   Parent Loop BB69_6 Depth=1
                                        ; =>  This Inner Loop Header: Depth=2
	s_mov_b32 s40, exec_lo
	s_delay_alu instid0(VALU_DEP_1)
	v_cmpx_gt_u32_e64 s25, v9
	s_cbranch_execz .LBB69_247
; %bb.251:                              ;   in Loop: Header=BB69_250 Depth=2
	ds_load_b64 v[4:5], v8
	s_wait_dscnt 0x0
	v_cmp_o_f64_e32 vcc_lo, v[4:5], v[4:5]
	v_ashrrev_i32_e32 v2, 31, v5
	s_delay_alu instid0(VALU_DEP_1) | instskip(NEXT) | instid1(VALU_DEP_1)
	v_or_b32_e32 v6, 0x80000000, v2
	v_xor_b32_e32 v6, v6, v5
	s_delay_alu instid0(VALU_DEP_1) | instskip(NEXT) | instid1(VALU_DEP_1)
	v_dual_cndmask_b32 v6, -1, v6, vcc_lo :: v_dual_bitop2_b32 v2, v2, v4 bitop3:0x14
	v_dual_cndmask_b32 v2, -1, v2, vcc_lo :: v_dual_bitop2_b32 v7, v6, v31 bitop3:0x40
	s_delay_alu instid0(VALU_DEP_1) | instskip(NEXT) | instid1(VALU_DEP_1)
	v_and_b32_e32 v6, v2, v30
	v_cmp_eq_u64_e32 vcc_lo, v[6:7], v[26:27]
	s_and_b32 exec_lo, exec_lo, vcc_lo
	s_cbranch_execz .LBB69_247
; %bb.252:                              ;   in Loop: Header=BB69_250 Depth=2
	v_mov_b32_e32 v2, v23
	ds_store_b128 v23, v[2:5] offset:3072
	s_branch .LBB69_247
.LBB69_253:                             ;   in Loop: Header=BB69_250 Depth=2
	s_mov_b32 s48, -1
	s_mov_b32 s40, -1
                                        ; implicit-def: $vgpr9
                                        ; implicit-def: $vgpr8
	s_branch .LBB69_249
.LBB69_254:                             ;   in Loop: Header=BB69_6 Depth=1
	v_mov_b64_e32 v[26:27], v[14:15]
	v_mov_b64_e32 v[30:31], v[12:13]
	v_mov_b64_e32 v[6:7], v[10:11]
	s_mov_b32 s24, 0
	s_and_saveexec_b32 s10, s21
	s_cbranch_execnz .LBB69_407
	s_branch .LBB69_408
.LBB69_255:                             ;   in Loop: Header=BB69_6 Depth=1
	s_or_b32 exec_lo, exec_lo, s23
	s_delay_alu instid0(SALU_CYCLE_1)
	s_and_b32 s23, s29, exec_lo
.LBB69_256:                             ;   in Loop: Header=BB69_6 Depth=1
	s_or_b32 exec_lo, exec_lo, s27
.LBB69_257:                             ;   in Loop: Header=BB69_6 Depth=1
	s_delay_alu instid0(SALU_CYCLE_1)
	s_and_b32 vcc_lo, exec_lo, s26
	s_cbranch_vccz .LBB69_269
; %bb.258:                              ;   in Loop: Header=BB69_6 Depth=1
                                        ; implicit-def: $vgpr6_vgpr7
	s_and_saveexec_b32 s16, s9
	s_cbranch_execz .LBB69_268
; %bb.259:                              ;   in Loop: Header=BB69_6 Depth=1
	v_dual_mov_b32 v8, v20 :: v_dual_mov_b32 v9, v0
	s_mov_b32 s25, 0
                                        ; implicit-def: $sgpr24
	s_branch .LBB69_263
.LBB69_260:                             ;   in Loop: Header=BB69_263 Depth=2
	s_or_b32 exec_lo, exec_lo, s26
	s_wait_dscnt 0x0
	s_barrier_signal -1
	s_barrier_wait -1
	ds_load_b128 v[4:7], v23 offset:3072
	s_wait_dscnt 0x0
	s_barrier_signal -1
	s_barrier_wait -1
	v_cmp_neq_f64_e32 vcc_lo, 0, v[4:5]
	s_cbranch_vccnz .LBB69_266
; %bb.261:                              ;   in Loop: Header=BB69_263 Depth=2
	v_dual_add_nc_u32 v9, s33, v9 :: v_dual_add_nc_u32 v8, s52, v8
	s_mov_b32 s26, 0
	s_delay_alu instid0(VALU_DEP_1)
	v_cmp_le_u32_e32 vcc_lo, s72, v9
	s_or_not1_b32 s27, vcc_lo, exec_lo
.LBB69_262:                             ;   in Loop: Header=BB69_263 Depth=2
	s_delay_alu instid0(SALU_CYCLE_1) | instskip(NEXT) | instid1(SALU_CYCLE_1)
	s_and_b32 s27, exec_lo, s27
	s_or_b32 s25, s27, s25
	s_and_not1_b32 s24, s24, exec_lo
	s_and_b32 s26, s26, exec_lo
	s_delay_alu instid0(SALU_CYCLE_1)
	s_or_b32 s24, s24, s26
	s_and_not1_b32 exec_lo, exec_lo, s25
	s_cbranch_execz .LBB69_267
.LBB69_263:                             ;   Parent Loop BB69_6 Depth=1
                                        ; =>  This Inner Loop Header: Depth=2
	s_mov_b32 s26, exec_lo
	s_delay_alu instid0(VALU_DEP_1)
	v_cmpx_gt_u32_e64 s36, v9
	s_cbranch_execz .LBB69_260
; %bb.264:                              ;   in Loop: Header=BB69_263 Depth=2
	global_load_b64 v[4:5], v8, s[30:31] scale_offset
	s_wait_loadcnt 0x0
	v_cmp_o_f64_e32 vcc_lo, v[4:5], v[4:5]
	v_ashrrev_i32_e32 v2, 31, v5
	s_delay_alu instid0(VALU_DEP_1) | instskip(NEXT) | instid1(VALU_DEP_1)
	v_or_b32_e32 v6, 0x80000000, v2
	v_xor_b32_e32 v6, v6, v5
	s_delay_alu instid0(VALU_DEP_1) | instskip(NEXT) | instid1(VALU_DEP_1)
	v_dual_cndmask_b32 v6, -1, v6, vcc_lo :: v_dual_bitop2_b32 v2, v2, v4 bitop3:0x14
	v_dual_cndmask_b32 v2, -1, v2, vcc_lo :: v_dual_bitop2_b32 v7, v6, v31 bitop3:0x40
	s_delay_alu instid0(VALU_DEP_1) | instskip(NEXT) | instid1(VALU_DEP_1)
	v_and_b32_e32 v6, v2, v30
	v_cmp_eq_u64_e32 vcc_lo, v[6:7], v[26:27]
	s_and_b32 exec_lo, exec_lo, vcc_lo
	s_cbranch_execz .LBB69_260
; %bb.265:                              ;   in Loop: Header=BB69_263 Depth=2
	v_mov_b32_e32 v2, v23
	ds_store_b128 v23, v[2:5] offset:3072
	s_branch .LBB69_260
.LBB69_266:                             ;   in Loop: Header=BB69_263 Depth=2
	s_mov_b32 s27, -1
	s_mov_b32 s26, -1
                                        ; implicit-def: $vgpr9
                                        ; implicit-def: $vgpr8
	s_branch .LBB69_262
.LBB69_267:                             ;   in Loop: Header=BB69_6 Depth=1
	s_or_b32 exec_lo, exec_lo, s25
	s_delay_alu instid0(SALU_CYCLE_1) | instskip(SKIP_1) | instid1(SALU_CYCLE_1)
	s_and_not1_b32 s23, s23, exec_lo
	s_and_b32 s24, s24, exec_lo
	s_or_b32 s23, s23, s24
.LBB69_268:                             ;   in Loop: Header=BB69_6 Depth=1
	s_or_b32 exec_lo, exec_lo, s16
	s_mov_b32 s16, 0
	s_mov_b32 s24, -1
.LBB69_269:                             ;   in Loop: Header=BB69_6 Depth=1
	s_or_not1_b32 s23, s23, exec_lo
.LBB69_270:                             ;   in Loop: Header=BB69_6 Depth=1
	s_or_b32 exec_lo, exec_lo, s22
                                        ; implicit-def: $vgpr43
                                        ; implicit-def: $vgpr22
	s_and_saveexec_b32 s22, s23
	s_cbranch_execz .LBB69_406
; %bb.271:                              ;   in Loop: Header=BB69_6 Depth=1
	v_dual_mov_b32 v43, 1 :: v_dual_mov_b32 v22, 1
	s_xor_b32 s23, s10, -1
	s_mov_b32 s26, 0
	s_and_saveexec_b32 s10, s23
	s_cbranch_execz .LBB69_280
; %bb.272:                              ;   in Loop: Header=BB69_6 Depth=1
	s_mov_b32 s23, exec_lo
	v_cmpx_ge_u32_e64 s20, v42
	s_xor_b32 s23, exec_lo, s23
	s_cbranch_execz .LBB69_277
; %bb.273:                              ;   in Loop: Header=BB69_6 Depth=1
	ds_load_b32 v2, v23 offset:4096
	v_or_b32_e32 v27, s13, v27
	v_or_b32_e32 v26, s12, v26
	;; [unrolled: 1-line block ×4, first 2 shown]
	s_wait_dscnt 0x0
	v_cmp_ne_u32_e32 vcc_lo, 0, v2
	s_cbranch_vccnz .LBB69_277
; %bb.274:                              ;   in Loop: Header=BB69_6 Depth=1
	s_and_saveexec_b32 s25, s5
; %bb.275:                              ;   in Loop: Header=BB69_6 Depth=1
	v_mov_b32_e32 v2, s20
	ds_store_b32 v23, v2 offset:4100
; %bb.276:                              ;   in Loop: Header=BB69_6 Depth=1
	s_or_b32 exec_lo, exec_lo, s25
	s_wait_dscnt 0x0
	s_barrier_signal -1
	s_barrier_wait -1
.LBB69_277:                             ;   in Loop: Header=BB69_6 Depth=1
	s_or_saveexec_b32 s23, s23
	v_mov_b32_e32 v22, 5
	s_mov_b32 s25, 0
	s_xor_b32 exec_lo, exec_lo, s23
; %bb.278:                              ;   in Loop: Header=BB69_6 Depth=1
	v_subrev_nc_u32_e32 v42, s20, v42
	v_mov_b32_e32 v22, 0
	s_mov_b32 s25, exec_lo
; %bb.279:                              ;   in Loop: Header=BB69_6 Depth=1
	s_or_b32 exec_lo, exec_lo, s23
	s_delay_alu instid0(VALU_DEP_2)
	v_mov_b32_e32 v43, v42
	s_and_b32 s26, s25, exec_lo
.LBB69_280:                             ;   in Loop: Header=BB69_6 Depth=1
	s_or_b32 exec_lo, exec_lo, s10
	s_mov_b32 s25, -1
                                        ; implicit-def: $sgpr20
                                        ; implicit-def: $sgpr23
	s_and_saveexec_b32 s10, s26
	s_delay_alu instid0(SALU_CYCLE_1)
	s_xor_b32 s10, exec_lo, s10
	s_cbranch_execz .LBB69_403
; %bb.281:                              ;   in Loop: Header=BB69_6 Depth=1
	v_cmp_eq_u32_e32 vcc_lo, 1, v43
	s_cmp_eq_u32 s19, 1
	s_mov_b32 s27, -1
	s_cselect_b32 s20, -1, 0
                                        ; implicit-def: $sgpr23
	s_delay_alu instid0(SALU_CYCLE_1) | instskip(NEXT) | instid1(SALU_CYCLE_1)
	s_and_b32 s26, s20, vcc_lo
                                        ; implicit-def: $sgpr20
	s_and_saveexec_b32 s25, s26
	s_cbranch_execz .LBB69_309
; %bb.282:                              ;   in Loop: Header=BB69_6 Depth=1
	ds_load_b32 v2, v23 offset:4096
	s_wait_dscnt 0x0
	s_barrier_signal -1
	s_barrier_wait -1
	v_readfirstlane_b32 s28, v2
	s_and_saveexec_b32 s20, s6
; %bb.283:                              ;   in Loop: Header=BB69_6 Depth=1
	ds_store_b64 v32, v[28:29]
; %bb.284:                              ;   in Loop: Header=BB69_6 Depth=1
	s_or_b32 exec_lo, exec_lo, s20
	v_and_b32_e32 v2, s15, v27
	v_and_b32_e32 v4, s14, v26
	s_lshl_b64 s[48:49], 2, s76
	v_or_b32_e32 v31, s13, v31
	v_or_b32_e32 v30, s12, v30
	;; [unrolled: 1-line block ×4, first 2 shown]
	s_mov_b32 s20, -1
	s_mov_b32 s23, 0
	s_cmp_eq_u32 s28, 0
	s_mov_b32 s27, 0
	s_mov_b32 s29, -1
	s_wait_dscnt 0x0
	s_barrier_signal -1
	s_barrier_wait -1
                                        ; implicit-def: $vgpr6_vgpr7
	s_cbranch_scc1 .LBB69_296
; %bb.285:                              ;   in Loop: Header=BB69_6 Depth=1
	s_add_co_i32 s40, s28, s62
                                        ; implicit-def: $vgpr6_vgpr7
	s_delay_alu instid0(SALU_CYCLE_1) | instskip(NEXT) | instid1(SALU_CYCLE_1)
	s_mul_u64 s[48:49], s[40:41], s[44:45]
	s_mul_i32 s27, s49, s33
	s_delay_alu instid0(SALU_CYCLE_1) | instskip(NEXT) | instid1(SALU_CYCLE_1)
	s_sub_co_i32 s27, s40, s27
	s_sub_co_i32 s29, s27, s33
	s_cmp_ge_u32 s27, s33
	s_cselect_b32 s27, s29, s27
	s_delay_alu instid0(SALU_CYCLE_1)
	s_sub_co_i32 s29, s27, s33
	s_cmp_ge_u32 s27, s33
	s_cselect_b32 s27, s29, s27
	s_mov_b32 s29, 0
	s_sub_co_i32 s48, s40, s27
	s_mov_b32 s27, 0
	s_mov_b32 s40, exec_lo
	v_cmpx_gt_u32_e64 s48, v0
	s_cbranch_execz .LBB69_295
; %bb.286:                              ;   in Loop: Header=BB69_6 Depth=1
	v_dual_mov_b32 v8, v21 :: v_dual_mov_b32 v9, v0
                                        ; implicit-def: $sgpr49
	s_branch .LBB69_290
.LBB69_287:                             ;   in Loop: Header=BB69_290 Depth=2
	s_or_b32 exec_lo, exec_lo, s50
	s_wait_dscnt 0x0
	s_barrier_signal -1
	s_barrier_wait -1
	ds_load_b128 v[4:7], v23 offset:3072
	s_wait_dscnt 0x0
	s_barrier_signal -1
	s_barrier_wait -1
	v_cmp_neq_f64_e32 vcc_lo, 0, v[4:5]
	s_cbranch_vccnz .LBB69_293
; %bb.288:                              ;   in Loop: Header=BB69_290 Depth=2
	v_dual_add_nc_u32 v9, s33, v9 :: v_dual_add_nc_u32 v8, s75, v8
	s_mov_b32 s50, 0
	s_delay_alu instid0(VALU_DEP_1)
	v_cmp_le_u32_e32 vcc_lo, s48, v9
	s_or_not1_b32 s51, vcc_lo, exec_lo
.LBB69_289:                             ;   in Loop: Header=BB69_290 Depth=2
	s_delay_alu instid0(SALU_CYCLE_1) | instskip(NEXT) | instid1(SALU_CYCLE_1)
	s_and_b32 s51, exec_lo, s51
	s_or_b32 s27, s51, s27
	s_and_not1_b32 s49, s49, exec_lo
	s_and_b32 s50, s50, exec_lo
	s_delay_alu instid0(SALU_CYCLE_1)
	s_or_b32 s49, s49, s50
	s_and_not1_b32 exec_lo, exec_lo, s27
	s_cbranch_execz .LBB69_294
.LBB69_290:                             ;   Parent Loop BB69_6 Depth=1
                                        ; =>  This Inner Loop Header: Depth=2
	s_mov_b32 s50, exec_lo
	s_delay_alu instid0(VALU_DEP_1)
	v_cmpx_gt_u32_e64 s28, v9
	s_cbranch_execz .LBB69_287
; %bb.291:                              ;   in Loop: Header=BB69_290 Depth=2
	ds_load_b64 v[4:5], v8
	s_wait_dscnt 0x0
	v_cmp_o_f64_e32 vcc_lo, v[4:5], v[4:5]
	v_ashrrev_i32_e32 v2, 31, v5
	s_delay_alu instid0(VALU_DEP_1) | instskip(NEXT) | instid1(VALU_DEP_1)
	v_or_b32_e32 v6, 0x80000000, v2
	v_xor_b32_e32 v6, v6, v5
	s_delay_alu instid0(VALU_DEP_1) | instskip(NEXT) | instid1(VALU_DEP_1)
	v_dual_cndmask_b32 v6, -1, v6, vcc_lo :: v_dual_bitop2_b32 v2, v2, v4 bitop3:0x14
	v_dual_cndmask_b32 v2, -1, v2, vcc_lo :: v_dual_bitop2_b32 v7, v6, v31 bitop3:0x40
	s_delay_alu instid0(VALU_DEP_1) | instskip(NEXT) | instid1(VALU_DEP_1)
	v_and_b32_e32 v6, v2, v30
	v_cmp_eq_u64_e32 vcc_lo, v[6:7], v[26:27]
	s_and_b32 exec_lo, exec_lo, vcc_lo
	s_cbranch_execz .LBB69_287
; %bb.292:                              ;   in Loop: Header=BB69_290 Depth=2
	v_mov_b32_e32 v2, v23
	ds_store_b128 v23, v[2:5] offset:3072
	s_branch .LBB69_287
.LBB69_293:                             ;   in Loop: Header=BB69_290 Depth=2
	s_mov_b32 s51, -1
	s_mov_b32 s50, -1
                                        ; implicit-def: $vgpr9
                                        ; implicit-def: $vgpr8
	s_branch .LBB69_289
.LBB69_294:                             ;   in Loop: Header=BB69_6 Depth=1
	s_or_b32 exec_lo, exec_lo, s27
	s_delay_alu instid0(SALU_CYCLE_1)
	s_and_b32 s27, s49, exec_lo
.LBB69_295:                             ;   in Loop: Header=BB69_6 Depth=1
	s_or_b32 exec_lo, exec_lo, s40
.LBB69_296:                             ;   in Loop: Header=BB69_6 Depth=1
	s_delay_alu instid0(SALU_CYCLE_1)
	s_and_b32 vcc_lo, exec_lo, s29
	s_cbranch_vccz .LBB69_308
; %bb.297:                              ;   in Loop: Header=BB69_6 Depth=1
                                        ; implicit-def: $vgpr6_vgpr7
	s_and_saveexec_b32 s20, s9
	s_cbranch_execz .LBB69_307
; %bb.298:                              ;   in Loop: Header=BB69_6 Depth=1
	v_dual_mov_b32 v8, v20 :: v_dual_mov_b32 v9, v0
	s_mov_b32 s23, 0
                                        ; implicit-def: $sgpr28
	s_branch .LBB69_302
.LBB69_299:                             ;   in Loop: Header=BB69_302 Depth=2
	s_or_b32 exec_lo, exec_lo, s29
	s_wait_dscnt 0x0
	s_barrier_signal -1
	s_barrier_wait -1
	ds_load_b128 v[4:7], v23 offset:3072
	s_wait_dscnt 0x0
	s_barrier_signal -1
	s_barrier_wait -1
	v_cmp_eq_f64_e32 vcc_lo, 0, v[4:5]
	s_cbranch_vccz .LBB69_305
; %bb.300:                              ;   in Loop: Header=BB69_302 Depth=2
	v_dual_add_nc_u32 v9, s33, v9 :: v_dual_add_nc_u32 v8, s52, v8
	s_mov_b32 s29, 0
	s_delay_alu instid0(VALU_DEP_1)
	v_cmp_le_u32_e32 vcc_lo, s72, v9
	s_or_not1_b32 s40, vcc_lo, exec_lo
.LBB69_301:                             ;   in Loop: Header=BB69_302 Depth=2
	s_delay_alu instid0(SALU_CYCLE_1) | instskip(NEXT) | instid1(SALU_CYCLE_1)
	s_and_b32 s40, exec_lo, s40
	s_or_b32 s23, s40, s23
	s_and_not1_b32 s28, s28, exec_lo
	s_and_b32 s29, s29, exec_lo
	s_delay_alu instid0(SALU_CYCLE_1)
	s_or_b32 s28, s28, s29
	s_and_not1_b32 exec_lo, exec_lo, s23
	s_cbranch_execz .LBB69_306
.LBB69_302:                             ;   Parent Loop BB69_6 Depth=1
                                        ; =>  This Inner Loop Header: Depth=2
	s_mov_b32 s29, exec_lo
	s_delay_alu instid0(VALU_DEP_1)
	v_cmpx_gt_u32_e64 s36, v9
	s_cbranch_execz .LBB69_299
; %bb.303:                              ;   in Loop: Header=BB69_302 Depth=2
	global_load_b64 v[4:5], v8, s[30:31] scale_offset
	s_wait_loadcnt 0x0
	v_cmp_o_f64_e32 vcc_lo, v[4:5], v[4:5]
	v_ashrrev_i32_e32 v2, 31, v5
	s_delay_alu instid0(VALU_DEP_1) | instskip(NEXT) | instid1(VALU_DEP_1)
	v_or_b32_e32 v6, 0x80000000, v2
	v_xor_b32_e32 v6, v6, v5
	s_delay_alu instid0(VALU_DEP_1) | instskip(NEXT) | instid1(VALU_DEP_1)
	v_dual_cndmask_b32 v6, -1, v6, vcc_lo :: v_dual_bitop2_b32 v2, v2, v4 bitop3:0x14
	v_dual_cndmask_b32 v2, -1, v2, vcc_lo :: v_dual_bitop2_b32 v7, v6, v31 bitop3:0x40
	s_delay_alu instid0(VALU_DEP_1) | instskip(NEXT) | instid1(VALU_DEP_1)
	v_and_b32_e32 v6, v2, v30
	v_cmp_eq_u64_e32 vcc_lo, v[6:7], v[26:27]
	s_and_b32 exec_lo, exec_lo, vcc_lo
	s_cbranch_execz .LBB69_299
; %bb.304:                              ;   in Loop: Header=BB69_302 Depth=2
	v_mov_b32_e32 v2, v23
	ds_store_b128 v23, v[2:5] offset:3072
	s_branch .LBB69_299
.LBB69_305:                             ;   in Loop: Header=BB69_302 Depth=2
	s_mov_b32 s40, -1
	s_mov_b32 s29, -1
                                        ; implicit-def: $vgpr9
                                        ; implicit-def: $vgpr8
	s_branch .LBB69_301
.LBB69_306:                             ;   in Loop: Header=BB69_6 Depth=1
	s_or_b32 exec_lo, exec_lo, s23
	s_delay_alu instid0(SALU_CYCLE_1) | instskip(SKIP_1) | instid1(SALU_CYCLE_1)
	s_and_not1_b32 s23, s27, exec_lo
	s_and_b32 s27, s28, exec_lo
	s_or_b32 s27, s23, s27
.LBB69_307:                             ;   in Loop: Header=BB69_6 Depth=1
	s_or_b32 exec_lo, exec_lo, s20
	s_mov_b32 s20, 0
	s_mov_b32 s23, -1
.LBB69_308:                             ;   in Loop: Header=BB69_6 Depth=1
	s_or_not1_b32 s27, s27, exec_lo
.LBB69_309:                             ;   in Loop: Header=BB69_6 Depth=1
	s_or_b32 exec_lo, exec_lo, s25
	s_mov_b32 s28, 0
	s_and_saveexec_b32 s25, s27
	s_cbranch_execz .LBB69_402
; %bb.310:                              ;   in Loop: Header=BB69_6 Depth=1
	v_dual_mov_b32 v8, 1 :: v_dual_mov_b32 v22, 1
	s_xor_b32 s27, s26, -1
	s_mov_b32 s29, 0
	s_and_saveexec_b32 s26, s27
	s_cbranch_execz .LBB69_319
; %bb.311:                              ;   in Loop: Header=BB69_6 Depth=1
	s_mov_b32 s27, exec_lo
	v_cmpx_ge_u32_e64 s19, v43
	s_xor_b32 s27, exec_lo, s27
	s_cbranch_execz .LBB69_316
; %bb.312:                              ;   in Loop: Header=BB69_6 Depth=1
	ds_load_b32 v2, v23 offset:4096
	v_and_b32_e32 v4, s15, v27
	v_and_b32_e32 v5, s14, v26
	s_lshl_b64 s[28:29], 2, s76
	v_or_b32_e32 v31, s13, v31
	v_or_b32_e32 v30, s12, v30
	;; [unrolled: 1-line block ×4, first 2 shown]
	s_wait_dscnt 0x0
	v_cmp_ne_u32_e32 vcc_lo, 0, v2
	s_cbranch_vccnz .LBB69_316
; %bb.313:                              ;   in Loop: Header=BB69_6 Depth=1
	s_and_saveexec_b32 s28, s5
; %bb.314:                              ;   in Loop: Header=BB69_6 Depth=1
	v_mov_b32_e32 v2, s19
	ds_store_b32 v23, v2 offset:4100
; %bb.315:                              ;   in Loop: Header=BB69_6 Depth=1
	s_or_b32 exec_lo, exec_lo, s28
	s_wait_dscnt 0x0
	s_barrier_signal -1
	s_barrier_wait -1
.LBB69_316:                             ;   in Loop: Header=BB69_6 Depth=1
	s_or_saveexec_b32 s27, s27
	v_mov_b32_e32 v22, 5
	s_mov_b32 s28, 0
	s_xor_b32 exec_lo, exec_lo, s27
; %bb.317:                              ;   in Loop: Header=BB69_6 Depth=1
	v_subrev_nc_u32_e32 v43, s19, v43
	v_mov_b32_e32 v22, 0
	s_mov_b32 s28, exec_lo
; %bb.318:                              ;   in Loop: Header=BB69_6 Depth=1
	s_or_b32 exec_lo, exec_lo, s27
	s_delay_alu instid0(VALU_DEP_2)
	v_mov_b32_e32 v8, v43
	s_and_b32 s29, s28, exec_lo
.LBB69_319:                             ;   in Loop: Header=BB69_6 Depth=1
	s_or_b32 exec_lo, exec_lo, s26
	s_mov_b32 s28, -1
                                        ; implicit-def: $sgpr26
                                        ; implicit-def: $sgpr27
	s_and_saveexec_b32 s19, s29
	s_cbranch_execz .LBB69_401
; %bb.320:                              ;   in Loop: Header=BB69_6 Depth=1
	v_cmp_eq_u32_e32 vcc_lo, 1, v8
	s_cmp_eq_u32 s18, 1
	s_mov_b32 s40, -1
	s_cselect_b32 s26, -1, 0
                                        ; implicit-def: $sgpr27
	s_delay_alu instid0(SALU_CYCLE_1) | instskip(NEXT) | instid1(SALU_CYCLE_1)
	s_and_b32 s29, s26, vcc_lo
                                        ; implicit-def: $sgpr26
	s_and_saveexec_b32 s28, s29
	s_cbranch_execz .LBB69_348
; %bb.321:                              ;   in Loop: Header=BB69_6 Depth=1
	ds_load_b32 v2, v23 offset:4096
	s_wait_dscnt 0x0
	s_barrier_signal -1
	s_barrier_wait -1
	v_readfirstlane_b32 s48, v2
	s_and_saveexec_b32 s26, s6
; %bb.322:                              ;   in Loop: Header=BB69_6 Depth=1
	ds_store_b64 v32, v[28:29]
; %bb.323:                              ;   in Loop: Header=BB69_6 Depth=1
	s_or_b32 exec_lo, exec_lo, s26
	v_and_b32_e32 v2, s15, v27
	v_and_b32_e32 v4, s14, v26
	s_lshl_b64 s[26:27], 1, s76
	v_or_b32_e32 v31, s13, v31
	v_or_b32_e32 v30, s12, v30
	;; [unrolled: 1-line block ×4, first 2 shown]
	s_mov_b32 s26, -1
	s_mov_b32 s27, 0
	s_cmp_eq_u32 s48, 0
	s_mov_b32 s40, 0
	s_mov_b32 s49, -1
	s_wait_dscnt 0x0
	s_barrier_signal -1
	s_barrier_wait -1
                                        ; implicit-def: $vgpr6_vgpr7
	s_cbranch_scc1 .LBB69_335
; %bb.324:                              ;   in Loop: Header=BB69_6 Depth=1
	s_add_co_i32 s40, s48, s62
                                        ; implicit-def: $vgpr6_vgpr7
	s_delay_alu instid0(SALU_CYCLE_1) | instskip(NEXT) | instid1(SALU_CYCLE_1)
	s_mul_u64 s[50:51], s[40:41], s[44:45]
	s_mul_i32 s49, s51, s33
	s_delay_alu instid0(SALU_CYCLE_1) | instskip(NEXT) | instid1(SALU_CYCLE_1)
	s_sub_co_i32 s49, s40, s49
	s_sub_co_i32 s50, s49, s33
	s_cmp_ge_u32 s49, s33
	s_cselect_b32 s49, s50, s49
	s_delay_alu instid0(SALU_CYCLE_1)
	s_sub_co_i32 s50, s49, s33
	s_cmp_ge_u32 s49, s33
	s_cselect_b32 s49, s50, s49
	s_mov_b32 s50, exec_lo
	s_sub_co_i32 s51, s40, s49
	s_mov_b32 s49, 0
	s_mov_b32 s40, 0
	v_cmpx_gt_u32_e64 s51, v0
	s_cbranch_execz .LBB69_334
; %bb.325:                              ;   in Loop: Header=BB69_6 Depth=1
	v_dual_mov_b32 v9, v21 :: v_dual_mov_b32 v10, v0
                                        ; implicit-def: $sgpr89
	s_branch .LBB69_329
.LBB69_326:                             ;   in Loop: Header=BB69_329 Depth=2
	s_or_b32 exec_lo, exec_lo, s90
	s_wait_dscnt 0x0
	s_barrier_signal -1
	s_barrier_wait -1
	ds_load_b128 v[4:7], v23 offset:3072
	s_wait_dscnt 0x0
	s_barrier_signal -1
	s_barrier_wait -1
	v_cmp_neq_f64_e32 vcc_lo, 0, v[4:5]
	s_cbranch_vccnz .LBB69_332
; %bb.327:                              ;   in Loop: Header=BB69_329 Depth=2
	v_dual_add_nc_u32 v10, s33, v10 :: v_dual_add_nc_u32 v9, s75, v9
	s_mov_b32 s90, 0
	s_delay_alu instid0(VALU_DEP_1)
	v_cmp_le_u32_e32 vcc_lo, s51, v10
	s_or_not1_b32 s91, vcc_lo, exec_lo
.LBB69_328:                             ;   in Loop: Header=BB69_329 Depth=2
	s_delay_alu instid0(SALU_CYCLE_1) | instskip(NEXT) | instid1(SALU_CYCLE_1)
	s_and_b32 s91, exec_lo, s91
	s_or_b32 s40, s91, s40
	s_and_not1_b32 s89, s89, exec_lo
	s_and_b32 s90, s90, exec_lo
	s_delay_alu instid0(SALU_CYCLE_1)
	s_or_b32 s89, s89, s90
	s_and_not1_b32 exec_lo, exec_lo, s40
	s_cbranch_execz .LBB69_333
.LBB69_329:                             ;   Parent Loop BB69_6 Depth=1
                                        ; =>  This Inner Loop Header: Depth=2
	s_mov_b32 s90, exec_lo
	s_delay_alu instid0(VALU_DEP_1)
	v_cmpx_gt_u32_e64 s48, v10
	s_cbranch_execz .LBB69_326
; %bb.330:                              ;   in Loop: Header=BB69_329 Depth=2
	ds_load_b64 v[4:5], v9
	s_wait_dscnt 0x0
	v_cmp_o_f64_e32 vcc_lo, v[4:5], v[4:5]
	v_ashrrev_i32_e32 v2, 31, v5
	s_delay_alu instid0(VALU_DEP_1) | instskip(NEXT) | instid1(VALU_DEP_1)
	v_or_b32_e32 v6, 0x80000000, v2
	v_xor_b32_e32 v6, v6, v5
	s_delay_alu instid0(VALU_DEP_1) | instskip(NEXT) | instid1(VALU_DEP_1)
	v_dual_cndmask_b32 v6, -1, v6, vcc_lo :: v_dual_bitop2_b32 v2, v2, v4 bitop3:0x14
	v_dual_cndmask_b32 v2, -1, v2, vcc_lo :: v_dual_bitop2_b32 v7, v6, v31 bitop3:0x40
	s_delay_alu instid0(VALU_DEP_1) | instskip(NEXT) | instid1(VALU_DEP_1)
	v_and_b32_e32 v6, v2, v30
	v_cmp_eq_u64_e32 vcc_lo, v[6:7], v[26:27]
	s_and_b32 exec_lo, exec_lo, vcc_lo
	s_cbranch_execz .LBB69_326
; %bb.331:                              ;   in Loop: Header=BB69_329 Depth=2
	v_mov_b32_e32 v2, v23
	ds_store_b128 v23, v[2:5] offset:3072
	s_branch .LBB69_326
.LBB69_332:                             ;   in Loop: Header=BB69_329 Depth=2
	s_mov_b32 s91, -1
	s_mov_b32 s90, -1
                                        ; implicit-def: $vgpr10
                                        ; implicit-def: $vgpr9
	s_branch .LBB69_328
.LBB69_333:                             ;   in Loop: Header=BB69_6 Depth=1
	s_or_b32 exec_lo, exec_lo, s40
	s_delay_alu instid0(SALU_CYCLE_1)
	s_and_b32 s40, s89, exec_lo
.LBB69_334:                             ;   in Loop: Header=BB69_6 Depth=1
	s_or_b32 exec_lo, exec_lo, s50
.LBB69_335:                             ;   in Loop: Header=BB69_6 Depth=1
	s_delay_alu instid0(SALU_CYCLE_1)
	s_and_b32 vcc_lo, exec_lo, s49
	s_cbranch_vccz .LBB69_347
; %bb.336:                              ;   in Loop: Header=BB69_6 Depth=1
                                        ; implicit-def: $vgpr6_vgpr7
	s_and_saveexec_b32 s26, s9
	s_cbranch_execz .LBB69_346
; %bb.337:                              ;   in Loop: Header=BB69_6 Depth=1
	v_dual_mov_b32 v9, v20 :: v_dual_mov_b32 v10, v0
	s_mov_b32 s27, 0
                                        ; implicit-def: $sgpr48
	s_branch .LBB69_341
.LBB69_338:                             ;   in Loop: Header=BB69_341 Depth=2
	s_or_b32 exec_lo, exec_lo, s49
	s_wait_dscnt 0x0
	s_barrier_signal -1
	s_barrier_wait -1
	ds_load_b128 v[4:7], v23 offset:3072
	s_wait_dscnt 0x0
	s_barrier_signal -1
	s_barrier_wait -1
	v_cmp_eq_f64_e32 vcc_lo, 0, v[4:5]
	s_cbranch_vccz .LBB69_344
; %bb.339:                              ;   in Loop: Header=BB69_341 Depth=2
	v_dual_add_nc_u32 v10, s33, v10 :: v_dual_add_nc_u32 v9, s52, v9
	s_mov_b32 s49, 0
	s_delay_alu instid0(VALU_DEP_1)
	v_cmp_le_u32_e32 vcc_lo, s72, v10
	s_or_not1_b32 s50, vcc_lo, exec_lo
.LBB69_340:                             ;   in Loop: Header=BB69_341 Depth=2
	s_delay_alu instid0(SALU_CYCLE_1) | instskip(NEXT) | instid1(SALU_CYCLE_1)
	s_and_b32 s50, exec_lo, s50
	s_or_b32 s27, s50, s27
	s_and_not1_b32 s48, s48, exec_lo
	s_and_b32 s49, s49, exec_lo
	s_delay_alu instid0(SALU_CYCLE_1)
	s_or_b32 s48, s48, s49
	s_and_not1_b32 exec_lo, exec_lo, s27
	s_cbranch_execz .LBB69_345
.LBB69_341:                             ;   Parent Loop BB69_6 Depth=1
                                        ; =>  This Inner Loop Header: Depth=2
	s_mov_b32 s49, exec_lo
	s_delay_alu instid0(VALU_DEP_1)
	v_cmpx_gt_u32_e64 s36, v10
	s_cbranch_execz .LBB69_338
; %bb.342:                              ;   in Loop: Header=BB69_341 Depth=2
	global_load_b64 v[4:5], v9, s[30:31] scale_offset
	s_wait_loadcnt 0x0
	v_cmp_o_f64_e32 vcc_lo, v[4:5], v[4:5]
	v_ashrrev_i32_e32 v2, 31, v5
	s_delay_alu instid0(VALU_DEP_1) | instskip(NEXT) | instid1(VALU_DEP_1)
	v_or_b32_e32 v6, 0x80000000, v2
	v_xor_b32_e32 v6, v6, v5
	s_delay_alu instid0(VALU_DEP_1) | instskip(NEXT) | instid1(VALU_DEP_1)
	v_dual_cndmask_b32 v6, -1, v6, vcc_lo :: v_dual_bitop2_b32 v2, v2, v4 bitop3:0x14
	v_dual_cndmask_b32 v2, -1, v2, vcc_lo :: v_dual_bitop2_b32 v7, v6, v31 bitop3:0x40
	s_delay_alu instid0(VALU_DEP_1) | instskip(NEXT) | instid1(VALU_DEP_1)
	v_and_b32_e32 v6, v2, v30
	v_cmp_eq_u64_e32 vcc_lo, v[6:7], v[26:27]
	s_and_b32 exec_lo, exec_lo, vcc_lo
	s_cbranch_execz .LBB69_338
; %bb.343:                              ;   in Loop: Header=BB69_341 Depth=2
	v_mov_b32_e32 v2, v23
	ds_store_b128 v23, v[2:5] offset:3072
	s_branch .LBB69_338
.LBB69_344:                             ;   in Loop: Header=BB69_341 Depth=2
	s_mov_b32 s50, -1
	s_mov_b32 s49, -1
                                        ; implicit-def: $vgpr10
                                        ; implicit-def: $vgpr9
	s_branch .LBB69_340
.LBB69_345:                             ;   in Loop: Header=BB69_6 Depth=1
	s_or_b32 exec_lo, exec_lo, s27
	s_delay_alu instid0(SALU_CYCLE_1) | instskip(SKIP_1) | instid1(SALU_CYCLE_1)
	s_and_not1_b32 s27, s40, exec_lo
	s_and_b32 s40, s48, exec_lo
	s_or_b32 s40, s27, s40
.LBB69_346:                             ;   in Loop: Header=BB69_6 Depth=1
	s_or_b32 exec_lo, exec_lo, s26
	s_mov_b32 s26, 0
	s_mov_b32 s27, -1
.LBB69_347:                             ;   in Loop: Header=BB69_6 Depth=1
	s_or_not1_b32 s40, s40, exec_lo
.LBB69_348:                             ;   in Loop: Header=BB69_6 Depth=1
	s_or_b32 exec_lo, exec_lo, s28
	s_mov_b32 s48, 0
	s_and_saveexec_b32 s28, s40
	s_cbranch_execz .LBB69_400
; %bb.349:                              ;   in Loop: Header=BB69_6 Depth=1
	v_dual_mov_b32 v9, 1 :: v_dual_mov_b32 v22, 1
	s_xor_b32 s48, s29, -1
	s_mov_b32 s40, 0
	s_and_saveexec_b32 s29, s48
	s_cbranch_execz .LBB69_358
; %bb.350:                              ;   in Loop: Header=BB69_6 Depth=1
	s_mov_b32 s40, exec_lo
	v_cmpx_ge_u32_e64 s18, v8
	s_xor_b32 s40, exec_lo, s40
	s_cbranch_execz .LBB69_355
; %bb.351:                              ;   in Loop: Header=BB69_6 Depth=1
	ds_load_b32 v2, v23 offset:4096
	v_and_b32_e32 v4, s15, v27
	v_and_b32_e32 v5, s14, v26
	s_lshl_b64 s[48:49], 1, s76
	v_or_b32_e32 v31, s13, v31
	v_or_b32_e32 v30, s12, v30
	;; [unrolled: 1-line block ×4, first 2 shown]
	s_wait_dscnt 0x0
	v_cmp_ne_u32_e32 vcc_lo, 0, v2
	s_cbranch_vccnz .LBB69_355
; %bb.352:                              ;   in Loop: Header=BB69_6 Depth=1
	s_and_saveexec_b32 s48, s5
; %bb.353:                              ;   in Loop: Header=BB69_6 Depth=1
	v_mov_b32_e32 v2, s18
	ds_store_b32 v23, v2 offset:4100
; %bb.354:                              ;   in Loop: Header=BB69_6 Depth=1
	s_or_b32 exec_lo, exec_lo, s48
	s_wait_dscnt 0x0
	s_barrier_signal -1
	s_barrier_wait -1
.LBB69_355:                             ;   in Loop: Header=BB69_6 Depth=1
	s_or_saveexec_b32 s40, s40
	v_mov_b32_e32 v22, 5
	s_mov_b32 s48, 0
	s_xor_b32 exec_lo, exec_lo, s40
; %bb.356:                              ;   in Loop: Header=BB69_6 Depth=1
	v_subrev_nc_u32_e32 v8, s18, v8
	v_mov_b32_e32 v22, 0
	s_mov_b32 s48, exec_lo
; %bb.357:                              ;   in Loop: Header=BB69_6 Depth=1
	s_or_b32 exec_lo, exec_lo, s40
	s_delay_alu instid0(VALU_DEP_2)
	v_mov_b32_e32 v9, v8
	s_and_b32 s40, s48, exec_lo
.LBB69_358:                             ;   in Loop: Header=BB69_6 Depth=1
	s_or_b32 exec_lo, exec_lo, s29
	s_mov_b32 s29, -1
                                        ; implicit-def: $sgpr49
                                        ; implicit-def: $sgpr48
	s_and_saveexec_b32 s18, s40
	s_cbranch_execz .LBB69_399
; %bb.359:                              ;   in Loop: Header=BB69_6 Depth=1
	v_cmp_eq_u32_e32 vcc_lo, 1, v9
	s_cmp_eq_u32 s17, 1
	s_mov_b32 s51, -1
	s_cselect_b32 s29, -1, 0
                                        ; implicit-def: $sgpr49
                                        ; implicit-def: $sgpr48
	s_delay_alu instid0(SALU_CYCLE_1) | instskip(NEXT) | instid1(SALU_CYCLE_1)
	s_and_b32 s29, s29, vcc_lo
	s_and_saveexec_b32 s50, s29
	s_cbranch_execz .LBB69_387
; %bb.360:                              ;   in Loop: Header=BB69_6 Depth=1
	ds_load_b32 v2, v23 offset:4096
	s_wait_dscnt 0x0
	s_barrier_signal -1
	s_barrier_wait -1
	v_readfirstlane_b32 s51, v2
	s_and_saveexec_b32 s40, s6
; %bb.361:                              ;   in Loop: Header=BB69_6 Depth=1
	ds_store_b64 v32, v[28:29]
; %bb.362:                              ;   in Loop: Header=BB69_6 Depth=1
	s_or_b32 exec_lo, exec_lo, s40
	v_and_b32_e32 v27, s15, v27
	v_and_b32_e32 v26, s14, v26
	v_or_b32_e32 v31, s13, v31
	v_or_b32_e32 v30, s12, v30
	s_mov_b32 s48, -1
	s_mov_b32 s49, 0
	s_cmp_eq_u32 s51, 0
	s_mov_b32 s40, 0
	s_mov_b32 s89, -1
	s_wait_dscnt 0x0
	s_barrier_signal -1
	s_barrier_wait -1
                                        ; implicit-def: $vgpr6_vgpr7
	s_cbranch_scc1 .LBB69_374
; %bb.363:                              ;   in Loop: Header=BB69_6 Depth=1
	s_add_co_i32 s40, s51, s62
                                        ; implicit-def: $vgpr6_vgpr7
	s_delay_alu instid0(SALU_CYCLE_1) | instskip(NEXT) | instid1(SALU_CYCLE_1)
	s_mul_u64 s[90:91], s[40:41], s[44:45]
	s_mul_i32 s89, s91, s33
	s_delay_alu instid0(SALU_CYCLE_1) | instskip(NEXT) | instid1(SALU_CYCLE_1)
	s_sub_co_i32 s89, s40, s89
	s_sub_co_i32 s90, s89, s33
	s_cmp_ge_u32 s89, s33
	s_cselect_b32 s89, s90, s89
	s_delay_alu instid0(SALU_CYCLE_1)
	s_sub_co_i32 s90, s89, s33
	s_cmp_ge_u32 s89, s33
	s_cselect_b32 s89, s90, s89
	s_mov_b32 s90, exec_lo
	s_sub_co_i32 s91, s40, s89
	s_mov_b32 s89, 0
	s_mov_b32 s40, 0
	v_cmpx_gt_u32_e64 s91, v0
	s_cbranch_execz .LBB69_373
; %bb.364:                              ;   in Loop: Header=BB69_6 Depth=1
	v_dual_mov_b32 v8, v21 :: v_dual_mov_b32 v10, v0
                                        ; implicit-def: $sgpr92
	s_branch .LBB69_368
.LBB69_365:                             ;   in Loop: Header=BB69_368 Depth=2
	s_or_b32 exec_lo, exec_lo, s93
	s_wait_dscnt 0x0
	s_barrier_signal -1
	s_barrier_wait -1
	ds_load_b128 v[4:7], v23 offset:3072
	s_wait_dscnt 0x0
	s_barrier_signal -1
	s_barrier_wait -1
	v_cmp_neq_f64_e32 vcc_lo, 0, v[4:5]
	s_cbranch_vccnz .LBB69_371
; %bb.366:                              ;   in Loop: Header=BB69_368 Depth=2
	v_dual_add_nc_u32 v10, s33, v10 :: v_dual_add_nc_u32 v8, s75, v8
	s_mov_b32 s93, 0
	s_delay_alu instid0(VALU_DEP_1)
	v_cmp_le_u32_e32 vcc_lo, s91, v10
	s_or_not1_b32 s94, vcc_lo, exec_lo
.LBB69_367:                             ;   in Loop: Header=BB69_368 Depth=2
	s_delay_alu instid0(SALU_CYCLE_1) | instskip(NEXT) | instid1(SALU_CYCLE_1)
	s_and_b32 s94, exec_lo, s94
	s_or_b32 s40, s94, s40
	s_and_not1_b32 s92, s92, exec_lo
	s_and_b32 s93, s93, exec_lo
	s_delay_alu instid0(SALU_CYCLE_1)
	s_or_b32 s92, s92, s93
	s_and_not1_b32 exec_lo, exec_lo, s40
	s_cbranch_execz .LBB69_372
.LBB69_368:                             ;   Parent Loop BB69_6 Depth=1
                                        ; =>  This Inner Loop Header: Depth=2
	s_mov_b32 s93, exec_lo
	s_delay_alu instid0(VALU_DEP_1)
	v_cmpx_gt_u32_e64 s51, v10
	s_cbranch_execz .LBB69_365
; %bb.369:                              ;   in Loop: Header=BB69_368 Depth=2
	ds_load_b64 v[4:5], v8
	s_wait_dscnt 0x0
	v_cmp_o_f64_e32 vcc_lo, v[4:5], v[4:5]
	v_ashrrev_i32_e32 v2, 31, v5
	s_delay_alu instid0(VALU_DEP_1) | instskip(NEXT) | instid1(VALU_DEP_1)
	v_or_b32_e32 v6, 0x80000000, v2
	v_xor_b32_e32 v6, v6, v5
	s_delay_alu instid0(VALU_DEP_1) | instskip(NEXT) | instid1(VALU_DEP_1)
	v_dual_cndmask_b32 v6, -1, v6, vcc_lo :: v_dual_bitop2_b32 v2, v2, v4 bitop3:0x14
	v_dual_cndmask_b32 v2, -1, v2, vcc_lo :: v_dual_bitop2_b32 v7, v6, v31 bitop3:0x40
	s_delay_alu instid0(VALU_DEP_1) | instskip(NEXT) | instid1(VALU_DEP_1)
	v_and_b32_e32 v6, v2, v30
	v_cmp_eq_u64_e32 vcc_lo, v[6:7], v[26:27]
	s_and_b32 exec_lo, exec_lo, vcc_lo
	s_cbranch_execz .LBB69_365
; %bb.370:                              ;   in Loop: Header=BB69_368 Depth=2
	v_mov_b32_e32 v2, v23
	ds_store_b128 v23, v[2:5] offset:3072
	s_branch .LBB69_365
.LBB69_371:                             ;   in Loop: Header=BB69_368 Depth=2
	s_mov_b32 s94, -1
	s_mov_b32 s93, -1
                                        ; implicit-def: $vgpr10
                                        ; implicit-def: $vgpr8
	s_branch .LBB69_367
.LBB69_372:                             ;   in Loop: Header=BB69_6 Depth=1
	s_or_b32 exec_lo, exec_lo, s40
	s_delay_alu instid0(SALU_CYCLE_1)
	s_and_b32 s40, s92, exec_lo
.LBB69_373:                             ;   in Loop: Header=BB69_6 Depth=1
	s_or_b32 exec_lo, exec_lo, s90
.LBB69_374:                             ;   in Loop: Header=BB69_6 Depth=1
	s_delay_alu instid0(SALU_CYCLE_1)
	s_and_b32 vcc_lo, exec_lo, s89
	s_cbranch_vccz .LBB69_386
; %bb.375:                              ;   in Loop: Header=BB69_6 Depth=1
                                        ; implicit-def: $vgpr6_vgpr7
	s_and_saveexec_b32 s48, s9
	s_cbranch_execz .LBB69_385
; %bb.376:                              ;   in Loop: Header=BB69_6 Depth=1
	v_dual_mov_b32 v8, v20 :: v_dual_mov_b32 v10, v0
	s_mov_b32 s49, 0
                                        ; implicit-def: $sgpr51
	s_branch .LBB69_380
.LBB69_377:                             ;   in Loop: Header=BB69_380 Depth=2
	s_or_b32 exec_lo, exec_lo, s89
	s_wait_dscnt 0x0
	s_barrier_signal -1
	s_barrier_wait -1
	ds_load_b128 v[4:7], v23 offset:3072
	s_wait_dscnt 0x0
	s_barrier_signal -1
	s_barrier_wait -1
	v_cmp_eq_f64_e32 vcc_lo, 0, v[4:5]
	s_cbranch_vccz .LBB69_383
; %bb.378:                              ;   in Loop: Header=BB69_380 Depth=2
	v_dual_add_nc_u32 v10, s33, v10 :: v_dual_add_nc_u32 v8, s52, v8
	s_mov_b32 s89, 0
	s_delay_alu instid0(VALU_DEP_1)
	v_cmp_le_u32_e32 vcc_lo, s72, v10
	s_or_not1_b32 s90, vcc_lo, exec_lo
.LBB69_379:                             ;   in Loop: Header=BB69_380 Depth=2
	s_delay_alu instid0(SALU_CYCLE_1) | instskip(NEXT) | instid1(SALU_CYCLE_1)
	s_and_b32 s90, exec_lo, s90
	s_or_b32 s49, s90, s49
	s_and_not1_b32 s51, s51, exec_lo
	s_and_b32 s89, s89, exec_lo
	s_delay_alu instid0(SALU_CYCLE_1)
	s_or_b32 s51, s51, s89
	s_and_not1_b32 exec_lo, exec_lo, s49
	s_cbranch_execz .LBB69_384
.LBB69_380:                             ;   Parent Loop BB69_6 Depth=1
                                        ; =>  This Inner Loop Header: Depth=2
	s_mov_b32 s89, exec_lo
	s_delay_alu instid0(VALU_DEP_1)
	v_cmpx_gt_u32_e64 s36, v10
	s_cbranch_execz .LBB69_377
; %bb.381:                              ;   in Loop: Header=BB69_380 Depth=2
	global_load_b64 v[4:5], v8, s[30:31] scale_offset
	s_wait_loadcnt 0x0
	v_cmp_o_f64_e32 vcc_lo, v[4:5], v[4:5]
	v_ashrrev_i32_e32 v2, 31, v5
	s_delay_alu instid0(VALU_DEP_1) | instskip(NEXT) | instid1(VALU_DEP_1)
	v_or_b32_e32 v6, 0x80000000, v2
	v_xor_b32_e32 v6, v6, v5
	s_delay_alu instid0(VALU_DEP_1) | instskip(NEXT) | instid1(VALU_DEP_1)
	v_dual_cndmask_b32 v6, -1, v6, vcc_lo :: v_dual_bitop2_b32 v2, v2, v4 bitop3:0x14
	v_dual_cndmask_b32 v2, -1, v2, vcc_lo :: v_dual_bitop2_b32 v7, v6, v31 bitop3:0x40
	s_delay_alu instid0(VALU_DEP_1) | instskip(NEXT) | instid1(VALU_DEP_1)
	v_and_b32_e32 v6, v2, v30
	v_cmp_eq_u64_e32 vcc_lo, v[6:7], v[26:27]
	s_and_b32 exec_lo, exec_lo, vcc_lo
	s_cbranch_execz .LBB69_377
; %bb.382:                              ;   in Loop: Header=BB69_380 Depth=2
	v_mov_b32_e32 v2, v23
	ds_store_b128 v23, v[2:5] offset:3072
	s_branch .LBB69_377
.LBB69_383:                             ;   in Loop: Header=BB69_380 Depth=2
	s_mov_b32 s90, -1
	s_mov_b32 s89, -1
                                        ; implicit-def: $vgpr10
                                        ; implicit-def: $vgpr8
	s_branch .LBB69_379
.LBB69_384:                             ;   in Loop: Header=BB69_6 Depth=1
	s_or_b32 exec_lo, exec_lo, s49
	s_delay_alu instid0(SALU_CYCLE_1) | instskip(SKIP_1) | instid1(SALU_CYCLE_1)
	s_and_not1_b32 s40, s40, exec_lo
	s_and_b32 s49, s51, exec_lo
	s_or_b32 s40, s40, s49
.LBB69_385:                             ;   in Loop: Header=BB69_6 Depth=1
	s_or_b32 exec_lo, exec_lo, s48
	s_mov_b32 s48, 0
	s_mov_b32 s49, -1
.LBB69_386:                             ;   in Loop: Header=BB69_6 Depth=1
	s_or_not1_b32 s51, s40, exec_lo
.LBB69_387:                             ;   in Loop: Header=BB69_6 Depth=1
	s_or_b32 exec_lo, exec_lo, s50
	s_mov_b32 s50, 0
	s_and_saveexec_b32 s40, s51
	s_cbranch_execz .LBB69_398
; %bb.388:                              ;   in Loop: Header=BB69_6 Depth=1
	v_dual_mov_b32 v22, 1 :: v_dual_mov_b32 v2, 1
	s_xor_b32 s50, s29, -1
	s_delay_alu instid0(SALU_CYCLE_1)
	s_and_saveexec_b32 s29, s50
	s_cbranch_execz .LBB69_397
; %bb.389:                              ;   in Loop: Header=BB69_6 Depth=1
	s_mov_b32 s50, exec_lo
	v_cmpx_ge_u32_e64 s17, v9
	s_xor_b32 s50, exec_lo, s50
	s_cbranch_execz .LBB69_394
; %bb.390:                              ;   in Loop: Header=BB69_6 Depth=1
	ds_load_b32 v2, v23 offset:4096
	v_and_b32_e32 v27, s15, v27
	v_and_b32_e32 v26, s14, v26
	v_or_b32_e32 v31, s13, v31
	v_or_b32_e32 v30, s12, v30
	s_wait_dscnt 0x0
	v_cmp_ne_u32_e32 vcc_lo, 0, v2
	s_cbranch_vccnz .LBB69_394
; %bb.391:                              ;   in Loop: Header=BB69_6 Depth=1
	s_and_saveexec_b32 s12, s5
; %bb.392:                              ;   in Loop: Header=BB69_6 Depth=1
	v_mov_b32_e32 v2, s17
	ds_store_b32 v23, v2 offset:4100
; %bb.393:                              ;   in Loop: Header=BB69_6 Depth=1
	s_or_b32 exec_lo, exec_lo, s12
	s_wait_dscnt 0x0
	s_barrier_signal -1
	s_barrier_wait -1
.LBB69_394:                             ;   in Loop: Header=BB69_6 Depth=1
	s_and_not1_saveexec_b32 s12, s50
; %bb.395:                              ;   in Loop: Header=BB69_6 Depth=1
	v_subrev_nc_u32_e32 v9, s17, v9
; %bb.396:                              ;   in Loop: Header=BB69_6 Depth=1
	s_or_b32 exec_lo, exec_lo, s12
	s_delay_alu instid0(VALU_DEP_1)
	v_dual_mov_b32 v22, 5 :: v_dual_mov_b32 v2, v9
.LBB69_397:                             ;   in Loop: Header=BB69_6 Depth=1
	s_or_b32 exec_lo, exec_lo, s29
	s_delay_alu instid0(VALU_DEP_1)
	v_mov_b32_e32 v9, v2
	s_mov_b32 s50, exec_lo
.LBB69_398:                             ;   in Loop: Header=BB69_6 Depth=1
	s_or_b32 exec_lo, exec_lo, s40
	s_delay_alu instid0(SALU_CYCLE_1)
	s_or_not1_b32 s29, s50, exec_lo
.LBB69_399:                             ;   in Loop: Header=BB69_6 Depth=1
	s_or_b32 exec_lo, exec_lo, s18
	s_delay_alu instid0(SALU_CYCLE_1)
	s_and_not1_b32 s12, s27, exec_lo
	s_and_b32 s13, s49, exec_lo
	s_and_not1_b32 s14, s26, exec_lo
	s_and_b32 s15, s48, exec_lo
	v_mov_b32_e32 v8, v9
	s_or_b32 s27, s12, s13
	s_or_b32 s26, s14, s15
	s_and_b32 s48, s29, exec_lo
.LBB69_400:                             ;   in Loop: Header=BB69_6 Depth=1
	s_or_b32 exec_lo, exec_lo, s28
	s_delay_alu instid0(SALU_CYCLE_1)
	s_or_not1_b32 s28, s48, exec_lo
.LBB69_401:                             ;   in Loop: Header=BB69_6 Depth=1
	s_or_b32 exec_lo, exec_lo, s19
	s_delay_alu instid0(SALU_CYCLE_1)
	s_and_not1_b32 s12, s23, exec_lo
	s_and_b32 s13, s27, exec_lo
	s_and_not1_b32 s14, s20, exec_lo
	s_and_b32 s15, s26, exec_lo
	v_mov_b32_e32 v43, v8
	s_or_b32 s23, s12, s13
	s_or_b32 s20, s14, s15
	s_and_b32 s28, s28, exec_lo
.LBB69_402:                             ;   in Loop: Header=BB69_6 Depth=1
	s_or_b32 exec_lo, exec_lo, s25
	s_delay_alu instid0(SALU_CYCLE_1)
	s_or_not1_b32 s25, s28, exec_lo
.LBB69_403:                             ;   in Loop: Header=BB69_6 Depth=1
	s_or_b32 exec_lo, exec_lo, s10
	s_mov_b32 s10, s21
	s_mov_b32 s12, s11
	s_and_saveexec_b32 s13, s25
; %bb.404:                              ;   in Loop: Header=BB69_6 Depth=1
	v_cmp_ne_u32_e32 vcc_lo, 5, v22
	v_cmp_eq_u32_e64 s10, 5, v22
	s_and_not1_b32 s12, s11, exec_lo
	s_and_not1_b32 s14, s21, exec_lo
	s_and_b32 s15, vcc_lo, exec_lo
	s_and_b32 s10, s10, exec_lo
	s_or_b32 s12, s12, s15
	s_or_b32 s10, s14, s10
; %bb.405:                              ;   in Loop: Header=BB69_6 Depth=1
	s_or_b32 exec_lo, exec_lo, s13
	s_delay_alu instid0(SALU_CYCLE_1)
	s_and_not1_b32 s13, s24, exec_lo
	s_and_b32 s14, s23, exec_lo
	s_and_not1_b32 s15, s16, exec_lo
	s_and_b32 s16, s20, exec_lo
	s_or_b32 s24, s13, s14
	s_and_not1_b32 s11, s11, exec_lo
	s_and_b32 s12, s12, exec_lo
	s_and_not1_b32 s13, s21, exec_lo
	s_and_b32 s10, s10, exec_lo
	s_or_b32 s16, s15, s16
	s_or_b32 s11, s11, s12
	;; [unrolled: 1-line block ×3, first 2 shown]
.LBB69_406:                             ;   in Loop: Header=BB69_6 Depth=1
	s_or_b32 exec_lo, exec_lo, s22
	s_mov_b32 s22, 0
	s_mov_b32 s23, 0
	s_and_saveexec_b32 s10, s21
.LBB69_407:                             ;   in Loop: Header=BB69_6 Depth=1
	v_mov_b32_e32 v22, 0
	s_or_b32 s11, s11, exec_lo
.LBB69_408:                             ;   in Loop: Header=BB69_6 Depth=1
	s_or_b32 exec_lo, exec_lo, s10
	s_delay_alu instid0(SALU_CYCLE_1)
	s_and_not1_b32 s10, s86, exec_lo
	s_and_b32 s13, s24, exec_lo
	s_and_not1_b32 s14, s84, exec_lo
	s_and_b32 s15, s16, exec_lo
	v_mov_b32_e32 v42, v43
	s_or_b32 s86, s10, s13
	s_or_b32 s84, s14, s15
	s_and_not1_b32 s10, s88, exec_lo
	s_and_b32 s13, s23, exec_lo
	s_and_not1_b32 s14, s87, exec_lo
	s_and_b32 s15, s22, exec_lo
	s_mov_b32 s12, -1
	s_and_not1_b32 s85, s85, exec_lo
	s_or_b32 s88, s10, s13
	s_or_b32 s87, s14, s15
	s_and_saveexec_b32 s10, s11
	s_delay_alu instid0(SALU_CYCLE_1)
	s_xor_b32 s10, exec_lo, s10
	s_cbranch_execz .LBB69_5
; %bb.409:                              ;   in Loop: Header=BB69_6 Depth=1
	s_mov_b32 s11, -1
	s_mov_b32 s13, exec_lo
	v_cmpx_eq_u32_e32 0, v22
	s_cbranch_execz .LBB69_4
; %bb.410:                              ;   in Loop: Header=BB69_6 Depth=1
	s_xor_b32 s79, s79, 1
	s_add_co_i32 s14, s76, -2
	s_cmp_eq_u32 s76, 0
	s_mov_b32 s76, s14
	s_cselect_b32 s11, -1, 0
	s_xor_b32 s12, exec_lo, -1
	s_or_not1_b32 s11, s11, exec_lo
	s_branch .LBB69_4
.LBB69_411:
	s_or_b32 exec_lo, exec_lo, s77
	s_xor_b32 s7, s83, -1
	s_xor_b32 s9, s81, -1
	;; [unrolled: 1-line block ×5, first 2 shown]
	s_mov_b32 s8, 0
	s_and_saveexec_b32 s12, s11
	s_delay_alu instid0(SALU_CYCLE_1)
	s_xor_b32 s12, exec_lo, s12
	s_cbranch_execnz .LBB69_416
; %bb.412:
	s_wait_xcnt 0x0
	s_and_not1_saveexec_b32 s0, s12
	s_cbranch_execnz .LBB69_435
.LBB69_413:
	s_or_b32 exec_lo, exec_lo, s0
	s_and_saveexec_b32 s0, s8
.LBB69_414:
	; divergent unreachable
.LBB69_415:
	s_endpgm
.LBB69_416:
	s_and_saveexec_b32 s11, s10
	s_delay_alu instid0(SALU_CYCLE_1)
	s_xor_b32 s13, exec_lo, s11
	s_cbranch_execz .LBB69_433
; %bb.417:
	s_and_saveexec_b32 s10, s9
	s_delay_alu instid0(SALU_CYCLE_1)
	s_xor_b32 s14, exec_lo, s10
	s_cbranch_execz .LBB69_431
; %bb.418:
	;; [unrolled: 5-line block ×3, first 2 shown]
	s_and_saveexec_b32 s7, s6
	s_delay_alu instid0(SALU_CYCLE_1)
	s_xor_b32 s6, exec_lo, s7
; %bb.420:
	v_dual_mov_b32 v3, 0 :: v_dual_lshrrev_b32 v2, 31, v27
	s_delay_alu instid0(VALU_DEP_1) | instskip(NEXT) | instid1(VALU_DEP_1)
	v_add_nc_u64_e32 v[2:3], -1, v[2:3]
	v_or_b32_e32 v1, 0x80000000, v3
	s_delay_alu instid0(VALU_DEP_2) | instskip(NEXT) | instid1(VALU_DEP_2)
	v_xor_b32_e32 v6, v2, v26
	v_xor_b32_e32 v7, v1, v27
; %bb.421:
	s_or_b32 exec_lo, exec_lo, s6
	s_and_saveexec_b32 s6, s5
; %bb.422:
	v_mov_b32_e32 v1, 0
	ds_store_b32 v1, v1 offset:4108
; %bb.423:
	s_or_b32 exec_lo, exec_lo, s6
	v_mov_b64_e32 v[4:5], 0
	s_wait_dscnt 0x0
	s_barrier_signal -1
	s_barrier_wait -1
	s_and_saveexec_b32 s5, s4
	s_cbranch_execz .LBB69_425
; %bb.424:
	global_load_b64 v[4:5], v[18:19], off
.LBB69_425:
	s_wait_xcnt 0x0
	s_or_b32 exec_lo, exec_lo, s5
	v_cmp_o_f64_e32 vcc_lo, v[6:7], v[6:7]
	v_ashrrev_i32_e32 v1, 31, v7
	s_clause 0x1
	s_load_b32 s5, s[0:1], 0x1c8
	s_load_b32 s16, s[0:1], 0x2a8
	s_add_co_i32 s17, s36, 31
	s_mov_b32 s11, 0
	s_and_not1_b32 s17, s17, 31
	v_or_b32_e32 v2, 0x80000000, v1
	s_wait_kmcnt 0x0
	s_mul_i32 s10, s56, s54
	s_mul_i32 s6, s55, s54
	s_mov_b32 s7, s11
	s_lshl_b64 s[8:9], s[10:11], 3
	v_xor_b32_e32 v2, v2, v7
	v_xor_b32_e32 v1, v1, v6
	s_lshl_b64 s[18:19], s[6:7], 3
	s_mov_b32 s0, -1
	s_add_nc_u64 s[6:7], s[38:39], s[8:9]
	s_add_nc_u64 s[8:9], s[34:35], s[18:19]
	s_mov_b32 s1, 0
	v_dual_cndmask_b32 v3, -1, v2 :: v_dual_cndmask_b32 v2, -1, v1
	v_cmp_gt_u32_e32 vcc_lo, s17, v0
	s_and_saveexec_b32 s10, vcc_lo
	s_cbranch_execnz .LBB69_436
; %bb.426:
	s_or_b32 exec_lo, exec_lo, s10
	s_and_saveexec_b32 s3, s0
	s_cbranch_execnz .LBB69_453
.LBB69_427:
	s_or_b32 exec_lo, exec_lo, s3
	s_and_saveexec_b32 s0, s1
	s_delay_alu instid0(SALU_CYCLE_1)
	s_xor_b32 s0, exec_lo, s0
	s_cbranch_execnz .LBB69_478
.LBB69_428:
	s_or_b32 exec_lo, exec_lo, s0
	s_delay_alu instid0(SALU_CYCLE_1)
	s_and_b32 s8, s11, exec_lo
.LBB69_429:
	s_wait_xcnt 0x0
	s_and_not1_saveexec_b32 s0, s15
	s_cbranch_execnz .LBB69_480
.LBB69_430:
	s_or_b32 exec_lo, exec_lo, s0
	s_delay_alu instid0(SALU_CYCLE_1)
	s_and_b32 s8, s8, exec_lo
.LBB69_431:
	s_wait_xcnt 0x0
	s_and_not1_saveexec_b32 s0, s14
	s_cbranch_execnz .LBB69_479
.LBB69_432:
	s_or_b32 exec_lo, exec_lo, s0
	s_delay_alu instid0(SALU_CYCLE_1)
	s_and_b32 s8, s8, exec_lo
.LBB69_433:
	s_wait_xcnt 0x0
	s_and_not1_saveexec_b32 s0, s13
	s_cbranch_execnz .LBB69_474
.LBB69_434:
	s_or_b32 exec_lo, exec_lo, s0
	s_delay_alu instid0(SALU_CYCLE_1)
	s_and_b32 s8, s8, exec_lo
	s_and_not1_saveexec_b32 s0, s12
	s_cbranch_execz .LBB69_413
.LBB69_435:
	s_or_b32 s8, s8, exec_lo
	s_trap 2
	s_or_b32 exec_lo, exec_lo, s0
	s_and_saveexec_b32 s0, s8
	s_cbranch_execnz .LBB69_414
	s_branch .LBB69_415
.LBB69_436:
	v_dual_add_nc_u32 v1, s33, v0 :: v_dual_mov_b32 v7, 0
	v_mov_b32_e32 v6, v0
	s_mov_b32 s18, 0
                                        ; implicit-def: $sgpr19
                                        ; implicit-def: $vgpr11
	s_delay_alu instid0(VALU_DEP_2)
	v_mul_lo_u32 v1, s53, v1
	s_branch .LBB69_438
.LBB69_437:                             ;   in Loop: Header=BB69_438 Depth=1
	s_or_b32 exec_lo, exec_lo, s21
	s_xor_b32 s0, s20, -1
	s_and_b32 s1, exec_lo, s1
	s_wait_loadcnt 0x0
	v_mov_b64_e32 v[4:5], v[8:9]
	s_or_b32 s18, s1, s18
	v_mov_b32_e32 v6, v10
	s_and_not1_b32 s1, s19, exec_lo
	s_and_b32 s0, s0, exec_lo
	s_delay_alu instid0(SALU_CYCLE_1)
	s_or_b32 s19, s1, s0
	s_and_not1_b32 exec_lo, exec_lo, s18
	s_cbranch_execz .LBB69_452
.LBB69_438:                             ; =>This Inner Loop Header: Depth=1
	v_mov_b64_e32 v[8:9], 0
	v_add_nc_u32_e32 v10, s33, v6
	s_mov_b32 s1, exec_lo
	s_delay_alu instid0(VALU_DEP_1)
	v_cmpx_gt_u32_e64 s36, v10
	s_cbranch_execz .LBB69_440
; %bb.439:                              ;   in Loop: Header=BB69_438 Depth=1
	global_load_b64 v[8:9], v1, s[30:31] scale_offset
.LBB69_440:                             ;   in Loop: Header=BB69_438 Depth=1
	s_wait_xcnt 0x0
	s_or_b32 exec_lo, exec_lo, s1
	s_mov_b32 s20, 0
	s_mov_b32 s1, exec_lo
	v_cmpx_gt_u32_e64 s36, v6
	s_cbranch_execz .LBB69_442
; %bb.441:                              ;   in Loop: Header=BB69_438 Depth=1
	s_wait_loadcnt 0x0
	v_cmp_o_f64_e64 s0, v[4:5], v[4:5]
	v_ashrrev_i32_e32 v12, 31, v5
	s_delay_alu instid0(VALU_DEP_1) | instskip(NEXT) | instid1(VALU_DEP_1)
	v_or_b32_e32 v13, 0x80000000, v12
	v_xor_b32_e32 v13, v13, v5
	s_delay_alu instid0(VALU_DEP_1) | instskip(NEXT) | instid1(VALU_DEP_1)
	v_dual_cndmask_b32 v13, -1, v13, s0 :: v_dual_bitop2_b32 v12, v12, v4 bitop3:0x14
	v_cndmask_b32_e64 v12, -1, v12, s0
	s_delay_alu instid0(VALU_DEP_1) | instskip(NEXT) | instid1(VALU_DEP_1)
	v_cmp_gt_u64_e64 s0, v[12:13], v[2:3]
	v_cndmask_b32_e64 v14, 0, 1, s0
	v_cmp_lt_u64_e64 s0, v[12:13], v[2:3]
	s_delay_alu instid0(VALU_DEP_1) | instskip(NEXT) | instid1(VALU_DEP_1)
	v_cndmask_b32_e64 v12, 0, 1, s0
	v_cndmask_b32_e64 v12, v12, v14, s3
	s_delay_alu instid0(VALU_DEP_1) | instskip(NEXT) | instid1(VALU_DEP_1)
	v_and_b32_e32 v12, 1, v12
	v_cmp_eq_u32_e64 s0, 1, v12
	s_and_b32 s20, s0, exec_lo
.LBB69_442:                             ;   in Loop: Header=BB69_438 Depth=1
	s_or_b32 exec_lo, exec_lo, s1
	v_cndmask_b32_e64 v12, 0, 1, s20
	s_delay_alu instid0(VALU_DEP_1) | instskip(SKIP_2) | instid1(SALU_CYCLE_1)
	v_cmp_ne_u32_e64 s0, 0, v12
	s_cmp_lg_u32 s0, 0
	s_cselect_b32 s1, -1, 0
	s_and_b32 s1, s2, s1
	s_delay_alu instid0(SALU_CYCLE_1)
	s_and_saveexec_b32 s21, s1
	s_cbranch_execz .LBB69_446
; %bb.443:                              ;   in Loop: Header=BB69_438 Depth=1
	s_mov_b32 s24, exec_lo
	s_bcnt1_i32_b32 s22, s0
	s_wait_dscnt 0x0
	v_mbcnt_lo_u32_b32 v11, s24, 0
	s_mov_b32 s23, exec_lo
                                        ; implicit-def: $vgpr12
	s_delay_alu instid0(VALU_DEP_1)
	v_cmpx_eq_u32_e32 0, v11
; %bb.444:                              ;   in Loop: Header=BB69_438 Depth=1
	s_bcnt1_i32_b32 s1, s24
	s_delay_alu instid0(SALU_CYCLE_1) | instskip(NEXT) | instid1(SALU_CYCLE_1)
	s_mul_i32 s1, s22, s1
	v_mov_b32_e32 v12, s1
	ds_add_rtn_u32 v12, v7, v12 offset:4108
; %bb.445:                              ;   in Loop: Header=BB69_438 Depth=1
	s_or_b32 exec_lo, exec_lo, s23
	s_wait_dscnt 0x0
	v_readfirstlane_b32 s1, v12
	s_delay_alu instid0(VALU_DEP_1)
	v_mad_u32_u24 v11, s22, v11, s1
.LBB69_446:                             ;   in Loop: Header=BB69_438 Depth=1
	s_or_b32 exec_lo, exec_lo, s21
	s_wait_dscnt 0x0
	ds_bpermute_b32 v11, v7, v11
	s_mov_b32 s1, -1
	s_mov_b32 s22, -1
	s_and_saveexec_b32 s21, s20
	s_cbranch_execz .LBB69_450
; %bb.447:                              ;   in Loop: Header=BB69_438 Depth=1
	v_and_b32_e32 v12, s0, v16
	s_mov_b32 s20, 0
	s_mov_b32 s22, exec_lo
	s_wait_dscnt 0x0
	s_delay_alu instid0(VALU_DEP_1) | instskip(NEXT) | instid1(VALU_DEP_1)
	v_bcnt_u32_b32 v12, v12, v11
	v_cmpx_gt_u32_e64 s37, v12
	s_cbranch_execz .LBB69_449
; %bb.448:                              ;   in Loop: Header=BB69_438 Depth=1
	v_mul_lo_u32 v13, v12, s5
	v_mul_lo_u32 v12, v12, s16
	s_mov_b32 s20, exec_lo
	s_wait_loadcnt 0x0
	global_store_b64 v13, v[4:5], s[6:7] scale_offset
	global_store_b64 v12, v[6:7], s[8:9] scale_offset
.LBB69_449:                             ;   in Loop: Header=BB69_438 Depth=1
	s_wait_xcnt 0x0
	s_or_b32 exec_lo, exec_lo, s22
	s_delay_alu instid0(SALU_CYCLE_1)
	s_or_not1_b32 s22, s20, exec_lo
.LBB69_450:                             ;   in Loop: Header=BB69_438 Depth=1
	s_or_b32 exec_lo, exec_lo, s21
	s_mov_b32 s20, -1
	s_and_saveexec_b32 s21, s22
	s_cbranch_execz .LBB69_437
; %bb.451:                              ;   in Loop: Header=BB69_438 Depth=1
	v_cmp_le_u32_e64 s0, s17, v10
	v_add_nc_u32_e32 v1, s52, v1
	s_xor_b32 s20, exec_lo, -1
	s_or_not1_b32 s1, s0, exec_lo
	s_branch .LBB69_437
.LBB69_452:
	s_or_b32 exec_lo, exec_lo, s18
	s_delay_alu instid0(SALU_CYCLE_1)
	s_mov_b32 s1, exec_lo
	s_or_not1_b32 s0, s19, exec_lo
	s_or_b32 exec_lo, exec_lo, s10
	s_and_saveexec_b32 s3, s0
	s_cbranch_execz .LBB69_427
.LBB69_453:
	v_mov_b64_e32 v[6:7], 0
	s_wait_storecnt 0x0
	s_wait_loadcnt_dscnt 0x0
	s_barrier_signal -1
	s_barrier_wait -1
	s_and_saveexec_b32 s0, s4
	s_cbranch_execz .LBB69_455
; %bb.454:
	global_load_b64 v[6:7], v[18:19], off
.LBB69_455:
	s_wait_xcnt 0x0
	s_or_b32 exec_lo, exec_lo, s0
	s_mov_b32 s0, 0
	s_and_saveexec_b32 s4, vcc_lo
	s_cbranch_execz .LBB69_477
; %bb.456:
	v_add_nc_u32_e32 v1, s33, v0
	s_mov_b32 s10, 0
                                        ; implicit-def: $sgpr11
                                        ; implicit-def: $vgpr10
	s_delay_alu instid0(VALU_DEP_1)
	v_mul_lo_u32 v8, s53, v1
	v_mov_b32_e32 v1, 0
	s_branch .LBB69_459
.LBB69_457:                             ;   in Loop: Header=BB69_459 Depth=1
	s_or_b32 exec_lo, exec_lo, s20
	s_delay_alu instid0(SALU_CYCLE_1)
	s_or_not1_b32 s20, s18, exec_lo
	s_or_not1_b32 s19, s19, exec_lo
.LBB69_458:                             ;   in Loop: Header=BB69_459 Depth=1
	s_or_b32 exec_lo, exec_lo, s0
	s_xor_b32 s0, s20, -1
	s_and_b32 s18, exec_lo, s19
	s_wait_loadcnt 0x0
	v_mov_b64_e32 v[6:7], v[4:5]
	v_mov_b32_e32 v0, v9
	s_or_b32 s10, s18, s10
	s_and_not1_b32 s11, s11, exec_lo
	s_and_b32 s0, s0, exec_lo
	s_delay_alu instid0(SALU_CYCLE_1)
	s_or_b32 s11, s11, s0
	s_and_not1_b32 exec_lo, exec_lo, s10
	s_cbranch_execz .LBB69_475
.LBB69_459:                             ; =>This Inner Loop Header: Depth=1
	v_mov_b64_e32 v[4:5], 0
	v_add_nc_u32_e32 v9, s33, v0
	s_mov_b32 s0, exec_lo
	s_delay_alu instid0(VALU_DEP_1)
	v_cmpx_gt_u32_e64 s36, v9
	s_cbranch_execz .LBB69_461
; %bb.460:                              ;   in Loop: Header=BB69_459 Depth=1
	global_load_b64 v[4:5], v8, s[30:31] scale_offset
.LBB69_461:                             ;   in Loop: Header=BB69_459 Depth=1
	s_wait_xcnt 0x0
	s_or_b32 exec_lo, exec_lo, s0
	s_mov_b32 s18, 0
	s_mov_b32 s0, exec_lo
	v_cmpx_gt_u32_e64 s36, v0
	s_cbranch_execz .LBB69_463
; %bb.462:                              ;   in Loop: Header=BB69_459 Depth=1
	s_wait_loadcnt 0x0
	v_cmp_o_f64_e32 vcc_lo, v[6:7], v[6:7]
	v_ashrrev_i32_e32 v11, 31, v7
	s_delay_alu instid0(VALU_DEP_1) | instskip(NEXT) | instid1(VALU_DEP_1)
	v_or_b32_e32 v12, 0x80000000, v11
	v_xor_b32_e32 v12, v12, v7
	s_delay_alu instid0(VALU_DEP_1) | instskip(NEXT) | instid1(VALU_DEP_1)
	v_dual_cndmask_b32 v13, -1, v12, vcc_lo :: v_dual_bitop2_b32 v11, v11, v6 bitop3:0x14
	v_cndmask_b32_e32 v12, -1, v11, vcc_lo
	s_delay_alu instid0(VALU_DEP_1)
	v_cmp_eq_u64_e32 vcc_lo, v[12:13], v[2:3]
	s_and_b32 s18, vcc_lo, exec_lo
.LBB69_463:                             ;   in Loop: Header=BB69_459 Depth=1
	s_or_b32 exec_lo, exec_lo, s0
	v_cndmask_b32_e64 v11, 0, 1, s18
	s_delay_alu instid0(VALU_DEP_1) | instskip(SKIP_2) | instid1(SALU_CYCLE_1)
	v_cmp_ne_u32_e32 vcc_lo, 0, v11
	s_cmp_lg_u32 vcc_lo, 0
	s_cselect_b32 s0, -1, 0
	s_and_b32 s0, s2, s0
	s_delay_alu instid0(SALU_CYCLE_1)
	s_and_saveexec_b32 s19, s0
	s_cbranch_execz .LBB69_467
; %bb.464:                              ;   in Loop: Header=BB69_459 Depth=1
	s_mov_b32 s22, exec_lo
	s_bcnt1_i32_b32 s20, vcc_lo
	v_mbcnt_lo_u32_b32 v10, s22, 0
	s_mov_b32 s21, exec_lo
                                        ; implicit-def: $vgpr11
	s_delay_alu instid0(VALU_DEP_1)
	v_cmpx_eq_u32_e32 0, v10
; %bb.465:                              ;   in Loop: Header=BB69_459 Depth=1
	s_bcnt1_i32_b32 s0, s22
	s_delay_alu instid0(SALU_CYCLE_1) | instskip(NEXT) | instid1(SALU_CYCLE_1)
	s_mul_i32 s0, s20, s0
	v_mov_b32_e32 v11, s0
	ds_add_rtn_u32 v11, v1, v11 offset:4108
; %bb.466:                              ;   in Loop: Header=BB69_459 Depth=1
	s_or_b32 exec_lo, exec_lo, s21
	s_wait_dscnt 0x0
	v_readfirstlane_b32 s0, v11
	s_delay_alu instid0(VALU_DEP_1)
	v_mad_u32_u24 v10, s20, v10, s0
.LBB69_467:                             ;   in Loop: Header=BB69_459 Depth=1
	s_or_b32 exec_lo, exec_lo, s19
	ds_bpermute_b32 v10, v1, v10
	s_cmp_eq_u32 vcc_lo, 0
	s_mov_b32 s19, -1
	s_cselect_b32 s20, -1, 0
	s_wait_dscnt 0x0
	v_cmp_gt_u32_e64 s0, s37, v10
	s_or_b32 s21, s20, s0
	s_mov_b32 s20, -1
	s_and_saveexec_b32 s0, s21
	s_cbranch_execz .LBB69_458
; %bb.468:                              ;   in Loop: Header=BB69_459 Depth=1
	v_dual_sub_nc_u32 v12, s37, v10 :: v_dual_bitop2_b32 v11, vcc_lo, v16 bitop3:0x40
	s_mov_b32 s21, -1
	s_delay_alu instid0(VALU_DEP_1) | instskip(NEXT) | instid1(VALU_DEP_1)
	v_bcnt_u32_b32 v11, v11, 0
	v_bcnt_u32_b32 v11, 0, v11
	s_delay_alu instid0(VALU_DEP_1)
	v_cmp_gt_u32_e32 vcc_lo, v12, v11
	s_and_b32 s22, s18, vcc_lo
	s_mov_b32 s18, -1
	s_and_saveexec_b32 s20, s22
	s_cbranch_execz .LBB69_472
; %bb.469:                              ;   in Loop: Header=BB69_459 Depth=1
	v_add_nc_u32_e32 v11, v10, v11
	s_mov_b32 s21, 0
	s_mov_b32 s18, exec_lo
	s_delay_alu instid0(VALU_DEP_1)
	v_cmpx_gt_u32_e64 s37, v11
	s_cbranch_execz .LBB69_471
; %bb.470:                              ;   in Loop: Header=BB69_459 Depth=1
	v_mul_lo_u32 v12, v11, s5
	v_mul_lo_u32 v11, v11, s16
	s_mov_b32 s21, exec_lo
	s_wait_loadcnt 0x0
	global_store_b64 v12, v[6:7], s[6:7] scale_offset
	global_store_b64 v11, v[0:1], s[8:9] scale_offset
.LBB69_471:                             ;   in Loop: Header=BB69_459 Depth=1
	s_wait_xcnt 0x0
	s_or_b32 exec_lo, exec_lo, s18
	s_delay_alu instid0(SALU_CYCLE_1)
	s_xor_b32 s18, exec_lo, -1
	s_or_not1_b32 s21, s21, exec_lo
.LBB69_472:                             ;   in Loop: Header=BB69_459 Depth=1
	s_or_b32 exec_lo, exec_lo, s20
	s_and_saveexec_b32 s20, s21
	s_cbranch_execz .LBB69_457
; %bb.473:                              ;   in Loop: Header=BB69_459 Depth=1
	v_cmp_le_u32_e32 vcc_lo, s17, v9
	v_add_nc_u32_e32 v8, s52, v8
	s_or_b32 s18, s18, exec_lo
	s_or_not1_b32 s19, vcc_lo, exec_lo
	s_branch .LBB69_457
.LBB69_474:
	s_or_b32 s8, s8, exec_lo
	s_trap 2
	s_branch .LBB69_434
.LBB69_475:
	s_or_b32 exec_lo, exec_lo, s10
	s_mov_b32 s0, 0
	s_and_saveexec_b32 s2, s11
	s_delay_alu instid0(SALU_CYCLE_1)
	s_xor_b32 s2, exec_lo, s2
	s_cbranch_execnz .LBB69_481
.LBB69_476:
	s_or_b32 exec_lo, exec_lo, s2
	s_delay_alu instid0(SALU_CYCLE_1)
	s_and_b32 s0, s0, exec_lo
.LBB69_477:
	s_or_b32 exec_lo, exec_lo, s4
	s_delay_alu instid0(SALU_CYCLE_1) | instskip(SKIP_3) | instid1(SALU_CYCLE_1)
	s_and_b32 s11, s0, exec_lo
	s_and_not1_b32 s1, s1, exec_lo
	s_or_b32 exec_lo, exec_lo, s3
	s_and_saveexec_b32 s0, s1
	s_xor_b32 s0, exec_lo, s0
	s_cbranch_execz .LBB69_428
.LBB69_478:
	s_or_b32 s11, s11, exec_lo
	s_trap 2
	s_branch .LBB69_428
.LBB69_479:
	s_or_b32 s8, s8, exec_lo
	s_trap 2
	s_branch .LBB69_432
.LBB69_480:
	s_or_b32 s8, s8, exec_lo
	s_trap 2
	s_branch .LBB69_430
.LBB69_481:
	s_mov_b32 s0, exec_lo
	s_trap 2
	s_branch .LBB69_476
	.section	.rodata,"a",@progbits
	.p2align	6, 0x0
	.amdhsa_kernel _ZN2at6native6sbtopk10gatherTopKIdjLi1ELb0EEEvNS_4cuda6detail10TensorInfoIKT_T0_EES8_S8_bS8_S8_NS5_IS6_S8_EES8_NS5_IlS8_EES8_PS6_
		.amdhsa_group_segment_fixed_size 4112
		.amdhsa_private_segment_fixed_size 0
		.amdhsa_kernarg_size 952
		.amdhsa_user_sgpr_count 2
		.amdhsa_user_sgpr_dispatch_ptr 0
		.amdhsa_user_sgpr_queue_ptr 0
		.amdhsa_user_sgpr_kernarg_segment_ptr 1
		.amdhsa_user_sgpr_dispatch_id 0
		.amdhsa_user_sgpr_kernarg_preload_length 0
		.amdhsa_user_sgpr_kernarg_preload_offset 0
		.amdhsa_user_sgpr_private_segment_size 0
		.amdhsa_wavefront_size32 1
		.amdhsa_uses_dynamic_stack 0
		.amdhsa_enable_private_segment 0
		.amdhsa_system_sgpr_workgroup_id_x 1
		.amdhsa_system_sgpr_workgroup_id_y 1
		.amdhsa_system_sgpr_workgroup_id_z 1
		.amdhsa_system_sgpr_workgroup_info 0
		.amdhsa_system_vgpr_workitem_id 0
		.amdhsa_next_free_vgpr 58
		.amdhsa_next_free_sgpr 99
		.amdhsa_named_barrier_count 0
		.amdhsa_reserve_vcc 1
		.amdhsa_float_round_mode_32 0
		.amdhsa_float_round_mode_16_64 0
		.amdhsa_float_denorm_mode_32 3
		.amdhsa_float_denorm_mode_16_64 3
		.amdhsa_fp16_overflow 0
		.amdhsa_memory_ordered 1
		.amdhsa_forward_progress 1
		.amdhsa_inst_pref_size 124
		.amdhsa_round_robin_scheduling 0
		.amdhsa_exception_fp_ieee_invalid_op 0
		.amdhsa_exception_fp_denorm_src 0
		.amdhsa_exception_fp_ieee_div_zero 0
		.amdhsa_exception_fp_ieee_overflow 0
		.amdhsa_exception_fp_ieee_underflow 0
		.amdhsa_exception_fp_ieee_inexact 0
		.amdhsa_exception_int_div_zero 0
	.end_amdhsa_kernel
	.section	.text._ZN2at6native6sbtopk10gatherTopKIdjLi1ELb0EEEvNS_4cuda6detail10TensorInfoIKT_T0_EES8_S8_bS8_S8_NS5_IS6_S8_EES8_NS5_IlS8_EES8_PS6_,"axG",@progbits,_ZN2at6native6sbtopk10gatherTopKIdjLi1ELb0EEEvNS_4cuda6detail10TensorInfoIKT_T0_EES8_S8_bS8_S8_NS5_IS6_S8_EES8_NS5_IlS8_EES8_PS6_,comdat
.Lfunc_end69:
	.size	_ZN2at6native6sbtopk10gatherTopKIdjLi1ELb0EEEvNS_4cuda6detail10TensorInfoIKT_T0_EES8_S8_bS8_S8_NS5_IS6_S8_EES8_NS5_IlS8_EES8_PS6_, .Lfunc_end69-_ZN2at6native6sbtopk10gatherTopKIdjLi1ELb0EEEvNS_4cuda6detail10TensorInfoIKT_T0_EES8_S8_bS8_S8_NS5_IS6_S8_EES8_NS5_IlS8_EES8_PS6_
                                        ; -- End function
	.set _ZN2at6native6sbtopk10gatherTopKIdjLi1ELb0EEEvNS_4cuda6detail10TensorInfoIKT_T0_EES8_S8_bS8_S8_NS5_IS6_S8_EES8_NS5_IlS8_EES8_PS6_.num_vgpr, 58
	.set _ZN2at6native6sbtopk10gatherTopKIdjLi1ELb0EEEvNS_4cuda6detail10TensorInfoIKT_T0_EES8_S8_bS8_S8_NS5_IS6_S8_EES8_NS5_IlS8_EES8_PS6_.num_agpr, 0
	.set _ZN2at6native6sbtopk10gatherTopKIdjLi1ELb0EEEvNS_4cuda6detail10TensorInfoIKT_T0_EES8_S8_bS8_S8_NS5_IS6_S8_EES8_NS5_IlS8_EES8_PS6_.numbered_sgpr, 99
	.set _ZN2at6native6sbtopk10gatherTopKIdjLi1ELb0EEEvNS_4cuda6detail10TensorInfoIKT_T0_EES8_S8_bS8_S8_NS5_IS6_S8_EES8_NS5_IlS8_EES8_PS6_.num_named_barrier, 0
	.set _ZN2at6native6sbtopk10gatherTopKIdjLi1ELb0EEEvNS_4cuda6detail10TensorInfoIKT_T0_EES8_S8_bS8_S8_NS5_IS6_S8_EES8_NS5_IlS8_EES8_PS6_.private_seg_size, 0
	.set _ZN2at6native6sbtopk10gatherTopKIdjLi1ELb0EEEvNS_4cuda6detail10TensorInfoIKT_T0_EES8_S8_bS8_S8_NS5_IS6_S8_EES8_NS5_IlS8_EES8_PS6_.uses_vcc, 1
	.set _ZN2at6native6sbtopk10gatherTopKIdjLi1ELb0EEEvNS_4cuda6detail10TensorInfoIKT_T0_EES8_S8_bS8_S8_NS5_IS6_S8_EES8_NS5_IlS8_EES8_PS6_.uses_flat_scratch, 0
	.set _ZN2at6native6sbtopk10gatherTopKIdjLi1ELb0EEEvNS_4cuda6detail10TensorInfoIKT_T0_EES8_S8_bS8_S8_NS5_IS6_S8_EES8_NS5_IlS8_EES8_PS6_.has_dyn_sized_stack, 0
	.set _ZN2at6native6sbtopk10gatherTopKIdjLi1ELb0EEEvNS_4cuda6detail10TensorInfoIKT_T0_EES8_S8_bS8_S8_NS5_IS6_S8_EES8_NS5_IlS8_EES8_PS6_.has_recursion, 0
	.set _ZN2at6native6sbtopk10gatherTopKIdjLi1ELb0EEEvNS_4cuda6detail10TensorInfoIKT_T0_EES8_S8_bS8_S8_NS5_IS6_S8_EES8_NS5_IlS8_EES8_PS6_.has_indirect_call, 0
	.section	.AMDGPU.csdata,"",@progbits
; Kernel info:
; codeLenInByte = 15804
; TotalNumSgprs: 101
; NumVgprs: 58
; ScratchSize: 0
; MemoryBound: 0
; FloatMode: 240
; IeeeMode: 1
; LDSByteSize: 4112 bytes/workgroup (compile time only)
; SGPRBlocks: 0
; VGPRBlocks: 3
; NumSGPRsForWavesPerEU: 101
; NumVGPRsForWavesPerEU: 58
; NamedBarCnt: 0
; Occupancy: 16
; WaveLimiterHint : 1
; COMPUTE_PGM_RSRC2:SCRATCH_EN: 0
; COMPUTE_PGM_RSRC2:USER_SGPR: 2
; COMPUTE_PGM_RSRC2:TRAP_HANDLER: 0
; COMPUTE_PGM_RSRC2:TGID_X_EN: 1
; COMPUTE_PGM_RSRC2:TGID_Y_EN: 1
; COMPUTE_PGM_RSRC2:TGID_Z_EN: 1
; COMPUTE_PGM_RSRC2:TIDIG_COMP_CNT: 0
	.section	.text._ZN2at6native6mbtopk23computeBlockDigitCountsIdjmLi2EEEvNS_4cuda6detail10TensorInfoIKT_T0_EEjPjjS8_iijT1_PSB_Ps,"axG",@progbits,_ZN2at6native6mbtopk23computeBlockDigitCountsIdjmLi2EEEvNS_4cuda6detail10TensorInfoIKT_T0_EEjPjjS8_iijT1_PSB_Ps,comdat
	.protected	_ZN2at6native6mbtopk23computeBlockDigitCountsIdjmLi2EEEvNS_4cuda6detail10TensorInfoIKT_T0_EEjPjjS8_iijT1_PSB_Ps ; -- Begin function _ZN2at6native6mbtopk23computeBlockDigitCountsIdjmLi2EEEvNS_4cuda6detail10TensorInfoIKT_T0_EEjPjjS8_iijT1_PSB_Ps
	.globl	_ZN2at6native6mbtopk23computeBlockDigitCountsIdjmLi2EEEvNS_4cuda6detail10TensorInfoIKT_T0_EEjPjjS8_iijT1_PSB_Ps
	.p2align	8
	.type	_ZN2at6native6mbtopk23computeBlockDigitCountsIdjmLi2EEEvNS_4cuda6detail10TensorInfoIKT_T0_EEjPjjS8_iijT1_PSB_Ps,@function
_ZN2at6native6mbtopk23computeBlockDigitCountsIdjmLi2EEEvNS_4cuda6detail10TensorInfoIKT_T0_EEjPjjS8_iijT1_PSB_Ps: ; @_ZN2at6native6mbtopk23computeBlockDigitCountsIdjmLi2EEEvNS_4cuda6detail10TensorInfoIKT_T0_EEjPjjS8_iijT1_PSB_Ps
; %bb.0:
	s_load_b32 s17, s[0:1], 0xf8
	s_bfe_u32 s2, ttmp6, 0x40010
	s_and_b32 s8, ttmp7, 0xffff
	s_add_co_i32 s4, s2, 1
	s_bfe_u32 s5, ttmp6, 0x40004
	s_mul_i32 s4, s8, s4
	s_load_b64 s[2:3], s[0:1], 0x118
	s_add_co_i32 s9, s5, s4
	s_bfe_u32 s6, ttmp6, 0x4000c
	s_bfe_u32 s7, ttmp6, 0x40014
	s_add_co_i32 s6, s6, 1
	s_and_b32 s5, ttmp6, 15
	s_mul_i32 s6, ttmp9, s6
	s_add_co_i32 s7, s7, 1
	s_add_co_i32 s10, s5, s6
	s_bfe_u32 s6, ttmp6, 0x40008
	s_mov_b32 s13, 0
	s_wait_kmcnt 0x0
	s_cvt_f32_u32 s4, s17
	s_delay_alu instid0(SALU_CYCLE_3) | instskip(SKIP_1) | instid1(SALU_CYCLE_1)
	v_rcp_iflag_f32_e32 v1, s4
	s_lshr_b32 s4, ttmp7, 16
	s_mul_i32 s5, s4, s7
	s_getreg_b32 s7, hwreg(HW_REG_IB_STS2, 6, 4)
	s_add_co_i32 s6, s6, s5
	s_cmp_eq_u32 s7, 0
	v_nop
	v_readfirstlane_b32 s11, v1
	s_cselect_b32 s12, s4, s6
	s_load_b128 s[4:7], s[0:1], 0xe8
	s_mul_i32 s3, s3, s12
	s_cselect_b32 s10, ttmp9, s10
	s_mul_f32 s11, s11, 0x4f7ffffe
	s_cselect_b32 s8, s8, s9
	s_sub_co_i32 s9, 0, s17
	s_add_co_i32 s3, s3, s8
	s_cvt_u32_f32 s11, s11
	s_mul_i32 s16, s3, s2
	s_delay_alu instid0(SALU_CYCLE_1) | instskip(NEXT) | instid1(SALU_CYCLE_1)
	s_add_co_i32 s16, s16, s10
	s_mul_i32 s9, s9, s11
	s_delay_alu instid0(SALU_CYCLE_1) | instskip(NEXT) | instid1(SALU_CYCLE_1)
	s_mul_hi_u32 s2, s11, s9
	s_add_co_i32 s11, s11, s2
	s_delay_alu instid0(SALU_CYCLE_1) | instskip(NEXT) | instid1(SALU_CYCLE_1)
	s_mul_hi_u32 s2, s16, s11
	s_mul_i32 s3, s2, s17
	s_add_co_i32 s8, s2, 1
	s_sub_co_i32 s3, s16, s3
	s_delay_alu instid0(SALU_CYCLE_1)
	s_sub_co_i32 s9, s3, s17
	s_cmp_ge_u32 s3, s17
	s_cselect_b32 s2, s8, s2
	s_cselect_b32 s3, s9, s3
	s_add_co_i32 s8, s2, 1
	s_cmp_ge_u32 s3, s17
	s_cselect_b32 s12, s8, s2
	s_wait_kmcnt 0x0
	s_cmp_ge_u32 s12, s4
	s_cbranch_scc1 .LBB70_21
; %bb.1:
	s_clause 0x2
	s_load_b32 s18, s[0:1], 0xc
	s_load_b128 s[8:11], s[0:1], 0x100
	s_load_b64 s[2:3], s[0:1], 0x110
	v_cmp_gt_u32_e32 vcc_lo, 0x100, v0
	s_wait_kmcnt 0x0
	s_cvt_f32_u32 s4, s18
	s_delay_alu instid0(SALU_CYCLE_3) | instskip(SKIP_1) | instid1(TRANS32_DEP_1)
	v_rcp_iflag_f32_e32 v1, s4
	v_nop
	v_readfirstlane_b32 s20, v1
	v_lshlrev_b32_e32 v1, 2, v0
	s_and_saveexec_b32 s4, vcc_lo
; %bb.2:
	v_mov_b32_e32 v2, 0
	ds_store_b32 v1, v2
; %bb.3:
	s_or_b32 exec_lo, exec_lo, s4
	s_load_b32 s4, s[0:1], 0xd8
	s_mul_i32 s14, s12, s17
	s_mov_b32 s15, 0
	s_sub_co_i32 s21, s16, s14
	s_wait_dscnt 0x0
	s_mul_i32 s14, s7, s21
	s_add_co_i32 s21, s21, 1
	s_lshl_b32 s19, s14, 8
	s_barrier_signal -1
	s_barrier_wait -1
	s_wait_kmcnt 0x0
	s_sub_co_i32 s14, s4, s19
	s_delay_alu instid0(SALU_CYCLE_1) | instskip(NEXT) | instid1(SALU_CYCLE_1)
	s_add_nc_u64 s[22:23], s[14:15], 0xff
	s_lshr_b64 s[22:23], s[22:23], 8
	s_cmp_lt_u32 s21, s17
	s_cselect_b32 s17, s7, s22
	s_delay_alu instid0(SALU_CYCLE_1)
	s_cmp_lt_i32 s17, 1
	s_cbranch_scc1 .LBB70_19
; %bb.4:
	s_mul_f32 s7, s20, 0x4f7ffffe
	s_sub_co_i32 s14, 0, s18
	s_mov_b32 s21, s13
	s_clause 0x1
	s_load_b64 s[22:23], s[0:1], 0x6c
	s_load_b64 s[24:25], s[0:1], 0x0
	s_cvt_u32_f32 s7, s7
	s_load_b64 s[10:11], s[10:11], s12 offset:0x0 scale_offset
	v_add_nc_u32_e32 v4, s19, v0
	s_delay_alu instid0(SALU_CYCLE_1) | instskip(NEXT) | instid1(SALU_CYCLE_1)
	s_mul_i32 s14, s14, s7
	s_mul_hi_u32 s14, s7, s14
	s_delay_alu instid0(SALU_CYCLE_1) | instskip(NEXT) | instid1(SALU_CYCLE_1)
	s_add_co_i32 s20, s7, s14
	s_mul_u64 s[20:21], s[12:13], s[20:21]
	s_delay_alu instid0(SALU_CYCLE_1) | instskip(SKIP_3) | instid1(SALU_CYCLE_1)
	s_mul_i32 s7, s21, s18
	s_wait_xcnt 0x0
	s_add_co_i32 s1, s21, 1
	s_sub_co_i32 s0, s12, s7
	s_sub_co_i32 s7, s0, s18
	s_cmp_ge_u32 s0, s18
	s_cselect_b32 s1, s1, s21
	s_cselect_b32 s0, s7, s0
	s_add_co_i32 s7, s1, 1
	s_cmp_ge_u32 s0, s18
	s_cselect_b32 s0, s7, s1
	s_delay_alu instid0(SALU_CYCLE_1) | instskip(SKIP_3) | instid1(SALU_CYCLE_1)
	s_mul_i32 s1, s0, s18
	s_wait_kmcnt 0x0
	s_mul_i32 s0, s0, s22
	s_sub_co_i32 s1, s12, s1
	s_mul_i32 s1, s1, s23
	s_delay_alu instid0(SALU_CYCLE_1)
	s_add_co_i32 s14, s0, s1
	s_and_b32 s1, s6, 0xff
	s_lshl_b64 s[12:13], s[14:15], 3
	s_cmp_eq_u32 s17, 1
	s_add_nc_u64 s[6:7], s[24:25], s[12:13]
	s_cbranch_scc1 .LBB70_14
; %bb.5:
	v_dual_mov_b32 v7, 1 :: v_dual_add_nc_u32 v2, 0x100, v4
	v_mul_lo_u32 v6, s5, v4
	v_mov_b32_e32 v8, v4
	s_and_b32 s12, s17, 0x7ffffffe
	s_delay_alu instid0(VALU_DEP_3)
	v_mul_lo_u32 v5, s5, v2
	s_lshl_b32 s13, s5, 9
	s_mov_b32 s14, 0
	s_branch .LBB70_7
.LBB70_6:                               ;   in Loop: Header=BB70_7 Depth=1
	s_or_b32 exec_lo, exec_lo, s18
	v_add_nc_u32_e32 v8, 0x200, v8
	s_add_co_i32 s15, s15, 2
	s_add_co_i32 s14, s14, s13
	s_cmp_eq_u32 s12, s15
	s_cbranch_scc1 .LBB70_13
.LBB70_7:                               ; =>This Inner Loop Header: Depth=1
	s_mov_b32 s18, exec_lo
	v_cmpx_gt_u32_e64 s4, v8
	s_cbranch_execz .LBB70_10
; %bb.8:                                ;   in Loop: Header=BB70_7 Depth=1
	s_delay_alu instid0(VALU_DEP_4) | instskip(SKIP_4) | instid1(VALU_DEP_1)
	v_add_nc_u32_e32 v2, s14, v6
	global_load_b64 v[2:3], v2, s[6:7] scale_offset
	s_wait_loadcnt 0x0
	v_cmp_o_f64_e64 s0, v[2:3], v[2:3]
	v_ashrrev_i32_e32 v9, 31, v3
	v_or_b32_e32 v10, 0x80000000, v9
	s_wait_xcnt 0x0
	v_xor_b32_e32 v2, v9, v2
	s_delay_alu instid0(VALU_DEP_1) | instskip(NEXT) | instid1(VALU_DEP_1)
	v_dual_cndmask_b32 v2, -1, v2, s0 :: v_dual_bitop2_b32 v10, v10, v3 bitop3:0x14
	v_cndmask_b32_e64 v3, -1, v10, s0
	s_delay_alu instid0(VALU_DEP_2) | instskip(NEXT) | instid1(VALU_DEP_2)
	v_xor_b32_e32 v10, s10, v2
	v_xor_b32_e32 v9, s11, v3
	s_delay_alu instid0(VALU_DEP_2) | instskip(NEXT) | instid1(VALU_DEP_2)
	v_and_b32_e32 v10, s8, v10
	v_and_b32_e32 v11, s9, v9
	s_delay_alu instid0(VALU_DEP_1)
	v_cmp_eq_u64_e64 s0, 0, v[10:11]
	s_and_b32 exec_lo, exec_lo, s0
	s_cbranch_execz .LBB70_10
; %bb.9:                                ;   in Loop: Header=BB70_7 Depth=1
	v_lshrrev_b64 v[2:3], s1, v[2:3]
	s_delay_alu instid0(VALU_DEP_1) | instskip(NEXT) | instid1(VALU_DEP_1)
	v_and_b32_e32 v2, 0xff, v2
	v_lshlrev_b32_e32 v2, 2, v2
	ds_add_u32 v2, v7
.LBB70_10:                              ;   in Loop: Header=BB70_7 Depth=1
	s_or_b32 exec_lo, exec_lo, s18
	v_add_nc_u32_e32 v2, 0x100, v8
	s_mov_b32 s18, exec_lo
	s_delay_alu instid0(VALU_DEP_1)
	v_cmpx_gt_u32_e64 s4, v2
	s_cbranch_execz .LBB70_6
; %bb.11:                               ;   in Loop: Header=BB70_7 Depth=1
	v_add_nc_u32_e32 v2, s14, v5
	global_load_b64 v[2:3], v2, s[6:7] scale_offset
	s_wait_loadcnt 0x0
	v_cmp_o_f64_e64 s0, v[2:3], v[2:3]
	v_ashrrev_i32_e32 v9, 31, v3
	s_delay_alu instid0(VALU_DEP_1) | instskip(SKIP_1) | instid1(VALU_DEP_1)
	v_or_b32_e32 v10, 0x80000000, v9
	v_xor_b32_e32 v2, v9, v2
	v_dual_cndmask_b32 v2, -1, v2, s0 :: v_dual_bitop2_b32 v10, v10, v3 bitop3:0x14
	s_delay_alu instid0(VALU_DEP_1) | instskip(NEXT) | instid1(VALU_DEP_2)
	v_cndmask_b32_e64 v3, -1, v10, s0
	v_xor_b32_e32 v10, s10, v2
	s_delay_alu instid0(VALU_DEP_2) | instskip(NEXT) | instid1(VALU_DEP_2)
	v_xor_b32_e32 v9, s11, v3
	v_and_b32_e32 v10, s8, v10
	s_delay_alu instid0(VALU_DEP_2) | instskip(NEXT) | instid1(VALU_DEP_1)
	v_and_b32_e32 v11, s9, v9
	v_cmp_eq_u64_e64 s0, 0, v[10:11]
	s_and_b32 exec_lo, exec_lo, s0
	s_cbranch_execz .LBB70_6
; %bb.12:                               ;   in Loop: Header=BB70_7 Depth=1
	v_lshrrev_b64 v[2:3], s1, v[2:3]
	s_delay_alu instid0(VALU_DEP_1) | instskip(NEXT) | instid1(VALU_DEP_1)
	v_and_b32_e32 v2, 0xff, v2
	v_lshlrev_b32_e32 v2, 2, v2
	ds_add_u32 v2, v7
	s_branch .LBB70_6
.LBB70_13:
	s_lshl_b32 s15, s12, 8
.LBB70_14:
	s_bitcmp0_b32 s17, 0
	s_cbranch_scc1 .LBB70_19
; %bb.15:
	v_add_nc_u32_e32 v2, s15, v4
	s_delay_alu instid0(VALU_DEP_1)
	v_cmp_gt_u32_e64 s0, s4, v2
	s_and_saveexec_b32 s4, s0
	s_cbranch_execz .LBB70_18
; %bb.16:
	v_mul_lo_u32 v2, v2, s5
	global_load_b64 v[2:3], v2, s[6:7] scale_offset
	s_wait_loadcnt 0x0
	v_cmp_o_f64_e64 s0, v[2:3], v[2:3]
	v_ashrrev_i32_e32 v4, 31, v3
	s_delay_alu instid0(VALU_DEP_1) | instskip(NEXT) | instid1(VALU_DEP_1)
	v_or_b32_e32 v5, 0x80000000, v4
	v_xor_b32_e32 v5, v5, v3
	s_delay_alu instid0(VALU_DEP_1) | instskip(NEXT) | instid1(VALU_DEP_1)
	v_dual_cndmask_b32 v3, -1, v5, s0 :: v_dual_bitop2_b32 v2, v4, v2 bitop3:0x14
	v_dual_cndmask_b32 v2, -1, v2, s0 :: v_dual_bitop2_b32 v4, s11, v3 bitop3:0x14
	s_delay_alu instid0(VALU_DEP_1) | instskip(NEXT) | instid1(VALU_DEP_2)
	v_xor_b32_e32 v6, s10, v2
	v_and_b32_e32 v5, s9, v4
	s_delay_alu instid0(VALU_DEP_2) | instskip(NEXT) | instid1(VALU_DEP_1)
	v_and_b32_e32 v4, s8, v6
	v_cmp_eq_u64_e64 s0, 0, v[4:5]
	s_and_b32 exec_lo, exec_lo, s0
	s_cbranch_execz .LBB70_18
; %bb.17:
	v_lshrrev_b64 v[2:3], s1, v[2:3]
	v_mov_b32_e32 v3, 1
	s_delay_alu instid0(VALU_DEP_2) | instskip(NEXT) | instid1(VALU_DEP_1)
	v_and_b32_e32 v2, 0xff, v2
	v_lshlrev_b32_e32 v2, 2, v2
	ds_add_u32 v2, v3
.LBB70_18:
	s_or_b32 exec_lo, exec_lo, s4
.LBB70_19:
	s_wait_dscnt 0x0
	s_barrier_signal -1
	s_barrier_wait -1
	s_and_saveexec_b32 s0, vcc_lo
	s_cbranch_execz .LBB70_21
; %bb.20:
	ds_load_b32 v1, v1
	v_lshl_or_b32 v0, s16, 8, v0
	s_wait_dscnt 0x0
	global_store_b16 v0, v1, s[2:3] scale_offset
.LBB70_21:
	s_endpgm
	.section	.rodata,"a",@progbits
	.p2align	6, 0x0
	.amdhsa_kernel _ZN2at6native6mbtopk23computeBlockDigitCountsIdjmLi2EEEvNS_4cuda6detail10TensorInfoIKT_T0_EEjPjjS8_iijT1_PSB_Ps
		.amdhsa_group_segment_fixed_size 1024
		.amdhsa_private_segment_fixed_size 0
		.amdhsa_kernarg_size 536
		.amdhsa_user_sgpr_count 2
		.amdhsa_user_sgpr_dispatch_ptr 0
		.amdhsa_user_sgpr_queue_ptr 0
		.amdhsa_user_sgpr_kernarg_segment_ptr 1
		.amdhsa_user_sgpr_dispatch_id 0
		.amdhsa_user_sgpr_kernarg_preload_length 0
		.amdhsa_user_sgpr_kernarg_preload_offset 0
		.amdhsa_user_sgpr_private_segment_size 0
		.amdhsa_wavefront_size32 1
		.amdhsa_uses_dynamic_stack 0
		.amdhsa_enable_private_segment 0
		.amdhsa_system_sgpr_workgroup_id_x 1
		.amdhsa_system_sgpr_workgroup_id_y 1
		.amdhsa_system_sgpr_workgroup_id_z 1
		.amdhsa_system_sgpr_workgroup_info 0
		.amdhsa_system_vgpr_workitem_id 0
		.amdhsa_next_free_vgpr 12
		.amdhsa_next_free_sgpr 26
		.amdhsa_named_barrier_count 0
		.amdhsa_reserve_vcc 1
		.amdhsa_float_round_mode_32 0
		.amdhsa_float_round_mode_16_64 0
		.amdhsa_float_denorm_mode_32 3
		.amdhsa_float_denorm_mode_16_64 3
		.amdhsa_fp16_overflow 0
		.amdhsa_memory_ordered 1
		.amdhsa_forward_progress 1
		.amdhsa_inst_pref_size 11
		.amdhsa_round_robin_scheduling 0
		.amdhsa_exception_fp_ieee_invalid_op 0
		.amdhsa_exception_fp_denorm_src 0
		.amdhsa_exception_fp_ieee_div_zero 0
		.amdhsa_exception_fp_ieee_overflow 0
		.amdhsa_exception_fp_ieee_underflow 0
		.amdhsa_exception_fp_ieee_inexact 0
		.amdhsa_exception_int_div_zero 0
	.end_amdhsa_kernel
	.section	.text._ZN2at6native6mbtopk23computeBlockDigitCountsIdjmLi2EEEvNS_4cuda6detail10TensorInfoIKT_T0_EEjPjjS8_iijT1_PSB_Ps,"axG",@progbits,_ZN2at6native6mbtopk23computeBlockDigitCountsIdjmLi2EEEvNS_4cuda6detail10TensorInfoIKT_T0_EEjPjjS8_iijT1_PSB_Ps,comdat
.Lfunc_end70:
	.size	_ZN2at6native6mbtopk23computeBlockDigitCountsIdjmLi2EEEvNS_4cuda6detail10TensorInfoIKT_T0_EEjPjjS8_iijT1_PSB_Ps, .Lfunc_end70-_ZN2at6native6mbtopk23computeBlockDigitCountsIdjmLi2EEEvNS_4cuda6detail10TensorInfoIKT_T0_EEjPjjS8_iijT1_PSB_Ps
                                        ; -- End function
	.set _ZN2at6native6mbtopk23computeBlockDigitCountsIdjmLi2EEEvNS_4cuda6detail10TensorInfoIKT_T0_EEjPjjS8_iijT1_PSB_Ps.num_vgpr, 12
	.set _ZN2at6native6mbtopk23computeBlockDigitCountsIdjmLi2EEEvNS_4cuda6detail10TensorInfoIKT_T0_EEjPjjS8_iijT1_PSB_Ps.num_agpr, 0
	.set _ZN2at6native6mbtopk23computeBlockDigitCountsIdjmLi2EEEvNS_4cuda6detail10TensorInfoIKT_T0_EEjPjjS8_iijT1_PSB_Ps.numbered_sgpr, 26
	.set _ZN2at6native6mbtopk23computeBlockDigitCountsIdjmLi2EEEvNS_4cuda6detail10TensorInfoIKT_T0_EEjPjjS8_iijT1_PSB_Ps.num_named_barrier, 0
	.set _ZN2at6native6mbtopk23computeBlockDigitCountsIdjmLi2EEEvNS_4cuda6detail10TensorInfoIKT_T0_EEjPjjS8_iijT1_PSB_Ps.private_seg_size, 0
	.set _ZN2at6native6mbtopk23computeBlockDigitCountsIdjmLi2EEEvNS_4cuda6detail10TensorInfoIKT_T0_EEjPjjS8_iijT1_PSB_Ps.uses_vcc, 1
	.set _ZN2at6native6mbtopk23computeBlockDigitCountsIdjmLi2EEEvNS_4cuda6detail10TensorInfoIKT_T0_EEjPjjS8_iijT1_PSB_Ps.uses_flat_scratch, 0
	.set _ZN2at6native6mbtopk23computeBlockDigitCountsIdjmLi2EEEvNS_4cuda6detail10TensorInfoIKT_T0_EEjPjjS8_iijT1_PSB_Ps.has_dyn_sized_stack, 0
	.set _ZN2at6native6mbtopk23computeBlockDigitCountsIdjmLi2EEEvNS_4cuda6detail10TensorInfoIKT_T0_EEjPjjS8_iijT1_PSB_Ps.has_recursion, 0
	.set _ZN2at6native6mbtopk23computeBlockDigitCountsIdjmLi2EEEvNS_4cuda6detail10TensorInfoIKT_T0_EEjPjjS8_iijT1_PSB_Ps.has_indirect_call, 0
	.section	.AMDGPU.csdata,"",@progbits
; Kernel info:
; codeLenInByte = 1312
; TotalNumSgprs: 28
; NumVgprs: 12
; ScratchSize: 0
; MemoryBound: 0
; FloatMode: 240
; IeeeMode: 1
; LDSByteSize: 1024 bytes/workgroup (compile time only)
; SGPRBlocks: 0
; VGPRBlocks: 0
; NumSGPRsForWavesPerEU: 28
; NumVGPRsForWavesPerEU: 12
; NamedBarCnt: 0
; Occupancy: 16
; WaveLimiterHint : 1
; COMPUTE_PGM_RSRC2:SCRATCH_EN: 0
; COMPUTE_PGM_RSRC2:USER_SGPR: 2
; COMPUTE_PGM_RSRC2:TRAP_HANDLER: 0
; COMPUTE_PGM_RSRC2:TGID_X_EN: 1
; COMPUTE_PGM_RSRC2:TGID_Y_EN: 1
; COMPUTE_PGM_RSRC2:TGID_Z_EN: 1
; COMPUTE_PGM_RSRC2:TIDIG_COMP_CNT: 0
	.section	.text._ZN2at6native6mbtopk10gatherTopKIdjLi2EEEvNS_4cuda6detail10TensorInfoIKT_T0_EES8_S8_bjS8_NS5_IS6_S8_EES8_NS5_IlS8_EES8_jjPS6_PjSD_j,"axG",@progbits,_ZN2at6native6mbtopk10gatherTopKIdjLi2EEEvNS_4cuda6detail10TensorInfoIKT_T0_EES8_S8_bjS8_NS5_IS6_S8_EES8_NS5_IlS8_EES8_jjPS6_PjSD_j,comdat
	.protected	_ZN2at6native6mbtopk10gatherTopKIdjLi2EEEvNS_4cuda6detail10TensorInfoIKT_T0_EES8_S8_bjS8_NS5_IS6_S8_EES8_NS5_IlS8_EES8_jjPS6_PjSD_j ; -- Begin function _ZN2at6native6mbtopk10gatherTopKIdjLi2EEEvNS_4cuda6detail10TensorInfoIKT_T0_EES8_S8_bjS8_NS5_IS6_S8_EES8_NS5_IlS8_EES8_jjPS6_PjSD_j
	.globl	_ZN2at6native6mbtopk10gatherTopKIdjLi2EEEvNS_4cuda6detail10TensorInfoIKT_T0_EES8_S8_bjS8_NS5_IS6_S8_EES8_NS5_IlS8_EES8_jjPS6_PjSD_j
	.p2align	8
	.type	_ZN2at6native6mbtopk10gatherTopKIdjLi2EEEvNS_4cuda6detail10TensorInfoIKT_T0_EES8_S8_bjS8_NS5_IS6_S8_EES8_NS5_IlS8_EES8_jjPS6_PjSD_j,@function
_ZN2at6native6mbtopk10gatherTopKIdjLi2EEEvNS_4cuda6detail10TensorInfoIKT_T0_EES8_S8_bjS8_NS5_IS6_S8_EES8_NS5_IlS8_EES8_jjPS6_PjSD_j: ; @_ZN2at6native6mbtopk10gatherTopKIdjLi2EEEvNS_4cuda6detail10TensorInfoIKT_T0_EES8_S8_bjS8_NS5_IS6_S8_EES8_NS5_IlS8_EES8_jjPS6_PjSD_j
; %bb.0:
	s_bfe_u32 s2, ttmp6, 0x40010
	s_and_b32 s4, ttmp7, 0xffff
	s_add_co_i32 s5, s2, 1
	s_clause 0x1
	s_load_b32 s6, s[0:1], 0x2d0
	s_load_b64 s[2:3], s[0:1], 0x2d8
	s_bfe_u32 s8, ttmp6, 0x4000c
	s_mul_i32 s5, s4, s5
	s_bfe_u32 s7, ttmp6, 0x40004
	s_add_co_i32 s8, s8, 1
	s_bfe_u32 s9, ttmp6, 0x40014
	s_add_co_i32 s7, s7, s5
	s_and_b32 s5, ttmp6, 15
	s_mul_i32 s8, ttmp9, s8
	s_lshr_b32 s10, ttmp7, 16
	s_add_co_i32 s9, s9, 1
	s_add_co_i32 s5, s5, s8
	s_mul_i32 s8, s10, s9
	s_bfe_u32 s9, ttmp6, 0x40008
	s_getreg_b32 s11, hwreg(HW_REG_IB_STS2, 6, 4)
	s_add_co_i32 s9, s9, s8
	s_cmp_eq_u32 s11, 0
	s_mov_b32 s17, 0
	s_cselect_b32 s8, s10, s9
	s_cselect_b32 s4, s4, s7
	s_wait_kmcnt 0x0
	s_mul_i32 s3, s3, s8
	s_cselect_b32 s5, ttmp9, s5
	s_add_co_i32 s3, s3, s4
	s_delay_alu instid0(SALU_CYCLE_1) | instskip(NEXT) | instid1(SALU_CYCLE_1)
	s_mul_i32 s2, s3, s2
	s_add_co_i32 s2, s2, s5
	s_delay_alu instid0(SALU_CYCLE_1)
	s_cmp_ge_u32 s2, s6
	s_cbranch_scc1 .LBB71_40
; %bb.1:
	s_clause 0x6
	s_load_b96 s[12:14], s[0:1], 0x2a8
	s_load_b32 s42, s[0:1], 0xc
	s_load_b32 s33, s[0:1], 0xfc
	;; [unrolled: 1-line block ×3, first 2 shown]
	s_load_b64 s[18:19], s[0:1], 0x23c
	s_load_b64 s[20:21], s[0:1], 0x15c
	s_load_b64 s[22:23], s[0:1], 0x6c
	s_mov_b32 s27, s17
	s_mov_b32 s29, s17
	s_wait_kmcnt 0x0
	s_cvt_f32_u32 s3, s14
	s_cvt_f32_u32 s4, s42
	;; [unrolled: 1-line block ×4, first 2 shown]
	v_rcp_iflag_f32_e32 v1, s3
	s_sub_co_i32 s8, 0, s14
	v_rcp_iflag_f32_e32 v2, s5
	v_rcp_iflag_f32_e32 v3, s6
	s_delay_alu instid0(TRANS32_DEP_3) | instskip(SKIP_2) | instid1(TRANS32_DEP_3)
	v_readfirstlane_b32 s3, v1
	v_rcp_iflag_f32_e32 v1, s4
	s_load_b128 s[4:7], s[0:1], 0x2b8
	v_readfirstlane_b32 s10, v2
	s_mul_f32 s3, s3, 0x4f7ffffe
	s_delay_alu instid0(TRANS32_DEP_1) | instskip(NEXT) | instid1(SALU_CYCLE_2)
	v_readfirstlane_b32 s9, v1
	s_cvt_u32_f32 s3, s3
	s_mul_f32 s10, s10, 0x4f7ffffe
	s_mul_f32 s9, s9, 0x4f7ffffe
	s_delay_alu instid0(SALU_CYCLE_1) | instskip(NEXT) | instid1(SALU_CYCLE_1)
	s_mul_i32 s8, s8, s3
	s_mul_hi_u32 s8, s3, s8
	s_delay_alu instid0(SALU_CYCLE_1) | instskip(SKIP_3) | instid1(SALU_CYCLE_1)
	s_cvt_u32_f32 s9, s9
	s_add_co_i32 s3, s3, s8
	v_readfirstlane_b32 s8, v3
	s_mul_hi_u32 s3, s2, s3
	s_mul_i32 s11, s3, s14
	s_add_co_i32 s16, s3, 1
	s_sub_co_i32 s11, s2, s11
	s_mul_f32 s8, s8, 0x4f7ffffe
	s_sub_co_i32 s24, s11, s14
	s_cmp_ge_u32 s11, s14
	s_cselect_b32 s3, s16, s3
	s_cselect_b32 s11, s24, s11
	s_add_co_i32 s16, s3, 1
	s_cmp_ge_u32 s11, s14
	s_cvt_u32_f32 s8, s8
	s_cselect_b32 s16, s16, s3
	s_sub_co_i32 s3, 0, s42
	s_wait_kmcnt 0x0
	s_load_b64 s[24:25], s[4:5], s16 offset:0x0 scale_offset
	s_mul_i32 s30, s16, s14
	s_mul_i32 s3, s3, s9
	s_sub_co_i32 s43, s2, s30
	s_mul_hi_u32 s3, s9, s3
	s_cvt_u32_f32 s2, s10
	s_wait_xcnt 0x0
	s_add_co_i32 s4, s9, s3
	s_sub_co_i32 s3, 0, s33
	s_sub_co_i32 s9, 0, s15
	s_mul_i32 s3, s3, s2
	s_mul_i32 s9, s9, s8
	s_mul_hi_u32 s3, s2, s3
	s_mul_hi_u32 s9, s8, s9
	s_add_co_i32 s26, s2, s3
	v_cmp_ne_u32_e64 s2, 0, v0
	v_cmp_eq_u32_e64 s3, 0, v0
	s_mov_b32 s5, s17
	s_add_co_i32 s28, s8, s9
	s_and_saveexec_b32 s44, s3
	s_cbranch_execz .LBB71_17
; %bb.2:
	s_load_b64 s[36:37], s[0:1], 0x2c8
	s_mov_b32 s31, 0
	s_delay_alu instid0(SALU_CYCLE_1)
	s_lshl_b64 s[38:39], s[30:31], 2
	s_cmp_lt_u32 s14, 4
	s_cbranch_scc1 .LBB71_14
; %bb.3:
	s_mov_b64 s[34:35], 0
	s_mov_b32 s30, 0
.LBB71_4:                               ; =>This Inner Loop Header: Depth=1
	s_add_nc_u64 s[40:41], s[6:7], s[38:39]
	s_cmp_ge_u32 s30, s43
	s_load_b128 s[8:11], s[40:41], 0x0
	s_wait_kmcnt 0x0
	s_add_nc_u64 s[40:41], s[36:37], s[38:39]
	s_cbranch_scc0 .LBB71_11
; %bb.5:                                ;   in Loop: Header=BB71_4 Depth=1
	s_add_co_i32 s45, s30, 1
	s_delay_alu instid0(SALU_CYCLE_1)
	s_cmp_ge_u32 s45, s43
	s_cbranch_scc0 .LBB71_12
.LBB71_6:                               ;   in Loop: Header=BB71_4 Depth=1
	s_add_co_i32 s45, s45, 1
	s_delay_alu instid0(SALU_CYCLE_1)
	s_cmp_ge_u32 s45, s43
	s_cbranch_scc0 .LBB71_13
.LBB71_7:                               ;   in Loop: Header=BB71_4 Depth=1
	s_add_co_i32 s45, s45, 1
	s_delay_alu instid0(SALU_CYCLE_1)
	s_cmp_ge_u32 s45, s43
	s_cbranch_scc1 .LBB71_9
.LBB71_8:                               ;   in Loop: Header=BB71_4 Depth=1
	s_load_b32 s40, s[40:41], 0xc
	s_add_co_i32 s35, s11, s35
	s_wait_kmcnt 0x0
	s_add_co_i32 s34, s40, s34
.LBB71_9:                               ;   in Loop: Header=BB71_4 Depth=1
	s_add_co_i32 s8, s8, s31
	s_add_nc_u64 s[6:7], s[6:7], 16
	s_add_co_i32 s8, s8, s9
	s_add_co_i32 s9, s45, 4
	;; [unrolled: 1-line block ×3, first 2 shown]
	s_add_nc_u64 s[36:37], s[36:37], 16
	s_add_co_i32 s31, s8, s11
	s_add_co_i32 s8, s45, 1
	s_cmp_ge_u32 s9, s14
	s_cbranch_scc1 .LBB71_15
; %bb.10:                               ;   in Loop: Header=BB71_4 Depth=1
	s_mov_b32 s30, s8
	s_branch .LBB71_4
.LBB71_11:                              ;   in Loop: Header=BB71_4 Depth=1
	s_load_b32 s45, s[40:41], 0x0
	s_add_co_i32 s35, s8, s35
	s_wait_kmcnt 0x0
	s_add_co_i32 s34, s45, s34
	s_add_co_i32 s45, s30, 1
	s_delay_alu instid0(SALU_CYCLE_1)
	s_cmp_ge_u32 s45, s43
	s_cbranch_scc1 .LBB71_6
.LBB71_12:                              ;   in Loop: Header=BB71_4 Depth=1
	s_load_b32 s46, s[40:41], 0x4
	s_add_co_i32 s35, s9, s35
	s_wait_kmcnt 0x0
	s_add_co_i32 s34, s46, s34
	s_add_co_i32 s45, s45, 1
	s_delay_alu instid0(SALU_CYCLE_1)
	s_cmp_ge_u32 s45, s43
	s_cbranch_scc1 .LBB71_7
.LBB71_13:                              ;   in Loop: Header=BB71_4 Depth=1
	s_load_b32 s46, s[40:41], 0x8
	s_add_co_i32 s35, s10, s35
	s_wait_kmcnt 0x0
	s_add_co_i32 s34, s46, s34
	s_add_co_i32 s45, s45, 1
	s_delay_alu instid0(SALU_CYCLE_1)
	s_cmp_ge_u32 s45, s43
	s_cbranch_scc0 .LBB71_8
	s_branch .LBB71_9
.LBB71_14:
	s_mov_b64 s[34:35], 0
	s_add_nc_u64 s[6:7], s[6:7], s[38:39]
	s_wait_kmcnt 0x0
	s_add_nc_u64 s[8:9], s[36:37], s[38:39]
	s_mov_b32 s10, 0
	s_delay_alu instid0(SALU_CYCLE_1)
	s_cmp_ge_u32 s10, s14
	s_cbranch_scc0 .LBB71_38
	s_branch .LBB71_16
.LBB71_15:
	s_add_co_i32 s10, s30, 4
	s_add_nc_u64 s[8:9], s[36:37], s[38:39]
	s_add_nc_u64 s[6:7], s[6:7], s[38:39]
	s_cmp_ge_u32 s10, s14
	s_cbranch_scc0 .LBB71_38
.LBB71_16:
	v_dual_mov_b32 v2, s34 :: v_dual_mov_b32 v3, s31
	v_dual_mov_b32 v4, s35 :: v_dual_mov_b32 v1, 0
	ds_store_b96 v1, v[2:4] offset:1056
.LBB71_17:
	s_or_b32 exec_lo, exec_lo, s44
	s_mul_u64 s[6:7], s[16:17], s[28:29]
	s_mul_u64 s[36:37], s[16:17], s[4:5]
	s_clause 0x3
	s_load_b96 s[4:6], s[0:1], 0xd8
	s_load_b64 s[30:31], s[0:1], 0x1d0
	s_load_b64 s[10:11], s[0:1], 0xf0
	;; [unrolled: 1-line block ×3, first 2 shown]
	s_mul_u64 s[34:35], s[16:17], s[26:27]
	s_mul_i32 s17, s13, s43
	s_mov_b32 s27, 0
	s_lshl_b32 s17, s17, 8
	s_add_co_i32 s43, s43, 1
	s_wait_dscnt 0x0
	s_barrier_signal -1
	s_barrier_wait -1
	s_wait_kmcnt 0x0
	s_sub_co_i32 s26, s4, s17
	s_delay_alu instid0(SALU_CYCLE_1) | instskip(NEXT) | instid1(SALU_CYCLE_1)
	s_add_nc_u64 s[28:29], s[26:27], 0xff
	s_lshr_b64 s[28:29], s[28:29], 8
	s_cmp_lt_u32 s43, s14
	s_cselect_b32 s13, s13, s28
	s_delay_alu instid0(SALU_CYCLE_1)
	s_cmp_eq_u32 s13, 0
	s_cbranch_scc1 .LBB71_40
; %bb.18:
	s_mul_i32 s14, s37, s42
	s_add_co_i32 s26, s37, 1
	s_sub_co_i32 s14, s16, s14
	s_mul_i32 s29, s35, s33
	s_sub_co_i32 s28, s14, s42
	s_cmp_ge_u32 s14, s42
	v_dual_mov_b32 v7, 0 :: v_dual_lshrrev_b32 v1, 3, v0
	s_cselect_b32 s26, s26, s37
	s_cselect_b32 s14, s28, s14
	s_add_co_i32 s28, s26, 1
	s_cmp_ge_u32 s14, s42
	s_mul_i32 s14, s7, s15
	s_cselect_b32 s26, s28, s26
	s_sub_co_i32 s28, s16, s29
	s_mul_i32 s29, s26, s42
	s_mul_i32 s22, s26, s22
	s_sub_co_i32 s29, s16, s29
	s_add_co_i32 s34, s35, 1
	s_mul_i32 s29, s29, s23
	s_sub_co_i32 s36, s28, s33
	s_add_co_i32 s26, s22, s29
	s_cmp_ge_u32 s28, s33
	ds_load_b96 v[2:4], v7 offset:1056
	s_cselect_b32 s22, s34, s35
	s_cselect_b32 s28, s36, s28
	s_add_co_i32 s29, s22, 1
	s_cmp_ge_u32 s28, s33
	v_cmp_o_f64_e64 s28, s[24:25], s[24:25]
	s_cselect_b32 s22, s29, s22
	s_sub_co_i32 s14, s16, s14
	s_mul_i32 s29, s22, s33
	s_mul_i32 s20, s22, s20
	s_sub_co_i32 s29, s16, s29
	s_add_co_i32 s33, s7, 1
	s_mul_i32 s29, s29, s21
	s_sub_co_i32 s21, s14, s15
	s_add_co_i32 s22, s20, s29
	s_cmp_ge_u32 s14, s15
	v_dual_add_nc_u32 v9, -1, v0 :: v_dual_bitop2_b32 v1, 28, v1 bitop3:0x40
	s_cselect_b32 s7, s33, s7
	s_cselect_b32 s14, s21, s14
	s_add_co_i32 s20, s7, 1
	s_cmp_ge_u32 s14, s15
	v_dual_add_nc_u32 v6, s17, v0 :: v_dual_lshlrev_b32 v11, 5, v0
	s_cselect_b32 s7, s20, s7
	s_lshl_b64 s[20:21], s[26:27], 3
	s_mul_i32 s14, s7, s15
	s_add_nc_u64 s[8:9], s[8:9], s[20:21]
	s_load_b32 s20, s[0:1], 0xe8
	s_sub_co_i32 s14, s16, s14
	s_load_b32 s16, s[0:1], 0x1c8
	s_wait_dscnt 0x0
	v_dual_lshrrev_b32 v5, 3, v9 :: v_dual_add_nc_u32 v2, v2, v3
	s_mul_i32 s7, s7, s18
	s_mul_i32 s14, s14, s19
	v_lshl_add_u32 v3, v0, 2, v1
	s_add_co_i32 s26, s7, s14
	s_ashr_i32 s14, s25, 31
	v_and_b32_e32 v1, 0xfc, v0
	s_mov_b32 s15, s14
	v_and_b32_e32 v10, 0x1ffffffc, v5
	v_mbcnt_lo_u32_b32 v5, -1, 0
	s_mov_b32 s23, s27
	s_or_b64 s[14:15], s[14:15], 0x8000000000000000
	s_lshl_b64 s[22:23], s[22:23], 3
	s_lshl_b64 s[18:19], s[26:27], 3
	s_xor_b64 s[14:15], s[14:15], s[24:25]
	s_and_b32 s7, s28, exec_lo
	s_wait_kmcnt 0x0
	v_mul_lo_u32 v8, s20, v6
	v_cmp_gt_u32_e64 s0, 32, v0
	v_lshl_add_u32 v9, v9, 2, v10
	v_dual_add_nc_u32 v10, v1, v11 :: v_dual_bitop2_b32 v11, 15, v5 bitop3:0x40
	v_bfe_i32 v12, v5, 4, 1
	v_add_nc_u32_e32 v13, -1, v5
	s_cselect_b32 s15, s15, -1
	s_cselect_b32 s14, s14, -1
	s_bitcmp1_b32 s6, 0
	s_add_nc_u64 s[10:11], s[10:11], s[22:23]
	s_add_nc_u64 s[6:7], s[30:31], s[18:19]
	s_cselect_b32 s1, -1, 0
	s_lshl_b32 s17, s20, 8
                                        ; implicit-def: $vgpr0_vgpr1
	s_branch .LBB71_21
.LBB71_19:                              ;   in Loop: Header=BB71_21 Depth=1
	s_wait_xcnt 0x0
	s_or_b32 exec_lo, exec_lo, s18
	v_add_nc_u32_e32 v2, v16, v2
.LBB71_20:                              ;   in Loop: Header=BB71_21 Depth=1
	v_add_nc_u32_e32 v4, v15, v4
	v_add_nc_u32_e32 v8, s17, v8
	;; [unrolled: 1-line block ×3, first 2 shown]
	s_add_co_i32 s13, s13, -1
	s_delay_alu instid0(SALU_CYCLE_1)
	s_cmp_lg_u32 s13, 0
	s_cbranch_scc0 .LBB71_40
.LBB71_21:                              ; =>This Inner Loop Header: Depth=1
	v_dual_mov_b32 v16, 0 :: v_dual_mov_b32 v14, 0
	s_mov_b32 s18, exec_lo
	v_cmpx_gt_u32_e64 s4, v6
	s_cbranch_execz .LBB71_23
; %bb.22:                               ;   in Loop: Header=BB71_21 Depth=1
	global_load_b64 v[0:1], v8, s[8:9] scale_offset
	s_wait_loadcnt 0x0
	v_cmp_o_f64_e32 vcc_lo, v[0:1], v[0:1]
	v_ashrrev_i32_e32 v14, 31, v1
	s_delay_alu instid0(VALU_DEP_1) | instskip(NEXT) | instid1(VALU_DEP_1)
	v_or_b32_e32 v15, 0x80000000, v14
	v_xor_b32_e32 v15, v15, v1
	s_delay_alu instid0(VALU_DEP_1) | instskip(NEXT) | instid1(VALU_DEP_1)
	v_dual_cndmask_b32 v15, -1, v15, vcc_lo :: v_dual_bitop2_b32 v14, v14, v0 bitop3:0x14
	v_cndmask_b32_e32 v14, -1, v14, vcc_lo
	s_delay_alu instid0(VALU_DEP_1) | instskip(SKIP_3) | instid1(VALU_DEP_1)
	v_cmp_lt_u64_e32 vcc_lo, s[14:15], v[14:15]
	v_cndmask_b32_e64 v16, 0, 1, vcc_lo
	v_cmp_gt_u64_e32 vcc_lo, s[14:15], v[14:15]
	v_cndmask_b32_e64 v17, 0, 1, vcc_lo
	v_cndmask_b32_e64 v16, v17, v16, s1
	v_cmp_eq_u64_e32 vcc_lo, s[14:15], v[14:15]
	s_delay_alu instid0(VALU_DEP_2)
	v_and_b32_e32 v16, 1, v16
	v_cndmask_b32_e64 v14, 0, 1, vcc_lo
.LBB71_23:                              ;   in Loop: Header=BB71_21 Depth=1
	s_wait_xcnt 0x0
	s_or_b32 exec_lo, exec_lo, s18
	ds_store_b32 v3, v16
	s_wait_dscnt 0x0
	s_barrier_signal -1
	s_barrier_wait -1
	s_and_saveexec_b32 s18, s0
	s_cbranch_execz .LBB71_25
; %bb.24:                               ;   in Loop: Header=BB71_21 Depth=1
	ds_load_2addr_b32 v[18:19], v10 offset1:1
	ds_load_2addr_b32 v[20:21], v10 offset0:2 offset1:3
	ds_load_2addr_b32 v[22:23], v10 offset0:4 offset1:5
	;; [unrolled: 1-line block ×3, first 2 shown]
	v_cmp_ne_u32_e32 vcc_lo, 0, v11
	; wave barrier
	s_wait_dscnt 0x3
	v_add_nc_u32_e32 v15, v19, v18
	s_wait_dscnt 0x2
	s_delay_alu instid0(VALU_DEP_1) | instskip(SKIP_1) | instid1(VALU_DEP_1)
	v_add3_u32 v15, v15, v20, v21
	s_wait_dscnt 0x1
	v_add3_u32 v15, v15, v22, v23
	s_wait_dscnt 0x0
	s_delay_alu instid0(VALU_DEP_1) | instskip(NEXT) | instid1(VALU_DEP_1)
	v_add3_u32 v15, v15, v24, v25
	v_mov_b32_dpp v17, v15 row_shr:1 row_mask:0xf bank_mask:0xf
	s_delay_alu instid0(VALU_DEP_1) | instskip(SKIP_1) | instid1(VALU_DEP_2)
	v_cndmask_b32_e32 v17, 0, v17, vcc_lo
	v_cmp_lt_u32_e32 vcc_lo, 1, v11
	v_add_nc_u32_e32 v15, v17, v15
	s_delay_alu instid0(VALU_DEP_1) | instskip(NEXT) | instid1(VALU_DEP_1)
	v_mov_b32_dpp v17, v15 row_shr:2 row_mask:0xf bank_mask:0xf
	v_cndmask_b32_e32 v17, 0, v17, vcc_lo
	v_cmp_lt_u32_e32 vcc_lo, 3, v11
	s_delay_alu instid0(VALU_DEP_2) | instskip(NEXT) | instid1(VALU_DEP_1)
	v_add_nc_u32_e32 v15, v15, v17
	v_mov_b32_dpp v17, v15 row_shr:4 row_mask:0xf bank_mask:0xf
	s_delay_alu instid0(VALU_DEP_1) | instskip(SKIP_1) | instid1(VALU_DEP_2)
	v_cndmask_b32_e32 v17, 0, v17, vcc_lo
	v_cmp_lt_u32_e32 vcc_lo, 7, v11
	v_add_nc_u32_e32 v15, v15, v17
	s_delay_alu instid0(VALU_DEP_1) | instskip(NEXT) | instid1(VALU_DEP_1)
	v_mov_b32_dpp v17, v15 row_shr:8 row_mask:0xf bank_mask:0xf
	v_cndmask_b32_e32 v17, 0, v17, vcc_lo
	v_cmp_gt_i32_e32 vcc_lo, 0, v13
	s_delay_alu instid0(VALU_DEP_2) | instskip(SKIP_4) | instid1(VALU_DEP_1)
	v_add_nc_u32_e32 v15, v15, v17
	v_cndmask_b32_e32 v19, v13, v5, vcc_lo
	ds_swizzle_b32 v17, v15 offset:swizzle(BROADCAST,32,15)
	s_wait_dscnt 0x0
	v_dual_lshlrev_b32 v19, 2, v19 :: v_dual_bitop2_b32 v17, v12, v17 bitop3:0x40
	v_add_nc_u32_e32 v15, v15, v17
	ds_bpermute_b32 v15, v19, v15
	s_wait_dscnt 0x0
	v_add_nc_u32_e32 v15, v15, v18
	s_delay_alu instid0(VALU_DEP_1)
	v_cndmask_b32_e64 v15, v15, v16, s3
	ds_store_b32 v10, v15
	; wave barrier
	ds_load_2addr_b32 v[18:19], v10 offset0:1 offset1:2
	ds_load_2addr_b32 v[20:21], v10 offset0:3 offset1:4
	;; [unrolled: 1-line block ×3, first 2 shown]
	ds_load_b32 v17, v10 offset:28
	s_wait_dscnt 0x3
	v_add_nc_u32_e32 v15, v18, v15
	s_delay_alu instid0(VALU_DEP_1) | instskip(SKIP_1) | instid1(VALU_DEP_1)
	v_add_nc_u32_e32 v18, v19, v15
	s_wait_dscnt 0x2
	v_add_nc_u32_e32 v19, v20, v18
	s_delay_alu instid0(VALU_DEP_1) | instskip(SKIP_1) | instid1(VALU_DEP_1)
	v_add_nc_u32_e32 v20, v21, v19
	;; [unrolled: 4-line block ×3, first 2 shown]
	s_wait_dscnt 0x0
	v_add_nc_u32_e32 v17, v17, v22
	ds_store_2addr_b32 v10, v15, v18 offset0:1 offset1:2
	ds_store_2addr_b32 v10, v19, v20 offset0:3 offset1:4
	;; [unrolled: 1-line block ×3, first 2 shown]
	ds_store_b32 v10, v17 offset:28
.LBB71_25:                              ;   in Loop: Header=BB71_21 Depth=1
	s_or_b32 exec_lo, exec_lo, s18
	v_mov_b32_e32 v17, 0
	s_wait_dscnt 0x0
	s_barrier_signal -1
	s_barrier_wait -1
	s_and_saveexec_b32 s18, s2
; %bb.26:                               ;   in Loop: Header=BB71_21 Depth=1
	ds_load_b32 v17, v9
; %bb.27:                               ;   in Loop: Header=BB71_21 Depth=1
	s_or_b32 exec_lo, exec_lo, s18
	ds_load_b32 v15, v7 offset:1048
	s_mov_b32 s18, exec_lo
	s_wait_dscnt 0x0
	s_barrier_signal -1
	s_barrier_wait -1
	v_cmpx_ne_u32_e32 0, v16
	s_cbranch_execz .LBB71_29
; %bb.28:                               ;   in Loop: Header=BB71_21 Depth=1
	v_add_nc_u32_e32 v16, v17, v4
	s_delay_alu instid0(VALU_DEP_1)
	v_mul_lo_u32 v17, v16, s16
	v_mul_lo_u32 v16, v16, s12
	global_store_b64 v17, v[0:1], s[10:11] scale_offset
	global_store_b64 v16, v[6:7], s[6:7] scale_offset
.LBB71_29:                              ;   in Loop: Header=BB71_21 Depth=1
	s_wait_xcnt 0x0
	s_or_b32 exec_lo, exec_lo, s18
	v_cmp_le_u32_e32 vcc_lo, s5, v2
	s_cbranch_vccnz .LBB71_20
; %bb.30:                               ;   in Loop: Header=BB71_21 Depth=1
	ds_store_b32 v3, v14
	s_wait_storecnt_dscnt 0x0
	s_barrier_signal -1
	s_barrier_wait -1
	s_and_saveexec_b32 s18, s0
	s_cbranch_execz .LBB71_32
; %bb.31:                               ;   in Loop: Header=BB71_21 Depth=1
	ds_load_2addr_b32 v[16:17], v10 offset1:1
	ds_load_2addr_b32 v[18:19], v10 offset0:2 offset1:3
	ds_load_2addr_b32 v[20:21], v10 offset0:4 offset1:5
	;; [unrolled: 1-line block ×3, first 2 shown]
	v_cmp_ne_u32_e32 vcc_lo, 0, v11
	; wave barrier
	s_wait_dscnt 0x3
	v_add_nc_u32_e32 v17, v17, v16
	s_wait_dscnt 0x2
	s_delay_alu instid0(VALU_DEP_1) | instskip(SKIP_1) | instid1(VALU_DEP_1)
	v_add3_u32 v17, v17, v18, v19
	s_wait_dscnt 0x1
	v_add3_u32 v17, v17, v20, v21
	s_wait_dscnt 0x0
	s_delay_alu instid0(VALU_DEP_1) | instskip(NEXT) | instid1(VALU_DEP_1)
	v_add3_u32 v17, v17, v22, v23
	v_mov_b32_dpp v18, v17 row_shr:1 row_mask:0xf bank_mask:0xf
	s_delay_alu instid0(VALU_DEP_1) | instskip(SKIP_1) | instid1(VALU_DEP_2)
	v_cndmask_b32_e32 v18, 0, v18, vcc_lo
	v_cmp_lt_u32_e32 vcc_lo, 1, v11
	v_add_nc_u32_e32 v17, v18, v17
	s_delay_alu instid0(VALU_DEP_1) | instskip(NEXT) | instid1(VALU_DEP_1)
	v_mov_b32_dpp v18, v17 row_shr:2 row_mask:0xf bank_mask:0xf
	v_cndmask_b32_e32 v18, 0, v18, vcc_lo
	v_cmp_lt_u32_e32 vcc_lo, 3, v11
	s_delay_alu instid0(VALU_DEP_2) | instskip(NEXT) | instid1(VALU_DEP_1)
	v_add_nc_u32_e32 v17, v17, v18
	v_mov_b32_dpp v18, v17 row_shr:4 row_mask:0xf bank_mask:0xf
	s_delay_alu instid0(VALU_DEP_1) | instskip(SKIP_1) | instid1(VALU_DEP_2)
	v_cndmask_b32_e32 v18, 0, v18, vcc_lo
	v_cmp_lt_u32_e32 vcc_lo, 7, v11
	v_add_nc_u32_e32 v17, v17, v18
	s_delay_alu instid0(VALU_DEP_1) | instskip(NEXT) | instid1(VALU_DEP_1)
	v_mov_b32_dpp v18, v17 row_shr:8 row_mask:0xf bank_mask:0xf
	v_cndmask_b32_e32 v18, 0, v18, vcc_lo
	v_cmp_gt_i32_e32 vcc_lo, 0, v13
	s_delay_alu instid0(VALU_DEP_2) | instskip(SKIP_4) | instid1(VALU_DEP_1)
	v_add_nc_u32_e32 v17, v17, v18
	v_cndmask_b32_e32 v19, v13, v5, vcc_lo
	ds_swizzle_b32 v18, v17 offset:swizzle(BROADCAST,32,15)
	s_wait_dscnt 0x0
	v_dual_lshlrev_b32 v19, 2, v19 :: v_dual_bitop2_b32 v18, v12, v18 bitop3:0x40
	v_add_nc_u32_e32 v17, v17, v18
	ds_bpermute_b32 v17, v19, v17
	s_wait_dscnt 0x0
	v_add_nc_u32_e32 v16, v17, v16
	s_delay_alu instid0(VALU_DEP_1)
	v_cndmask_b32_e64 v22, v16, v14, s3
	ds_store_b32 v10, v22
	; wave barrier
	ds_load_2addr_b32 v[16:17], v10 offset0:1 offset1:2
	ds_load_2addr_b32 v[18:19], v10 offset0:3 offset1:4
	;; [unrolled: 1-line block ×3, first 2 shown]
	ds_load_b32 v23, v10 offset:28
	s_wait_dscnt 0x3
	v_add_nc_u32_e32 v16, v16, v22
	s_delay_alu instid0(VALU_DEP_1) | instskip(SKIP_1) | instid1(VALU_DEP_1)
	v_add_nc_u32_e32 v17, v17, v16
	s_wait_dscnt 0x2
	v_add_nc_u32_e32 v18, v18, v17
	s_delay_alu instid0(VALU_DEP_1) | instskip(SKIP_1) | instid1(VALU_DEP_1)
	v_add_nc_u32_e32 v19, v19, v18
	;; [unrolled: 4-line block ×3, first 2 shown]
	s_wait_dscnt 0x0
	v_add_nc_u32_e32 v22, v23, v21
	ds_store_2addr_b32 v10, v16, v17 offset0:1 offset1:2
	ds_store_2addr_b32 v10, v18, v19 offset0:3 offset1:4
	;; [unrolled: 1-line block ×3, first 2 shown]
	ds_store_b32 v10, v22 offset:28
.LBB71_32:                              ;   in Loop: Header=BB71_21 Depth=1
	s_or_b32 exec_lo, exec_lo, s18
	v_mov_b32_e32 v17, 0
	s_wait_dscnt 0x0
	s_barrier_signal -1
	s_barrier_wait -1
	s_and_saveexec_b32 s18, s2
; %bb.33:                               ;   in Loop: Header=BB71_21 Depth=1
	ds_load_b32 v17, v9
; %bb.34:                               ;   in Loop: Header=BB71_21 Depth=1
	s_or_b32 exec_lo, exec_lo, s18
	ds_load_b32 v16, v7 offset:1048
	s_mov_b32 s18, exec_lo
	s_wait_dscnt 0x0
	s_barrier_signal -1
	s_barrier_wait -1
	v_cmpx_ne_u32_e32 0, v14
	s_cbranch_execz .LBB71_19
; %bb.35:                               ;   in Loop: Header=BB71_21 Depth=1
	v_add_nc_u32_e32 v14, v17, v2
	s_delay_alu instid0(VALU_DEP_1)
	v_cmp_gt_u32_e32 vcc_lo, s5, v14
	s_and_b32 exec_lo, exec_lo, vcc_lo
	s_cbranch_execz .LBB71_19
; %bb.36:                               ;   in Loop: Header=BB71_21 Depth=1
	v_mul_lo_u32 v17, v14, s16
	v_mul_lo_u32 v14, v14, s12
	global_store_b64 v17, v[0:1], s[10:11] scale_offset
	global_store_b64 v14, v[6:7], s[6:7] scale_offset
	s_branch .LBB71_19
.LBB71_37:                              ;   in Loop: Header=BB71_38 Depth=1
	s_add_co_i32 s10, s10, 1
	s_wait_kmcnt 0x0
	s_add_co_i32 s31, s11, s31
	s_add_nc_u64 s[6:7], s[6:7], 4
	s_cmp_lt_u32 s10, s14
	s_add_nc_u64 s[8:9], s[8:9], 4
	s_cbranch_scc0 .LBB71_16
.LBB71_38:                              ; =>This Inner Loop Header: Depth=1
	s_load_b32 s11, s[6:7], 0x0
	s_cmp_ge_u32 s10, s43
	s_cbranch_scc1 .LBB71_37
; %bb.39:                               ;   in Loop: Header=BB71_38 Depth=1
	s_load_b32 s30, s[8:9], 0x0
	s_wait_kmcnt 0x0
	s_add_co_i32 s35, s11, s35
	s_add_co_i32 s34, s30, s34
	s_branch .LBB71_37
.LBB71_40:
	s_endpgm
	.section	.rodata,"a",@progbits
	.p2align	6, 0x0
	.amdhsa_kernel _ZN2at6native6mbtopk10gatherTopKIdjLi2EEEvNS_4cuda6detail10TensorInfoIKT_T0_EES8_S8_bjS8_NS5_IS6_S8_EES8_NS5_IlS8_EES8_jjPS6_PjSD_j
		.amdhsa_group_segment_fixed_size 1068
		.amdhsa_private_segment_fixed_size 0
		.amdhsa_kernarg_size 984
		.amdhsa_user_sgpr_count 2
		.amdhsa_user_sgpr_dispatch_ptr 0
		.amdhsa_user_sgpr_queue_ptr 0
		.amdhsa_user_sgpr_kernarg_segment_ptr 1
		.amdhsa_user_sgpr_dispatch_id 0
		.amdhsa_user_sgpr_kernarg_preload_length 0
		.amdhsa_user_sgpr_kernarg_preload_offset 0
		.amdhsa_user_sgpr_private_segment_size 0
		.amdhsa_wavefront_size32 1
		.amdhsa_uses_dynamic_stack 0
		.amdhsa_enable_private_segment 0
		.amdhsa_system_sgpr_workgroup_id_x 1
		.amdhsa_system_sgpr_workgroup_id_y 1
		.amdhsa_system_sgpr_workgroup_id_z 1
		.amdhsa_system_sgpr_workgroup_info 0
		.amdhsa_system_vgpr_workitem_id 0
		.amdhsa_next_free_vgpr 26
		.amdhsa_next_free_sgpr 47
		.amdhsa_named_barrier_count 0
		.amdhsa_reserve_vcc 1
		.amdhsa_float_round_mode_32 0
		.amdhsa_float_round_mode_16_64 0
		.amdhsa_float_denorm_mode_32 3
		.amdhsa_float_denorm_mode_16_64 3
		.amdhsa_fp16_overflow 0
		.amdhsa_memory_ordered 1
		.amdhsa_forward_progress 1
		.amdhsa_inst_pref_size 22
		.amdhsa_round_robin_scheduling 0
		.amdhsa_exception_fp_ieee_invalid_op 0
		.amdhsa_exception_fp_denorm_src 0
		.amdhsa_exception_fp_ieee_div_zero 0
		.amdhsa_exception_fp_ieee_overflow 0
		.amdhsa_exception_fp_ieee_underflow 0
		.amdhsa_exception_fp_ieee_inexact 0
		.amdhsa_exception_int_div_zero 0
	.end_amdhsa_kernel
	.section	.text._ZN2at6native6mbtopk10gatherTopKIdjLi2EEEvNS_4cuda6detail10TensorInfoIKT_T0_EES8_S8_bjS8_NS5_IS6_S8_EES8_NS5_IlS8_EES8_jjPS6_PjSD_j,"axG",@progbits,_ZN2at6native6mbtopk10gatherTopKIdjLi2EEEvNS_4cuda6detail10TensorInfoIKT_T0_EES8_S8_bjS8_NS5_IS6_S8_EES8_NS5_IlS8_EES8_jjPS6_PjSD_j,comdat
.Lfunc_end71:
	.size	_ZN2at6native6mbtopk10gatherTopKIdjLi2EEEvNS_4cuda6detail10TensorInfoIKT_T0_EES8_S8_bjS8_NS5_IS6_S8_EES8_NS5_IlS8_EES8_jjPS6_PjSD_j, .Lfunc_end71-_ZN2at6native6mbtopk10gatherTopKIdjLi2EEEvNS_4cuda6detail10TensorInfoIKT_T0_EES8_S8_bjS8_NS5_IS6_S8_EES8_NS5_IlS8_EES8_jjPS6_PjSD_j
                                        ; -- End function
	.set _ZN2at6native6mbtopk10gatherTopKIdjLi2EEEvNS_4cuda6detail10TensorInfoIKT_T0_EES8_S8_bjS8_NS5_IS6_S8_EES8_NS5_IlS8_EES8_jjPS6_PjSD_j.num_vgpr, 26
	.set _ZN2at6native6mbtopk10gatherTopKIdjLi2EEEvNS_4cuda6detail10TensorInfoIKT_T0_EES8_S8_bjS8_NS5_IS6_S8_EES8_NS5_IlS8_EES8_jjPS6_PjSD_j.num_agpr, 0
	.set _ZN2at6native6mbtopk10gatherTopKIdjLi2EEEvNS_4cuda6detail10TensorInfoIKT_T0_EES8_S8_bjS8_NS5_IS6_S8_EES8_NS5_IlS8_EES8_jjPS6_PjSD_j.numbered_sgpr, 47
	.set _ZN2at6native6mbtopk10gatherTopKIdjLi2EEEvNS_4cuda6detail10TensorInfoIKT_T0_EES8_S8_bjS8_NS5_IS6_S8_EES8_NS5_IlS8_EES8_jjPS6_PjSD_j.num_named_barrier, 0
	.set _ZN2at6native6mbtopk10gatherTopKIdjLi2EEEvNS_4cuda6detail10TensorInfoIKT_T0_EES8_S8_bjS8_NS5_IS6_S8_EES8_NS5_IlS8_EES8_jjPS6_PjSD_j.private_seg_size, 0
	.set _ZN2at6native6mbtopk10gatherTopKIdjLi2EEEvNS_4cuda6detail10TensorInfoIKT_T0_EES8_S8_bjS8_NS5_IS6_S8_EES8_NS5_IlS8_EES8_jjPS6_PjSD_j.uses_vcc, 1
	.set _ZN2at6native6mbtopk10gatherTopKIdjLi2EEEvNS_4cuda6detail10TensorInfoIKT_T0_EES8_S8_bjS8_NS5_IS6_S8_EES8_NS5_IlS8_EES8_jjPS6_PjSD_j.uses_flat_scratch, 0
	.set _ZN2at6native6mbtopk10gatherTopKIdjLi2EEEvNS_4cuda6detail10TensorInfoIKT_T0_EES8_S8_bjS8_NS5_IS6_S8_EES8_NS5_IlS8_EES8_jjPS6_PjSD_j.has_dyn_sized_stack, 0
	.set _ZN2at6native6mbtopk10gatherTopKIdjLi2EEEvNS_4cuda6detail10TensorInfoIKT_T0_EES8_S8_bjS8_NS5_IS6_S8_EES8_NS5_IlS8_EES8_jjPS6_PjSD_j.has_recursion, 0
	.set _ZN2at6native6mbtopk10gatherTopKIdjLi2EEEvNS_4cuda6detail10TensorInfoIKT_T0_EES8_S8_bjS8_NS5_IS6_S8_EES8_NS5_IlS8_EES8_jjPS6_PjSD_j.has_indirect_call, 0
	.section	.AMDGPU.csdata,"",@progbits
; Kernel info:
; codeLenInByte = 2796
; TotalNumSgprs: 49
; NumVgprs: 26
; ScratchSize: 0
; MemoryBound: 0
; FloatMode: 240
; IeeeMode: 1
; LDSByteSize: 1068 bytes/workgroup (compile time only)
; SGPRBlocks: 0
; VGPRBlocks: 1
; NumSGPRsForWavesPerEU: 49
; NumVGPRsForWavesPerEU: 26
; NamedBarCnt: 0
; Occupancy: 16
; WaveLimiterHint : 1
; COMPUTE_PGM_RSRC2:SCRATCH_EN: 0
; COMPUTE_PGM_RSRC2:USER_SGPR: 2
; COMPUTE_PGM_RSRC2:TRAP_HANDLER: 0
; COMPUTE_PGM_RSRC2:TGID_X_EN: 1
; COMPUTE_PGM_RSRC2:TGID_Y_EN: 1
; COMPUTE_PGM_RSRC2:TGID_Z_EN: 1
; COMPUTE_PGM_RSRC2:TIDIG_COMP_CNT: 0
	.section	.text._ZN2at6native6sbtopk10gatherTopKIdjLi2ELb0EEEvNS_4cuda6detail10TensorInfoIKT_T0_EES8_S8_bS8_S8_NS5_IS6_S8_EES8_NS5_IlS8_EES8_PS6_,"axG",@progbits,_ZN2at6native6sbtopk10gatherTopKIdjLi2ELb0EEEvNS_4cuda6detail10TensorInfoIKT_T0_EES8_S8_bS8_S8_NS5_IS6_S8_EES8_NS5_IlS8_EES8_PS6_,comdat
	.protected	_ZN2at6native6sbtopk10gatherTopKIdjLi2ELb0EEEvNS_4cuda6detail10TensorInfoIKT_T0_EES8_S8_bS8_S8_NS5_IS6_S8_EES8_NS5_IlS8_EES8_PS6_ ; -- Begin function _ZN2at6native6sbtopk10gatherTopKIdjLi2ELb0EEEvNS_4cuda6detail10TensorInfoIKT_T0_EES8_S8_bS8_S8_NS5_IS6_S8_EES8_NS5_IlS8_EES8_PS6_
	.globl	_ZN2at6native6sbtopk10gatherTopKIdjLi2ELb0EEEvNS_4cuda6detail10TensorInfoIKT_T0_EES8_S8_bS8_S8_NS5_IS6_S8_EES8_NS5_IlS8_EES8_PS6_
	.p2align	8
	.type	_ZN2at6native6sbtopk10gatherTopKIdjLi2ELb0EEEvNS_4cuda6detail10TensorInfoIKT_T0_EES8_S8_bS8_S8_NS5_IS6_S8_EES8_NS5_IlS8_EES8_PS6_,@function
_ZN2at6native6sbtopk10gatherTopKIdjLi2ELb0EEEvNS_4cuda6detail10TensorInfoIKT_T0_EES8_S8_bS8_S8_NS5_IS6_S8_EES8_NS5_IlS8_EES8_PS6_: ; @_ZN2at6native6sbtopk10gatherTopKIdjLi2ELb0EEEvNS_4cuda6detail10TensorInfoIKT_T0_EES8_S8_bS8_S8_NS5_IS6_S8_EES8_NS5_IlS8_EES8_PS6_
; %bb.0:
	s_clause 0x1
	s_load_b128 s[36:39], s[0:1], 0xd8
	s_load_b64 s[4:5], s[0:1], 0x2b8
	s_bfe_u32 s2, ttmp6, 0x40010
	s_and_b32 s3, ttmp7, 0xffff
	s_add_co_i32 s2, s2, 1
	s_bfe_u32 s7, ttmp6, 0x4000c
	s_mul_i32 s2, s3, s2
	s_bfe_u32 s6, ttmp6, 0x40004
	s_add_co_i32 s7, s7, 1
	s_bfe_u32 s8, ttmp6, 0x40014
	s_add_co_i32 s6, s6, s2
	s_and_b32 s2, ttmp6, 15
	s_mul_i32 s7, ttmp9, s7
	s_lshr_b32 s9, ttmp7, 16
	s_add_co_i32 s8, s8, 1
	s_add_co_i32 s2, s2, s7
	s_mul_i32 s7, s9, s8
	s_bfe_u32 s8, ttmp6, 0x40008
	s_getreg_b32 s10, hwreg(HW_REG_IB_STS2, 6, 4)
	s_add_co_i32 s8, s8, s7
	s_cmp_eq_u32 s10, 0
	s_mov_b32 s35, 0
	s_cselect_b32 s7, s9, s8
	s_cselect_b32 s3, s3, s6
	s_wait_kmcnt 0x0
	s_mul_i32 s5, s5, s7
	s_cselect_b32 s16, ttmp9, s2
	s_add_co_i32 s2, s5, s3
	s_delay_alu instid0(SALU_CYCLE_1) | instskip(NEXT) | instid1(SALU_CYCLE_1)
	s_mul_i32 s2, s2, s4
	s_add_co_i32 s34, s2, s16
	s_delay_alu instid0(SALU_CYCLE_1)
	s_cmp_ge_u32 s34, s39
	s_cbranch_scc1 .LBB72_415
; %bb.1:
	s_clause 0x7
	s_load_b32 s17, s[0:1], 0xc
	s_load_b32 s64, s[0:1], 0xfc
	;; [unrolled: 1-line block ×3, first 2 shown]
	s_load_b64 s[42:43], s[0:1], 0x15c
	s_load_b32 s62, s[0:1], 0xe8
	s_load_b64 s[2:3], s[0:1], 0x6c
	s_load_b64 s[6:7], s[0:1], 0x0
	;; [unrolled: 1-line block ×3, first 2 shown]
	s_mov_b32 s15, s35
	s_add_nc_u64 s[10:11], s[0:1], 0x2b8
	s_wait_kmcnt 0x0
	s_cvt_f32_u32 s5, s17
	s_cvt_f32_u32 s8, s64
	;; [unrolled: 1-line block ×3, first 2 shown]
	s_sub_co_i32 s14, 0, s17
	v_rcp_iflag_f32_e32 v1, s5
	v_rcp_iflag_f32_e32 v2, s8
	v_rcp_iflag_f32_e32 v3, s9
	s_sub_co_i32 s18, 0, s64
	s_sub_co_i32 s19, 0, s63
	v_cmp_eq_u32_e64 s5, 0, v0
	s_mov_b32 s9, s35
	v_readfirstlane_b32 s8, v1
	v_readfirstlane_b32 s12, v2
	;; [unrolled: 1-line block ×3, first 2 shown]
	s_mul_f32 s8, s8, 0x4f7ffffe
	s_mul_f32 s12, s12, 0x4f7ffffe
	;; [unrolled: 1-line block ×3, first 2 shown]
	s_delay_alu instid0(SALU_CYCLE_1) | instskip(NEXT) | instid1(SALU_CYCLE_1)
	s_cvt_u32_f32 s8, s8
	s_cvt_u32_f32 s12, s12
	s_delay_alu instid0(SALU_CYCLE_1) | instskip(NEXT) | instid1(SALU_CYCLE_1)
	s_cvt_u32_f32 s13, s13
	s_mul_i32 s14, s14, s8
	s_delay_alu instid0(SALU_CYCLE_1) | instskip(NEXT) | instid1(SALU_CYCLE_1)
	s_mul_i32 s18, s18, s12
	s_mul_i32 s19, s19, s13
	s_mul_hi_u32 s14, s8, s14
	s_mul_hi_u32 s18, s12, s18
	;; [unrolled: 1-line block ×3, first 2 shown]
	s_add_co_i32 s14, s8, s14
	s_add_co_i32 s8, s12, s18
	;; [unrolled: 1-line block ×3, first 2 shown]
	s_mul_u64 s[14:15], s[34:35], s[14:15]
	s_mov_b32 s13, s35
	s_and_saveexec_b32 s14, s5
; %bb.2:
	v_dual_mov_b32 v2, 0 :: v_dual_mov_b32 v3, s36
	s_delay_alu instid0(VALU_DEP_1)
	v_mov_b32_e32 v4, v2
	ds_store_b96 v2, v[2:4] offset:4096
; %bb.3:
	s_or_b32 exec_lo, exec_lo, s14
	s_mul_i32 s14, s15, s17
	s_add_co_i32 s18, s15, 1
	s_sub_co_i32 s14, s34, s14
	s_wait_dscnt 0x0
	s_sub_co_i32 s19, s14, s17
	s_cmp_ge_u32 s14, s17
	s_barrier_signal -1
	s_cselect_b32 s15, s18, s15
	s_barrier_wait -1
	s_load_b32 s18, s[10:11], 0xc
	s_cselect_b32 s14, s19, s14
	s_add_co_i32 s19, s15, 1
	s_cmp_ge_u32 s14, s17
	v_mbcnt_lo_u32_b32 v1, -1, 0
	s_cselect_b32 s14, s19, s15
	s_mov_b32 s51, 0
	s_mul_i32 s15, s14, s17
	s_mul_i32 s2, s14, s2
	s_sub_co_i32 s15, s34, s15
	v_cmp_gt_u32_e32 vcc_lo, 32, v0
	s_mul_i32 s15, s15, s3
	s_mul_u64 s[48:49], s[34:35], s[8:9]
	s_add_co_i32 s50, s2, s15
	v_cmp_gt_i32_e64 s2, 4, v1
	s_lshl_b64 s[14:15], s[50:51], 3
	s_bitcmp1_b32 s38, 0
	s_mul_u64 s[46:47], s[34:35], s[12:13]
	s_cselect_b32 s3, -1, 0
	s_and_b32 s67, vcc_lo, s2
	s_wait_kmcnt 0x0
	s_and_b32 s33, s18, 0xffff
	s_xor_b32 s65, s3, -1
	s_lshl_b32 s66, s33, 2
	s_cmp_gt_u32 s36, 0x180
	s_cvt_f32_u32 s2, s66
	s_cselect_b32 s68, -1, 0
	s_cmp_gt_u32 s33, 31
	s_add_nc_u64 s[30:31], s[6:7], s[14:15]
	s_cselect_b32 s69, -1, 0
	s_add_co_i32 s70, s33, -1
	v_rcp_iflag_f32_e32 v2, s2
	s_add_co_i32 s9, s70, s36
	s_cmp_lt_u32 s16, s4
	s_cvt_f32_u32 s7, s33
	s_cselect_b32 s50, 12, 18
	s_bfe_u32 s46, s18, 0xb0005
	v_mul_lo_u32 v20, s62, v0
	s_add_co_i32 s4, s46, -2
	v_dual_lshlrev_b32 v17, 2, v0 :: v_dual_mov_b32 v23, 0
	s_lshr_b32 s6, s4, 1
	s_clause 0x1
	s_load_b64 s[38:39], s[0:1], 0x1d0
	s_load_b64 s[44:45], s[0:1], 0xf0
	s_add_co_i32 s6, s6, 1
	s_cmp_gt_u32 s33, 63
	v_dual_lshlrev_b32 v40, 5, v0 :: v_dual_bitop2_b32 v4, 3, v17 bitop3:0x54
	s_cselect_b32 s48, -1, 0
	s_and_b32 s71, s46, 0x7fe
	s_and_b32 s72, s6, 7
	s_cmp_gt_u32 s4, 13
	v_readfirstlane_b32 s4, v2
	s_cselect_b32 s73, -1, 0
	s_and_b32 s74, s6, -8
	s_cmp_lg_u32 s72, 0
	v_rcp_iflag_f32_e32 v2, s7
	s_mul_f32 s4, s4, 0x4f7ffffe
	s_cselect_b32 s75, -1, 0
	s_cmp_lg_u32 s71, s46
	v_mad_u32 v35, s62, v17, s62
	s_cvt_u32_f32 s6, s4
	s_cselect_b32 s76, -1, 0
	s_sub_co_i32 s4, 0, s66
	v_mul_lo_u32 v37, s62, v4
	s_mul_i32 s4, s4, s6
	v_lshlrev_b32_e32 v38, 2, v20
	s_mul_hi_u32 s8, s6, s4
	v_mov_b64_e32 v[28:29], 0
	s_add_co_i32 s52, s6, s8
	v_readfirstlane_b32 s8, v2
	s_mul_hi_u32 s7, s36, s52
	v_lshlrev_b64_e64 v[2:3], v1, -1
	s_mul_i32 s7, s7, s66
	v_or_b32_e32 v3, 2, v17
	s_sub_co_i32 s7, s36, s7
	s_mul_f32 s8, s8, 0x4f7ffffe
	s_sub_co_i32 s12, s7, s66
	s_cmp_ge_u32 s7, s66
	v_not_b32_e32 v16, v2
	s_cselect_b32 s7, s12, s7
	s_cvt_u32_f32 s8, s8
	s_sub_co_i32 s12, s7, s66
	s_cmp_ge_u32 s7, s66
	v_lshrrev_b32_e32 v2, 1, v0
	s_cselect_b32 s12, s12, s7
	s_sub_co_i32 s7, 0, s33
	s_sub_co_i32 s77, s36, s12
	s_delay_alu instid0(SALU_CYCLE_1) | instskip(SKIP_3) | instid1(VALU_DEP_2)
	v_dual_mov_b32 v21, v23 :: v_dual_add_nc_u32 v33, s77, v0
	s_mul_i32 s7, s7, s8
	v_mul_lo_u32 v36, s62, v3
	s_mul_hi_u32 s7, s8, s7
	v_lshl_add_u64 v[18:19], v[20:21], 3, s[30:31]
	v_lshlrev_b32_e32 v21, 3, v0
	s_add_co_i32 s54, s8, s7
	s_movk_i32 s8, 0x1f0
	s_mul_hi_u32 s7, s9, s54
	v_and_or_b32 v34, v2, s8, 0xc00
	s_mul_i32 s7, s7, s33
	v_add3_u32 v2, s33, s36, v0
	s_sub_co_i32 s7, s9, s7
	v_mul_lo_u32 v22, v33, s62
	s_sub_co_i32 s8, s7, s33
	s_cmp_ge_u32 s7, s33
	v_subrev_nc_u32_e32 v2, s12, v2
	s_cselect_b32 s13, s8, s7
	v_mov_b64_e32 v[6:7], 0
	s_sub_co_i32 s14, s13, s33
	s_cmp_ge_u32 s13, s33
	v_mul_lo_u32 v39, s62, v2
	s_cselect_b32 s13, s14, s13
	v_mov_b64_e32 v[26:27], 0
	s_sub_co_i32 s78, s9, s13
	v_mov_b64_e32 v[30:31], 0
	v_cmp_eq_u32_e64 s2, 0, v1
	v_cmp_gt_u32_e64 s4, s36, v0
	v_cmp_gt_u32_e64 s6, 2, v0
	v_add_nc_u32_e32 v32, 0xc00, v21
	v_cmp_gt_u32_e64 s7, s77, v17
	v_cmp_gt_u32_e64 s8, s36, v33
	v_lshl_add_u64 v[24:25], v[22:23], 3, s[30:31]
	v_cmp_gt_u32_e64 s9, s78, v0
	v_lshl_or_b32 v41, v1, 2, 0xc00
	v_dual_mov_b32 v42, s37 :: v_dual_mov_b32 v3, 0x3ff00000
	s_mul_i32 s35, s62, s33
	s_mov_b32 s53, s51
	s_mov_b32 s55, s51
	s_lshl_b32 s79, s35, 2
	s_lshl_b32 s80, s33, 5
	;; [unrolled: 1-line block ×3, first 2 shown]
	s_mov_b32 s82, 62
	s_add_nc_u64 s[56:57], s[10:11], s[50:51]
	s_mov_b32 s83, 0
	s_mov_b32 s85, 0
                                        ; implicit-def: $sgpr84
                                        ; implicit-def: $sgpr88
                                        ; implicit-def: $sgpr87
                                        ; implicit-def: $sgpr89
                                        ; implicit-def: $sgpr86
                                        ; implicit-def: $sgpr93
                                        ; implicit-def: $sgpr94
                                        ; implicit-def: $sgpr90
                                        ; implicit-def: $sgpr92
                                        ; implicit-def: $sgpr91
	s_branch .LBB72_6
.LBB72_4:                               ;   in Loop: Header=BB72_6 Depth=1
	s_or_b32 exec_lo, exec_lo, s13
	v_mov_b32_e32 v42, v43
	s_and_not1_b32 s13, s91, exec_lo
	s_and_b32 s12, s12, exec_lo
	s_and_not1_b32 s92, s92, exec_lo
	s_or_b32 s91, s13, s12
	s_and_not1_b32 s90, s90, exec_lo
	s_and_not1_b32 s94, s94, exec_lo
	;; [unrolled: 1-line block ×3, first 2 shown]
	s_or_not1_b32 s12, s11, exec_lo
.LBB72_5:                               ;   in Loop: Header=BB72_6 Depth=1
	s_or_b32 exec_lo, exec_lo, s10
	s_delay_alu instid0(SALU_CYCLE_1) | instskip(NEXT) | instid1(SALU_CYCLE_1)
	s_and_b32 s10, exec_lo, s12
	s_or_b32 s83, s10, s83
	s_and_not1_b32 s10, s86, exec_lo
	s_and_b32 s11, s91, exec_lo
	s_and_not1_b32 s12, s89, exec_lo
	s_or_b32 s86, s10, s11
	s_and_b32 s10, s92, exec_lo
	s_and_not1_b32 s11, s87, exec_lo
	s_and_b32 s13, s90, exec_lo
	s_or_b32 s89, s12, s10
	s_or_b32 s87, s11, s13
	s_and_not1_b32 s10, s88, exec_lo
	s_and_b32 s11, s94, exec_lo
	s_and_not1_b32 s12, s84, exec_lo
	s_and_b32 s13, s93, exec_lo
	s_or_b32 s88, s10, s11
	s_or_b32 s84, s12, s13
	s_and_not1_b32 exec_lo, exec_lo, s83
	s_cbranch_execz .LBB72_411
.LBB72_6:                               ; =>This Loop Header: Depth=1
                                        ;     Child Loop BB72_12 Depth 2
                                        ;     Child Loop BB72_25 Depth 2
	;; [unrolled: 1-line block ×25, first 2 shown]
	ds_load_b64 v[4:5], v23 offset:4096
	s_wait_dscnt 0x0
	v_readfirstlane_b32 s50, v4
	s_cmp_lg_u32 s50, 0
	s_cbranch_scc1 .LBB72_33
; %bb.7:                                ;   in Loop: Header=BB72_6 Depth=1
	s_and_b32 vcc_lo, exec_lo, s68
	s_cbranch_vccz .LBB72_20
; %bb.8:                                ;   in Loop: Header=BB72_6 Depth=1
	v_cmp_gt_u32_e32 vcc_lo, 0x181, v5
	s_mov_b32 s12, 0
	s_mov_b32 s10, 0
	s_cbranch_vccz .LBB72_21
; %bb.9:                                ;   in Loop: Header=BB72_6 Depth=1
	s_and_saveexec_b32 s13, s4
	s_cbranch_execz .LBB72_84
; %bb.10:                               ;   in Loop: Header=BB72_6 Depth=1
	global_load_b64 v[4:5], v[18:19], off
	s_load_u16 s14, s[56:57], 0x0
	s_mov_b32 s16, 0
	s_wait_kmcnt 0x0
	v_dual_mov_b32 v10, v0 :: v_dual_add_nc_u32 v2, s14, v0
	s_mul_i32 s15, s62, s14
	s_delay_alu instid0(VALU_DEP_1)
	v_mul_lo_u32 v2, s62, v2
	s_branch .LBB72_12
.LBB72_11:                              ;   in Loop: Header=BB72_12 Depth=2
	s_or_b32 exec_lo, exec_lo, s11
	v_mov_b64_e32 v[4:5], v[8:9]
	v_add_nc_u32_e32 v2, s15, v2
	s_and_not1_b32 exec_lo, exec_lo, s16
	s_cbranch_execz .LBB72_84
.LBB72_12:                              ;   Parent Loop BB72_6 Depth=1
                                        ; =>  This Inner Loop Header: Depth=2
	v_mov_b64_e32 v[8:9], 0
	v_add_nc_u32_e32 v10, s14, v10
	s_mov_b32 s11, exec_lo
	s_delay_alu instid0(VALU_DEP_1)
	v_cmp_le_u32_e32 vcc_lo, s36, v10
	v_cmpx_gt_u32_e64 s36, v10
	s_cbranch_execz .LBB72_14
; %bb.13:                               ;   in Loop: Header=BB72_12 Depth=2
	global_load_b64 v[8:9], v2, s[30:31] scale_offset
.LBB72_14:                              ;   in Loop: Header=BB72_12 Depth=2
	s_wait_xcnt 0x0
	s_or_b32 exec_lo, exec_lo, s11
	s_wait_loadcnt 0x0
	v_cmp_o_f64_e64 s10, v[4:5], v[4:5]
	s_wait_dscnt 0x0
	v_ashrrev_i32_e32 v11, 31, v5
	s_delay_alu instid0(VALU_DEP_1) | instskip(NEXT) | instid1(VALU_DEP_1)
	v_or_b32_e32 v12, 0x80000000, v11
	v_xor_b32_e32 v12, v12, v5
	v_xor_b32_e32 v11, v11, v4
	s_delay_alu instid0(VALU_DEP_1) | instskip(NEXT) | instid1(VALU_DEP_1)
	v_dual_cndmask_b32 v12, -1, v12, s10 :: v_dual_cndmask_b32 v11, -1, v11, s10
	v_and_b32_e32 v13, v12, v31
	s_delay_alu instid0(VALU_DEP_2) | instskip(NEXT) | instid1(VALU_DEP_1)
	v_dual_mov_b32 v11, 0 :: v_dual_bitop2_b32 v12, v11, v30 bitop3:0x40
	v_cmp_eq_u64_e64 s10, v[12:13], v[26:27]
	s_cmp_lg_u32 s10, 0
	s_cselect_b32 s11, -1, 0
	s_delay_alu instid0(SALU_CYCLE_1) | instskip(NEXT) | instid1(SALU_CYCLE_1)
	s_and_b32 s11, s2, s11
	s_and_saveexec_b32 s17, s11
	s_cbranch_execz .LBB72_18
; %bb.15:                               ;   in Loop: Header=BB72_12 Depth=2
	s_mov_b32 s20, exec_lo
	s_bcnt1_i32_b32 s18, s10
	v_mbcnt_lo_u32_b32 v11, s20, 0
	s_mov_b32 s19, exec_lo
                                        ; implicit-def: $vgpr12
	s_delay_alu instid0(VALU_DEP_1)
	v_cmpx_eq_u32_e32 0, v11
; %bb.16:                               ;   in Loop: Header=BB72_12 Depth=2
	s_bcnt1_i32_b32 s11, s20
	s_delay_alu instid0(SALU_CYCLE_1) | instskip(NEXT) | instid1(SALU_CYCLE_1)
	s_mul_i32 s11, s18, s11
	v_mov_b32_e32 v12, s11
	ds_add_rtn_u32 v12, v23, v12 offset:4104
; %bb.17:                               ;   in Loop: Header=BB72_12 Depth=2
	s_or_b32 exec_lo, exec_lo, s19
	s_wait_dscnt 0x0
	v_readfirstlane_b32 s11, v12
	s_delay_alu instid0(VALU_DEP_1)
	v_mad_u32_u24 v11, s18, v11, s11
.LBB72_18:                              ;   in Loop: Header=BB72_12 Depth=2
	s_or_b32 exec_lo, exec_lo, s17
	ds_bpermute_b32 v11, v23, v11
	s_and_b32 s11, exec_lo, vcc_lo
	s_delay_alu instid0(SALU_CYCLE_1)
	s_or_b32 s16, s11, s16
	s_and_saveexec_b32 s11, s10
	s_cbranch_execz .LBB72_11
; %bb.19:                               ;   in Loop: Header=BB72_12 Depth=2
	v_and_b32_e32 v12, s10, v16
	s_delay_alu instid0(VALU_DEP_1) | instskip(NEXT) | instid1(VALU_DEP_1)
	v_bcnt_u32_b32 v12, v12, 0
	v_lshlrev_b32_e32 v12, 3, v12
	s_wait_dscnt 0x0
	s_delay_alu instid0(VALU_DEP_1)
	v_lshl_add_u32 v11, v11, 3, v12
	ds_store_b64 v11, v[4:5]
	s_branch .LBB72_11
.LBB72_20:                              ;   in Loop: Header=BB72_6 Depth=1
	s_mov_b32 s12, -1
	s_mov_b32 s10, 0
.LBB72_21:                              ;   in Loop: Header=BB72_6 Depth=1
	s_and_b32 vcc_lo, exec_lo, s12
	s_cbranch_vccz .LBB72_31
.LBB72_22:                              ;   in Loop: Header=BB72_6 Depth=1
	s_and_saveexec_b32 s10, s4
	s_cbranch_execz .LBB72_28
; %bb.23:                               ;   in Loop: Header=BB72_6 Depth=1
	global_load_b64 v[4:5], v[18:19], off
	s_load_u16 s12, s[56:57], 0x0
	s_mov_b32 s11, exec_lo
	s_wait_kmcnt 0x0
	v_dual_mov_b32 v2, v0 :: v_dual_add_nc_u32 v8, s12, v0
	s_delay_alu instid0(VALU_DEP_1)
	v_cmpx_gt_u32_e64 s36, v8
	s_cbranch_execz .LBB72_27
; %bb.24:                               ;   in Loop: Header=BB72_6 Depth=1
	v_mul_lo_u32 v10, s62, v8
	v_dual_mov_b32 v11, v21 :: v_dual_mov_b32 v2, v0
	s_lshl_b32 s13, s12, 3
	s_mul_i32 s15, s62, s12
	s_mov_b32 s14, 0
.LBB72_25:                              ;   Parent Loop BB72_6 Depth=1
                                        ; =>  This Inner Loop Header: Depth=2
	global_load_b64 v[8:9], v10, s[30:31] scale_offset
	v_add_nc_u32_e32 v2, s12, v2
	s_wait_loadcnt 0x1
	ds_store_b64 v11, v[4:5]
	s_wait_xcnt 0x0
	v_dual_add_nc_u32 v11, s13, v11 :: v_dual_add_nc_u32 v10, s15, v10
	v_add_nc_u32_e32 v12, s12, v2
	s_delay_alu instid0(VALU_DEP_1)
	v_cmp_le_u32_e32 vcc_lo, s36, v12
	s_or_b32 s14, vcc_lo, s14
	s_wait_loadcnt 0x0
	v_mov_b64_e32 v[4:5], v[8:9]
	s_and_not1_b32 exec_lo, exec_lo, s14
	s_cbranch_execnz .LBB72_25
; %bb.26:                               ;   in Loop: Header=BB72_6 Depth=1
	s_or_b32 exec_lo, exec_lo, s14
	v_mov_b64_e32 v[4:5], v[8:9]
.LBB72_27:                              ;   in Loop: Header=BB72_6 Depth=1
	s_or_b32 exec_lo, exec_lo, s11
	s_delay_alu instid0(VALU_DEP_2)
	v_lshlrev_b32_e32 v2, 3, v2
	s_wait_loadcnt 0x0
	ds_store_b64 v2, v[4:5]
.LBB72_28:                              ;   in Loop: Header=BB72_6 Depth=1
	s_or_b32 exec_lo, exec_lo, s10
	s_wait_dscnt 0x0
	s_barrier_signal -1
	s_barrier_wait -1
	s_and_saveexec_b32 s10, s5
; %bb.29:                               ;   in Loop: Header=BB72_6 Depth=1
	v_mov_b32_e32 v2, s36
	ds_store_b32 v23, v2 offset:4096
; %bb.30:                               ;   in Loop: Header=BB72_6 Depth=1
	s_or_b32 exec_lo, exec_lo, s10
	s_mov_b32 s10, -1
	s_wait_dscnt 0x0
	s_barrier_signal -1
	s_barrier_wait -1
.LBB72_31:                              ;   in Loop: Header=BB72_6 Depth=1
	s_and_b32 vcc_lo, exec_lo, s10
	s_mov_b32 s50, 0
	s_cbranch_vccz .LBB72_33
; %bb.32:                               ;   in Loop: Header=BB72_6 Depth=1
	ds_load_b32 v2, v23 offset:4096
	s_wait_dscnt 0x0
	v_readfirstlane_b32 s50, v2
.LBB72_33:                              ;   in Loop: Header=BB72_6 Depth=1
	s_delay_alu instid0(VALU_DEP_1)
	s_cmp_lt_i32 s50, 1
	s_mov_b32 s10, -1
                                        ; implicit-def: $vgpr10_vgpr11
	s_cbranch_scc1 .LBB72_46
; %bb.34:                               ;   in Loop: Header=BB72_6 Depth=1
	s_and_b32 vcc_lo, exec_lo, s10
	s_cbranch_vccnz .LBB72_57
.LBB72_35:                              ;   in Loop: Header=BB72_6 Depth=1
	s_lshl_b32 s12, s85, 7
	s_and_saveexec_b32 s10, s2
.LBB72_36:                              ;   in Loop: Header=BB72_6 Depth=1
	v_lshl_add_u32 v2, s12, 2, v34
	ds_store_b128 v2, v[8:11]
.LBB72_37:                              ;   in Loop: Header=BB72_6 Depth=1
	s_or_b32 exec_lo, exec_lo, s10
	s_wait_dscnt 0x0
	s_barrier_signal -1
	s_barrier_wait -1
	s_and_saveexec_b32 s13, s67
	s_cbranch_execz .LBB72_70
; %bb.38:                               ;   in Loop: Header=BB72_6 Depth=1
	v_dual_add_nc_u32 v2, s12, v1 :: v_dual_mov_b32 v4, 0
	s_and_not1_b32 vcc_lo, exec_lo, s69
	s_cbranch_vccnz .LBB72_69
; %bb.39:                               ;   in Loop: Header=BB72_6 Depth=1
	s_and_not1_b32 vcc_lo, exec_lo, s48
	s_cbranch_vccnz .LBB72_66
; %bb.40:                               ;   in Loop: Header=BB72_6 Depth=1
	v_lshl_add_u32 v8, v2, 2, 0xc00
	s_and_not1_b32 vcc_lo, exec_lo, s73
	s_cbranch_vccnz .LBB72_99
; %bb.41:                               ;   in Loop: Header=BB72_6 Depth=1
	v_dual_mov_b32 v4, 0 :: v_dual_mov_b32 v5, 0
	s_mov_b32 s11, 1
	s_mov_b32 s10, 0
	;; [unrolled: 1-line block ×3, first 2 shown]
.LBB72_42:                              ;   Parent Loop BB72_6 Depth=1
                                        ; =>  This Inner Loop Header: Depth=2
	v_lshl_add_u32 v9, s11, 4, v8
	v_lshl_add_u32 v22, s10, 4, v8
	s_add_co_i32 s14, s14, -8
	s_add_co_i32 s11, s11, 16
	s_add_co_i32 s10, s10, 16
	ds_load_2addr_b32 v[10:11], v9 offset1:8
	ds_load_2addr_b32 v[12:13], v22 offset1:8
	ds_load_2addr_b32 v[14:15], v9 offset0:16 offset1:24
	ds_load_2addr_b32 v[44:45], v22 offset0:16 offset1:24
	;; [unrolled: 1-line block ×6, first 2 shown]
	s_cmp_lg_u32 s14, 0
	s_wait_dscnt 0x7
	v_add3_u32 v5, v10, v5, v11
	s_wait_dscnt 0x6
	v_add3_u32 v4, v12, v4, v13
	s_wait_dscnt 0x5
	s_delay_alu instid0(VALU_DEP_2) | instskip(SKIP_1) | instid1(VALU_DEP_2)
	v_add3_u32 v5, v14, v5, v15
	s_wait_dscnt 0x4
	v_add3_u32 v4, v44, v4, v45
	s_wait_dscnt 0x3
	s_delay_alu instid0(VALU_DEP_2) | instskip(SKIP_1) | instid1(VALU_DEP_2)
	;; [unrolled: 5-line block ×3, first 2 shown]
	v_add3_u32 v5, v50, v5, v51
	s_wait_dscnt 0x0
	v_add3_u32 v4, v52, v4, v53
	s_cbranch_scc1 .LBB72_42
; %bb.43:                               ;   in Loop: Header=BB72_6 Depth=1
	s_and_not1_b32 vcc_lo, exec_lo, s75
	s_mov_b32 s14, s72
	s_cbranch_vccnz .LBB72_45
.LBB72_44:                              ;   Parent Loop BB72_6 Depth=1
                                        ; =>  This Inner Loop Header: Depth=2
	v_lshl_add_u32 v9, s11, 4, v8
	v_lshl_add_u32 v10, s10, 4, v8
	s_add_co_i32 s14, s14, -1
	s_add_co_i32 s11, s11, 2
	s_add_co_i32 s10, s10, 2
	ds_load_b32 v9, v9
	ds_load_b32 v10, v10
	s_cmp_lg_u32 s14, 0
	s_wait_dscnt 0x0
	v_dual_add_nc_u32 v5, v9, v5 :: v_dual_add_nc_u32 v4, v10, v4
	s_cbranch_scc1 .LBB72_44
.LBB72_45:                              ;   in Loop: Header=BB72_6 Depth=1
	s_delay_alu instid0(VALU_DEP_1) | instskip(SKIP_2) | instid1(SALU_CYCLE_1)
	v_add_nc_u32_e32 v4, v4, v5
	s_mov_b32 s10, s71
	s_mov_b32 s11, s76
	s_and_b32 vcc_lo, exec_lo, s11
	s_cbranch_vccnz .LBB72_67
	s_branch .LBB72_69
.LBB72_46:                              ;   in Loop: Header=BB72_6 Depth=1
	v_mov_b64_e32 v[10:11], 0
	v_mov_b64_e32 v[8:9], 0
	s_and_saveexec_b32 s95, s7
	s_cbranch_execz .LBB72_50
; %bb.47:                               ;   in Loop: Header=BB72_6 Depth=1
	v_mov_b32_e32 v2, v17
	s_mov_b32 s96, 0
	s_mov_b32 s97, 0
	;; [unrolled: 1-line block ×6, first 2 shown]
.LBB72_48:                              ;   Parent Loop BB72_6 Depth=1
                                        ; =>  This Inner Loop Header: Depth=2
	v_dual_add_nc_u32 v4, s97, v38 :: v_dual_add_nc_u32 v5, s97, v35
	v_dual_add_nc_u32 v8, s97, v36 :: v_dual_add_nc_u32 v14, s97, v37
	v_dual_mov_b32 v15, v23 :: v_dual_add_nc_u32 v2, s66, v2
	s_clause 0x3
	global_load_b64 v[12:13], v4, s[30:31] scale_offset
	global_load_b64 v[10:11], v5, s[30:31] scale_offset
	global_load_b64 v[8:9], v8, s[30:31] scale_offset
	global_load_b64 v[4:5], v14, s[30:31] scale_offset
	v_dual_mov_b32 v45, v23 :: v_dual_mov_b32 v47, v23
	v_cmp_le_u32_e32 vcc_lo, s77, v2
	s_add_co_i32 s97, s97, s79
	s_wait_loadcnt 0x3
	v_cmp_o_f64_e64 s10, v[12:13], v[12:13]
	s_wait_loadcnt 0x2
	v_cmp_o_f64_e64 s11, v[10:11], v[10:11]
	;; [unrolled: 2-line block ×4, first 2 shown]
	v_dual_ashrrev_i32 v14, 31, v13 :: v_dual_ashrrev_i32 v22, 31, v11
	v_ashrrev_i32_e32 v43, 31, v9
	v_ashrrev_i32_e32 v44, 31, v5
	s_delay_alu instid0(VALU_DEP_3) | instskip(NEXT) | instid1(VALU_DEP_4)
	v_or_b32_e32 v46, 0x80000000, v14
	v_or_b32_e32 v48, 0x80000000, v22
	v_xor_b32_e32 v14, v14, v12
	v_xor_b32_e32 v22, v22, v10
	v_or_b32_e32 v49, 0x80000000, v43
	v_or_b32_e32 v50, 0x80000000, v44
	v_xor_b32_e32 v12, v48, v11
	v_xor_b32_e32 v46, v46, v13
	s_delay_alu instid0(VALU_DEP_4) | instskip(SKIP_1) | instid1(VALU_DEP_4)
	v_xor_b32_e32 v10, v49, v9
	v_dual_cndmask_b32 v4, -1, v14, s10 :: v_dual_bitop2_b32 v44, v44, v4 bitop3:0x14
	v_cndmask_b32_e64 v9, -1, v12, s11
	v_xor_b32_e32 v43, v43, v8
	v_dual_cndmask_b32 v5, -1, v46, s10 :: v_dual_bitop2_b32 v8, v50, v5 bitop3:0x14
	v_cndmask_b32_e64 v11, -1, v10, s12
	s_delay_alu instid0(VALU_DEP_3) | instskip(NEXT) | instid1(VALU_DEP_3)
	v_dual_cndmask_b32 v10, -1, v43, s12 :: v_dual_bitop2_b32 v48, v4, v30 bitop3:0x40
	v_dual_cndmask_b32 v13, -1, v8, s13 :: v_dual_bitop2_b32 v49, v5, v31 bitop3:0x40
	v_cndmask_b32_e64 v8, -1, v22, s11
	v_lshrrev_b64 v[4:5], s82, v[4:5]
	v_dual_cndmask_b32 v12, -1, v44, s13 :: v_dual_bitop2_b32 v51, v9, v31 bitop3:0x40
	v_and_b32_e32 v53, v11, v31
	s_delay_alu instid0(VALU_DEP_4)
	v_and_b32_e32 v50, v8, v30
	v_lshrrev_b64 v[8:9], s82, v[8:9]
	v_and_b32_e32 v52, v10, v30
	v_lshrrev_b64 v[10:11], s82, v[10:11]
	v_and_b32_e32 v55, v13, v31
	v_and_b32_e32 v54, v12, v30
	v_lshrrev_b64 v[12:13], s82, v[12:13]
	v_and_b32_e32 v22, 3, v4
	v_and_b32_e32 v14, 3, v8
	v_cmp_eq_u64_e64 s10, v[48:49], v[26:27]
	v_and_b32_e32 v44, 3, v10
	v_cmp_eq_u64_e64 s11, v[50:51], v[26:27]
	v_cmp_eq_u64_e64 s14, 0, v[22:23]
	v_and_b32_e32 v46, 3, v12
	v_cmp_eq_u64_e64 s15, 0, v[14:15]
	v_cmp_eq_u64_e64 s12, v[52:53], v[26:27]
	;; [unrolled: 1-line block ×5, first 2 shown]
	s_and_b32 s14, s10, s14
	v_cmp_eq_u64_e64 s18, 1, v[22:23]
	v_cndmask_b32_e64 v4, 0, 1, s14
	s_and_b32 s14, s11, s15
	v_cmp_eq_u64_e64 s19, 1, v[14:15]
	v_cndmask_b32_e64 v5, 0, 1, s14
	;; [unrolled: 3-line block ×4, first 2 shown]
	s_and_b32 s14, s10, s18
	v_cmp_eq_u64_e64 s22, 2, v[22:23]
	v_cmp_eq_u64_e64 s26, 3, v[22:23]
	v_cndmask_b32_e64 v10, 0, 1, s14
	s_and_b32 s14, s11, s19
	v_cmp_eq_u64_e64 s23, 2, v[14:15]
	v_cmp_eq_u64_e64 s27, 3, v[14:15]
	v_cndmask_b32_e64 v11, 0, 1, s14
	s_and_b32 s14, s12, s20
	v_cmp_eq_u64_e64 s24, 2, v[44:45]
	v_cmp_eq_u64_e64 s28, 3, v[44:45]
	v_cndmask_b32_e64 v12, 0, 1, s14
	s_and_b32 s14, s13, s21
	v_cmp_eq_u64_e64 s25, 2, v[46:47]
	v_cmp_eq_u64_e64 s29, 3, v[46:47]
	v_cndmask_b32_e64 v13, 0, 1, s14
	s_and_b32 s14, s10, s22
	s_and_b32 s10, s10, s26
	v_cndmask_b32_e64 v14, 0, 1, s14
	s_and_b32 s14, s11, s23
	v_cndmask_b32_e64 v44, 0, 1, s10
	;; [unrolled: 2-line block ×7, first 2 shown]
	v_cndmask_b32_e64 v47, 0, 1, s10
	v_cmp_ne_u32_e64 s10, 0, v4
	v_cmp_ne_u32_e64 s14, 0, v10
	;; [unrolled: 1-line block ×12, first 2 shown]
	s_bcnt1_i32_b32 s10, s10
	s_bcnt1_i32_b32 s14, s14
	;; [unrolled: 1-line block ×4, first 2 shown]
	v_cmp_ne_u32_e64 s13, 0, v9
	v_cmp_ne_u32_e64 s17, 0, v13
	;; [unrolled: 1-line block ×4, first 2 shown]
	s_bcnt1_i32_b32 s11, s11
	s_bcnt1_i32_b32 s15, s15
	s_bcnt1_i32_b32 s19, s19
	s_bcnt1_i32_b32 s23, s23
	s_add_co_i32 s10, s10, s58
	s_add_co_i32 s14, s14, s59
	s_add_co_i32 s18, s18, s60
	s_add_co_i32 s22, s22, s61
	s_bcnt1_i32_b32 s12, s12
	s_bcnt1_i32_b32 s16, s16
	s_bcnt1_i32_b32 s20, s20
	s_bcnt1_i32_b32 s24, s24
	s_add_co_i32 s14, s14, s15
	s_add_co_i32 s10, s10, s11
	s_add_co_i32 s11, s22, s23
	s_add_co_i32 s15, s18, s19
	s_bcnt1_i32_b32 s13, s13
	s_bcnt1_i32_b32 s17, s17
	s_bcnt1_i32_b32 s21, s21
	s_bcnt1_i32_b32 s25, s25
	s_add_co_i32 s10, s10, s12
	s_add_co_i32 s12, s14, s16
	s_add_co_i32 s14, s15, s20
	s_add_co_i32 s11, s11, s24
	s_add_co_i32 s59, s12, s17
	s_add_co_i32 s58, s10, s13
	;; [unrolled: 1-line block ×4, first 2 shown]
	v_mov_b64_e32 v[8:9], s[58:59]
	v_mov_b64_e32 v[10:11], s[60:61]
	s_or_b32 s96, vcc_lo, s96
	s_delay_alu instid0(SALU_CYCLE_1)
	s_and_not1_b32 exec_lo, exec_lo, s96
	s_cbranch_execnz .LBB72_48
; %bb.49:                               ;   in Loop: Header=BB72_6 Depth=1
	s_or_b32 exec_lo, exec_lo, s96
.LBB72_50:                              ;   in Loop: Header=BB72_6 Depth=1
	s_delay_alu instid0(SALU_CYCLE_1)
	s_or_b32 exec_lo, exec_lo, s95
	s_and_saveexec_b32 s14, s8
	s_cbranch_execz .LBB72_56
; %bb.51:                               ;   in Loop: Header=BB72_6 Depth=1
	global_load_b64 v[12:13], v[24:25], off
	v_dual_mov_b32 v2, v39 :: v_dual_mov_b32 v14, v33
	s_mov_b32 s15, 0
	s_branch .LBB72_53
.LBB72_52:                              ;   in Loop: Header=BB72_53 Depth=2
	s_wait_xcnt 0x0
	s_or_b32 exec_lo, exec_lo, s11
	s_wait_loadcnt 0x0
	v_cmp_o_f64_e64 s10, v[12:13], v[12:13]
	v_ashrrev_i32_e32 v15, 31, v13
	s_and_b32 s13, exec_lo, vcc_lo
	v_add_nc_u32_e32 v2, s35, v2
	s_or_b32 s15, s13, s15
	s_delay_alu instid0(VALU_DEP_2) | instskip(NEXT) | instid1(VALU_DEP_1)
	v_or_b32_e32 v22, 0x80000000, v15
	v_xor_b32_e32 v22, v22, v13
	s_delay_alu instid0(VALU_DEP_1) | instskip(NEXT) | instid1(VALU_DEP_1)
	v_dual_cndmask_b32 v13, -1, v22, s10 :: v_dual_bitop2_b32 v12, v15, v12 bitop3:0x14
	v_cndmask_b32_e64 v12, -1, v12, s10
	s_delay_alu instid0(VALU_DEP_1) | instskip(SKIP_2) | instid1(VALU_DEP_3)
	v_lshrrev_b64 v[44:45], s82, v[12:13]
	v_and_b32_e32 v13, v13, v31
	v_and_b32_e32 v12, v12, v30
	v_and_b32_e32 v22, 3, v44
	s_delay_alu instid0(VALU_DEP_2) | instskip(NEXT) | instid1(VALU_DEP_2)
	v_cmp_eq_u64_e64 s10, v[12:13], v[26:27]
	v_cmp_eq_u64_e64 s11, 0, v[22:23]
	;; [unrolled: 1-line block ×3, first 2 shown]
	v_cmp_eq_u64_e32 vcc_lo, 2, v[22:23]
	v_cmp_eq_u64_e64 s13, 3, v[22:23]
	s_and_b32 s11, s10, s11
	s_delay_alu instid0(SALU_CYCLE_1) | instskip(SKIP_1) | instid1(SALU_CYCLE_1)
	v_cndmask_b32_e64 v12, 0, 1, s11
	s_and_b32 s11, s10, s12
	v_cndmask_b32_e64 v13, 0, 1, s11
	s_and_b32 s11, s10, vcc_lo
	s_and_b32 s10, s10, s13
	v_cndmask_b32_e64 v15, 0, 1, s11
	v_cndmask_b32_e64 v22, 0, 1, s10
	v_cmp_ne_u32_e32 vcc_lo, 0, v12
	v_cmp_ne_u32_e64 s10, 0, v13
	v_mov_b64_e32 v[12:13], v[4:5]
	v_cmp_ne_u32_e64 s11, 0, v15
	v_cmp_ne_u32_e64 s12, 0, v22
	s_bcnt1_i32_b32 s13, vcc_lo
	s_bcnt1_i32_b32 s10, s10
	s_bcnt1_i32_b32 s11, s11
	;; [unrolled: 1-line block ×3, first 2 shown]
	v_dual_add_nc_u32 v9, s10, v9 :: v_dual_add_nc_u32 v8, s13, v8
	v_dual_add_nc_u32 v11, s12, v11 :: v_dual_add_nc_u32 v10, s11, v10
	s_and_not1_b32 exec_lo, exec_lo, s15
	s_cbranch_execz .LBB72_55
.LBB72_53:                              ;   Parent Loop BB72_6 Depth=1
                                        ; =>  This Inner Loop Header: Depth=2
	v_mov_b64_e32 v[4:5], 0
	s_delay_alu instid0(VALU_DEP_2) | instskip(SKIP_1) | instid1(VALU_DEP_1)
	v_add_nc_u32_e32 v14, s33, v14
	s_mov_b32 s11, exec_lo
	v_cmp_le_u32_e32 vcc_lo, s36, v14
	s_wait_xcnt 0x0
	v_cmpx_gt_u32_e64 s36, v14
	s_cbranch_execz .LBB72_52
; %bb.54:                               ;   in Loop: Header=BB72_53 Depth=2
	global_load_b64 v[4:5], v2, s[30:31] scale_offset
	s_branch .LBB72_52
.LBB72_55:                              ;   in Loop: Header=BB72_6 Depth=1
	s_or_b32 exec_lo, exec_lo, s15
.LBB72_56:                              ;   in Loop: Header=BB72_6 Depth=1
	s_delay_alu instid0(SALU_CYCLE_1)
	s_or_b32 exec_lo, exec_lo, s14
	s_branch .LBB72_35
.LBB72_57:                              ;   in Loop: Header=BB72_6 Depth=1
	s_mul_u64 s[10:11], s[50:51], s[52:53]
	v_mov_b64_e32 v[10:11], 0
	s_mul_i32 s10, s11, s66
	v_mov_b64_e32 v[8:9], 0
	s_sub_co_i32 s10, s50, s10
	s_mov_b32 s96, exec_lo
	s_sub_co_i32 s11, s10, s66
	s_cmp_ge_u32 s10, s66
	s_cselect_b32 s10, s11, s10
	s_delay_alu instid0(SALU_CYCLE_1) | instskip(SKIP_2) | instid1(SALU_CYCLE_1)
	s_sub_co_i32 s11, s10, s66
	s_cmp_ge_u32 s10, s66
	s_cselect_b32 s10, s11, s10
	s_sub_co_i32 s95, s50, s10
	s_delay_alu instid0(SALU_CYCLE_1)
	v_cmpx_gt_u32_e64 s95, v17
	s_cbranch_execz .LBB72_61
; %bb.58:                               ;   in Loop: Header=BB72_6 Depth=1
	v_dual_mov_b32 v2, v40 :: v_dual_mov_b32 v4, v17
	s_mov_b32 s97, 0
	s_mov_b32 s58, 0
	;; [unrolled: 1-line block ×5, first 2 shown]
.LBB72_59:                              ;   Parent Loop BB72_6 Depth=1
                                        ; =>  This Inner Loop Header: Depth=2
	ds_load_b128 v[12:15], v2
	ds_load_b128 v[8:11], v2 offset:16
	v_dual_add_nc_u32 v2, s80, v2 :: v_dual_add_nc_u32 v4, s66, v4
	v_dual_mov_b32 v45, v23 :: v_dual_mov_b32 v47, v23
	v_mov_b32_e32 v49, v23
	s_delay_alu instid0(VALU_DEP_3)
	v_cmp_le_u32_e32 vcc_lo, s95, v4
	s_wait_dscnt 0x1
	v_cmp_o_f64_e64 s10, v[12:13], v[12:13]
	s_wait_dscnt 0x0
	v_cmp_o_f64_e64 s13, v[10:11], v[10:11]
	v_cmp_o_f64_e64 s11, v[14:15], v[14:15]
	;; [unrolled: 1-line block ×3, first 2 shown]
	v_dual_ashrrev_i32 v5, 31, v13 :: v_dual_ashrrev_i32 v44, 31, v11
	v_dual_ashrrev_i32 v22, 31, v15 :: v_dual_ashrrev_i32 v43, 31, v9
	s_delay_alu instid0(VALU_DEP_2) | instskip(SKIP_1) | instid1(VALU_DEP_4)
	v_or_b32_e32 v46, 0x80000000, v5
	v_xor_b32_e32 v5, v5, v12
	v_or_b32_e32 v51, 0x80000000, v44
	s_delay_alu instid0(VALU_DEP_4) | instskip(SKIP_4) | instid1(VALU_DEP_1)
	v_or_b32_e32 v48, 0x80000000, v22
	v_or_b32_e32 v50, 0x80000000, v43
	v_xor_b32_e32 v46, v46, v13
	v_xor_b32_e32 v43, v43, v8
	v_xor_b32_e32 v8, v51, v11
	v_dual_cndmask_b32 v15, -1, v8, s13 :: v_dual_bitop2_b32 v12, v48, v15 bitop3:0x14
	v_dual_cndmask_b32 v8, -1, v5, s10 :: v_dual_bitop2_b32 v22, v22, v14 bitop3:0x14
	s_delay_alu instid0(VALU_DEP_2) | instskip(SKIP_2) | instid1(VALU_DEP_4)
	v_dual_cndmask_b32 v11, -1, v12, s11 :: v_dual_bitop2_b32 v13, v50, v9 bitop3:0x14
	v_cndmask_b32_e64 v9, -1, v46, s10
	v_xor_b32_e32 v44, v44, v10
	v_dual_cndmask_b32 v10, -1, v22, s11 :: v_dual_cndmask_b32 v12, -1, v43, s12
	s_delay_alu instid0(VALU_DEP_4) | instskip(NEXT) | instid1(VALU_DEP_4)
	v_dual_cndmask_b32 v13, -1, v13, s12 :: v_dual_bitop2_b32 v50, v8, v30 bitop3:0x40
	v_and_b32_e32 v51, v9, v31
	v_lshrrev_b64 v[8:9], s82, v[8:9]
	v_dual_cndmask_b32 v14, -1, v44, s13 :: v_dual_bitop2_b32 v53, v11, v31 bitop3:0x40
	v_and_b32_e32 v52, v10, v30
	v_lshrrev_b64 v[10:11], s82, v[10:11]
	v_and_b32_e32 v55, v13, v31
	v_and_b32_e32 v54, v12, v30
	v_lshrrev_b64 v[12:13], s82, v[12:13]
	v_and_b32_e32 v57, v15, v31
	;; [unrolled: 3-line block ×3, first 2 shown]
	v_and_b32_e32 v44, 3, v10
	v_cmp_eq_u64_e64 s10, v[50:51], v[26:27]
	v_and_b32_e32 v46, 3, v12
	v_cmp_eq_u64_e64 s11, v[52:53], v[26:27]
	v_cmp_eq_u64_e64 s14, 0, v[22:23]
	v_and_b32_e32 v48, 3, v14
	v_cmp_eq_u64_e64 s15, 0, v[44:45]
	v_cmp_eq_u64_e64 s12, v[54:55], v[26:27]
	;; [unrolled: 1-line block ×5, first 2 shown]
	s_and_b32 s14, s10, s14
	v_cmp_eq_u64_e64 s18, 1, v[22:23]
	v_cndmask_b32_e64 v5, 0, 1, s14
	s_and_b32 s14, s11, s15
	v_cmp_eq_u64_e64 s19, 1, v[44:45]
	v_cndmask_b32_e64 v8, 0, 1, s14
	;; [unrolled: 3-line block ×4, first 2 shown]
	s_and_b32 s14, s10, s18
	v_cmp_eq_u64_e64 s22, 2, v[22:23]
	v_cmp_eq_u64_e64 s26, 3, v[22:23]
	v_cndmask_b32_e64 v11, 0, 1, s14
	s_and_b32 s14, s11, s19
	v_cmp_eq_u64_e64 s23, 2, v[44:45]
	v_cmp_eq_u64_e64 s27, 3, v[44:45]
	v_cndmask_b32_e64 v12, 0, 1, s14
	;; [unrolled: 4-line block ×4, first 2 shown]
	s_and_b32 s14, s10, s22
	s_and_b32 s10, s10, s26
	v_cndmask_b32_e64 v15, 0, 1, s14
	s_and_b32 s14, s11, s23
	v_cndmask_b32_e64 v45, 0, 1, s10
	;; [unrolled: 2-line block ×7, first 2 shown]
	v_cndmask_b32_e64 v48, 0, 1, s10
	v_cmp_ne_u32_e64 s10, 0, v5
	v_cmp_ne_u32_e64 s14, 0, v11
	;; [unrolled: 1-line block ×12, first 2 shown]
	s_bcnt1_i32_b32 s10, s10
	s_bcnt1_i32_b32 s14, s14
	;; [unrolled: 1-line block ×4, first 2 shown]
	v_cmp_ne_u32_e64 s13, 0, v10
	v_cmp_ne_u32_e64 s17, 0, v14
	v_cmp_ne_u32_e64 s21, 0, v44
	v_cmp_ne_u32_e64 s25, 0, v48
	s_bcnt1_i32_b32 s11, s11
	s_bcnt1_i32_b32 s15, s15
	s_bcnt1_i32_b32 s19, s19
	s_bcnt1_i32_b32 s23, s23
	s_add_co_i32 s10, s10, s58
	s_add_co_i32 s14, s14, s59
	s_add_co_i32 s18, s18, s60
	s_add_co_i32 s22, s22, s61
	s_bcnt1_i32_b32 s12, s12
	s_bcnt1_i32_b32 s16, s16
	s_bcnt1_i32_b32 s20, s20
	s_bcnt1_i32_b32 s24, s24
	s_add_co_i32 s14, s14, s15
	s_add_co_i32 s10, s10, s11
	s_add_co_i32 s11, s22, s23
	s_add_co_i32 s15, s18, s19
	;; [unrolled: 8-line block ×3, first 2 shown]
	s_add_co_i32 s59, s12, s17
	s_add_co_i32 s58, s10, s13
	;; [unrolled: 1-line block ×4, first 2 shown]
	v_mov_b64_e32 v[8:9], s[58:59]
	v_mov_b64_e32 v[10:11], s[60:61]
	s_or_b32 s97, vcc_lo, s97
	s_delay_alu instid0(SALU_CYCLE_1)
	s_and_not1_b32 exec_lo, exec_lo, s97
	s_cbranch_execnz .LBB72_59
; %bb.60:                               ;   in Loop: Header=BB72_6 Depth=1
	s_or_b32 exec_lo, exec_lo, s97
.LBB72_61:                              ;   in Loop: Header=BB72_6 Depth=1
	s_delay_alu instid0(SALU_CYCLE_1) | instskip(SKIP_2) | instid1(VALU_DEP_1)
	s_or_b32 exec_lo, exec_lo, s96
	v_add_nc_u32_e32 v2, s95, v0
	s_mov_b32 s15, exec_lo
	v_cmpx_gt_u32_e64 s50, v2
	s_cbranch_execz .LBB72_65
; %bb.62:                               ;   in Loop: Header=BB72_6 Depth=1
	v_lshlrev_b32_e32 v4, 3, v2
	s_mov_b32 s16, 0
.LBB72_63:                              ;   Parent Loop BB72_6 Depth=1
                                        ; =>  This Inner Loop Header: Depth=2
	ds_load_b64 v[12:13], v4
	v_dual_add_nc_u32 v2, s33, v2 :: v_dual_add_nc_u32 v4, s81, v4
	s_delay_alu instid0(VALU_DEP_1) | instskip(SKIP_3) | instid1(VALU_DEP_1)
	v_cmp_le_u32_e64 s10, s50, v2
	s_wait_dscnt 0x0
	v_cmp_o_f64_e32 vcc_lo, v[12:13], v[12:13]
	v_ashrrev_i32_e32 v5, 31, v13
	v_or_b32_e32 v14, 0x80000000, v5
	s_delay_alu instid0(VALU_DEP_1) | instskip(NEXT) | instid1(VALU_DEP_1)
	v_xor_b32_e32 v14, v14, v13
	v_dual_cndmask_b32 v13, -1, v14, vcc_lo :: v_dual_bitop2_b32 v5, v5, v12 bitop3:0x14
	s_delay_alu instid0(VALU_DEP_1) | instskip(NEXT) | instid1(VALU_DEP_1)
	v_dual_cndmask_b32 v12, -1, v5, vcc_lo :: v_dual_bitop2_b32 v15, v13, v31 bitop3:0x40
	v_lshrrev_b64 v[44:45], s82, v[12:13]
	v_and_b32_e32 v14, v12, v30
	s_delay_alu instid0(VALU_DEP_1) | instskip(NEXT) | instid1(VALU_DEP_3)
	v_cmp_eq_u64_e32 vcc_lo, v[14:15], v[26:27]
	v_and_b32_e32 v22, 3, v44
	s_delay_alu instid0(VALU_DEP_1) | instskip(SKIP_4) | instid1(SALU_CYCLE_1)
	v_cmp_eq_u64_e64 s11, 0, v[22:23]
	v_cmp_eq_u64_e64 s12, 1, v[22:23]
	v_cmp_eq_u64_e64 s13, 2, v[22:23]
	v_cmp_eq_u64_e64 s14, 3, v[22:23]
	s_and_b32 s11, vcc_lo, s11
	v_cndmask_b32_e64 v5, 0, 1, s11
	s_and_b32 s11, vcc_lo, s12
	s_delay_alu instid0(SALU_CYCLE_1) | instskip(SKIP_1) | instid1(SALU_CYCLE_1)
	v_cndmask_b32_e64 v12, 0, 1, s11
	s_and_b32 s11, vcc_lo, s13
	v_cndmask_b32_e64 v13, 0, 1, s11
	s_and_b32 s11, vcc_lo, s14
	v_cmp_ne_u32_e32 vcc_lo, 0, v5
	v_cndmask_b32_e64 v14, 0, 1, s11
	v_cmp_ne_u32_e64 s11, 0, v12
	v_cmp_ne_u32_e64 s12, 0, v13
	s_bcnt1_i32_b32 s14, vcc_lo
	v_cmp_ne_u32_e64 s13, 0, v14
	s_bcnt1_i32_b32 s11, s11
	s_bcnt1_i32_b32 s12, s12
	v_dual_add_nc_u32 v9, s11, v9 :: v_dual_add_nc_u32 v8, s14, v8
	v_add_nc_u32_e32 v10, s12, v10
	s_bcnt1_i32_b32 s13, s13
	s_or_b32 s16, s10, s16
	v_add_nc_u32_e32 v11, s13, v11
	s_and_not1_b32 exec_lo, exec_lo, s16
	s_cbranch_execnz .LBB72_63
; %bb.64:                               ;   in Loop: Header=BB72_6 Depth=1
	s_or_b32 exec_lo, exec_lo, s16
.LBB72_65:                              ;   in Loop: Header=BB72_6 Depth=1
	s_delay_alu instid0(SALU_CYCLE_1)
	s_or_b32 exec_lo, exec_lo, s15
	s_lshl_b32 s12, s85, 7
	s_and_saveexec_b32 s10, s2
	s_cbranch_execnz .LBB72_36
	s_branch .LBB72_37
.LBB72_66:                              ;   in Loop: Header=BB72_6 Depth=1
	v_mov_b32_e32 v4, 0
	s_mov_b32 s10, 0
	s_cbranch_execz .LBB72_69
.LBB72_67:                              ;   in Loop: Header=BB72_6 Depth=1
	s_lshl_b32 s11, s85, 9
	s_lshl_b32 s14, s10, 4
	s_sub_co_i32 s10, s46, s10
	v_add3_u32 v5, s11, s14, v41
.LBB72_68:                              ;   Parent Loop BB72_6 Depth=1
                                        ; =>  This Inner Loop Header: Depth=2
	ds_load_b32 v8, v5
	v_add_nc_u32_e32 v5, 16, v5
	s_add_co_i32 s10, s10, -1
	s_delay_alu instid0(SALU_CYCLE_1)
	s_cmp_eq_u32 s10, 0
	s_wait_dscnt 0x0
	v_add_nc_u32_e32 v4, v8, v4
	s_cbranch_scc0 .LBB72_68
.LBB72_69:                              ;   in Loop: Header=BB72_6 Depth=1
	s_delay_alu instid0(VALU_DEP_1)
	v_lshlrev_b32_e32 v2, 2, v2
	ds_store_b32 v2, v4 offset:3072
.LBB72_70:                              ;   in Loop: Header=BB72_6 Depth=1
	s_or_b32 exec_lo, exec_lo, s13
	s_lshl_b32 s10, s12, 2
	s_wait_dscnt 0x0
	v_mov_b32_e32 v2, s10
	s_barrier_signal -1
	s_barrier_wait -1
	v_cmp_eq_u32_e64 s10, 1, v42
	ds_load_b128 v[8:11], v2 offset:3072
	s_lshl_b64 s[12:13], 3, s82
	s_mov_b32 s24, -1
	s_not_b64 s[14:15], s[12:13]
	s_mov_b32 s16, 0
	s_and_not1_b32 vcc_lo, exec_lo, s65
	s_mov_b32 s21, 0
	s_mov_b32 s11, 0
                                        ; implicit-def: $sgpr22
                                        ; implicit-def: $sgpr23
                                        ; implicit-def: $vgpr43
                                        ; implicit-def: $vgpr22
                                        ; implicit-def: $vgpr14_vgpr15
                                        ; implicit-def: $vgpr12_vgpr13
	s_wait_dscnt 0x0
	v_readfirstlane_b32 s17, v8
	v_readfirstlane_b32 s18, v9
	v_readfirstlane_b32 s19, v10
	v_readfirstlane_b32 s20, v11
                                        ; implicit-def: $vgpr10_vgpr11
	s_cbranch_vccnz .LBB72_240
; %bb.71:                               ;   in Loop: Header=BB72_6 Depth=1
	v_mov_b64_e32 v[14:15], v[26:27]
	v_mov_b64_e32 v[12:13], v[30:31]
	;; [unrolled: 1-line block ×3, first 2 shown]
	s_cmp_eq_u32 s17, 1
	s_mov_b32 s27, -1
	s_cselect_b32 s11, -1, 0
                                        ; implicit-def: $sgpr23
                                        ; implicit-def: $sgpr22
	s_delay_alu instid0(SALU_CYCLE_1) | instskip(NEXT) | instid1(SALU_CYCLE_1)
	s_and_b32 s26, s11, s10
	s_and_saveexec_b32 s11, s26
	s_cbranch_execz .LBB72_103
; %bb.72:                               ;   in Loop: Header=BB72_6 Depth=1
	ds_load_b32 v2, v23 offset:4096
	s_wait_dscnt 0x0
	s_barrier_signal -1
	s_barrier_wait -1
	v_readfirstlane_b32 s24, v2
	s_and_saveexec_b32 s21, s6
; %bb.73:                               ;   in Loop: Header=BB72_6 Depth=1
	ds_store_b64 v32, v[28:29]
; %bb.74:                               ;   in Loop: Header=BB72_6 Depth=1
	s_or_b32 exec_lo, exec_lo, s21
	v_and_b32_e32 v15, s15, v27
	v_and_b32_e32 v14, s14, v26
	v_or_b32_e32 v13, s13, v31
	v_or_b32_e32 v12, s12, v30
	s_mov_b32 s22, -1
	s_mov_b32 s23, 0
	s_cmp_eq_u32 s24, 0
	s_mov_b32 s21, 0
	s_mov_b32 s25, -1
	s_wait_dscnt 0x0
	s_barrier_signal -1
	s_barrier_wait -1
                                        ; implicit-def: $vgpr10_vgpr11
	s_cbranch_scc1 .LBB72_89
; %bb.75:                               ;   in Loop: Header=BB72_6 Depth=1
	s_add_co_i32 s50, s24, s70
	s_mov_b32 s27, exec_lo
	s_mul_u64 s[28:29], s[50:51], s[54:55]
                                        ; implicit-def: $vgpr10_vgpr11
	s_delay_alu instid0(SALU_CYCLE_1) | instskip(NEXT) | instid1(SALU_CYCLE_1)
	s_mul_i32 s21, s29, s33
	s_sub_co_i32 s21, s50, s21
	s_delay_alu instid0(SALU_CYCLE_1) | instskip(SKIP_2) | instid1(SALU_CYCLE_1)
	s_sub_co_i32 s25, s21, s33
	s_cmp_ge_u32 s21, s33
	s_cselect_b32 s21, s25, s21
	s_sub_co_i32 s25, s21, s33
	s_cmp_ge_u32 s21, s33
	s_cselect_b32 s21, s25, s21
	s_mov_b32 s25, 0
	s_sub_co_i32 s28, s50, s21
	s_mov_b32 s21, 0
	v_cmpx_gt_u32_e64 s28, v0
	s_cbranch_execz .LBB72_88
; %bb.76:                               ;   in Loop: Header=BB72_6 Depth=1
	v_dual_mov_b32 v22, v21 :: v_dual_mov_b32 v43, v0
                                        ; implicit-def: $sgpr29
	s_branch .LBB72_80
.LBB72_77:                              ;   in Loop: Header=BB72_80 Depth=2
	s_or_b32 exec_lo, exec_lo, s50
	s_wait_dscnt 0x0
	s_barrier_signal -1
	s_barrier_wait -1
	ds_load_b128 v[8:11], v23 offset:3072
	s_wait_dscnt 0x0
	s_barrier_signal -1
	s_barrier_wait -1
	v_cmp_neq_f64_e32 vcc_lo, 0, v[8:9]
	s_cbranch_vccnz .LBB72_83
; %bb.78:                               ;   in Loop: Header=BB72_80 Depth=2
	v_dual_add_nc_u32 v43, s33, v43 :: v_dual_add_nc_u32 v22, s81, v22
	s_mov_b32 s50, 0
	s_delay_alu instid0(VALU_DEP_1)
	v_cmp_le_u32_e32 vcc_lo, s28, v43
	s_or_not1_b32 s58, vcc_lo, exec_lo
.LBB72_79:                              ;   in Loop: Header=BB72_80 Depth=2
	s_delay_alu instid0(SALU_CYCLE_1) | instskip(NEXT) | instid1(SALU_CYCLE_1)
	s_and_b32 s58, exec_lo, s58
	s_or_b32 s21, s58, s21
	s_and_not1_b32 s29, s29, exec_lo
	s_and_b32 s50, s50, exec_lo
	s_delay_alu instid0(SALU_CYCLE_1)
	s_or_b32 s29, s29, s50
	s_and_not1_b32 exec_lo, exec_lo, s21
	s_cbranch_execz .LBB72_87
.LBB72_80:                              ;   Parent Loop BB72_6 Depth=1
                                        ; =>  This Inner Loop Header: Depth=2
	s_mov_b32 s50, exec_lo
	s_delay_alu instid0(VALU_DEP_1)
	v_cmpx_gt_u32_e64 s24, v43
	s_cbranch_execz .LBB72_77
; %bb.81:                               ;   in Loop: Header=BB72_80 Depth=2
	ds_load_b64 v[4:5], v22
	s_wait_dscnt 0x0
	v_cmp_o_f64_e32 vcc_lo, v[4:5], v[4:5]
	v_ashrrev_i32_e32 v2, 31, v5
	s_delay_alu instid0(VALU_DEP_1) | instskip(NEXT) | instid1(VALU_DEP_1)
	v_or_b32_e32 v8, 0x80000000, v2
	v_xor_b32_e32 v8, v8, v5
	v_xor_b32_e32 v2, v2, v4
	s_delay_alu instid0(VALU_DEP_1) | instskip(NEXT) | instid1(VALU_DEP_1)
	v_dual_cndmask_b32 v8, -1, v8, vcc_lo :: v_dual_cndmask_b32 v2, -1, v2, vcc_lo
	v_and_b32_e32 v9, v8, v13
	s_delay_alu instid0(VALU_DEP_2) | instskip(NEXT) | instid1(VALU_DEP_1)
	v_and_b32_e32 v8, v2, v12
	v_cmp_eq_u64_e32 vcc_lo, v[8:9], v[14:15]
	s_and_b32 exec_lo, exec_lo, vcc_lo
	s_cbranch_execz .LBB72_77
; %bb.82:                               ;   in Loop: Header=BB72_80 Depth=2
	v_mov_b32_e32 v2, v23
	ds_store_b128 v23, v[2:5] offset:3072
	s_branch .LBB72_77
.LBB72_83:                              ;   in Loop: Header=BB72_80 Depth=2
	s_mov_b32 s58, -1
	s_mov_b32 s50, -1
                                        ; implicit-def: $vgpr43
                                        ; implicit-def: $vgpr22
	s_branch .LBB72_79
.LBB72_84:                              ;   in Loop: Header=BB72_6 Depth=1
	s_or_b32 exec_lo, exec_lo, s13
	s_wait_dscnt 0x0
	s_barrier_signal -1
	s_barrier_wait -1
	s_and_saveexec_b32 s10, s5
	s_cbranch_execz .LBB72_86
; %bb.85:                               ;   in Loop: Header=BB72_6 Depth=1
	ds_load_b32 v2, v23 offset:4104
	s_wait_dscnt 0x0
	ds_store_b32 v23, v2 offset:4096
.LBB72_86:                              ;   in Loop: Header=BB72_6 Depth=1
	s_or_b32 exec_lo, exec_lo, s10
	s_wait_dscnt 0x0
	s_barrier_signal -1
	s_mov_b32 s10, -1
	s_barrier_wait -1
	s_and_b32 vcc_lo, exec_lo, s12
	s_cbranch_vccnz .LBB72_22
	s_branch .LBB72_31
.LBB72_87:                              ;   in Loop: Header=BB72_6 Depth=1
	s_or_b32 exec_lo, exec_lo, s21
	s_delay_alu instid0(SALU_CYCLE_1)
	s_and_b32 s21, s29, exec_lo
.LBB72_88:                              ;   in Loop: Header=BB72_6 Depth=1
	s_or_b32 exec_lo, exec_lo, s27
.LBB72_89:                              ;   in Loop: Header=BB72_6 Depth=1
	s_delay_alu instid0(SALU_CYCLE_1)
	s_and_b32 vcc_lo, exec_lo, s25
	s_cbranch_vccz .LBB72_102
; %bb.90:                               ;   in Loop: Header=BB72_6 Depth=1
                                        ; implicit-def: $vgpr10_vgpr11
	s_and_saveexec_b32 s22, s9
	s_cbranch_execz .LBB72_101
; %bb.91:                               ;   in Loop: Header=BB72_6 Depth=1
	v_dual_mov_b32 v22, v20 :: v_dual_mov_b32 v43, v0
	s_mov_b32 s24, 0
                                        ; implicit-def: $sgpr23
	s_branch .LBB72_95
.LBB72_92:                              ;   in Loop: Header=BB72_95 Depth=2
	s_or_b32 exec_lo, exec_lo, s25
	s_wait_dscnt 0x0
	s_barrier_signal -1
	s_barrier_wait -1
	ds_load_b128 v[8:11], v23 offset:3072
	s_wait_dscnt 0x0
	s_barrier_signal -1
	s_barrier_wait -1
	v_cmp_neq_f64_e32 vcc_lo, 0, v[8:9]
	s_cbranch_vccnz .LBB72_98
; %bb.93:                               ;   in Loop: Header=BB72_95 Depth=2
	v_dual_add_nc_u32 v43, s33, v43 :: v_dual_add_nc_u32 v22, s35, v22
	s_mov_b32 s25, 0
	s_delay_alu instid0(VALU_DEP_1)
	v_cmp_le_u32_e32 vcc_lo, s78, v43
	s_or_not1_b32 s27, vcc_lo, exec_lo
.LBB72_94:                              ;   in Loop: Header=BB72_95 Depth=2
	s_delay_alu instid0(SALU_CYCLE_1) | instskip(NEXT) | instid1(SALU_CYCLE_1)
	s_and_b32 s27, exec_lo, s27
	s_or_b32 s24, s27, s24
	s_and_not1_b32 s23, s23, exec_lo
	s_and_b32 s25, s25, exec_lo
	s_delay_alu instid0(SALU_CYCLE_1)
	s_or_b32 s23, s23, s25
	s_and_not1_b32 exec_lo, exec_lo, s24
	s_cbranch_execz .LBB72_100
.LBB72_95:                              ;   Parent Loop BB72_6 Depth=1
                                        ; =>  This Inner Loop Header: Depth=2
	s_mov_b32 s25, exec_lo
	s_delay_alu instid0(VALU_DEP_1)
	v_cmpx_gt_u32_e64 s36, v43
	s_cbranch_execz .LBB72_92
; %bb.96:                               ;   in Loop: Header=BB72_95 Depth=2
	global_load_b64 v[4:5], v22, s[30:31] scale_offset
	s_wait_loadcnt 0x0
	v_cmp_o_f64_e32 vcc_lo, v[4:5], v[4:5]
	v_ashrrev_i32_e32 v2, 31, v5
	s_delay_alu instid0(VALU_DEP_1) | instskip(NEXT) | instid1(VALU_DEP_1)
	v_or_b32_e32 v8, 0x80000000, v2
	v_xor_b32_e32 v8, v8, v5
	v_xor_b32_e32 v2, v2, v4
	s_delay_alu instid0(VALU_DEP_1) | instskip(NEXT) | instid1(VALU_DEP_1)
	v_dual_cndmask_b32 v8, -1, v8, vcc_lo :: v_dual_cndmask_b32 v2, -1, v2, vcc_lo
	v_and_b32_e32 v9, v8, v13
	s_delay_alu instid0(VALU_DEP_2) | instskip(NEXT) | instid1(VALU_DEP_1)
	v_and_b32_e32 v8, v2, v12
	v_cmp_eq_u64_e32 vcc_lo, v[8:9], v[14:15]
	s_and_b32 exec_lo, exec_lo, vcc_lo
	s_cbranch_execz .LBB72_92
; %bb.97:                               ;   in Loop: Header=BB72_95 Depth=2
	v_mov_b32_e32 v2, v23
	ds_store_b128 v23, v[2:5] offset:3072
	s_branch .LBB72_92
.LBB72_98:                              ;   in Loop: Header=BB72_95 Depth=2
	s_mov_b32 s27, -1
	s_mov_b32 s25, -1
                                        ; implicit-def: $vgpr43
                                        ; implicit-def: $vgpr22
	s_branch .LBB72_94
.LBB72_99:                              ;   in Loop: Header=BB72_6 Depth=1
	s_mov_b64 s[10:11], 0x100000000
	v_mov_b64_e32 v[4:5], 0
	s_and_not1_b32 vcc_lo, exec_lo, s75
	s_mov_b32 s14, s72
	s_cbranch_vccz .LBB72_44
	s_branch .LBB72_45
.LBB72_100:                             ;   in Loop: Header=BB72_6 Depth=1
	s_or_b32 exec_lo, exec_lo, s24
	s_delay_alu instid0(SALU_CYCLE_1) | instskip(SKIP_1) | instid1(SALU_CYCLE_1)
	s_and_not1_b32 s21, s21, exec_lo
	s_and_b32 s23, s23, exec_lo
	s_or_b32 s21, s21, s23
.LBB72_101:                             ;   in Loop: Header=BB72_6 Depth=1
	s_or_b32 exec_lo, exec_lo, s22
	s_mov_b32 s22, 0
	s_mov_b32 s23, -1
.LBB72_102:                             ;   in Loop: Header=BB72_6 Depth=1
	s_or_not1_b32 s27, s21, exec_lo
.LBB72_103:                             ;   in Loop: Header=BB72_6 Depth=1
	s_or_b32 exec_lo, exec_lo, s11
	s_mov_b32 s24, 0
	s_mov_b32 s21, 0
	;; [unrolled: 1-line block ×3, first 2 shown]
                                        ; implicit-def: $vgpr43
                                        ; implicit-def: $vgpr22
	s_and_saveexec_b32 s25, s27
	s_cbranch_execz .LBB72_239
; %bb.104:                              ;   in Loop: Header=BB72_6 Depth=1
	v_dual_mov_b32 v43, 1 :: v_dual_mov_b32 v22, 1
	s_xor_b32 s21, s26, -1
	s_mov_b32 s28, 0
	s_and_saveexec_b32 s11, s21
	s_cbranch_execz .LBB72_113
; %bb.105:                              ;   in Loop: Header=BB72_6 Depth=1
	s_mov_b32 s21, exec_lo
	v_cmpx_ge_u32_e64 s17, v42
	s_xor_b32 s21, exec_lo, s21
	s_cbranch_execz .LBB72_110
; %bb.106:                              ;   in Loop: Header=BB72_6 Depth=1
	ds_load_b32 v2, v23 offset:4096
	v_and_b32_e32 v15, s15, v15
	v_and_b32_e32 v14, s14, v14
	v_or_b32_e32 v13, s13, v13
	v_or_b32_e32 v12, s12, v12
	s_wait_dscnt 0x0
	v_cmp_ne_u32_e32 vcc_lo, 0, v2
	s_cbranch_vccnz .LBB72_110
; %bb.107:                              ;   in Loop: Header=BB72_6 Depth=1
	s_and_saveexec_b32 s26, s5
; %bb.108:                              ;   in Loop: Header=BB72_6 Depth=1
	v_mov_b32_e32 v2, s17
	ds_store_b32 v23, v2 offset:4100
; %bb.109:                              ;   in Loop: Header=BB72_6 Depth=1
	s_or_b32 exec_lo, exec_lo, s26
	s_wait_dscnt 0x0
	s_barrier_signal -1
	s_barrier_wait -1
.LBB72_110:                             ;   in Loop: Header=BB72_6 Depth=1
	s_or_saveexec_b32 s21, s21
	v_dual_mov_b32 v22, 8 :: v_dual_mov_b32 v43, v42
	s_mov_b32 s26, 0
	s_xor_b32 exec_lo, exec_lo, s21
; %bb.111:                              ;   in Loop: Header=BB72_6 Depth=1
	v_subrev_nc_u32_e32 v43, s17, v42
	v_mov_b32_e32 v22, 0
	s_mov_b32 s26, exec_lo
; %bb.112:                              ;   in Loop: Header=BB72_6 Depth=1
	s_or_b32 exec_lo, exec_lo, s21
	s_delay_alu instid0(SALU_CYCLE_1)
	s_and_b32 s28, s26, exec_lo
.LBB72_113:                             ;   in Loop: Header=BB72_6 Depth=1
	s_or_b32 exec_lo, exec_lo, s11
	s_mov_b32 s27, -1
                                        ; implicit-def: $sgpr21
                                        ; implicit-def: $sgpr26
	s_and_saveexec_b32 s11, s28
	s_delay_alu instid0(SALU_CYCLE_1)
	s_xor_b32 s11, exec_lo, s11
	s_cbranch_execz .LBB72_236
; %bb.114:                              ;   in Loop: Header=BB72_6 Depth=1
	v_cmp_eq_u32_e32 vcc_lo, 1, v43
	s_cmp_eq_u32 s18, 1
	s_mov_b32 s29, -1
	s_cselect_b32 s21, -1, 0
                                        ; implicit-def: $sgpr26
	s_delay_alu instid0(SALU_CYCLE_1) | instskip(NEXT) | instid1(SALU_CYCLE_1)
	s_and_b32 s28, s21, vcc_lo
                                        ; implicit-def: $sgpr21
	s_and_saveexec_b32 s27, s28
	s_cbranch_execz .LBB72_142
; %bb.115:                              ;   in Loop: Header=BB72_6 Depth=1
	ds_load_b32 v2, v23 offset:4096
	s_wait_dscnt 0x0
	s_barrier_signal -1
	s_barrier_wait -1
	v_readfirstlane_b32 s58, v2
	s_and_saveexec_b32 s21, s6
; %bb.116:                              ;   in Loop: Header=BB72_6 Depth=1
	ds_store_b64 v32, v[28:29]
; %bb.117:                              ;   in Loop: Header=BB72_6 Depth=1
	s_or_b32 exec_lo, exec_lo, s21
	v_and_b32_e32 v2, s15, v15
	v_and_b32_e32 v4, s14, v14
	s_lshl_b64 s[60:61], 1, s82
	v_or_b32_e32 v13, s13, v13
	v_or_b32_e32 v12, s12, v12
	;; [unrolled: 1-line block ×4, first 2 shown]
	s_mov_b32 s21, -1
	s_mov_b32 s26, 0
	s_cmp_eq_u32 s58, 0
	s_mov_b32 s29, 0
	s_mov_b32 s50, -1
	s_wait_dscnt 0x0
	s_barrier_signal -1
	s_barrier_wait -1
                                        ; implicit-def: $vgpr10_vgpr11
	s_cbranch_scc1 .LBB72_129
; %bb.118:                              ;   in Loop: Header=BB72_6 Depth=1
	s_add_co_i32 s50, s58, s70
                                        ; implicit-def: $vgpr10_vgpr11
	s_delay_alu instid0(SALU_CYCLE_1) | instskip(NEXT) | instid1(SALU_CYCLE_1)
	s_mul_u64 s[60:61], s[50:51], s[54:55]
	s_mul_i32 s29, s61, s33
	s_delay_alu instid0(SALU_CYCLE_1) | instskip(NEXT) | instid1(SALU_CYCLE_1)
	s_sub_co_i32 s29, s50, s29
	s_sub_co_i32 s59, s29, s33
	s_cmp_ge_u32 s29, s33
	s_cselect_b32 s29, s59, s29
	s_delay_alu instid0(SALU_CYCLE_1)
	s_sub_co_i32 s59, s29, s33
	s_cmp_ge_u32 s29, s33
	s_cselect_b32 s29, s59, s29
	s_mov_b32 s59, exec_lo
	s_sub_co_i32 s60, s50, s29
	s_mov_b32 s50, 0
	s_mov_b32 s29, 0
	v_cmpx_gt_u32_e64 s60, v0
	s_cbranch_execz .LBB72_128
; %bb.119:                              ;   in Loop: Header=BB72_6 Depth=1
	v_dual_mov_b32 v44, v21 :: v_dual_mov_b32 v45, v0
                                        ; implicit-def: $sgpr61
	s_branch .LBB72_123
.LBB72_120:                             ;   in Loop: Header=BB72_123 Depth=2
	s_or_b32 exec_lo, exec_lo, s95
	s_wait_dscnt 0x0
	s_barrier_signal -1
	s_barrier_wait -1
	ds_load_b128 v[8:11], v23 offset:3072
	s_wait_dscnt 0x0
	s_barrier_signal -1
	s_barrier_wait -1
	v_cmp_neq_f64_e32 vcc_lo, 0, v[8:9]
	s_cbranch_vccnz .LBB72_126
; %bb.121:                              ;   in Loop: Header=BB72_123 Depth=2
	v_dual_add_nc_u32 v45, s33, v45 :: v_dual_add_nc_u32 v44, s81, v44
	s_mov_b32 s95, 0
	s_delay_alu instid0(VALU_DEP_1)
	v_cmp_le_u32_e32 vcc_lo, s60, v45
	s_or_not1_b32 s96, vcc_lo, exec_lo
.LBB72_122:                             ;   in Loop: Header=BB72_123 Depth=2
	s_delay_alu instid0(SALU_CYCLE_1) | instskip(NEXT) | instid1(SALU_CYCLE_1)
	s_and_b32 s96, exec_lo, s96
	s_or_b32 s29, s96, s29
	s_and_not1_b32 s61, s61, exec_lo
	s_and_b32 s95, s95, exec_lo
	s_delay_alu instid0(SALU_CYCLE_1)
	s_or_b32 s61, s61, s95
	s_and_not1_b32 exec_lo, exec_lo, s29
	s_cbranch_execz .LBB72_127
.LBB72_123:                             ;   Parent Loop BB72_6 Depth=1
                                        ; =>  This Inner Loop Header: Depth=2
	s_mov_b32 s95, exec_lo
	s_delay_alu instid0(VALU_DEP_1)
	v_cmpx_gt_u32_e64 s58, v45
	s_cbranch_execz .LBB72_120
; %bb.124:                              ;   in Loop: Header=BB72_123 Depth=2
	ds_load_b64 v[4:5], v44
	s_wait_dscnt 0x0
	v_cmp_o_f64_e32 vcc_lo, v[4:5], v[4:5]
	v_ashrrev_i32_e32 v2, 31, v5
	s_delay_alu instid0(VALU_DEP_1) | instskip(NEXT) | instid1(VALU_DEP_1)
	v_or_b32_e32 v8, 0x80000000, v2
	v_xor_b32_e32 v8, v8, v5
	v_xor_b32_e32 v2, v2, v4
	s_delay_alu instid0(VALU_DEP_1) | instskip(NEXT) | instid1(VALU_DEP_1)
	v_dual_cndmask_b32 v8, -1, v8, vcc_lo :: v_dual_cndmask_b32 v2, -1, v2, vcc_lo
	v_and_b32_e32 v9, v8, v13
	s_delay_alu instid0(VALU_DEP_2) | instskip(NEXT) | instid1(VALU_DEP_1)
	v_and_b32_e32 v8, v2, v12
	v_cmp_eq_u64_e32 vcc_lo, v[8:9], v[14:15]
	s_and_b32 exec_lo, exec_lo, vcc_lo
	s_cbranch_execz .LBB72_120
; %bb.125:                              ;   in Loop: Header=BB72_123 Depth=2
	v_mov_b32_e32 v2, v23
	ds_store_b128 v23, v[2:5] offset:3072
	s_branch .LBB72_120
.LBB72_126:                             ;   in Loop: Header=BB72_123 Depth=2
	s_mov_b32 s96, -1
	s_mov_b32 s95, -1
                                        ; implicit-def: $vgpr45
                                        ; implicit-def: $vgpr44
	s_branch .LBB72_122
.LBB72_127:                             ;   in Loop: Header=BB72_6 Depth=1
	s_or_b32 exec_lo, exec_lo, s29
	s_delay_alu instid0(SALU_CYCLE_1)
	s_and_b32 s29, s61, exec_lo
.LBB72_128:                             ;   in Loop: Header=BB72_6 Depth=1
	s_or_b32 exec_lo, exec_lo, s59
.LBB72_129:                             ;   in Loop: Header=BB72_6 Depth=1
	s_delay_alu instid0(SALU_CYCLE_1)
	s_and_b32 vcc_lo, exec_lo, s50
	s_cbranch_vccz .LBB72_141
; %bb.130:                              ;   in Loop: Header=BB72_6 Depth=1
                                        ; implicit-def: $vgpr10_vgpr11
	s_and_saveexec_b32 s21, s9
	s_cbranch_execz .LBB72_140
; %bb.131:                              ;   in Loop: Header=BB72_6 Depth=1
	v_dual_mov_b32 v44, v20 :: v_dual_mov_b32 v45, v0
	s_mov_b32 s26, 0
                                        ; implicit-def: $sgpr50
	s_branch .LBB72_135
.LBB72_132:                             ;   in Loop: Header=BB72_135 Depth=2
	s_or_b32 exec_lo, exec_lo, s58
	s_wait_dscnt 0x0
	s_barrier_signal -1
	s_barrier_wait -1
	ds_load_b128 v[8:11], v23 offset:3072
	s_wait_dscnt 0x0
	s_barrier_signal -1
	s_barrier_wait -1
	v_cmp_eq_f64_e32 vcc_lo, 0, v[8:9]
	s_cbranch_vccz .LBB72_138
; %bb.133:                              ;   in Loop: Header=BB72_135 Depth=2
	v_dual_add_nc_u32 v45, s33, v45 :: v_dual_add_nc_u32 v44, s35, v44
	s_mov_b32 s58, 0
	s_delay_alu instid0(VALU_DEP_1)
	v_cmp_le_u32_e32 vcc_lo, s78, v45
	s_or_not1_b32 s59, vcc_lo, exec_lo
.LBB72_134:                             ;   in Loop: Header=BB72_135 Depth=2
	s_delay_alu instid0(SALU_CYCLE_1) | instskip(NEXT) | instid1(SALU_CYCLE_1)
	s_and_b32 s59, exec_lo, s59
	s_or_b32 s26, s59, s26
	s_and_not1_b32 s50, s50, exec_lo
	s_and_b32 s58, s58, exec_lo
	s_delay_alu instid0(SALU_CYCLE_1)
	s_or_b32 s50, s50, s58
	s_and_not1_b32 exec_lo, exec_lo, s26
	s_cbranch_execz .LBB72_139
.LBB72_135:                             ;   Parent Loop BB72_6 Depth=1
                                        ; =>  This Inner Loop Header: Depth=2
	s_mov_b32 s58, exec_lo
	s_delay_alu instid0(VALU_DEP_1)
	v_cmpx_gt_u32_e64 s36, v45
	s_cbranch_execz .LBB72_132
; %bb.136:                              ;   in Loop: Header=BB72_135 Depth=2
	global_load_b64 v[4:5], v44, s[30:31] scale_offset
	s_wait_loadcnt 0x0
	v_cmp_o_f64_e32 vcc_lo, v[4:5], v[4:5]
	v_ashrrev_i32_e32 v2, 31, v5
	s_delay_alu instid0(VALU_DEP_1) | instskip(NEXT) | instid1(VALU_DEP_1)
	v_or_b32_e32 v8, 0x80000000, v2
	v_xor_b32_e32 v8, v8, v5
	v_xor_b32_e32 v2, v2, v4
	s_delay_alu instid0(VALU_DEP_1) | instskip(NEXT) | instid1(VALU_DEP_1)
	v_dual_cndmask_b32 v8, -1, v8, vcc_lo :: v_dual_cndmask_b32 v2, -1, v2, vcc_lo
	v_and_b32_e32 v9, v8, v13
	s_delay_alu instid0(VALU_DEP_2) | instskip(NEXT) | instid1(VALU_DEP_1)
	v_and_b32_e32 v8, v2, v12
	v_cmp_eq_u64_e32 vcc_lo, v[8:9], v[14:15]
	s_and_b32 exec_lo, exec_lo, vcc_lo
	s_cbranch_execz .LBB72_132
; %bb.137:                              ;   in Loop: Header=BB72_135 Depth=2
	v_mov_b32_e32 v2, v23
	ds_store_b128 v23, v[2:5] offset:3072
	s_branch .LBB72_132
.LBB72_138:                             ;   in Loop: Header=BB72_135 Depth=2
	s_mov_b32 s59, -1
	s_mov_b32 s58, -1
                                        ; implicit-def: $vgpr45
                                        ; implicit-def: $vgpr44
	s_branch .LBB72_134
.LBB72_139:                             ;   in Loop: Header=BB72_6 Depth=1
	s_or_b32 exec_lo, exec_lo, s26
	s_delay_alu instid0(SALU_CYCLE_1) | instskip(SKIP_1) | instid1(SALU_CYCLE_1)
	s_and_not1_b32 s26, s29, exec_lo
	s_and_b32 s29, s50, exec_lo
	s_or_b32 s29, s26, s29
.LBB72_140:                             ;   in Loop: Header=BB72_6 Depth=1
	s_or_b32 exec_lo, exec_lo, s21
	s_mov_b32 s21, 0
	s_mov_b32 s26, -1
.LBB72_141:                             ;   in Loop: Header=BB72_6 Depth=1
	s_or_not1_b32 s29, s29, exec_lo
.LBB72_142:                             ;   in Loop: Header=BB72_6 Depth=1
	s_or_b32 exec_lo, exec_lo, s27
	s_mov_b32 s50, 0
	s_and_saveexec_b32 s27, s29
	s_cbranch_execz .LBB72_235
; %bb.143:                              ;   in Loop: Header=BB72_6 Depth=1
	v_dual_mov_b32 v44, 1 :: v_dual_mov_b32 v22, 1
	s_xor_b32 s29, s28, -1
	s_mov_b32 s59, 0
	s_and_saveexec_b32 s28, s29
	s_cbranch_execz .LBB72_152
; %bb.144:                              ;   in Loop: Header=BB72_6 Depth=1
	s_mov_b32 s29, exec_lo
	v_cmpx_ge_u32_e64 s18, v43
	s_xor_b32 s29, exec_lo, s29
	s_cbranch_execz .LBB72_149
; %bb.145:                              ;   in Loop: Header=BB72_6 Depth=1
	ds_load_b32 v2, v23 offset:4096
	v_and_b32_e32 v4, s15, v15
	v_and_b32_e32 v5, s14, v14
	s_lshl_b64 s[58:59], 1, s82
	v_or_b32_e32 v13, s13, v13
	v_or_b32_e32 v12, s12, v12
	v_or_b32_e32 v15, s59, v4
	v_or_b32_e32 v14, s58, v5
	s_wait_dscnt 0x0
	v_cmp_ne_u32_e32 vcc_lo, 0, v2
	s_cbranch_vccnz .LBB72_149
; %bb.146:                              ;   in Loop: Header=BB72_6 Depth=1
	s_and_saveexec_b32 s50, s5
; %bb.147:                              ;   in Loop: Header=BB72_6 Depth=1
	v_mov_b32_e32 v2, s18
	ds_store_b32 v23, v2 offset:4100
; %bb.148:                              ;   in Loop: Header=BB72_6 Depth=1
	s_or_b32 exec_lo, exec_lo, s50
	s_wait_dscnt 0x0
	s_barrier_signal -1
	s_barrier_wait -1
.LBB72_149:                             ;   in Loop: Header=BB72_6 Depth=1
	s_or_saveexec_b32 s29, s29
	v_mov_b32_e32 v22, 8
	s_mov_b32 s50, 0
	s_xor_b32 exec_lo, exec_lo, s29
; %bb.150:                              ;   in Loop: Header=BB72_6 Depth=1
	v_subrev_nc_u32_e32 v43, s18, v43
	v_mov_b32_e32 v22, 0
	s_mov_b32 s50, exec_lo
; %bb.151:                              ;   in Loop: Header=BB72_6 Depth=1
	s_or_b32 exec_lo, exec_lo, s29
	s_delay_alu instid0(VALU_DEP_2)
	v_mov_b32_e32 v44, v43
	s_and_b32 s59, s50, exec_lo
.LBB72_152:                             ;   in Loop: Header=BB72_6 Depth=1
	s_or_b32 exec_lo, exec_lo, s28
	s_mov_b32 s50, -1
                                        ; implicit-def: $sgpr29
                                        ; implicit-def: $sgpr58
	s_and_saveexec_b32 s28, s59
	s_cbranch_execz .LBB72_234
; %bb.153:                              ;   in Loop: Header=BB72_6 Depth=1
	v_cmp_eq_u32_e32 vcc_lo, 1, v44
	s_cmp_eq_u32 s19, 1
                                        ; implicit-def: $sgpr58
	s_cselect_b32 s29, -1, 0
	s_delay_alu instid0(SALU_CYCLE_1) | instskip(NEXT) | instid1(SALU_CYCLE_1)
	s_and_b32 s60, s29, vcc_lo
                                        ; implicit-def: $sgpr29
	s_and_saveexec_b32 s59, s60
	s_cbranch_execz .LBB72_181
; %bb.154:                              ;   in Loop: Header=BB72_6 Depth=1
	ds_load_b32 v2, v23 offset:4096
	s_wait_dscnt 0x0
	s_barrier_signal -1
	s_barrier_wait -1
	v_readfirstlane_b32 s61, v2
	s_and_saveexec_b32 s29, s6
; %bb.155:                              ;   in Loop: Header=BB72_6 Depth=1
	ds_store_b64 v32, v[28:29]
; %bb.156:                              ;   in Loop: Header=BB72_6 Depth=1
	s_or_b32 exec_lo, exec_lo, s29
	v_and_b32_e32 v2, s15, v15
	v_and_b32_e32 v4, s14, v14
	s_lshl_b64 s[96:97], 2, s82
	v_or_b32_e32 v13, s13, v13
	v_or_b32_e32 v12, s12, v12
	;; [unrolled: 1-line block ×4, first 2 shown]
	s_mov_b32 s29, -1
	s_mov_b32 s58, 0
	s_cmp_eq_u32 s61, 0
	s_mov_b32 s50, 0
	s_mov_b32 s95, -1
	s_wait_dscnt 0x0
	s_barrier_signal -1
	s_barrier_wait -1
                                        ; implicit-def: $vgpr10_vgpr11
	s_cbranch_scc1 .LBB72_168
; %bb.157:                              ;   in Loop: Header=BB72_6 Depth=1
	s_add_co_i32 s50, s61, s70
                                        ; implicit-def: $vgpr10_vgpr11
	s_delay_alu instid0(SALU_CYCLE_1) | instskip(NEXT) | instid1(SALU_CYCLE_1)
	s_mul_u64 s[96:97], s[50:51], s[54:55]
	s_mul_i32 s95, s97, s33
	s_delay_alu instid0(SALU_CYCLE_1) | instskip(NEXT) | instid1(SALU_CYCLE_1)
	s_sub_co_i32 s95, s50, s95
	s_sub_co_i32 s96, s95, s33
	s_cmp_ge_u32 s95, s33
	s_cselect_b32 s95, s96, s95
	s_delay_alu instid0(SALU_CYCLE_1)
	s_sub_co_i32 s96, s95, s33
	s_cmp_ge_u32 s95, s33
	s_cselect_b32 s95, s96, s95
	s_mov_b32 s96, exec_lo
	s_sub_co_i32 s97, s50, s95
	s_mov_b32 s95, 0
	s_mov_b32 s50, 0
	v_cmpx_gt_u32_e64 s97, v0
	s_cbranch_execz .LBB72_167
; %bb.158:                              ;   in Loop: Header=BB72_6 Depth=1
	v_dual_mov_b32 v43, v21 :: v_dual_mov_b32 v45, v0
                                        ; implicit-def: $sgpr98
	s_branch .LBB72_162
.LBB72_159:                             ;   in Loop: Header=BB72_162 Depth=2
	s_or_b32 exec_lo, exec_lo, s99
	s_wait_dscnt 0x0
	s_barrier_signal -1
	s_barrier_wait -1
	ds_load_b128 v[8:11], v23 offset:3072
	s_wait_dscnt 0x0
	s_barrier_signal -1
	s_barrier_wait -1
	v_cmp_neq_f64_e32 vcc_lo, 0, v[8:9]
	s_cbranch_vccnz .LBB72_165
; %bb.160:                              ;   in Loop: Header=BB72_162 Depth=2
	v_dual_add_nc_u32 v45, s33, v45 :: v_dual_add_nc_u32 v43, s81, v43
	s_mov_b32 s99, 0
	s_delay_alu instid0(VALU_DEP_1)
	v_cmp_le_u32_e32 vcc_lo, s97, v45
	s_or_not1_b32 s100, vcc_lo, exec_lo
.LBB72_161:                             ;   in Loop: Header=BB72_162 Depth=2
	s_delay_alu instid0(SALU_CYCLE_1) | instskip(NEXT) | instid1(SALU_CYCLE_1)
	s_and_b32 s100, exec_lo, s100
	s_or_b32 s50, s100, s50
	s_and_not1_b32 s98, s98, exec_lo
	s_and_b32 s99, s99, exec_lo
	s_delay_alu instid0(SALU_CYCLE_1)
	s_or_b32 s98, s98, s99
	s_and_not1_b32 exec_lo, exec_lo, s50
	s_cbranch_execz .LBB72_166
.LBB72_162:                             ;   Parent Loop BB72_6 Depth=1
                                        ; =>  This Inner Loop Header: Depth=2
	s_mov_b32 s99, exec_lo
	s_delay_alu instid0(VALU_DEP_1)
	v_cmpx_gt_u32_e64 s61, v45
	s_cbranch_execz .LBB72_159
; %bb.163:                              ;   in Loop: Header=BB72_162 Depth=2
	ds_load_b64 v[4:5], v43
	s_wait_dscnt 0x0
	v_cmp_o_f64_e32 vcc_lo, v[4:5], v[4:5]
	v_ashrrev_i32_e32 v2, 31, v5
	s_delay_alu instid0(VALU_DEP_1) | instskip(NEXT) | instid1(VALU_DEP_1)
	v_or_b32_e32 v8, 0x80000000, v2
	v_xor_b32_e32 v8, v8, v5
	v_xor_b32_e32 v2, v2, v4
	s_delay_alu instid0(VALU_DEP_1) | instskip(NEXT) | instid1(VALU_DEP_1)
	v_dual_cndmask_b32 v8, -1, v8, vcc_lo :: v_dual_cndmask_b32 v2, -1, v2, vcc_lo
	v_and_b32_e32 v9, v8, v13
	s_delay_alu instid0(VALU_DEP_2) | instskip(NEXT) | instid1(VALU_DEP_1)
	v_and_b32_e32 v8, v2, v12
	v_cmp_eq_u64_e32 vcc_lo, v[8:9], v[14:15]
	s_and_b32 exec_lo, exec_lo, vcc_lo
	s_cbranch_execz .LBB72_159
; %bb.164:                              ;   in Loop: Header=BB72_162 Depth=2
	v_mov_b32_e32 v2, v23
	ds_store_b128 v23, v[2:5] offset:3072
	s_branch .LBB72_159
.LBB72_165:                             ;   in Loop: Header=BB72_162 Depth=2
	s_mov_b32 s100, -1
	s_mov_b32 s99, -1
                                        ; implicit-def: $vgpr45
                                        ; implicit-def: $vgpr43
	s_branch .LBB72_161
.LBB72_166:                             ;   in Loop: Header=BB72_6 Depth=1
	s_or_b32 exec_lo, exec_lo, s50
	s_delay_alu instid0(SALU_CYCLE_1)
	s_and_b32 s50, s98, exec_lo
.LBB72_167:                             ;   in Loop: Header=BB72_6 Depth=1
	s_or_b32 exec_lo, exec_lo, s96
.LBB72_168:                             ;   in Loop: Header=BB72_6 Depth=1
	s_delay_alu instid0(SALU_CYCLE_1)
	s_and_b32 vcc_lo, exec_lo, s95
	s_cbranch_vccz .LBB72_180
; %bb.169:                              ;   in Loop: Header=BB72_6 Depth=1
                                        ; implicit-def: $vgpr10_vgpr11
	s_and_saveexec_b32 s29, s9
	s_cbranch_execz .LBB72_179
; %bb.170:                              ;   in Loop: Header=BB72_6 Depth=1
	v_dual_mov_b32 v43, v20 :: v_dual_mov_b32 v45, v0
	s_mov_b32 s58, 0
                                        ; implicit-def: $sgpr61
	s_branch .LBB72_174
.LBB72_171:                             ;   in Loop: Header=BB72_174 Depth=2
	s_or_b32 exec_lo, exec_lo, s95
	s_wait_dscnt 0x0
	s_barrier_signal -1
	s_barrier_wait -1
	ds_load_b128 v[8:11], v23 offset:3072
	s_wait_dscnt 0x0
	s_barrier_signal -1
	s_barrier_wait -1
	v_cmp_eq_f64_e32 vcc_lo, 0, v[8:9]
	s_cbranch_vccz .LBB72_177
; %bb.172:                              ;   in Loop: Header=BB72_174 Depth=2
	v_dual_add_nc_u32 v45, s33, v45 :: v_dual_add_nc_u32 v43, s35, v43
	s_mov_b32 s95, 0
	s_delay_alu instid0(VALU_DEP_1)
	v_cmp_le_u32_e32 vcc_lo, s78, v45
	s_or_not1_b32 s96, vcc_lo, exec_lo
.LBB72_173:                             ;   in Loop: Header=BB72_174 Depth=2
	s_delay_alu instid0(SALU_CYCLE_1) | instskip(NEXT) | instid1(SALU_CYCLE_1)
	s_and_b32 s96, exec_lo, s96
	s_or_b32 s58, s96, s58
	s_and_not1_b32 s61, s61, exec_lo
	s_and_b32 s95, s95, exec_lo
	s_delay_alu instid0(SALU_CYCLE_1)
	s_or_b32 s61, s61, s95
	s_and_not1_b32 exec_lo, exec_lo, s58
	s_cbranch_execz .LBB72_178
.LBB72_174:                             ;   Parent Loop BB72_6 Depth=1
                                        ; =>  This Inner Loop Header: Depth=2
	s_mov_b32 s95, exec_lo
	s_delay_alu instid0(VALU_DEP_1)
	v_cmpx_gt_u32_e64 s36, v45
	s_cbranch_execz .LBB72_171
; %bb.175:                              ;   in Loop: Header=BB72_174 Depth=2
	global_load_b64 v[4:5], v43, s[30:31] scale_offset
	s_wait_loadcnt 0x0
	v_cmp_o_f64_e32 vcc_lo, v[4:5], v[4:5]
	v_ashrrev_i32_e32 v2, 31, v5
	s_delay_alu instid0(VALU_DEP_1) | instskip(NEXT) | instid1(VALU_DEP_1)
	v_or_b32_e32 v8, 0x80000000, v2
	v_xor_b32_e32 v8, v8, v5
	v_xor_b32_e32 v2, v2, v4
	s_delay_alu instid0(VALU_DEP_1) | instskip(NEXT) | instid1(VALU_DEP_1)
	v_dual_cndmask_b32 v8, -1, v8, vcc_lo :: v_dual_cndmask_b32 v2, -1, v2, vcc_lo
	v_and_b32_e32 v9, v8, v13
	s_delay_alu instid0(VALU_DEP_2) | instskip(NEXT) | instid1(VALU_DEP_1)
	v_and_b32_e32 v8, v2, v12
	v_cmp_eq_u64_e32 vcc_lo, v[8:9], v[14:15]
	s_and_b32 exec_lo, exec_lo, vcc_lo
	s_cbranch_execz .LBB72_171
; %bb.176:                              ;   in Loop: Header=BB72_174 Depth=2
	v_mov_b32_e32 v2, v23
	ds_store_b128 v23, v[2:5] offset:3072
	s_branch .LBB72_171
.LBB72_177:                             ;   in Loop: Header=BB72_174 Depth=2
	s_mov_b32 s96, -1
	s_mov_b32 s95, -1
                                        ; implicit-def: $vgpr45
                                        ; implicit-def: $vgpr43
	s_branch .LBB72_173
.LBB72_178:                             ;   in Loop: Header=BB72_6 Depth=1
	s_or_b32 exec_lo, exec_lo, s58
	s_delay_alu instid0(SALU_CYCLE_1) | instskip(SKIP_1) | instid1(SALU_CYCLE_1)
	s_and_not1_b32 s50, s50, exec_lo
	s_and_b32 s58, s61, exec_lo
	s_or_b32 s50, s50, s58
.LBB72_179:                             ;   in Loop: Header=BB72_6 Depth=1
	s_or_b32 exec_lo, exec_lo, s29
	s_mov_b32 s29, 0
	s_mov_b32 s58, -1
.LBB72_180:                             ;   in Loop: Header=BB72_6 Depth=1
	s_or_not1_b32 s50, s50, exec_lo
.LBB72_181:                             ;   in Loop: Header=BB72_6 Depth=1
	s_or_b32 exec_lo, exec_lo, s59
	s_mov_b32 s61, 0
	s_and_saveexec_b32 s59, s50
	s_cbranch_execz .LBB72_233
; %bb.182:                              ;   in Loop: Header=BB72_6 Depth=1
	v_dual_mov_b32 v43, 1 :: v_dual_mov_b32 v22, 1
	s_xor_b32 s60, s60, -1
	s_delay_alu instid0(SALU_CYCLE_1)
	s_and_saveexec_b32 s50, s60
	s_cbranch_execz .LBB72_191
; %bb.183:                              ;   in Loop: Header=BB72_6 Depth=1
	s_mov_b32 s60, exec_lo
	v_cmpx_ge_u32_e64 s19, v44
	s_xor_b32 s60, exec_lo, s60
	s_cbranch_execz .LBB72_188
; %bb.184:                              ;   in Loop: Header=BB72_6 Depth=1
	ds_load_b32 v2, v23 offset:4096
	v_and_b32_e32 v4, s15, v15
	v_and_b32_e32 v5, s14, v14
	s_lshl_b64 s[96:97], 2, s82
	v_or_b32_e32 v13, s13, v13
	v_or_b32_e32 v12, s12, v12
	v_or_b32_e32 v15, s97, v4
	v_or_b32_e32 v14, s96, v5
	s_wait_dscnt 0x0
	v_cmp_ne_u32_e32 vcc_lo, 0, v2
	s_cbranch_vccnz .LBB72_188
; %bb.185:                              ;   in Loop: Header=BB72_6 Depth=1
	s_and_saveexec_b32 s61, s5
; %bb.186:                              ;   in Loop: Header=BB72_6 Depth=1
	v_mov_b32_e32 v2, s19
	ds_store_b32 v23, v2 offset:4100
; %bb.187:                              ;   in Loop: Header=BB72_6 Depth=1
	s_or_b32 exec_lo, exec_lo, s61
	s_wait_dscnt 0x0
	s_barrier_signal -1
	s_barrier_wait -1
.LBB72_188:                             ;   in Loop: Header=BB72_6 Depth=1
	s_or_saveexec_b32 s60, s60
	v_mov_b32_e32 v22, 8
	s_mov_b32 s61, 0
	s_xor_b32 exec_lo, exec_lo, s60
; %bb.189:                              ;   in Loop: Header=BB72_6 Depth=1
	v_subrev_nc_u32_e32 v44, s19, v44
	v_mov_b32_e32 v22, 0
	s_mov_b32 s61, exec_lo
; %bb.190:                              ;   in Loop: Header=BB72_6 Depth=1
	s_or_b32 exec_lo, exec_lo, s60
	s_delay_alu instid0(VALU_DEP_2)
	v_mov_b32_e32 v43, v44
	s_and_b32 s61, s61, exec_lo
.LBB72_191:                             ;   in Loop: Header=BB72_6 Depth=1
	s_or_b32 exec_lo, exec_lo, s50
	s_mov_b32 s50, -1
                                        ; implicit-def: $sgpr96
                                        ; implicit-def: $sgpr95
	s_and_saveexec_b32 s60, s61
	s_cbranch_execz .LBB72_232
; %bb.192:                              ;   in Loop: Header=BB72_6 Depth=1
	v_cmp_eq_u32_e32 vcc_lo, 1, v43
	s_cmp_eq_u32 s20, 1
	s_mov_b32 s98, -1
	s_cselect_b32 s50, -1, 0
                                        ; implicit-def: $sgpr96
                                        ; implicit-def: $sgpr95
	s_delay_alu instid0(SALU_CYCLE_1) | instskip(NEXT) | instid1(SALU_CYCLE_1)
	s_and_b32 s61, s50, vcc_lo
	s_and_saveexec_b32 s97, s61
	s_cbranch_execz .LBB72_220
; %bb.193:                              ;   in Loop: Header=BB72_6 Depth=1
	ds_load_b32 v2, v23 offset:4096
	s_wait_dscnt 0x0
	s_barrier_signal -1
	s_barrier_wait -1
	v_readfirstlane_b32 s98, v2
	s_and_saveexec_b32 s50, s6
; %bb.194:                              ;   in Loop: Header=BB72_6 Depth=1
	ds_store_b64 v32, v[28:29]
; %bb.195:                              ;   in Loop: Header=BB72_6 Depth=1
	s_or_b32 exec_lo, exec_lo, s50
	v_or_b32_e32 v15, s13, v15
	v_or_b32_e32 v14, s12, v14
	v_or_b32_e32 v13, s13, v13
	v_or_b32_e32 v12, s12, v12
	s_mov_b32 s95, -1
	s_mov_b32 s96, 0
	s_cmp_eq_u32 s98, 0
	s_mov_b32 s50, 0
	s_mov_b32 s99, -1
	s_wait_dscnt 0x0
	s_barrier_signal -1
	s_barrier_wait -1
                                        ; implicit-def: $vgpr10_vgpr11
	s_cbranch_scc1 .LBB72_207
; %bb.196:                              ;   in Loop: Header=BB72_6 Depth=1
	s_add_co_i32 s50, s98, s70
                                        ; implicit-def: $vgpr10_vgpr11
	s_delay_alu instid0(SALU_CYCLE_1) | instskip(NEXT) | instid1(SALU_CYCLE_1)
	s_mul_u64 s[100:101], s[50:51], s[54:55]
	s_mul_i32 s99, s101, s33
	s_delay_alu instid0(SALU_CYCLE_1) | instskip(NEXT) | instid1(SALU_CYCLE_1)
	s_sub_co_i32 s99, s50, s99
	s_sub_co_i32 s100, s99, s33
	s_cmp_ge_u32 s99, s33
	s_cselect_b32 s99, s100, s99
	s_delay_alu instid0(SALU_CYCLE_1)
	s_sub_co_i32 s100, s99, s33
	s_cmp_ge_u32 s99, s33
	s_cselect_b32 s99, s100, s99
	s_mov_b32 s100, exec_lo
	s_sub_co_i32 s101, s50, s99
	s_mov_b32 s99, 0
	s_mov_b32 s50, 0
	v_cmpx_gt_u32_e64 s101, v0
	s_cbranch_execz .LBB72_206
; %bb.197:                              ;   in Loop: Header=BB72_6 Depth=1
	v_dual_mov_b32 v44, v21 :: v_dual_mov_b32 v45, v0
                                        ; implicit-def: $sgpr102
	s_branch .LBB72_201
.LBB72_198:                             ;   in Loop: Header=BB72_201 Depth=2
	s_or_b32 exec_lo, exec_lo, s103
	s_wait_dscnt 0x0
	s_barrier_signal -1
	s_barrier_wait -1
	ds_load_b128 v[8:11], v23 offset:3072
	s_wait_dscnt 0x0
	s_barrier_signal -1
	s_barrier_wait -1
	v_cmp_neq_f64_e32 vcc_lo, 0, v[8:9]
	s_cbranch_vccnz .LBB72_204
; %bb.199:                              ;   in Loop: Header=BB72_201 Depth=2
	v_dual_add_nc_u32 v45, s33, v45 :: v_dual_add_nc_u32 v44, s81, v44
	s_mov_b32 s103, 0
	s_delay_alu instid0(VALU_DEP_1)
	v_cmp_le_u32_e32 vcc_lo, s101, v45
	s_or_not1_b32 s104, vcc_lo, exec_lo
.LBB72_200:                             ;   in Loop: Header=BB72_201 Depth=2
	s_delay_alu instid0(SALU_CYCLE_1) | instskip(NEXT) | instid1(SALU_CYCLE_1)
	s_and_b32 s104, exec_lo, s104
	s_or_b32 s50, s104, s50
	s_and_not1_b32 s102, s102, exec_lo
	s_and_b32 s103, s103, exec_lo
	s_delay_alu instid0(SALU_CYCLE_1)
	s_or_b32 s102, s102, s103
	s_and_not1_b32 exec_lo, exec_lo, s50
	s_cbranch_execz .LBB72_205
.LBB72_201:                             ;   Parent Loop BB72_6 Depth=1
                                        ; =>  This Inner Loop Header: Depth=2
	s_mov_b32 s103, exec_lo
	s_delay_alu instid0(VALU_DEP_1)
	v_cmpx_gt_u32_e64 s98, v45
	s_cbranch_execz .LBB72_198
; %bb.202:                              ;   in Loop: Header=BB72_201 Depth=2
	ds_load_b64 v[4:5], v44
	s_wait_dscnt 0x0
	v_cmp_o_f64_e32 vcc_lo, v[4:5], v[4:5]
	v_ashrrev_i32_e32 v2, 31, v5
	s_delay_alu instid0(VALU_DEP_1) | instskip(NEXT) | instid1(VALU_DEP_1)
	v_or_b32_e32 v8, 0x80000000, v2
	v_xor_b32_e32 v8, v8, v5
	v_xor_b32_e32 v2, v2, v4
	s_delay_alu instid0(VALU_DEP_1) | instskip(NEXT) | instid1(VALU_DEP_1)
	v_dual_cndmask_b32 v8, -1, v8, vcc_lo :: v_dual_cndmask_b32 v2, -1, v2, vcc_lo
	v_and_b32_e32 v9, v8, v13
	s_delay_alu instid0(VALU_DEP_2) | instskip(NEXT) | instid1(VALU_DEP_1)
	v_and_b32_e32 v8, v2, v12
	v_cmp_eq_u64_e32 vcc_lo, v[8:9], v[14:15]
	s_and_b32 exec_lo, exec_lo, vcc_lo
	s_cbranch_execz .LBB72_198
; %bb.203:                              ;   in Loop: Header=BB72_201 Depth=2
	v_mov_b32_e32 v2, v23
	ds_store_b128 v23, v[2:5] offset:3072
	s_branch .LBB72_198
.LBB72_204:                             ;   in Loop: Header=BB72_201 Depth=2
	s_mov_b32 s104, -1
	s_mov_b32 s103, -1
                                        ; implicit-def: $vgpr45
                                        ; implicit-def: $vgpr44
	s_branch .LBB72_200
.LBB72_205:                             ;   in Loop: Header=BB72_6 Depth=1
	s_or_b32 exec_lo, exec_lo, s50
	s_delay_alu instid0(SALU_CYCLE_1)
	s_and_b32 s50, s102, exec_lo
.LBB72_206:                             ;   in Loop: Header=BB72_6 Depth=1
	s_or_b32 exec_lo, exec_lo, s100
.LBB72_207:                             ;   in Loop: Header=BB72_6 Depth=1
	s_delay_alu instid0(SALU_CYCLE_1)
	s_and_b32 vcc_lo, exec_lo, s99
	s_cbranch_vccz .LBB72_219
; %bb.208:                              ;   in Loop: Header=BB72_6 Depth=1
                                        ; implicit-def: $vgpr10_vgpr11
	s_and_saveexec_b32 s95, s9
	s_cbranch_execz .LBB72_218
; %bb.209:                              ;   in Loop: Header=BB72_6 Depth=1
	v_dual_mov_b32 v44, v20 :: v_dual_mov_b32 v45, v0
	s_mov_b32 s96, 0
                                        ; implicit-def: $sgpr98
	s_branch .LBB72_213
.LBB72_210:                             ;   in Loop: Header=BB72_213 Depth=2
	s_or_b32 exec_lo, exec_lo, s99
	s_wait_dscnt 0x0
	s_barrier_signal -1
	s_barrier_wait -1
	ds_load_b128 v[8:11], v23 offset:3072
	s_wait_dscnt 0x0
	s_barrier_signal -1
	s_barrier_wait -1
	v_cmp_eq_f64_e32 vcc_lo, 0, v[8:9]
	s_cbranch_vccz .LBB72_216
; %bb.211:                              ;   in Loop: Header=BB72_213 Depth=2
	v_dual_add_nc_u32 v45, s33, v45 :: v_dual_add_nc_u32 v44, s35, v44
	s_mov_b32 s99, 0
	s_delay_alu instid0(VALU_DEP_1)
	v_cmp_le_u32_e32 vcc_lo, s78, v45
	s_or_not1_b32 s100, vcc_lo, exec_lo
.LBB72_212:                             ;   in Loop: Header=BB72_213 Depth=2
	s_delay_alu instid0(SALU_CYCLE_1) | instskip(NEXT) | instid1(SALU_CYCLE_1)
	s_and_b32 s100, exec_lo, s100
	s_or_b32 s96, s100, s96
	s_and_not1_b32 s98, s98, exec_lo
	s_and_b32 s99, s99, exec_lo
	s_delay_alu instid0(SALU_CYCLE_1)
	s_or_b32 s98, s98, s99
	s_and_not1_b32 exec_lo, exec_lo, s96
	s_cbranch_execz .LBB72_217
.LBB72_213:                             ;   Parent Loop BB72_6 Depth=1
                                        ; =>  This Inner Loop Header: Depth=2
	s_mov_b32 s99, exec_lo
	s_delay_alu instid0(VALU_DEP_1)
	v_cmpx_gt_u32_e64 s36, v45
	s_cbranch_execz .LBB72_210
; %bb.214:                              ;   in Loop: Header=BB72_213 Depth=2
	global_load_b64 v[4:5], v44, s[30:31] scale_offset
	s_wait_loadcnt 0x0
	v_cmp_o_f64_e32 vcc_lo, v[4:5], v[4:5]
	v_ashrrev_i32_e32 v2, 31, v5
	s_delay_alu instid0(VALU_DEP_1) | instskip(NEXT) | instid1(VALU_DEP_1)
	v_or_b32_e32 v8, 0x80000000, v2
	v_xor_b32_e32 v8, v8, v5
	v_xor_b32_e32 v2, v2, v4
	s_delay_alu instid0(VALU_DEP_1) | instskip(NEXT) | instid1(VALU_DEP_1)
	v_dual_cndmask_b32 v8, -1, v8, vcc_lo :: v_dual_cndmask_b32 v2, -1, v2, vcc_lo
	v_and_b32_e32 v9, v8, v13
	s_delay_alu instid0(VALU_DEP_2) | instskip(NEXT) | instid1(VALU_DEP_1)
	v_and_b32_e32 v8, v2, v12
	v_cmp_eq_u64_e32 vcc_lo, v[8:9], v[14:15]
	s_and_b32 exec_lo, exec_lo, vcc_lo
	s_cbranch_execz .LBB72_210
; %bb.215:                              ;   in Loop: Header=BB72_213 Depth=2
	v_mov_b32_e32 v2, v23
	ds_store_b128 v23, v[2:5] offset:3072
	s_branch .LBB72_210
.LBB72_216:                             ;   in Loop: Header=BB72_213 Depth=2
	s_mov_b32 s100, -1
	s_mov_b32 s99, -1
                                        ; implicit-def: $vgpr45
                                        ; implicit-def: $vgpr44
	s_branch .LBB72_212
.LBB72_217:                             ;   in Loop: Header=BB72_6 Depth=1
	s_or_b32 exec_lo, exec_lo, s96
	s_delay_alu instid0(SALU_CYCLE_1) | instskip(SKIP_1) | instid1(SALU_CYCLE_1)
	s_and_not1_b32 s50, s50, exec_lo
	s_and_b32 s96, s98, exec_lo
	s_or_b32 s50, s50, s96
.LBB72_218:                             ;   in Loop: Header=BB72_6 Depth=1
	s_or_b32 exec_lo, exec_lo, s95
	s_mov_b32 s95, 0
	s_mov_b32 s96, -1
.LBB72_219:                             ;   in Loop: Header=BB72_6 Depth=1
	s_or_not1_b32 s98, s50, exec_lo
.LBB72_220:                             ;   in Loop: Header=BB72_6 Depth=1
	s_or_b32 exec_lo, exec_lo, s97
	s_mov_b32 s97, 0
	s_and_saveexec_b32 s50, s98
	s_cbranch_execz .LBB72_231
; %bb.221:                              ;   in Loop: Header=BB72_6 Depth=1
	v_dual_mov_b32 v22, 1 :: v_dual_mov_b32 v2, 1
	s_xor_b32 s97, s61, -1
	s_delay_alu instid0(SALU_CYCLE_1)
	s_and_saveexec_b32 s61, s97
	s_cbranch_execz .LBB72_230
; %bb.222:                              ;   in Loop: Header=BB72_6 Depth=1
	s_mov_b32 s97, exec_lo
	v_cmpx_ge_u32_e64 s20, v43
	s_xor_b32 s97, exec_lo, s97
	s_cbranch_execz .LBB72_227
; %bb.223:                              ;   in Loop: Header=BB72_6 Depth=1
	ds_load_b32 v2, v23 offset:4096
	v_or_b32_e32 v15, s13, v15
	v_or_b32_e32 v14, s12, v14
	;; [unrolled: 1-line block ×4, first 2 shown]
	s_wait_dscnt 0x0
	v_cmp_ne_u32_e32 vcc_lo, 0, v2
	s_cbranch_vccnz .LBB72_227
; %bb.224:                              ;   in Loop: Header=BB72_6 Depth=1
	s_and_saveexec_b32 s98, s5
; %bb.225:                              ;   in Loop: Header=BB72_6 Depth=1
	v_mov_b32_e32 v2, s20
	ds_store_b32 v23, v2 offset:4100
; %bb.226:                              ;   in Loop: Header=BB72_6 Depth=1
	s_or_b32 exec_lo, exec_lo, s98
	s_wait_dscnt 0x0
	s_barrier_signal -1
	s_barrier_wait -1
.LBB72_227:                             ;   in Loop: Header=BB72_6 Depth=1
	s_and_not1_saveexec_b32 s97, s97
; %bb.228:                              ;   in Loop: Header=BB72_6 Depth=1
	v_subrev_nc_u32_e32 v43, s20, v43
; %bb.229:                              ;   in Loop: Header=BB72_6 Depth=1
	s_or_b32 exec_lo, exec_lo, s97
	s_delay_alu instid0(VALU_DEP_1)
	v_dual_mov_b32 v22, 8 :: v_dual_mov_b32 v2, v43
.LBB72_230:                             ;   in Loop: Header=BB72_6 Depth=1
	s_or_b32 exec_lo, exec_lo, s61
	s_delay_alu instid0(VALU_DEP_1)
	v_mov_b32_e32 v43, v2
	s_mov_b32 s97, exec_lo
.LBB72_231:                             ;   in Loop: Header=BB72_6 Depth=1
	s_or_b32 exec_lo, exec_lo, s50
	s_delay_alu instid0(SALU_CYCLE_1)
	s_or_not1_b32 s50, s97, exec_lo
.LBB72_232:                             ;   in Loop: Header=BB72_6 Depth=1
	s_or_b32 exec_lo, exec_lo, s60
	v_mov_b32_e32 v44, v43
	s_and_not1_b32 s58, s58, exec_lo
	s_and_b32 s60, s96, exec_lo
	s_and_not1_b32 s29, s29, exec_lo
	s_and_b32 s61, s95, exec_lo
	s_or_b32 s58, s58, s60
	s_or_b32 s29, s29, s61
	s_and_b32 s61, s50, exec_lo
.LBB72_233:                             ;   in Loop: Header=BB72_6 Depth=1
	s_or_b32 exec_lo, exec_lo, s59
	s_delay_alu instid0(SALU_CYCLE_1)
	s_or_not1_b32 s50, s61, exec_lo
.LBB72_234:                             ;   in Loop: Header=BB72_6 Depth=1
	s_or_b32 exec_lo, exec_lo, s28
	v_mov_b32_e32 v43, v44
	s_and_not1_b32 s26, s26, exec_lo
	s_and_b32 s28, s58, exec_lo
	s_and_not1_b32 s21, s21, exec_lo
	s_and_b32 s29, s29, exec_lo
	s_or_b32 s26, s26, s28
	s_or_b32 s21, s21, s29
	s_and_b32 s50, s50, exec_lo
.LBB72_235:                             ;   in Loop: Header=BB72_6 Depth=1
	s_or_b32 exec_lo, exec_lo, s27
	s_delay_alu instid0(SALU_CYCLE_1)
	s_or_not1_b32 s27, s50, exec_lo
.LBB72_236:                             ;   in Loop: Header=BB72_6 Depth=1
	s_or_b32 exec_lo, exec_lo, s11
	s_mov_b32 s28, 0
	s_mov_b32 s29, 0
	s_and_saveexec_b32 s11, s27
	s_delay_alu instid0(SALU_CYCLE_1)
	s_xor_b32 s27, exec_lo, s11
; %bb.237:                              ;   in Loop: Header=BB72_6 Depth=1
	v_cmp_ne_u32_e32 vcc_lo, 8, v22
	v_cmp_eq_u32_e64 s11, 8, v22
	s_and_b32 s29, vcc_lo, exec_lo
	s_and_b32 s28, s11, exec_lo
; %bb.238:                              ;   in Loop: Header=BB72_6 Depth=1
	s_or_b32 exec_lo, exec_lo, s27
	s_delay_alu instid0(SALU_CYCLE_1)
	s_and_not1_b32 s11, s23, exec_lo
	s_and_b32 s23, s26, exec_lo
	s_and_not1_b32 s22, s22, exec_lo
	s_and_b32 s21, s21, exec_lo
	s_or_b32 s23, s11, s23
	s_or_b32 s22, s22, s21
	s_and_b32 s11, s29, exec_lo
	s_and_b32 s21, s28, exec_lo
.LBB72_239:                             ;   in Loop: Header=BB72_6 Depth=1
	s_or_b32 exec_lo, exec_lo, s25
.LBB72_240:                             ;   in Loop: Header=BB72_6 Depth=1
	s_delay_alu instid0(SALU_CYCLE_1)
	s_and_b32 vcc_lo, exec_lo, s24
	s_cbranch_vccz .LBB72_254
; %bb.241:                              ;   in Loop: Header=BB72_6 Depth=1
	s_cmp_eq_u32 s20, 1
	s_mov_b32 s23, -1
	s_cselect_b32 s16, -1, 0
                                        ; implicit-def: $sgpr24
	s_delay_alu instid0(SALU_CYCLE_1) | instskip(NEXT) | instid1(SALU_CYCLE_1)
	s_and_b32 s10, s16, s10
                                        ; implicit-def: $sgpr16
	s_and_saveexec_b32 s22, s10
	s_cbranch_execz .LBB72_270
; %bb.242:                              ;   in Loop: Header=BB72_6 Depth=1
	ds_load_b32 v2, v23 offset:4096
	s_wait_dscnt 0x0
	s_barrier_signal -1
	s_barrier_wait -1
	v_readfirstlane_b32 s25, v2
	s_and_saveexec_b32 s16, s6
; %bb.243:                              ;   in Loop: Header=BB72_6 Depth=1
	ds_store_b64 v32, v[28:29]
; %bb.244:                              ;   in Loop: Header=BB72_6 Depth=1
	s_or_b32 exec_lo, exec_lo, s16
	v_or_b32_e32 v27, s13, v27
	v_or_b32_e32 v26, s12, v26
	;; [unrolled: 1-line block ×4, first 2 shown]
	s_mov_b32 s16, -1
	s_mov_b32 s24, 0
	s_cmp_eq_u32 s25, 0
	s_mov_b32 s23, 0
	s_mov_b32 s26, -1
	s_wait_dscnt 0x0
	s_barrier_signal -1
	s_barrier_wait -1
                                        ; implicit-def: $vgpr6_vgpr7
	s_cbranch_scc1 .LBB72_257
; %bb.245:                              ;   in Loop: Header=BB72_6 Depth=1
	s_add_co_i32 s50, s25, s70
                                        ; implicit-def: $vgpr6_vgpr7
	s_delay_alu instid0(SALU_CYCLE_1) | instskip(NEXT) | instid1(SALU_CYCLE_1)
	s_mul_u64 s[26:27], s[50:51], s[54:55]
	s_mul_i32 s23, s27, s33
	s_mov_b32 s27, exec_lo
	s_sub_co_i32 s23, s50, s23
	s_delay_alu instid0(SALU_CYCLE_1) | instskip(SKIP_2) | instid1(SALU_CYCLE_1)
	s_sub_co_i32 s26, s23, s33
	s_cmp_ge_u32 s23, s33
	s_cselect_b32 s23, s26, s23
	s_sub_co_i32 s26, s23, s33
	s_cmp_ge_u32 s23, s33
	s_cselect_b32 s23, s26, s23
	s_mov_b32 s26, 0
	s_sub_co_i32 s28, s50, s23
	s_mov_b32 s23, 0
	v_cmpx_gt_u32_e64 s28, v0
	s_cbranch_execz .LBB72_256
; %bb.246:                              ;   in Loop: Header=BB72_6 Depth=1
	v_dual_mov_b32 v8, v21 :: v_dual_mov_b32 v9, v0
                                        ; implicit-def: $sgpr29
	s_branch .LBB72_250
.LBB72_247:                             ;   in Loop: Header=BB72_250 Depth=2
	s_or_b32 exec_lo, exec_lo, s50
	s_wait_dscnt 0x0
	s_barrier_signal -1
	s_barrier_wait -1
	ds_load_b128 v[4:7], v23 offset:3072
	s_wait_dscnt 0x0
	s_barrier_signal -1
	s_barrier_wait -1
	v_cmp_neq_f64_e32 vcc_lo, 0, v[4:5]
	s_cbranch_vccnz .LBB72_253
; %bb.248:                              ;   in Loop: Header=BB72_250 Depth=2
	v_dual_add_nc_u32 v9, s33, v9 :: v_dual_add_nc_u32 v8, s81, v8
	s_mov_b32 s50, 0
	s_delay_alu instid0(VALU_DEP_1)
	v_cmp_le_u32_e32 vcc_lo, s28, v9
	s_or_not1_b32 s58, vcc_lo, exec_lo
.LBB72_249:                             ;   in Loop: Header=BB72_250 Depth=2
	s_delay_alu instid0(SALU_CYCLE_1) | instskip(NEXT) | instid1(SALU_CYCLE_1)
	s_and_b32 s58, exec_lo, s58
	s_or_b32 s23, s58, s23
	s_and_not1_b32 s29, s29, exec_lo
	s_and_b32 s50, s50, exec_lo
	s_delay_alu instid0(SALU_CYCLE_1)
	s_or_b32 s29, s29, s50
	s_and_not1_b32 exec_lo, exec_lo, s23
	s_cbranch_execz .LBB72_255
.LBB72_250:                             ;   Parent Loop BB72_6 Depth=1
                                        ; =>  This Inner Loop Header: Depth=2
	s_mov_b32 s50, exec_lo
	s_delay_alu instid0(VALU_DEP_1)
	v_cmpx_gt_u32_e64 s25, v9
	s_cbranch_execz .LBB72_247
; %bb.251:                              ;   in Loop: Header=BB72_250 Depth=2
	ds_load_b64 v[4:5], v8
	s_wait_dscnt 0x0
	v_cmp_o_f64_e32 vcc_lo, v[4:5], v[4:5]
	v_ashrrev_i32_e32 v2, 31, v5
	s_delay_alu instid0(VALU_DEP_1) | instskip(NEXT) | instid1(VALU_DEP_1)
	v_or_b32_e32 v6, 0x80000000, v2
	v_xor_b32_e32 v6, v6, v5
	s_delay_alu instid0(VALU_DEP_1) | instskip(NEXT) | instid1(VALU_DEP_1)
	v_dual_cndmask_b32 v6, -1, v6, vcc_lo :: v_dual_bitop2_b32 v2, v2, v4 bitop3:0x14
	v_dual_cndmask_b32 v2, -1, v2, vcc_lo :: v_dual_bitop2_b32 v7, v6, v31 bitop3:0x40
	s_delay_alu instid0(VALU_DEP_1) | instskip(NEXT) | instid1(VALU_DEP_1)
	v_and_b32_e32 v6, v2, v30
	v_cmp_eq_u64_e32 vcc_lo, v[6:7], v[26:27]
	s_and_b32 exec_lo, exec_lo, vcc_lo
	s_cbranch_execz .LBB72_247
; %bb.252:                              ;   in Loop: Header=BB72_250 Depth=2
	v_mov_b32_e32 v2, v23
	ds_store_b128 v23, v[2:5] offset:3072
	s_branch .LBB72_247
.LBB72_253:                             ;   in Loop: Header=BB72_250 Depth=2
	s_mov_b32 s58, -1
	s_mov_b32 s50, -1
                                        ; implicit-def: $vgpr9
                                        ; implicit-def: $vgpr8
	s_branch .LBB72_249
.LBB72_254:                             ;   in Loop: Header=BB72_6 Depth=1
	v_mov_b64_e32 v[26:27], v[14:15]
	v_mov_b64_e32 v[30:31], v[12:13]
	v_mov_b64_e32 v[6:7], v[10:11]
	s_mov_b32 s24, 0
	s_and_saveexec_b32 s10, s21
	s_cbranch_execnz .LBB72_407
	s_branch .LBB72_408
.LBB72_255:                             ;   in Loop: Header=BB72_6 Depth=1
	s_or_b32 exec_lo, exec_lo, s23
	s_delay_alu instid0(SALU_CYCLE_1)
	s_and_b32 s23, s29, exec_lo
.LBB72_256:                             ;   in Loop: Header=BB72_6 Depth=1
	s_or_b32 exec_lo, exec_lo, s27
.LBB72_257:                             ;   in Loop: Header=BB72_6 Depth=1
	s_delay_alu instid0(SALU_CYCLE_1)
	s_and_b32 vcc_lo, exec_lo, s26
	s_cbranch_vccz .LBB72_269
; %bb.258:                              ;   in Loop: Header=BB72_6 Depth=1
                                        ; implicit-def: $vgpr6_vgpr7
	s_and_saveexec_b32 s16, s9
	s_cbranch_execz .LBB72_268
; %bb.259:                              ;   in Loop: Header=BB72_6 Depth=1
	v_dual_mov_b32 v8, v20 :: v_dual_mov_b32 v9, v0
	s_mov_b32 s25, 0
                                        ; implicit-def: $sgpr24
	s_branch .LBB72_263
.LBB72_260:                             ;   in Loop: Header=BB72_263 Depth=2
	s_or_b32 exec_lo, exec_lo, s26
	s_wait_dscnt 0x0
	s_barrier_signal -1
	s_barrier_wait -1
	ds_load_b128 v[4:7], v23 offset:3072
	s_wait_dscnt 0x0
	s_barrier_signal -1
	s_barrier_wait -1
	v_cmp_neq_f64_e32 vcc_lo, 0, v[4:5]
	s_cbranch_vccnz .LBB72_266
; %bb.261:                              ;   in Loop: Header=BB72_263 Depth=2
	v_dual_add_nc_u32 v9, s33, v9 :: v_dual_add_nc_u32 v8, s35, v8
	s_mov_b32 s26, 0
	s_delay_alu instid0(VALU_DEP_1)
	v_cmp_le_u32_e32 vcc_lo, s78, v9
	s_or_not1_b32 s27, vcc_lo, exec_lo
.LBB72_262:                             ;   in Loop: Header=BB72_263 Depth=2
	s_delay_alu instid0(SALU_CYCLE_1) | instskip(NEXT) | instid1(SALU_CYCLE_1)
	s_and_b32 s27, exec_lo, s27
	s_or_b32 s25, s27, s25
	s_and_not1_b32 s24, s24, exec_lo
	s_and_b32 s26, s26, exec_lo
	s_delay_alu instid0(SALU_CYCLE_1)
	s_or_b32 s24, s24, s26
	s_and_not1_b32 exec_lo, exec_lo, s25
	s_cbranch_execz .LBB72_267
.LBB72_263:                             ;   Parent Loop BB72_6 Depth=1
                                        ; =>  This Inner Loop Header: Depth=2
	s_mov_b32 s26, exec_lo
	s_delay_alu instid0(VALU_DEP_1)
	v_cmpx_gt_u32_e64 s36, v9
	s_cbranch_execz .LBB72_260
; %bb.264:                              ;   in Loop: Header=BB72_263 Depth=2
	global_load_b64 v[4:5], v8, s[30:31] scale_offset
	s_wait_loadcnt 0x0
	v_cmp_o_f64_e32 vcc_lo, v[4:5], v[4:5]
	v_ashrrev_i32_e32 v2, 31, v5
	s_delay_alu instid0(VALU_DEP_1) | instskip(NEXT) | instid1(VALU_DEP_1)
	v_or_b32_e32 v6, 0x80000000, v2
	v_xor_b32_e32 v6, v6, v5
	s_delay_alu instid0(VALU_DEP_1) | instskip(NEXT) | instid1(VALU_DEP_1)
	v_dual_cndmask_b32 v6, -1, v6, vcc_lo :: v_dual_bitop2_b32 v2, v2, v4 bitop3:0x14
	v_dual_cndmask_b32 v2, -1, v2, vcc_lo :: v_dual_bitop2_b32 v7, v6, v31 bitop3:0x40
	s_delay_alu instid0(VALU_DEP_1) | instskip(NEXT) | instid1(VALU_DEP_1)
	v_and_b32_e32 v6, v2, v30
	v_cmp_eq_u64_e32 vcc_lo, v[6:7], v[26:27]
	s_and_b32 exec_lo, exec_lo, vcc_lo
	s_cbranch_execz .LBB72_260
; %bb.265:                              ;   in Loop: Header=BB72_263 Depth=2
	v_mov_b32_e32 v2, v23
	ds_store_b128 v23, v[2:5] offset:3072
	s_branch .LBB72_260
.LBB72_266:                             ;   in Loop: Header=BB72_263 Depth=2
	s_mov_b32 s27, -1
	s_mov_b32 s26, -1
                                        ; implicit-def: $vgpr9
                                        ; implicit-def: $vgpr8
	s_branch .LBB72_262
.LBB72_267:                             ;   in Loop: Header=BB72_6 Depth=1
	s_or_b32 exec_lo, exec_lo, s25
	s_delay_alu instid0(SALU_CYCLE_1) | instskip(SKIP_1) | instid1(SALU_CYCLE_1)
	s_and_not1_b32 s23, s23, exec_lo
	s_and_b32 s24, s24, exec_lo
	s_or_b32 s23, s23, s24
.LBB72_268:                             ;   in Loop: Header=BB72_6 Depth=1
	s_or_b32 exec_lo, exec_lo, s16
	s_mov_b32 s16, 0
	s_mov_b32 s24, -1
.LBB72_269:                             ;   in Loop: Header=BB72_6 Depth=1
	s_or_not1_b32 s23, s23, exec_lo
.LBB72_270:                             ;   in Loop: Header=BB72_6 Depth=1
	s_or_b32 exec_lo, exec_lo, s22
                                        ; implicit-def: $vgpr43
                                        ; implicit-def: $vgpr22
	s_and_saveexec_b32 s22, s23
	s_cbranch_execz .LBB72_406
; %bb.271:                              ;   in Loop: Header=BB72_6 Depth=1
	v_dual_mov_b32 v43, 1 :: v_dual_mov_b32 v22, 1
	s_xor_b32 s23, s10, -1
	s_mov_b32 s26, 0
	s_and_saveexec_b32 s10, s23
	s_cbranch_execz .LBB72_280
; %bb.272:                              ;   in Loop: Header=BB72_6 Depth=1
	s_mov_b32 s23, exec_lo
	v_cmpx_ge_u32_e64 s20, v42
	s_xor_b32 s23, exec_lo, s23
	s_cbranch_execz .LBB72_277
; %bb.273:                              ;   in Loop: Header=BB72_6 Depth=1
	ds_load_b32 v2, v23 offset:4096
	v_or_b32_e32 v27, s13, v27
	v_or_b32_e32 v26, s12, v26
	;; [unrolled: 1-line block ×4, first 2 shown]
	s_wait_dscnt 0x0
	v_cmp_ne_u32_e32 vcc_lo, 0, v2
	s_cbranch_vccnz .LBB72_277
; %bb.274:                              ;   in Loop: Header=BB72_6 Depth=1
	s_and_saveexec_b32 s25, s5
; %bb.275:                              ;   in Loop: Header=BB72_6 Depth=1
	v_mov_b32_e32 v2, s20
	ds_store_b32 v23, v2 offset:4100
; %bb.276:                              ;   in Loop: Header=BB72_6 Depth=1
	s_or_b32 exec_lo, exec_lo, s25
	s_wait_dscnt 0x0
	s_barrier_signal -1
	s_barrier_wait -1
.LBB72_277:                             ;   in Loop: Header=BB72_6 Depth=1
	s_or_saveexec_b32 s23, s23
	v_mov_b32_e32 v22, 5
	s_mov_b32 s25, 0
	s_xor_b32 exec_lo, exec_lo, s23
; %bb.278:                              ;   in Loop: Header=BB72_6 Depth=1
	v_subrev_nc_u32_e32 v42, s20, v42
	v_mov_b32_e32 v22, 0
	s_mov_b32 s25, exec_lo
; %bb.279:                              ;   in Loop: Header=BB72_6 Depth=1
	s_or_b32 exec_lo, exec_lo, s23
	s_delay_alu instid0(VALU_DEP_2)
	v_mov_b32_e32 v43, v42
	s_and_b32 s26, s25, exec_lo
.LBB72_280:                             ;   in Loop: Header=BB72_6 Depth=1
	s_or_b32 exec_lo, exec_lo, s10
	s_mov_b32 s25, -1
                                        ; implicit-def: $sgpr20
                                        ; implicit-def: $sgpr23
	s_and_saveexec_b32 s10, s26
	s_delay_alu instid0(SALU_CYCLE_1)
	s_xor_b32 s10, exec_lo, s10
	s_cbranch_execz .LBB72_403
; %bb.281:                              ;   in Loop: Header=BB72_6 Depth=1
	v_cmp_eq_u32_e32 vcc_lo, 1, v43
	s_cmp_eq_u32 s19, 1
	s_mov_b32 s27, -1
	s_cselect_b32 s20, -1, 0
                                        ; implicit-def: $sgpr23
	s_delay_alu instid0(SALU_CYCLE_1) | instskip(NEXT) | instid1(SALU_CYCLE_1)
	s_and_b32 s26, s20, vcc_lo
                                        ; implicit-def: $sgpr20
	s_and_saveexec_b32 s25, s26
	s_cbranch_execz .LBB72_309
; %bb.282:                              ;   in Loop: Header=BB72_6 Depth=1
	ds_load_b32 v2, v23 offset:4096
	s_wait_dscnt 0x0
	s_barrier_signal -1
	s_barrier_wait -1
	v_readfirstlane_b32 s28, v2
	s_and_saveexec_b32 s20, s6
; %bb.283:                              ;   in Loop: Header=BB72_6 Depth=1
	ds_store_b64 v32, v[28:29]
; %bb.284:                              ;   in Loop: Header=BB72_6 Depth=1
	s_or_b32 exec_lo, exec_lo, s20
	v_and_b32_e32 v2, s15, v27
	v_and_b32_e32 v4, s14, v26
	s_lshl_b64 s[58:59], 2, s82
	v_or_b32_e32 v31, s13, v31
	v_or_b32_e32 v30, s12, v30
	;; [unrolled: 1-line block ×4, first 2 shown]
	s_mov_b32 s20, -1
	s_mov_b32 s23, 0
	s_cmp_eq_u32 s28, 0
	s_mov_b32 s27, 0
	s_mov_b32 s29, -1
	s_wait_dscnt 0x0
	s_barrier_signal -1
	s_barrier_wait -1
                                        ; implicit-def: $vgpr6_vgpr7
	s_cbranch_scc1 .LBB72_296
; %bb.285:                              ;   in Loop: Header=BB72_6 Depth=1
	s_add_co_i32 s50, s28, s70
                                        ; implicit-def: $vgpr6_vgpr7
	s_delay_alu instid0(SALU_CYCLE_1) | instskip(NEXT) | instid1(SALU_CYCLE_1)
	s_mul_u64 s[58:59], s[50:51], s[54:55]
	s_mul_i32 s27, s59, s33
	s_delay_alu instid0(SALU_CYCLE_1) | instskip(NEXT) | instid1(SALU_CYCLE_1)
	s_sub_co_i32 s27, s50, s27
	s_sub_co_i32 s29, s27, s33
	s_cmp_ge_u32 s27, s33
	s_cselect_b32 s27, s29, s27
	s_delay_alu instid0(SALU_CYCLE_1)
	s_sub_co_i32 s29, s27, s33
	s_cmp_ge_u32 s27, s33
	s_cselect_b32 s27, s29, s27
	s_mov_b32 s29, 0
	s_sub_co_i32 s58, s50, s27
	s_mov_b32 s27, 0
	s_mov_b32 s50, exec_lo
	v_cmpx_gt_u32_e64 s58, v0
	s_cbranch_execz .LBB72_295
; %bb.286:                              ;   in Loop: Header=BB72_6 Depth=1
	v_dual_mov_b32 v8, v21 :: v_dual_mov_b32 v9, v0
                                        ; implicit-def: $sgpr59
	s_branch .LBB72_290
.LBB72_287:                             ;   in Loop: Header=BB72_290 Depth=2
	s_or_b32 exec_lo, exec_lo, s60
	s_wait_dscnt 0x0
	s_barrier_signal -1
	s_barrier_wait -1
	ds_load_b128 v[4:7], v23 offset:3072
	s_wait_dscnt 0x0
	s_barrier_signal -1
	s_barrier_wait -1
	v_cmp_neq_f64_e32 vcc_lo, 0, v[4:5]
	s_cbranch_vccnz .LBB72_293
; %bb.288:                              ;   in Loop: Header=BB72_290 Depth=2
	v_dual_add_nc_u32 v9, s33, v9 :: v_dual_add_nc_u32 v8, s81, v8
	s_mov_b32 s60, 0
	s_delay_alu instid0(VALU_DEP_1)
	v_cmp_le_u32_e32 vcc_lo, s58, v9
	s_or_not1_b32 s61, vcc_lo, exec_lo
.LBB72_289:                             ;   in Loop: Header=BB72_290 Depth=2
	s_delay_alu instid0(SALU_CYCLE_1) | instskip(NEXT) | instid1(SALU_CYCLE_1)
	s_and_b32 s61, exec_lo, s61
	s_or_b32 s27, s61, s27
	s_and_not1_b32 s59, s59, exec_lo
	s_and_b32 s60, s60, exec_lo
	s_delay_alu instid0(SALU_CYCLE_1)
	s_or_b32 s59, s59, s60
	s_and_not1_b32 exec_lo, exec_lo, s27
	s_cbranch_execz .LBB72_294
.LBB72_290:                             ;   Parent Loop BB72_6 Depth=1
                                        ; =>  This Inner Loop Header: Depth=2
	s_mov_b32 s60, exec_lo
	s_delay_alu instid0(VALU_DEP_1)
	v_cmpx_gt_u32_e64 s28, v9
	s_cbranch_execz .LBB72_287
; %bb.291:                              ;   in Loop: Header=BB72_290 Depth=2
	ds_load_b64 v[4:5], v8
	s_wait_dscnt 0x0
	v_cmp_o_f64_e32 vcc_lo, v[4:5], v[4:5]
	v_ashrrev_i32_e32 v2, 31, v5
	s_delay_alu instid0(VALU_DEP_1) | instskip(NEXT) | instid1(VALU_DEP_1)
	v_or_b32_e32 v6, 0x80000000, v2
	v_xor_b32_e32 v6, v6, v5
	s_delay_alu instid0(VALU_DEP_1) | instskip(NEXT) | instid1(VALU_DEP_1)
	v_dual_cndmask_b32 v6, -1, v6, vcc_lo :: v_dual_bitop2_b32 v2, v2, v4 bitop3:0x14
	v_dual_cndmask_b32 v2, -1, v2, vcc_lo :: v_dual_bitop2_b32 v7, v6, v31 bitop3:0x40
	s_delay_alu instid0(VALU_DEP_1) | instskip(NEXT) | instid1(VALU_DEP_1)
	v_and_b32_e32 v6, v2, v30
	v_cmp_eq_u64_e32 vcc_lo, v[6:7], v[26:27]
	s_and_b32 exec_lo, exec_lo, vcc_lo
	s_cbranch_execz .LBB72_287
; %bb.292:                              ;   in Loop: Header=BB72_290 Depth=2
	v_mov_b32_e32 v2, v23
	ds_store_b128 v23, v[2:5] offset:3072
	s_branch .LBB72_287
.LBB72_293:                             ;   in Loop: Header=BB72_290 Depth=2
	s_mov_b32 s61, -1
	s_mov_b32 s60, -1
                                        ; implicit-def: $vgpr9
                                        ; implicit-def: $vgpr8
	s_branch .LBB72_289
.LBB72_294:                             ;   in Loop: Header=BB72_6 Depth=1
	s_or_b32 exec_lo, exec_lo, s27
	s_delay_alu instid0(SALU_CYCLE_1)
	s_and_b32 s27, s59, exec_lo
.LBB72_295:                             ;   in Loop: Header=BB72_6 Depth=1
	s_or_b32 exec_lo, exec_lo, s50
.LBB72_296:                             ;   in Loop: Header=BB72_6 Depth=1
	s_delay_alu instid0(SALU_CYCLE_1)
	s_and_b32 vcc_lo, exec_lo, s29
	s_cbranch_vccz .LBB72_308
; %bb.297:                              ;   in Loop: Header=BB72_6 Depth=1
                                        ; implicit-def: $vgpr6_vgpr7
	s_and_saveexec_b32 s20, s9
	s_cbranch_execz .LBB72_307
; %bb.298:                              ;   in Loop: Header=BB72_6 Depth=1
	v_dual_mov_b32 v8, v20 :: v_dual_mov_b32 v9, v0
	s_mov_b32 s23, 0
                                        ; implicit-def: $sgpr28
	s_branch .LBB72_302
.LBB72_299:                             ;   in Loop: Header=BB72_302 Depth=2
	s_or_b32 exec_lo, exec_lo, s29
	s_wait_dscnt 0x0
	s_barrier_signal -1
	s_barrier_wait -1
	ds_load_b128 v[4:7], v23 offset:3072
	s_wait_dscnt 0x0
	s_barrier_signal -1
	s_barrier_wait -1
	v_cmp_eq_f64_e32 vcc_lo, 0, v[4:5]
	s_cbranch_vccz .LBB72_305
; %bb.300:                              ;   in Loop: Header=BB72_302 Depth=2
	v_dual_add_nc_u32 v9, s33, v9 :: v_dual_add_nc_u32 v8, s35, v8
	s_mov_b32 s29, 0
	s_delay_alu instid0(VALU_DEP_1)
	v_cmp_le_u32_e32 vcc_lo, s78, v9
	s_or_not1_b32 s50, vcc_lo, exec_lo
.LBB72_301:                             ;   in Loop: Header=BB72_302 Depth=2
	s_delay_alu instid0(SALU_CYCLE_1) | instskip(NEXT) | instid1(SALU_CYCLE_1)
	s_and_b32 s50, exec_lo, s50
	s_or_b32 s23, s50, s23
	s_and_not1_b32 s28, s28, exec_lo
	s_and_b32 s29, s29, exec_lo
	s_delay_alu instid0(SALU_CYCLE_1)
	s_or_b32 s28, s28, s29
	s_and_not1_b32 exec_lo, exec_lo, s23
	s_cbranch_execz .LBB72_306
.LBB72_302:                             ;   Parent Loop BB72_6 Depth=1
                                        ; =>  This Inner Loop Header: Depth=2
	s_mov_b32 s29, exec_lo
	s_delay_alu instid0(VALU_DEP_1)
	v_cmpx_gt_u32_e64 s36, v9
	s_cbranch_execz .LBB72_299
; %bb.303:                              ;   in Loop: Header=BB72_302 Depth=2
	global_load_b64 v[4:5], v8, s[30:31] scale_offset
	s_wait_loadcnt 0x0
	v_cmp_o_f64_e32 vcc_lo, v[4:5], v[4:5]
	v_ashrrev_i32_e32 v2, 31, v5
	s_delay_alu instid0(VALU_DEP_1) | instskip(NEXT) | instid1(VALU_DEP_1)
	v_or_b32_e32 v6, 0x80000000, v2
	v_xor_b32_e32 v6, v6, v5
	s_delay_alu instid0(VALU_DEP_1) | instskip(NEXT) | instid1(VALU_DEP_1)
	v_dual_cndmask_b32 v6, -1, v6, vcc_lo :: v_dual_bitop2_b32 v2, v2, v4 bitop3:0x14
	v_dual_cndmask_b32 v2, -1, v2, vcc_lo :: v_dual_bitop2_b32 v7, v6, v31 bitop3:0x40
	s_delay_alu instid0(VALU_DEP_1) | instskip(NEXT) | instid1(VALU_DEP_1)
	v_and_b32_e32 v6, v2, v30
	v_cmp_eq_u64_e32 vcc_lo, v[6:7], v[26:27]
	s_and_b32 exec_lo, exec_lo, vcc_lo
	s_cbranch_execz .LBB72_299
; %bb.304:                              ;   in Loop: Header=BB72_302 Depth=2
	v_mov_b32_e32 v2, v23
	ds_store_b128 v23, v[2:5] offset:3072
	s_branch .LBB72_299
.LBB72_305:                             ;   in Loop: Header=BB72_302 Depth=2
	s_mov_b32 s50, -1
	s_mov_b32 s29, -1
                                        ; implicit-def: $vgpr9
                                        ; implicit-def: $vgpr8
	s_branch .LBB72_301
.LBB72_306:                             ;   in Loop: Header=BB72_6 Depth=1
	s_or_b32 exec_lo, exec_lo, s23
	s_delay_alu instid0(SALU_CYCLE_1) | instskip(SKIP_1) | instid1(SALU_CYCLE_1)
	s_and_not1_b32 s23, s27, exec_lo
	s_and_b32 s27, s28, exec_lo
	s_or_b32 s27, s23, s27
.LBB72_307:                             ;   in Loop: Header=BB72_6 Depth=1
	s_or_b32 exec_lo, exec_lo, s20
	s_mov_b32 s20, 0
	s_mov_b32 s23, -1
.LBB72_308:                             ;   in Loop: Header=BB72_6 Depth=1
	s_or_not1_b32 s27, s27, exec_lo
.LBB72_309:                             ;   in Loop: Header=BB72_6 Depth=1
	s_or_b32 exec_lo, exec_lo, s25
	s_mov_b32 s28, 0
	s_and_saveexec_b32 s25, s27
	s_cbranch_execz .LBB72_402
; %bb.310:                              ;   in Loop: Header=BB72_6 Depth=1
	v_dual_mov_b32 v8, 1 :: v_dual_mov_b32 v22, 1
	s_xor_b32 s27, s26, -1
	s_mov_b32 s29, 0
	s_and_saveexec_b32 s26, s27
	s_cbranch_execz .LBB72_319
; %bb.311:                              ;   in Loop: Header=BB72_6 Depth=1
	s_mov_b32 s27, exec_lo
	v_cmpx_ge_u32_e64 s19, v43
	s_xor_b32 s27, exec_lo, s27
	s_cbranch_execz .LBB72_316
; %bb.312:                              ;   in Loop: Header=BB72_6 Depth=1
	ds_load_b32 v2, v23 offset:4096
	v_and_b32_e32 v4, s15, v27
	v_and_b32_e32 v5, s14, v26
	s_lshl_b64 s[28:29], 2, s82
	v_or_b32_e32 v31, s13, v31
	v_or_b32_e32 v30, s12, v30
	;; [unrolled: 1-line block ×4, first 2 shown]
	s_wait_dscnt 0x0
	v_cmp_ne_u32_e32 vcc_lo, 0, v2
	s_cbranch_vccnz .LBB72_316
; %bb.313:                              ;   in Loop: Header=BB72_6 Depth=1
	s_and_saveexec_b32 s28, s5
; %bb.314:                              ;   in Loop: Header=BB72_6 Depth=1
	v_mov_b32_e32 v2, s19
	ds_store_b32 v23, v2 offset:4100
; %bb.315:                              ;   in Loop: Header=BB72_6 Depth=1
	s_or_b32 exec_lo, exec_lo, s28
	s_wait_dscnt 0x0
	s_barrier_signal -1
	s_barrier_wait -1
.LBB72_316:                             ;   in Loop: Header=BB72_6 Depth=1
	s_or_saveexec_b32 s27, s27
	v_mov_b32_e32 v22, 5
	s_mov_b32 s28, 0
	s_xor_b32 exec_lo, exec_lo, s27
; %bb.317:                              ;   in Loop: Header=BB72_6 Depth=1
	v_subrev_nc_u32_e32 v43, s19, v43
	v_mov_b32_e32 v22, 0
	s_mov_b32 s28, exec_lo
; %bb.318:                              ;   in Loop: Header=BB72_6 Depth=1
	s_or_b32 exec_lo, exec_lo, s27
	s_delay_alu instid0(VALU_DEP_2)
	v_mov_b32_e32 v8, v43
	s_and_b32 s29, s28, exec_lo
.LBB72_319:                             ;   in Loop: Header=BB72_6 Depth=1
	s_or_b32 exec_lo, exec_lo, s26
	s_mov_b32 s28, -1
                                        ; implicit-def: $sgpr26
                                        ; implicit-def: $sgpr27
	s_and_saveexec_b32 s19, s29
	s_cbranch_execz .LBB72_401
; %bb.320:                              ;   in Loop: Header=BB72_6 Depth=1
	v_cmp_eq_u32_e32 vcc_lo, 1, v8
	s_cmp_eq_u32 s18, 1
	s_mov_b32 s50, -1
	s_cselect_b32 s26, -1, 0
                                        ; implicit-def: $sgpr27
	s_delay_alu instid0(SALU_CYCLE_1) | instskip(NEXT) | instid1(SALU_CYCLE_1)
	s_and_b32 s29, s26, vcc_lo
                                        ; implicit-def: $sgpr26
	s_and_saveexec_b32 s28, s29
	s_cbranch_execz .LBB72_348
; %bb.321:                              ;   in Loop: Header=BB72_6 Depth=1
	ds_load_b32 v2, v23 offset:4096
	s_wait_dscnt 0x0
	s_barrier_signal -1
	s_barrier_wait -1
	v_readfirstlane_b32 s58, v2
	s_and_saveexec_b32 s26, s6
; %bb.322:                              ;   in Loop: Header=BB72_6 Depth=1
	ds_store_b64 v32, v[28:29]
; %bb.323:                              ;   in Loop: Header=BB72_6 Depth=1
	s_or_b32 exec_lo, exec_lo, s26
	v_and_b32_e32 v2, s15, v27
	v_and_b32_e32 v4, s14, v26
	s_lshl_b64 s[26:27], 1, s82
	v_or_b32_e32 v31, s13, v31
	v_or_b32_e32 v30, s12, v30
	;; [unrolled: 1-line block ×4, first 2 shown]
	s_mov_b32 s26, -1
	s_mov_b32 s27, 0
	s_cmp_eq_u32 s58, 0
	s_mov_b32 s50, 0
	s_mov_b32 s59, -1
	s_wait_dscnt 0x0
	s_barrier_signal -1
	s_barrier_wait -1
                                        ; implicit-def: $vgpr6_vgpr7
	s_cbranch_scc1 .LBB72_335
; %bb.324:                              ;   in Loop: Header=BB72_6 Depth=1
	s_add_co_i32 s50, s58, s70
                                        ; implicit-def: $vgpr6_vgpr7
	s_delay_alu instid0(SALU_CYCLE_1) | instskip(NEXT) | instid1(SALU_CYCLE_1)
	s_mul_u64 s[60:61], s[50:51], s[54:55]
	s_mul_i32 s59, s61, s33
	s_delay_alu instid0(SALU_CYCLE_1) | instskip(NEXT) | instid1(SALU_CYCLE_1)
	s_sub_co_i32 s59, s50, s59
	s_sub_co_i32 s60, s59, s33
	s_cmp_ge_u32 s59, s33
	s_cselect_b32 s59, s60, s59
	s_delay_alu instid0(SALU_CYCLE_1)
	s_sub_co_i32 s60, s59, s33
	s_cmp_ge_u32 s59, s33
	s_cselect_b32 s59, s60, s59
	s_mov_b32 s60, exec_lo
	s_sub_co_i32 s61, s50, s59
	s_mov_b32 s59, 0
	s_mov_b32 s50, 0
	v_cmpx_gt_u32_e64 s61, v0
	s_cbranch_execz .LBB72_334
; %bb.325:                              ;   in Loop: Header=BB72_6 Depth=1
	v_dual_mov_b32 v9, v21 :: v_dual_mov_b32 v10, v0
                                        ; implicit-def: $sgpr95
	s_branch .LBB72_329
.LBB72_326:                             ;   in Loop: Header=BB72_329 Depth=2
	s_or_b32 exec_lo, exec_lo, s96
	s_wait_dscnt 0x0
	s_barrier_signal -1
	s_barrier_wait -1
	ds_load_b128 v[4:7], v23 offset:3072
	s_wait_dscnt 0x0
	s_barrier_signal -1
	s_barrier_wait -1
	v_cmp_neq_f64_e32 vcc_lo, 0, v[4:5]
	s_cbranch_vccnz .LBB72_332
; %bb.327:                              ;   in Loop: Header=BB72_329 Depth=2
	v_dual_add_nc_u32 v10, s33, v10 :: v_dual_add_nc_u32 v9, s81, v9
	s_mov_b32 s96, 0
	s_delay_alu instid0(VALU_DEP_1)
	v_cmp_le_u32_e32 vcc_lo, s61, v10
	s_or_not1_b32 s97, vcc_lo, exec_lo
.LBB72_328:                             ;   in Loop: Header=BB72_329 Depth=2
	s_delay_alu instid0(SALU_CYCLE_1) | instskip(NEXT) | instid1(SALU_CYCLE_1)
	s_and_b32 s97, exec_lo, s97
	s_or_b32 s50, s97, s50
	s_and_not1_b32 s95, s95, exec_lo
	s_and_b32 s96, s96, exec_lo
	s_delay_alu instid0(SALU_CYCLE_1)
	s_or_b32 s95, s95, s96
	s_and_not1_b32 exec_lo, exec_lo, s50
	s_cbranch_execz .LBB72_333
.LBB72_329:                             ;   Parent Loop BB72_6 Depth=1
                                        ; =>  This Inner Loop Header: Depth=2
	s_mov_b32 s96, exec_lo
	s_delay_alu instid0(VALU_DEP_1)
	v_cmpx_gt_u32_e64 s58, v10
	s_cbranch_execz .LBB72_326
; %bb.330:                              ;   in Loop: Header=BB72_329 Depth=2
	ds_load_b64 v[4:5], v9
	s_wait_dscnt 0x0
	v_cmp_o_f64_e32 vcc_lo, v[4:5], v[4:5]
	v_ashrrev_i32_e32 v2, 31, v5
	s_delay_alu instid0(VALU_DEP_1) | instskip(NEXT) | instid1(VALU_DEP_1)
	v_or_b32_e32 v6, 0x80000000, v2
	v_xor_b32_e32 v6, v6, v5
	s_delay_alu instid0(VALU_DEP_1) | instskip(NEXT) | instid1(VALU_DEP_1)
	v_dual_cndmask_b32 v6, -1, v6, vcc_lo :: v_dual_bitop2_b32 v2, v2, v4 bitop3:0x14
	v_dual_cndmask_b32 v2, -1, v2, vcc_lo :: v_dual_bitop2_b32 v7, v6, v31 bitop3:0x40
	s_delay_alu instid0(VALU_DEP_1) | instskip(NEXT) | instid1(VALU_DEP_1)
	v_and_b32_e32 v6, v2, v30
	v_cmp_eq_u64_e32 vcc_lo, v[6:7], v[26:27]
	s_and_b32 exec_lo, exec_lo, vcc_lo
	s_cbranch_execz .LBB72_326
; %bb.331:                              ;   in Loop: Header=BB72_329 Depth=2
	v_mov_b32_e32 v2, v23
	ds_store_b128 v23, v[2:5] offset:3072
	s_branch .LBB72_326
.LBB72_332:                             ;   in Loop: Header=BB72_329 Depth=2
	s_mov_b32 s97, -1
	s_mov_b32 s96, -1
                                        ; implicit-def: $vgpr10
                                        ; implicit-def: $vgpr9
	s_branch .LBB72_328
.LBB72_333:                             ;   in Loop: Header=BB72_6 Depth=1
	s_or_b32 exec_lo, exec_lo, s50
	s_delay_alu instid0(SALU_CYCLE_1)
	s_and_b32 s50, s95, exec_lo
.LBB72_334:                             ;   in Loop: Header=BB72_6 Depth=1
	s_or_b32 exec_lo, exec_lo, s60
.LBB72_335:                             ;   in Loop: Header=BB72_6 Depth=1
	s_delay_alu instid0(SALU_CYCLE_1)
	s_and_b32 vcc_lo, exec_lo, s59
	s_cbranch_vccz .LBB72_347
; %bb.336:                              ;   in Loop: Header=BB72_6 Depth=1
                                        ; implicit-def: $vgpr6_vgpr7
	s_and_saveexec_b32 s26, s9
	s_cbranch_execz .LBB72_346
; %bb.337:                              ;   in Loop: Header=BB72_6 Depth=1
	v_dual_mov_b32 v9, v20 :: v_dual_mov_b32 v10, v0
	s_mov_b32 s27, 0
                                        ; implicit-def: $sgpr58
	s_branch .LBB72_341
.LBB72_338:                             ;   in Loop: Header=BB72_341 Depth=2
	s_or_b32 exec_lo, exec_lo, s59
	s_wait_dscnt 0x0
	s_barrier_signal -1
	s_barrier_wait -1
	ds_load_b128 v[4:7], v23 offset:3072
	s_wait_dscnt 0x0
	s_barrier_signal -1
	s_barrier_wait -1
	v_cmp_eq_f64_e32 vcc_lo, 0, v[4:5]
	s_cbranch_vccz .LBB72_344
; %bb.339:                              ;   in Loop: Header=BB72_341 Depth=2
	v_dual_add_nc_u32 v10, s33, v10 :: v_dual_add_nc_u32 v9, s35, v9
	s_mov_b32 s59, 0
	s_delay_alu instid0(VALU_DEP_1)
	v_cmp_le_u32_e32 vcc_lo, s78, v10
	s_or_not1_b32 s60, vcc_lo, exec_lo
.LBB72_340:                             ;   in Loop: Header=BB72_341 Depth=2
	s_delay_alu instid0(SALU_CYCLE_1) | instskip(NEXT) | instid1(SALU_CYCLE_1)
	s_and_b32 s60, exec_lo, s60
	s_or_b32 s27, s60, s27
	s_and_not1_b32 s58, s58, exec_lo
	s_and_b32 s59, s59, exec_lo
	s_delay_alu instid0(SALU_CYCLE_1)
	s_or_b32 s58, s58, s59
	s_and_not1_b32 exec_lo, exec_lo, s27
	s_cbranch_execz .LBB72_345
.LBB72_341:                             ;   Parent Loop BB72_6 Depth=1
                                        ; =>  This Inner Loop Header: Depth=2
	s_mov_b32 s59, exec_lo
	s_delay_alu instid0(VALU_DEP_1)
	v_cmpx_gt_u32_e64 s36, v10
	s_cbranch_execz .LBB72_338
; %bb.342:                              ;   in Loop: Header=BB72_341 Depth=2
	global_load_b64 v[4:5], v9, s[30:31] scale_offset
	s_wait_loadcnt 0x0
	v_cmp_o_f64_e32 vcc_lo, v[4:5], v[4:5]
	v_ashrrev_i32_e32 v2, 31, v5
	s_delay_alu instid0(VALU_DEP_1) | instskip(NEXT) | instid1(VALU_DEP_1)
	v_or_b32_e32 v6, 0x80000000, v2
	v_xor_b32_e32 v6, v6, v5
	s_delay_alu instid0(VALU_DEP_1) | instskip(NEXT) | instid1(VALU_DEP_1)
	v_dual_cndmask_b32 v6, -1, v6, vcc_lo :: v_dual_bitop2_b32 v2, v2, v4 bitop3:0x14
	v_dual_cndmask_b32 v2, -1, v2, vcc_lo :: v_dual_bitop2_b32 v7, v6, v31 bitop3:0x40
	s_delay_alu instid0(VALU_DEP_1) | instskip(NEXT) | instid1(VALU_DEP_1)
	v_and_b32_e32 v6, v2, v30
	v_cmp_eq_u64_e32 vcc_lo, v[6:7], v[26:27]
	s_and_b32 exec_lo, exec_lo, vcc_lo
	s_cbranch_execz .LBB72_338
; %bb.343:                              ;   in Loop: Header=BB72_341 Depth=2
	v_mov_b32_e32 v2, v23
	ds_store_b128 v23, v[2:5] offset:3072
	s_branch .LBB72_338
.LBB72_344:                             ;   in Loop: Header=BB72_341 Depth=2
	s_mov_b32 s60, -1
	s_mov_b32 s59, -1
                                        ; implicit-def: $vgpr10
                                        ; implicit-def: $vgpr9
	s_branch .LBB72_340
.LBB72_345:                             ;   in Loop: Header=BB72_6 Depth=1
	s_or_b32 exec_lo, exec_lo, s27
	s_delay_alu instid0(SALU_CYCLE_1) | instskip(SKIP_1) | instid1(SALU_CYCLE_1)
	s_and_not1_b32 s27, s50, exec_lo
	s_and_b32 s50, s58, exec_lo
	s_or_b32 s50, s27, s50
.LBB72_346:                             ;   in Loop: Header=BB72_6 Depth=1
	s_or_b32 exec_lo, exec_lo, s26
	s_mov_b32 s26, 0
	s_mov_b32 s27, -1
.LBB72_347:                             ;   in Loop: Header=BB72_6 Depth=1
	s_or_not1_b32 s50, s50, exec_lo
.LBB72_348:                             ;   in Loop: Header=BB72_6 Depth=1
	s_or_b32 exec_lo, exec_lo, s28
	s_mov_b32 s58, 0
	s_and_saveexec_b32 s28, s50
	s_cbranch_execz .LBB72_400
; %bb.349:                              ;   in Loop: Header=BB72_6 Depth=1
	v_dual_mov_b32 v9, 1 :: v_dual_mov_b32 v22, 1
	s_xor_b32 s58, s29, -1
	s_mov_b32 s50, 0
	s_and_saveexec_b32 s29, s58
	s_cbranch_execz .LBB72_358
; %bb.350:                              ;   in Loop: Header=BB72_6 Depth=1
	s_mov_b32 s50, exec_lo
	v_cmpx_ge_u32_e64 s18, v8
	s_xor_b32 s50, exec_lo, s50
	s_cbranch_execz .LBB72_355
; %bb.351:                              ;   in Loop: Header=BB72_6 Depth=1
	ds_load_b32 v2, v23 offset:4096
	v_and_b32_e32 v4, s15, v27
	v_and_b32_e32 v5, s14, v26
	s_lshl_b64 s[58:59], 1, s82
	v_or_b32_e32 v31, s13, v31
	v_or_b32_e32 v30, s12, v30
	;; [unrolled: 1-line block ×4, first 2 shown]
	s_wait_dscnt 0x0
	v_cmp_ne_u32_e32 vcc_lo, 0, v2
	s_cbranch_vccnz .LBB72_355
; %bb.352:                              ;   in Loop: Header=BB72_6 Depth=1
	s_and_saveexec_b32 s58, s5
; %bb.353:                              ;   in Loop: Header=BB72_6 Depth=1
	v_mov_b32_e32 v2, s18
	ds_store_b32 v23, v2 offset:4100
; %bb.354:                              ;   in Loop: Header=BB72_6 Depth=1
	s_or_b32 exec_lo, exec_lo, s58
	s_wait_dscnt 0x0
	s_barrier_signal -1
	s_barrier_wait -1
.LBB72_355:                             ;   in Loop: Header=BB72_6 Depth=1
	s_or_saveexec_b32 s50, s50
	v_mov_b32_e32 v22, 5
	s_mov_b32 s58, 0
	s_xor_b32 exec_lo, exec_lo, s50
; %bb.356:                              ;   in Loop: Header=BB72_6 Depth=1
	v_subrev_nc_u32_e32 v8, s18, v8
	v_mov_b32_e32 v22, 0
	s_mov_b32 s58, exec_lo
; %bb.357:                              ;   in Loop: Header=BB72_6 Depth=1
	s_or_b32 exec_lo, exec_lo, s50
	s_delay_alu instid0(VALU_DEP_2)
	v_mov_b32_e32 v9, v8
	s_and_b32 s50, s58, exec_lo
.LBB72_358:                             ;   in Loop: Header=BB72_6 Depth=1
	s_or_b32 exec_lo, exec_lo, s29
	s_mov_b32 s29, -1
                                        ; implicit-def: $sgpr59
                                        ; implicit-def: $sgpr58
	s_and_saveexec_b32 s18, s50
	s_cbranch_execz .LBB72_399
; %bb.359:                              ;   in Loop: Header=BB72_6 Depth=1
	v_cmp_eq_u32_e32 vcc_lo, 1, v9
	s_cmp_eq_u32 s17, 1
	s_mov_b32 s61, -1
	s_cselect_b32 s29, -1, 0
                                        ; implicit-def: $sgpr59
                                        ; implicit-def: $sgpr58
	s_delay_alu instid0(SALU_CYCLE_1) | instskip(NEXT) | instid1(SALU_CYCLE_1)
	s_and_b32 s29, s29, vcc_lo
	s_and_saveexec_b32 s60, s29
	s_cbranch_execz .LBB72_387
; %bb.360:                              ;   in Loop: Header=BB72_6 Depth=1
	ds_load_b32 v2, v23 offset:4096
	s_wait_dscnt 0x0
	s_barrier_signal -1
	s_barrier_wait -1
	v_readfirstlane_b32 s61, v2
	s_and_saveexec_b32 s50, s6
; %bb.361:                              ;   in Loop: Header=BB72_6 Depth=1
	ds_store_b64 v32, v[28:29]
; %bb.362:                              ;   in Loop: Header=BB72_6 Depth=1
	s_or_b32 exec_lo, exec_lo, s50
	v_and_b32_e32 v27, s15, v27
	v_and_b32_e32 v26, s14, v26
	v_or_b32_e32 v31, s13, v31
	v_or_b32_e32 v30, s12, v30
	s_mov_b32 s58, -1
	s_mov_b32 s59, 0
	s_cmp_eq_u32 s61, 0
	s_mov_b32 s50, 0
	s_mov_b32 s95, -1
	s_wait_dscnt 0x0
	s_barrier_signal -1
	s_barrier_wait -1
                                        ; implicit-def: $vgpr6_vgpr7
	s_cbranch_scc1 .LBB72_374
; %bb.363:                              ;   in Loop: Header=BB72_6 Depth=1
	s_add_co_i32 s50, s61, s70
                                        ; implicit-def: $vgpr6_vgpr7
	s_delay_alu instid0(SALU_CYCLE_1) | instskip(NEXT) | instid1(SALU_CYCLE_1)
	s_mul_u64 s[96:97], s[50:51], s[54:55]
	s_mul_i32 s95, s97, s33
	s_delay_alu instid0(SALU_CYCLE_1) | instskip(NEXT) | instid1(SALU_CYCLE_1)
	s_sub_co_i32 s95, s50, s95
	s_sub_co_i32 s96, s95, s33
	s_cmp_ge_u32 s95, s33
	s_cselect_b32 s95, s96, s95
	s_delay_alu instid0(SALU_CYCLE_1)
	s_sub_co_i32 s96, s95, s33
	s_cmp_ge_u32 s95, s33
	s_cselect_b32 s95, s96, s95
	s_mov_b32 s96, exec_lo
	s_sub_co_i32 s97, s50, s95
	s_mov_b32 s95, 0
	s_mov_b32 s50, 0
	v_cmpx_gt_u32_e64 s97, v0
	s_cbranch_execz .LBB72_373
; %bb.364:                              ;   in Loop: Header=BB72_6 Depth=1
	v_dual_mov_b32 v8, v21 :: v_dual_mov_b32 v10, v0
                                        ; implicit-def: $sgpr98
	s_branch .LBB72_368
.LBB72_365:                             ;   in Loop: Header=BB72_368 Depth=2
	s_or_b32 exec_lo, exec_lo, s99
	s_wait_dscnt 0x0
	s_barrier_signal -1
	s_barrier_wait -1
	ds_load_b128 v[4:7], v23 offset:3072
	s_wait_dscnt 0x0
	s_barrier_signal -1
	s_barrier_wait -1
	v_cmp_neq_f64_e32 vcc_lo, 0, v[4:5]
	s_cbranch_vccnz .LBB72_371
; %bb.366:                              ;   in Loop: Header=BB72_368 Depth=2
	v_dual_add_nc_u32 v10, s33, v10 :: v_dual_add_nc_u32 v8, s81, v8
	s_mov_b32 s99, 0
	s_delay_alu instid0(VALU_DEP_1)
	v_cmp_le_u32_e32 vcc_lo, s97, v10
	s_or_not1_b32 s100, vcc_lo, exec_lo
.LBB72_367:                             ;   in Loop: Header=BB72_368 Depth=2
	s_delay_alu instid0(SALU_CYCLE_1) | instskip(NEXT) | instid1(SALU_CYCLE_1)
	s_and_b32 s100, exec_lo, s100
	s_or_b32 s50, s100, s50
	s_and_not1_b32 s98, s98, exec_lo
	s_and_b32 s99, s99, exec_lo
	s_delay_alu instid0(SALU_CYCLE_1)
	s_or_b32 s98, s98, s99
	s_and_not1_b32 exec_lo, exec_lo, s50
	s_cbranch_execz .LBB72_372
.LBB72_368:                             ;   Parent Loop BB72_6 Depth=1
                                        ; =>  This Inner Loop Header: Depth=2
	s_mov_b32 s99, exec_lo
	s_delay_alu instid0(VALU_DEP_1)
	v_cmpx_gt_u32_e64 s61, v10
	s_cbranch_execz .LBB72_365
; %bb.369:                              ;   in Loop: Header=BB72_368 Depth=2
	ds_load_b64 v[4:5], v8
	s_wait_dscnt 0x0
	v_cmp_o_f64_e32 vcc_lo, v[4:5], v[4:5]
	v_ashrrev_i32_e32 v2, 31, v5
	s_delay_alu instid0(VALU_DEP_1) | instskip(NEXT) | instid1(VALU_DEP_1)
	v_or_b32_e32 v6, 0x80000000, v2
	v_xor_b32_e32 v6, v6, v5
	s_delay_alu instid0(VALU_DEP_1) | instskip(NEXT) | instid1(VALU_DEP_1)
	v_dual_cndmask_b32 v6, -1, v6, vcc_lo :: v_dual_bitop2_b32 v2, v2, v4 bitop3:0x14
	v_dual_cndmask_b32 v2, -1, v2, vcc_lo :: v_dual_bitop2_b32 v7, v6, v31 bitop3:0x40
	s_delay_alu instid0(VALU_DEP_1) | instskip(NEXT) | instid1(VALU_DEP_1)
	v_and_b32_e32 v6, v2, v30
	v_cmp_eq_u64_e32 vcc_lo, v[6:7], v[26:27]
	s_and_b32 exec_lo, exec_lo, vcc_lo
	s_cbranch_execz .LBB72_365
; %bb.370:                              ;   in Loop: Header=BB72_368 Depth=2
	v_mov_b32_e32 v2, v23
	ds_store_b128 v23, v[2:5] offset:3072
	s_branch .LBB72_365
.LBB72_371:                             ;   in Loop: Header=BB72_368 Depth=2
	s_mov_b32 s100, -1
	s_mov_b32 s99, -1
                                        ; implicit-def: $vgpr10
                                        ; implicit-def: $vgpr8
	s_branch .LBB72_367
.LBB72_372:                             ;   in Loop: Header=BB72_6 Depth=1
	s_or_b32 exec_lo, exec_lo, s50
	s_delay_alu instid0(SALU_CYCLE_1)
	s_and_b32 s50, s98, exec_lo
.LBB72_373:                             ;   in Loop: Header=BB72_6 Depth=1
	s_or_b32 exec_lo, exec_lo, s96
.LBB72_374:                             ;   in Loop: Header=BB72_6 Depth=1
	s_delay_alu instid0(SALU_CYCLE_1)
	s_and_b32 vcc_lo, exec_lo, s95
	s_cbranch_vccz .LBB72_386
; %bb.375:                              ;   in Loop: Header=BB72_6 Depth=1
                                        ; implicit-def: $vgpr6_vgpr7
	s_and_saveexec_b32 s58, s9
	s_cbranch_execz .LBB72_385
; %bb.376:                              ;   in Loop: Header=BB72_6 Depth=1
	v_dual_mov_b32 v8, v20 :: v_dual_mov_b32 v10, v0
	s_mov_b32 s59, 0
                                        ; implicit-def: $sgpr61
	s_branch .LBB72_380
.LBB72_377:                             ;   in Loop: Header=BB72_380 Depth=2
	s_or_b32 exec_lo, exec_lo, s95
	s_wait_dscnt 0x0
	s_barrier_signal -1
	s_barrier_wait -1
	ds_load_b128 v[4:7], v23 offset:3072
	s_wait_dscnt 0x0
	s_barrier_signal -1
	s_barrier_wait -1
	v_cmp_eq_f64_e32 vcc_lo, 0, v[4:5]
	s_cbranch_vccz .LBB72_383
; %bb.378:                              ;   in Loop: Header=BB72_380 Depth=2
	v_dual_add_nc_u32 v10, s33, v10 :: v_dual_add_nc_u32 v8, s35, v8
	s_mov_b32 s95, 0
	s_delay_alu instid0(VALU_DEP_1)
	v_cmp_le_u32_e32 vcc_lo, s78, v10
	s_or_not1_b32 s96, vcc_lo, exec_lo
.LBB72_379:                             ;   in Loop: Header=BB72_380 Depth=2
	s_delay_alu instid0(SALU_CYCLE_1) | instskip(NEXT) | instid1(SALU_CYCLE_1)
	s_and_b32 s96, exec_lo, s96
	s_or_b32 s59, s96, s59
	s_and_not1_b32 s61, s61, exec_lo
	s_and_b32 s95, s95, exec_lo
	s_delay_alu instid0(SALU_CYCLE_1)
	s_or_b32 s61, s61, s95
	s_and_not1_b32 exec_lo, exec_lo, s59
	s_cbranch_execz .LBB72_384
.LBB72_380:                             ;   Parent Loop BB72_6 Depth=1
                                        ; =>  This Inner Loop Header: Depth=2
	s_mov_b32 s95, exec_lo
	s_delay_alu instid0(VALU_DEP_1)
	v_cmpx_gt_u32_e64 s36, v10
	s_cbranch_execz .LBB72_377
; %bb.381:                              ;   in Loop: Header=BB72_380 Depth=2
	global_load_b64 v[4:5], v8, s[30:31] scale_offset
	s_wait_loadcnt 0x0
	v_cmp_o_f64_e32 vcc_lo, v[4:5], v[4:5]
	v_ashrrev_i32_e32 v2, 31, v5
	s_delay_alu instid0(VALU_DEP_1) | instskip(NEXT) | instid1(VALU_DEP_1)
	v_or_b32_e32 v6, 0x80000000, v2
	v_xor_b32_e32 v6, v6, v5
	s_delay_alu instid0(VALU_DEP_1) | instskip(NEXT) | instid1(VALU_DEP_1)
	v_dual_cndmask_b32 v6, -1, v6, vcc_lo :: v_dual_bitop2_b32 v2, v2, v4 bitop3:0x14
	v_dual_cndmask_b32 v2, -1, v2, vcc_lo :: v_dual_bitop2_b32 v7, v6, v31 bitop3:0x40
	s_delay_alu instid0(VALU_DEP_1) | instskip(NEXT) | instid1(VALU_DEP_1)
	v_and_b32_e32 v6, v2, v30
	v_cmp_eq_u64_e32 vcc_lo, v[6:7], v[26:27]
	s_and_b32 exec_lo, exec_lo, vcc_lo
	s_cbranch_execz .LBB72_377
; %bb.382:                              ;   in Loop: Header=BB72_380 Depth=2
	v_mov_b32_e32 v2, v23
	ds_store_b128 v23, v[2:5] offset:3072
	s_branch .LBB72_377
.LBB72_383:                             ;   in Loop: Header=BB72_380 Depth=2
	s_mov_b32 s96, -1
	s_mov_b32 s95, -1
                                        ; implicit-def: $vgpr10
                                        ; implicit-def: $vgpr8
	s_branch .LBB72_379
.LBB72_384:                             ;   in Loop: Header=BB72_6 Depth=1
	s_or_b32 exec_lo, exec_lo, s59
	s_delay_alu instid0(SALU_CYCLE_1) | instskip(SKIP_1) | instid1(SALU_CYCLE_1)
	s_and_not1_b32 s50, s50, exec_lo
	s_and_b32 s59, s61, exec_lo
	s_or_b32 s50, s50, s59
.LBB72_385:                             ;   in Loop: Header=BB72_6 Depth=1
	s_or_b32 exec_lo, exec_lo, s58
	s_mov_b32 s58, 0
	s_mov_b32 s59, -1
.LBB72_386:                             ;   in Loop: Header=BB72_6 Depth=1
	s_or_not1_b32 s61, s50, exec_lo
.LBB72_387:                             ;   in Loop: Header=BB72_6 Depth=1
	s_or_b32 exec_lo, exec_lo, s60
	s_mov_b32 s60, 0
	s_and_saveexec_b32 s50, s61
	s_cbranch_execz .LBB72_398
; %bb.388:                              ;   in Loop: Header=BB72_6 Depth=1
	v_dual_mov_b32 v22, 1 :: v_dual_mov_b32 v2, 1
	s_xor_b32 s60, s29, -1
	s_delay_alu instid0(SALU_CYCLE_1)
	s_and_saveexec_b32 s29, s60
	s_cbranch_execz .LBB72_397
; %bb.389:                              ;   in Loop: Header=BB72_6 Depth=1
	s_mov_b32 s60, exec_lo
	v_cmpx_ge_u32_e64 s17, v9
	s_xor_b32 s60, exec_lo, s60
	s_cbranch_execz .LBB72_394
; %bb.390:                              ;   in Loop: Header=BB72_6 Depth=1
	ds_load_b32 v2, v23 offset:4096
	v_and_b32_e32 v27, s15, v27
	v_and_b32_e32 v26, s14, v26
	v_or_b32_e32 v31, s13, v31
	v_or_b32_e32 v30, s12, v30
	s_wait_dscnt 0x0
	v_cmp_ne_u32_e32 vcc_lo, 0, v2
	s_cbranch_vccnz .LBB72_394
; %bb.391:                              ;   in Loop: Header=BB72_6 Depth=1
	s_and_saveexec_b32 s12, s5
; %bb.392:                              ;   in Loop: Header=BB72_6 Depth=1
	v_mov_b32_e32 v2, s17
	ds_store_b32 v23, v2 offset:4100
; %bb.393:                              ;   in Loop: Header=BB72_6 Depth=1
	s_or_b32 exec_lo, exec_lo, s12
	s_wait_dscnt 0x0
	s_barrier_signal -1
	s_barrier_wait -1
.LBB72_394:                             ;   in Loop: Header=BB72_6 Depth=1
	s_and_not1_saveexec_b32 s12, s60
; %bb.395:                              ;   in Loop: Header=BB72_6 Depth=1
	v_subrev_nc_u32_e32 v9, s17, v9
; %bb.396:                              ;   in Loop: Header=BB72_6 Depth=1
	s_or_b32 exec_lo, exec_lo, s12
	s_delay_alu instid0(VALU_DEP_1)
	v_dual_mov_b32 v22, 5 :: v_dual_mov_b32 v2, v9
.LBB72_397:                             ;   in Loop: Header=BB72_6 Depth=1
	s_or_b32 exec_lo, exec_lo, s29
	s_delay_alu instid0(VALU_DEP_1)
	v_mov_b32_e32 v9, v2
	s_mov_b32 s60, exec_lo
.LBB72_398:                             ;   in Loop: Header=BB72_6 Depth=1
	s_or_b32 exec_lo, exec_lo, s50
	s_delay_alu instid0(SALU_CYCLE_1)
	s_or_not1_b32 s29, s60, exec_lo
.LBB72_399:                             ;   in Loop: Header=BB72_6 Depth=1
	s_or_b32 exec_lo, exec_lo, s18
	s_delay_alu instid0(SALU_CYCLE_1)
	s_and_not1_b32 s12, s27, exec_lo
	s_and_b32 s13, s59, exec_lo
	s_and_not1_b32 s14, s26, exec_lo
	s_and_b32 s15, s58, exec_lo
	v_mov_b32_e32 v8, v9
	s_or_b32 s27, s12, s13
	s_or_b32 s26, s14, s15
	s_and_b32 s58, s29, exec_lo
.LBB72_400:                             ;   in Loop: Header=BB72_6 Depth=1
	s_or_b32 exec_lo, exec_lo, s28
	s_delay_alu instid0(SALU_CYCLE_1)
	s_or_not1_b32 s28, s58, exec_lo
.LBB72_401:                             ;   in Loop: Header=BB72_6 Depth=1
	s_or_b32 exec_lo, exec_lo, s19
	s_delay_alu instid0(SALU_CYCLE_1)
	s_and_not1_b32 s12, s23, exec_lo
	s_and_b32 s13, s27, exec_lo
	s_and_not1_b32 s14, s20, exec_lo
	s_and_b32 s15, s26, exec_lo
	v_mov_b32_e32 v43, v8
	s_or_b32 s23, s12, s13
	s_or_b32 s20, s14, s15
	s_and_b32 s28, s28, exec_lo
.LBB72_402:                             ;   in Loop: Header=BB72_6 Depth=1
	s_or_b32 exec_lo, exec_lo, s25
	s_delay_alu instid0(SALU_CYCLE_1)
	s_or_not1_b32 s25, s28, exec_lo
.LBB72_403:                             ;   in Loop: Header=BB72_6 Depth=1
	s_or_b32 exec_lo, exec_lo, s10
	s_mov_b32 s10, s21
	s_mov_b32 s12, s11
	s_and_saveexec_b32 s13, s25
; %bb.404:                              ;   in Loop: Header=BB72_6 Depth=1
	v_cmp_ne_u32_e32 vcc_lo, 5, v22
	v_cmp_eq_u32_e64 s10, 5, v22
	s_and_not1_b32 s12, s11, exec_lo
	s_and_not1_b32 s14, s21, exec_lo
	s_and_b32 s15, vcc_lo, exec_lo
	s_and_b32 s10, s10, exec_lo
	s_or_b32 s12, s12, s15
	s_or_b32 s10, s14, s10
; %bb.405:                              ;   in Loop: Header=BB72_6 Depth=1
	s_or_b32 exec_lo, exec_lo, s13
	s_delay_alu instid0(SALU_CYCLE_1)
	s_and_not1_b32 s13, s24, exec_lo
	s_and_b32 s14, s23, exec_lo
	s_and_not1_b32 s15, s16, exec_lo
	s_and_b32 s16, s20, exec_lo
	s_or_b32 s24, s13, s14
	s_and_not1_b32 s11, s11, exec_lo
	s_and_b32 s12, s12, exec_lo
	s_and_not1_b32 s13, s21, exec_lo
	s_and_b32 s10, s10, exec_lo
	s_or_b32 s16, s15, s16
	s_or_b32 s11, s11, s12
	;; [unrolled: 1-line block ×3, first 2 shown]
.LBB72_406:                             ;   in Loop: Header=BB72_6 Depth=1
	s_or_b32 exec_lo, exec_lo, s22
	s_mov_b32 s22, 0
	s_mov_b32 s23, 0
	s_and_saveexec_b32 s10, s21
.LBB72_407:                             ;   in Loop: Header=BB72_6 Depth=1
	v_mov_b32_e32 v22, 0
	s_or_b32 s11, s11, exec_lo
.LBB72_408:                             ;   in Loop: Header=BB72_6 Depth=1
	s_or_b32 exec_lo, exec_lo, s10
	s_delay_alu instid0(SALU_CYCLE_1)
	s_and_not1_b32 s10, s92, exec_lo
	s_and_b32 s13, s24, exec_lo
	s_and_not1_b32 s14, s90, exec_lo
	s_and_b32 s15, s16, exec_lo
	v_mov_b32_e32 v42, v43
	s_or_b32 s92, s10, s13
	s_or_b32 s90, s14, s15
	s_and_not1_b32 s10, s94, exec_lo
	s_and_b32 s13, s23, exec_lo
	s_and_not1_b32 s14, s93, exec_lo
	s_and_b32 s15, s22, exec_lo
	s_mov_b32 s12, -1
	s_and_not1_b32 s91, s91, exec_lo
	s_or_b32 s94, s10, s13
	s_or_b32 s93, s14, s15
	s_and_saveexec_b32 s10, s11
	s_delay_alu instid0(SALU_CYCLE_1)
	s_xor_b32 s10, exec_lo, s10
	s_cbranch_execz .LBB72_5
; %bb.409:                              ;   in Loop: Header=BB72_6 Depth=1
	s_mov_b32 s11, -1
	s_mov_b32 s13, exec_lo
	v_cmpx_eq_u32_e32 0, v22
	s_cbranch_execz .LBB72_4
; %bb.410:                              ;   in Loop: Header=BB72_6 Depth=1
	s_xor_b32 s85, s85, 1
	s_add_co_i32 s14, s82, -2
	s_cmp_eq_u32 s82, 0
	s_mov_b32 s82, s14
	s_cselect_b32 s11, -1, 0
	s_xor_b32 s12, exec_lo, -1
	s_or_not1_b32 s11, s11, exec_lo
	s_branch .LBB72_4
.LBB72_411:
	s_or_b32 exec_lo, exec_lo, s83
	s_xor_b32 s7, s89, -1
	s_xor_b32 s9, s87, -1
	;; [unrolled: 1-line block ×5, first 2 shown]
	s_mov_b32 s8, 0
	s_and_saveexec_b32 s12, s11
	s_delay_alu instid0(SALU_CYCLE_1)
	s_xor_b32 s12, exec_lo, s12
	s_cbranch_execnz .LBB72_416
; %bb.412:
	s_wait_xcnt 0x0
	s_and_not1_saveexec_b32 s0, s12
	s_cbranch_execnz .LBB72_435
.LBB72_413:
	s_or_b32 exec_lo, exec_lo, s0
	s_and_saveexec_b32 s0, s8
.LBB72_414:
	; divergent unreachable
.LBB72_415:
	s_endpgm
.LBB72_416:
	s_and_saveexec_b32 s11, s10
	s_delay_alu instid0(SALU_CYCLE_1)
	s_xor_b32 s13, exec_lo, s11
	s_cbranch_execz .LBB72_433
; %bb.417:
	s_and_saveexec_b32 s10, s9
	s_delay_alu instid0(SALU_CYCLE_1)
	s_xor_b32 s14, exec_lo, s10
	s_cbranch_execz .LBB72_431
; %bb.418:
	;; [unrolled: 5-line block ×3, first 2 shown]
	s_and_saveexec_b32 s7, s6
	s_delay_alu instid0(SALU_CYCLE_1)
	s_xor_b32 s6, exec_lo, s7
; %bb.420:
	v_dual_mov_b32 v3, 0 :: v_dual_lshrrev_b32 v2, 31, v27
	s_delay_alu instid0(VALU_DEP_1) | instskip(NEXT) | instid1(VALU_DEP_1)
	v_add_nc_u64_e32 v[2:3], -1, v[2:3]
	v_or_b32_e32 v1, 0x80000000, v3
	s_delay_alu instid0(VALU_DEP_2) | instskip(NEXT) | instid1(VALU_DEP_2)
	v_xor_b32_e32 v6, v2, v26
	v_xor_b32_e32 v7, v1, v27
; %bb.421:
	s_or_b32 exec_lo, exec_lo, s6
	s_and_saveexec_b32 s6, s5
; %bb.422:
	v_mov_b32_e32 v1, 0
	ds_store_b32 v1, v1 offset:4108
; %bb.423:
	s_or_b32 exec_lo, exec_lo, s6
	v_mov_b64_e32 v[4:5], 0
	s_wait_dscnt 0x0
	s_barrier_signal -1
	s_barrier_wait -1
	s_and_saveexec_b32 s5, s4
	s_cbranch_execz .LBB72_425
; %bb.424:
	global_load_b64 v[4:5], v[18:19], off
.LBB72_425:
	s_wait_xcnt 0x0
	s_or_b32 exec_lo, exec_lo, s5
	s_mul_i32 s6, s49, s64
	s_add_co_i32 s5, s36, 31
	s_sub_co_i32 s6, s34, s6
	s_add_co_i32 s7, s49, 1
	s_and_not1_b32 s5, s5, 31
	s_sub_co_i32 s8, s6, s64
	s_cmp_ge_u32 s6, s64
	v_cmp_o_f64_e32 vcc_lo, v[6:7], v[6:7]
	s_cselect_b32 s7, s7, s49
	s_cselect_b32 s6, s8, s6
	s_add_co_i32 s8, s7, 1
	s_cmp_ge_u32 s6, s64
	s_mul_i32 s6, s47, s63
	s_cselect_b32 s7, s8, s7
	s_sub_co_i32 s6, s34, s6
	s_mul_i32 s8, s7, s64
	s_mul_i32 s7, s7, s42
	s_sub_co_i32 s8, s34, s8
	s_add_co_i32 s9, s47, 1
	s_mul_i32 s8, s8, s43
	s_sub_co_i32 s11, s6, s63
	s_add_co_i32 s10, s7, s8
	s_cmp_ge_u32 s6, s63
	v_ashrrev_i32_e32 v1, 31, v7
	s_clause 0x1
	s_load_b32 s16, s[0:1], 0x1c8
	s_load_b32 s17, s[0:1], 0x2a8
	s_wait_xcnt 0x0
	s_cselect_b32 s1, s9, s47
	s_cselect_b32 s0, s11, s6
	s_add_co_i32 s6, s1, 1
	s_cmp_ge_u32 s0, s63
	v_or_b32_e32 v2, 0x80000000, v1
	s_cselect_b32 s1, s6, s1
	s_mov_b32 s11, 0
	s_mul_i32 s6, s1, s63
	s_mul_i32 s1, s1, s40
	v_xor_b32_e32 v2, v2, v7
	v_xor_b32_e32 v1, v1, v6
	s_sub_co_i32 s6, s34, s6
	s_mov_b32 s7, s11
	s_mul_i32 s6, s6, s41
	s_delay_alu instid0(VALU_DEP_1)
	v_dual_cndmask_b32 v3, -1, v2 :: v_dual_cndmask_b32 v2, -1, v1
	s_add_co_i32 s6, s1, s6
	v_cmp_gt_u32_e32 vcc_lo, s5, v0
	s_lshl_b64 s[8:9], s[10:11], 3
	s_lshl_b64 s[18:19], s[6:7], 3
	s_mov_b32 s0, -1
	s_wait_kmcnt 0x0
	s_add_nc_u64 s[6:7], s[44:45], s[8:9]
	s_add_nc_u64 s[8:9], s[38:39], s[18:19]
	s_mov_b32 s1, 0
	s_and_saveexec_b32 s10, vcc_lo
	s_cbranch_execnz .LBB72_436
; %bb.426:
	s_or_b32 exec_lo, exec_lo, s10
	s_and_saveexec_b32 s3, s0
	s_cbranch_execnz .LBB72_453
.LBB72_427:
	s_or_b32 exec_lo, exec_lo, s3
	s_and_saveexec_b32 s0, s1
	s_delay_alu instid0(SALU_CYCLE_1)
	s_xor_b32 s0, exec_lo, s0
	s_cbranch_execnz .LBB72_478
.LBB72_428:
	s_or_b32 exec_lo, exec_lo, s0
	s_delay_alu instid0(SALU_CYCLE_1)
	s_and_b32 s8, s11, exec_lo
.LBB72_429:
	s_wait_xcnt 0x0
	s_and_not1_saveexec_b32 s0, s15
	s_cbranch_execnz .LBB72_480
.LBB72_430:
	s_or_b32 exec_lo, exec_lo, s0
	s_delay_alu instid0(SALU_CYCLE_1)
	s_and_b32 s8, s8, exec_lo
.LBB72_431:
	s_wait_xcnt 0x0
	s_and_not1_saveexec_b32 s0, s14
	s_cbranch_execnz .LBB72_479
.LBB72_432:
	s_or_b32 exec_lo, exec_lo, s0
	s_delay_alu instid0(SALU_CYCLE_1)
	s_and_b32 s8, s8, exec_lo
.LBB72_433:
	s_wait_xcnt 0x0
	s_and_not1_saveexec_b32 s0, s13
	s_cbranch_execnz .LBB72_474
.LBB72_434:
	s_or_b32 exec_lo, exec_lo, s0
	s_delay_alu instid0(SALU_CYCLE_1)
	s_and_b32 s8, s8, exec_lo
	s_and_not1_saveexec_b32 s0, s12
	s_cbranch_execz .LBB72_413
.LBB72_435:
	s_or_b32 s8, s8, exec_lo
	s_trap 2
	s_or_b32 exec_lo, exec_lo, s0
	s_and_saveexec_b32 s0, s8
	s_cbranch_execnz .LBB72_414
	s_branch .LBB72_415
.LBB72_436:
	v_dual_add_nc_u32 v1, s33, v0 :: v_dual_mov_b32 v7, 0
	v_mov_b32_e32 v6, v0
	s_mov_b32 s18, 0
                                        ; implicit-def: $sgpr19
                                        ; implicit-def: $vgpr11
	s_delay_alu instid0(VALU_DEP_2)
	v_mul_lo_u32 v1, s62, v1
	s_branch .LBB72_438
.LBB72_437:                             ;   in Loop: Header=BB72_438 Depth=1
	s_or_b32 exec_lo, exec_lo, s21
	s_xor_b32 s0, s20, -1
	s_and_b32 s1, exec_lo, s1
	s_wait_loadcnt 0x0
	v_mov_b64_e32 v[4:5], v[8:9]
	s_or_b32 s18, s1, s18
	v_mov_b32_e32 v6, v10
	s_and_not1_b32 s1, s19, exec_lo
	s_and_b32 s0, s0, exec_lo
	s_delay_alu instid0(SALU_CYCLE_1)
	s_or_b32 s19, s1, s0
	s_and_not1_b32 exec_lo, exec_lo, s18
	s_cbranch_execz .LBB72_452
.LBB72_438:                             ; =>This Inner Loop Header: Depth=1
	v_mov_b64_e32 v[8:9], 0
	v_add_nc_u32_e32 v10, s33, v6
	s_mov_b32 s1, exec_lo
	s_delay_alu instid0(VALU_DEP_1)
	v_cmpx_gt_u32_e64 s36, v10
	s_cbranch_execz .LBB72_440
; %bb.439:                              ;   in Loop: Header=BB72_438 Depth=1
	global_load_b64 v[8:9], v1, s[30:31] scale_offset
.LBB72_440:                             ;   in Loop: Header=BB72_438 Depth=1
	s_wait_xcnt 0x0
	s_or_b32 exec_lo, exec_lo, s1
	s_mov_b32 s20, 0
	s_mov_b32 s1, exec_lo
	v_cmpx_gt_u32_e64 s36, v6
	s_cbranch_execz .LBB72_442
; %bb.441:                              ;   in Loop: Header=BB72_438 Depth=1
	s_wait_loadcnt 0x0
	v_cmp_o_f64_e64 s0, v[4:5], v[4:5]
	v_ashrrev_i32_e32 v12, 31, v5
	s_delay_alu instid0(VALU_DEP_1) | instskip(NEXT) | instid1(VALU_DEP_1)
	v_or_b32_e32 v13, 0x80000000, v12
	v_xor_b32_e32 v13, v13, v5
	s_delay_alu instid0(VALU_DEP_1) | instskip(NEXT) | instid1(VALU_DEP_1)
	v_dual_cndmask_b32 v13, -1, v13, s0 :: v_dual_bitop2_b32 v12, v12, v4 bitop3:0x14
	v_cndmask_b32_e64 v12, -1, v12, s0
	s_delay_alu instid0(VALU_DEP_1) | instskip(NEXT) | instid1(VALU_DEP_1)
	v_cmp_gt_u64_e64 s0, v[12:13], v[2:3]
	v_cndmask_b32_e64 v14, 0, 1, s0
	v_cmp_lt_u64_e64 s0, v[12:13], v[2:3]
	s_delay_alu instid0(VALU_DEP_1) | instskip(NEXT) | instid1(VALU_DEP_1)
	v_cndmask_b32_e64 v12, 0, 1, s0
	v_cndmask_b32_e64 v12, v12, v14, s3
	s_delay_alu instid0(VALU_DEP_1) | instskip(NEXT) | instid1(VALU_DEP_1)
	v_and_b32_e32 v12, 1, v12
	v_cmp_eq_u32_e64 s0, 1, v12
	s_and_b32 s20, s0, exec_lo
.LBB72_442:                             ;   in Loop: Header=BB72_438 Depth=1
	s_or_b32 exec_lo, exec_lo, s1
	v_cndmask_b32_e64 v12, 0, 1, s20
	s_delay_alu instid0(VALU_DEP_1) | instskip(SKIP_2) | instid1(SALU_CYCLE_1)
	v_cmp_ne_u32_e64 s0, 0, v12
	s_cmp_lg_u32 s0, 0
	s_cselect_b32 s1, -1, 0
	s_and_b32 s1, s2, s1
	s_delay_alu instid0(SALU_CYCLE_1)
	s_and_saveexec_b32 s21, s1
	s_cbranch_execz .LBB72_446
; %bb.443:                              ;   in Loop: Header=BB72_438 Depth=1
	s_mov_b32 s24, exec_lo
	s_bcnt1_i32_b32 s22, s0
	s_wait_dscnt 0x0
	v_mbcnt_lo_u32_b32 v11, s24, 0
	s_mov_b32 s23, exec_lo
                                        ; implicit-def: $vgpr12
	s_delay_alu instid0(VALU_DEP_1)
	v_cmpx_eq_u32_e32 0, v11
; %bb.444:                              ;   in Loop: Header=BB72_438 Depth=1
	s_bcnt1_i32_b32 s1, s24
	s_delay_alu instid0(SALU_CYCLE_1) | instskip(NEXT) | instid1(SALU_CYCLE_1)
	s_mul_i32 s1, s22, s1
	v_mov_b32_e32 v12, s1
	ds_add_rtn_u32 v12, v7, v12 offset:4108
; %bb.445:                              ;   in Loop: Header=BB72_438 Depth=1
	s_or_b32 exec_lo, exec_lo, s23
	s_wait_dscnt 0x0
	v_readfirstlane_b32 s1, v12
	s_delay_alu instid0(VALU_DEP_1)
	v_mad_u32_u24 v11, s22, v11, s1
.LBB72_446:                             ;   in Loop: Header=BB72_438 Depth=1
	s_or_b32 exec_lo, exec_lo, s21
	s_wait_dscnt 0x0
	ds_bpermute_b32 v11, v7, v11
	s_mov_b32 s1, -1
	s_mov_b32 s22, -1
	s_and_saveexec_b32 s21, s20
	s_cbranch_execz .LBB72_450
; %bb.447:                              ;   in Loop: Header=BB72_438 Depth=1
	v_and_b32_e32 v12, s0, v16
	s_mov_b32 s20, 0
	s_mov_b32 s22, exec_lo
	s_wait_dscnt 0x0
	s_delay_alu instid0(VALU_DEP_1) | instskip(NEXT) | instid1(VALU_DEP_1)
	v_bcnt_u32_b32 v12, v12, v11
	v_cmpx_gt_u32_e64 s37, v12
	s_cbranch_execz .LBB72_449
; %bb.448:                              ;   in Loop: Header=BB72_438 Depth=1
	v_mul_lo_u32 v13, v12, s16
	v_mul_lo_u32 v12, v12, s17
	s_mov_b32 s20, exec_lo
	s_wait_loadcnt 0x0
	global_store_b64 v13, v[4:5], s[6:7] scale_offset
	global_store_b64 v12, v[6:7], s[8:9] scale_offset
.LBB72_449:                             ;   in Loop: Header=BB72_438 Depth=1
	s_wait_xcnt 0x0
	s_or_b32 exec_lo, exec_lo, s22
	s_delay_alu instid0(SALU_CYCLE_1)
	s_or_not1_b32 s22, s20, exec_lo
.LBB72_450:                             ;   in Loop: Header=BB72_438 Depth=1
	s_or_b32 exec_lo, exec_lo, s21
	s_mov_b32 s20, -1
	s_and_saveexec_b32 s21, s22
	s_cbranch_execz .LBB72_437
; %bb.451:                              ;   in Loop: Header=BB72_438 Depth=1
	v_cmp_le_u32_e64 s0, s5, v10
	v_add_nc_u32_e32 v1, s35, v1
	s_xor_b32 s20, exec_lo, -1
	s_or_not1_b32 s1, s0, exec_lo
	s_branch .LBB72_437
.LBB72_452:
	s_or_b32 exec_lo, exec_lo, s18
	s_delay_alu instid0(SALU_CYCLE_1)
	s_mov_b32 s1, exec_lo
	s_or_not1_b32 s0, s19, exec_lo
	s_or_b32 exec_lo, exec_lo, s10
	s_and_saveexec_b32 s3, s0
	s_cbranch_execz .LBB72_427
.LBB72_453:
	v_mov_b64_e32 v[6:7], 0
	s_wait_storecnt 0x0
	s_wait_loadcnt_dscnt 0x0
	s_barrier_signal -1
	s_barrier_wait -1
	s_and_saveexec_b32 s0, s4
	s_cbranch_execz .LBB72_455
; %bb.454:
	global_load_b64 v[6:7], v[18:19], off
.LBB72_455:
	s_wait_xcnt 0x0
	s_or_b32 exec_lo, exec_lo, s0
	s_mov_b32 s0, 0
	s_and_saveexec_b32 s4, vcc_lo
	s_cbranch_execz .LBB72_477
; %bb.456:
	v_add_nc_u32_e32 v1, s33, v0
	s_mov_b32 s10, 0
                                        ; implicit-def: $sgpr11
                                        ; implicit-def: $vgpr10
	s_delay_alu instid0(VALU_DEP_1)
	v_mul_lo_u32 v8, s62, v1
	v_mov_b32_e32 v1, 0
	s_branch .LBB72_459
.LBB72_457:                             ;   in Loop: Header=BB72_459 Depth=1
	s_or_b32 exec_lo, exec_lo, s20
	s_delay_alu instid0(SALU_CYCLE_1)
	s_or_not1_b32 s20, s18, exec_lo
	s_or_not1_b32 s19, s19, exec_lo
.LBB72_458:                             ;   in Loop: Header=BB72_459 Depth=1
	s_or_b32 exec_lo, exec_lo, s0
	s_xor_b32 s0, s20, -1
	s_and_b32 s18, exec_lo, s19
	s_wait_loadcnt 0x0
	v_mov_b64_e32 v[6:7], v[4:5]
	v_mov_b32_e32 v0, v9
	s_or_b32 s10, s18, s10
	s_and_not1_b32 s11, s11, exec_lo
	s_and_b32 s0, s0, exec_lo
	s_delay_alu instid0(SALU_CYCLE_1)
	s_or_b32 s11, s11, s0
	s_and_not1_b32 exec_lo, exec_lo, s10
	s_cbranch_execz .LBB72_475
.LBB72_459:                             ; =>This Inner Loop Header: Depth=1
	v_mov_b64_e32 v[4:5], 0
	v_add_nc_u32_e32 v9, s33, v0
	s_mov_b32 s0, exec_lo
	s_delay_alu instid0(VALU_DEP_1)
	v_cmpx_gt_u32_e64 s36, v9
	s_cbranch_execz .LBB72_461
; %bb.460:                              ;   in Loop: Header=BB72_459 Depth=1
	global_load_b64 v[4:5], v8, s[30:31] scale_offset
.LBB72_461:                             ;   in Loop: Header=BB72_459 Depth=1
	s_wait_xcnt 0x0
	s_or_b32 exec_lo, exec_lo, s0
	s_mov_b32 s18, 0
	s_mov_b32 s0, exec_lo
	v_cmpx_gt_u32_e64 s36, v0
	s_cbranch_execz .LBB72_463
; %bb.462:                              ;   in Loop: Header=BB72_459 Depth=1
	s_wait_loadcnt 0x0
	v_cmp_o_f64_e32 vcc_lo, v[6:7], v[6:7]
	v_ashrrev_i32_e32 v11, 31, v7
	s_delay_alu instid0(VALU_DEP_1) | instskip(NEXT) | instid1(VALU_DEP_1)
	v_or_b32_e32 v12, 0x80000000, v11
	v_xor_b32_e32 v12, v12, v7
	s_delay_alu instid0(VALU_DEP_1) | instskip(NEXT) | instid1(VALU_DEP_1)
	v_dual_cndmask_b32 v13, -1, v12, vcc_lo :: v_dual_bitop2_b32 v11, v11, v6 bitop3:0x14
	v_cndmask_b32_e32 v12, -1, v11, vcc_lo
	s_delay_alu instid0(VALU_DEP_1)
	v_cmp_eq_u64_e32 vcc_lo, v[12:13], v[2:3]
	s_and_b32 s18, vcc_lo, exec_lo
.LBB72_463:                             ;   in Loop: Header=BB72_459 Depth=1
	s_or_b32 exec_lo, exec_lo, s0
	v_cndmask_b32_e64 v11, 0, 1, s18
	s_delay_alu instid0(VALU_DEP_1) | instskip(SKIP_2) | instid1(SALU_CYCLE_1)
	v_cmp_ne_u32_e32 vcc_lo, 0, v11
	s_cmp_lg_u32 vcc_lo, 0
	s_cselect_b32 s0, -1, 0
	s_and_b32 s0, s2, s0
	s_delay_alu instid0(SALU_CYCLE_1)
	s_and_saveexec_b32 s19, s0
	s_cbranch_execz .LBB72_467
; %bb.464:                              ;   in Loop: Header=BB72_459 Depth=1
	s_mov_b32 s22, exec_lo
	s_bcnt1_i32_b32 s20, vcc_lo
	v_mbcnt_lo_u32_b32 v10, s22, 0
	s_mov_b32 s21, exec_lo
                                        ; implicit-def: $vgpr11
	s_delay_alu instid0(VALU_DEP_1)
	v_cmpx_eq_u32_e32 0, v10
; %bb.465:                              ;   in Loop: Header=BB72_459 Depth=1
	s_bcnt1_i32_b32 s0, s22
	s_delay_alu instid0(SALU_CYCLE_1) | instskip(NEXT) | instid1(SALU_CYCLE_1)
	s_mul_i32 s0, s20, s0
	v_mov_b32_e32 v11, s0
	ds_add_rtn_u32 v11, v1, v11 offset:4108
; %bb.466:                              ;   in Loop: Header=BB72_459 Depth=1
	s_or_b32 exec_lo, exec_lo, s21
	s_wait_dscnt 0x0
	v_readfirstlane_b32 s0, v11
	s_delay_alu instid0(VALU_DEP_1)
	v_mad_u32_u24 v10, s20, v10, s0
.LBB72_467:                             ;   in Loop: Header=BB72_459 Depth=1
	s_or_b32 exec_lo, exec_lo, s19
	ds_bpermute_b32 v10, v1, v10
	s_cmp_eq_u32 vcc_lo, 0
	s_mov_b32 s19, -1
	s_cselect_b32 s20, -1, 0
	s_wait_dscnt 0x0
	v_cmp_gt_u32_e64 s0, s37, v10
	s_or_b32 s21, s20, s0
	s_mov_b32 s20, -1
	s_and_saveexec_b32 s0, s21
	s_cbranch_execz .LBB72_458
; %bb.468:                              ;   in Loop: Header=BB72_459 Depth=1
	v_dual_sub_nc_u32 v12, s37, v10 :: v_dual_bitop2_b32 v11, vcc_lo, v16 bitop3:0x40
	s_mov_b32 s21, -1
	s_delay_alu instid0(VALU_DEP_1) | instskip(NEXT) | instid1(VALU_DEP_1)
	v_bcnt_u32_b32 v11, v11, 0
	v_bcnt_u32_b32 v11, 0, v11
	s_delay_alu instid0(VALU_DEP_1)
	v_cmp_gt_u32_e32 vcc_lo, v12, v11
	s_and_b32 s22, s18, vcc_lo
	s_mov_b32 s18, -1
	s_and_saveexec_b32 s20, s22
	s_cbranch_execz .LBB72_472
; %bb.469:                              ;   in Loop: Header=BB72_459 Depth=1
	v_add_nc_u32_e32 v11, v10, v11
	s_mov_b32 s21, 0
	s_mov_b32 s18, exec_lo
	s_delay_alu instid0(VALU_DEP_1)
	v_cmpx_gt_u32_e64 s37, v11
	s_cbranch_execz .LBB72_471
; %bb.470:                              ;   in Loop: Header=BB72_459 Depth=1
	v_mul_lo_u32 v12, v11, s16
	v_mul_lo_u32 v11, v11, s17
	s_mov_b32 s21, exec_lo
	s_wait_loadcnt 0x0
	global_store_b64 v12, v[6:7], s[6:7] scale_offset
	global_store_b64 v11, v[0:1], s[8:9] scale_offset
.LBB72_471:                             ;   in Loop: Header=BB72_459 Depth=1
	s_wait_xcnt 0x0
	s_or_b32 exec_lo, exec_lo, s18
	s_delay_alu instid0(SALU_CYCLE_1)
	s_xor_b32 s18, exec_lo, -1
	s_or_not1_b32 s21, s21, exec_lo
.LBB72_472:                             ;   in Loop: Header=BB72_459 Depth=1
	s_or_b32 exec_lo, exec_lo, s20
	s_and_saveexec_b32 s20, s21
	s_cbranch_execz .LBB72_457
; %bb.473:                              ;   in Loop: Header=BB72_459 Depth=1
	v_cmp_le_u32_e32 vcc_lo, s5, v9
	v_add_nc_u32_e32 v8, s35, v8
	s_or_b32 s18, s18, exec_lo
	s_or_not1_b32 s19, vcc_lo, exec_lo
	s_branch .LBB72_457
.LBB72_474:
	s_or_b32 s8, s8, exec_lo
	s_trap 2
	s_branch .LBB72_434
.LBB72_475:
	s_or_b32 exec_lo, exec_lo, s10
	s_mov_b32 s0, 0
	s_and_saveexec_b32 s2, s11
	s_delay_alu instid0(SALU_CYCLE_1)
	s_xor_b32 s2, exec_lo, s2
	s_cbranch_execnz .LBB72_481
.LBB72_476:
	s_or_b32 exec_lo, exec_lo, s2
	s_delay_alu instid0(SALU_CYCLE_1)
	s_and_b32 s0, s0, exec_lo
.LBB72_477:
	s_or_b32 exec_lo, exec_lo, s4
	s_delay_alu instid0(SALU_CYCLE_1) | instskip(SKIP_3) | instid1(SALU_CYCLE_1)
	s_and_b32 s11, s0, exec_lo
	s_and_not1_b32 s1, s1, exec_lo
	s_or_b32 exec_lo, exec_lo, s3
	s_and_saveexec_b32 s0, s1
	s_xor_b32 s0, exec_lo, s0
	s_cbranch_execz .LBB72_428
.LBB72_478:
	s_or_b32 s11, s11, exec_lo
	s_trap 2
	s_branch .LBB72_428
.LBB72_479:
	s_or_b32 s8, s8, exec_lo
	s_trap 2
	s_branch .LBB72_432
.LBB72_480:
	s_or_b32 s8, s8, exec_lo
	s_trap 2
	s_branch .LBB72_430
.LBB72_481:
	s_mov_b32 s0, exec_lo
	s_trap 2
	s_branch .LBB72_476
	.section	.rodata,"a",@progbits
	.p2align	6, 0x0
	.amdhsa_kernel _ZN2at6native6sbtopk10gatherTopKIdjLi2ELb0EEEvNS_4cuda6detail10TensorInfoIKT_T0_EES8_S8_bS8_S8_NS5_IS6_S8_EES8_NS5_IlS8_EES8_PS6_
		.amdhsa_group_segment_fixed_size 4112
		.amdhsa_private_segment_fixed_size 0
		.amdhsa_kernarg_size 952
		.amdhsa_user_sgpr_count 2
		.amdhsa_user_sgpr_dispatch_ptr 0
		.amdhsa_user_sgpr_queue_ptr 0
		.amdhsa_user_sgpr_kernarg_segment_ptr 1
		.amdhsa_user_sgpr_dispatch_id 0
		.amdhsa_user_sgpr_kernarg_preload_length 0
		.amdhsa_user_sgpr_kernarg_preload_offset 0
		.amdhsa_user_sgpr_private_segment_size 0
		.amdhsa_wavefront_size32 1
		.amdhsa_uses_dynamic_stack 0
		.amdhsa_enable_private_segment 0
		.amdhsa_system_sgpr_workgroup_id_x 1
		.amdhsa_system_sgpr_workgroup_id_y 1
		.amdhsa_system_sgpr_workgroup_id_z 1
		.amdhsa_system_sgpr_workgroup_info 0
		.amdhsa_system_vgpr_workitem_id 0
		.amdhsa_next_free_vgpr 58
		.amdhsa_next_free_sgpr 105
		.amdhsa_named_barrier_count 0
		.amdhsa_reserve_vcc 1
		.amdhsa_float_round_mode_32 0
		.amdhsa_float_round_mode_16_64 0
		.amdhsa_float_denorm_mode_32 3
		.amdhsa_float_denorm_mode_16_64 3
		.amdhsa_fp16_overflow 0
		.amdhsa_memory_ordered 1
		.amdhsa_forward_progress 1
		.amdhsa_inst_pref_size 127
		.amdhsa_round_robin_scheduling 0
		.amdhsa_exception_fp_ieee_invalid_op 0
		.amdhsa_exception_fp_denorm_src 0
		.amdhsa_exception_fp_ieee_div_zero 0
		.amdhsa_exception_fp_ieee_overflow 0
		.amdhsa_exception_fp_ieee_underflow 0
		.amdhsa_exception_fp_ieee_inexact 0
		.amdhsa_exception_int_div_zero 0
	.end_amdhsa_kernel
	.section	.text._ZN2at6native6sbtopk10gatherTopKIdjLi2ELb0EEEvNS_4cuda6detail10TensorInfoIKT_T0_EES8_S8_bS8_S8_NS5_IS6_S8_EES8_NS5_IlS8_EES8_PS6_,"axG",@progbits,_ZN2at6native6sbtopk10gatherTopKIdjLi2ELb0EEEvNS_4cuda6detail10TensorInfoIKT_T0_EES8_S8_bS8_S8_NS5_IS6_S8_EES8_NS5_IlS8_EES8_PS6_,comdat
.Lfunc_end72:
	.size	_ZN2at6native6sbtopk10gatherTopKIdjLi2ELb0EEEvNS_4cuda6detail10TensorInfoIKT_T0_EES8_S8_bS8_S8_NS5_IS6_S8_EES8_NS5_IlS8_EES8_PS6_, .Lfunc_end72-_ZN2at6native6sbtopk10gatherTopKIdjLi2ELb0EEEvNS_4cuda6detail10TensorInfoIKT_T0_EES8_S8_bS8_S8_NS5_IS6_S8_EES8_NS5_IlS8_EES8_PS6_
                                        ; -- End function
	.set _ZN2at6native6sbtopk10gatherTopKIdjLi2ELb0EEEvNS_4cuda6detail10TensorInfoIKT_T0_EES8_S8_bS8_S8_NS5_IS6_S8_EES8_NS5_IlS8_EES8_PS6_.num_vgpr, 58
	.set _ZN2at6native6sbtopk10gatherTopKIdjLi2ELb0EEEvNS_4cuda6detail10TensorInfoIKT_T0_EES8_S8_bS8_S8_NS5_IS6_S8_EES8_NS5_IlS8_EES8_PS6_.num_agpr, 0
	.set _ZN2at6native6sbtopk10gatherTopKIdjLi2ELb0EEEvNS_4cuda6detail10TensorInfoIKT_T0_EES8_S8_bS8_S8_NS5_IS6_S8_EES8_NS5_IlS8_EES8_PS6_.numbered_sgpr, 105
	.set _ZN2at6native6sbtopk10gatherTopKIdjLi2ELb0EEEvNS_4cuda6detail10TensorInfoIKT_T0_EES8_S8_bS8_S8_NS5_IS6_S8_EES8_NS5_IlS8_EES8_PS6_.num_named_barrier, 0
	.set _ZN2at6native6sbtopk10gatherTopKIdjLi2ELb0EEEvNS_4cuda6detail10TensorInfoIKT_T0_EES8_S8_bS8_S8_NS5_IS6_S8_EES8_NS5_IlS8_EES8_PS6_.private_seg_size, 0
	.set _ZN2at6native6sbtopk10gatherTopKIdjLi2ELb0EEEvNS_4cuda6detail10TensorInfoIKT_T0_EES8_S8_bS8_S8_NS5_IS6_S8_EES8_NS5_IlS8_EES8_PS6_.uses_vcc, 1
	.set _ZN2at6native6sbtopk10gatherTopKIdjLi2ELb0EEEvNS_4cuda6detail10TensorInfoIKT_T0_EES8_S8_bS8_S8_NS5_IS6_S8_EES8_NS5_IlS8_EES8_PS6_.uses_flat_scratch, 0
	.set _ZN2at6native6sbtopk10gatherTopKIdjLi2ELb0EEEvNS_4cuda6detail10TensorInfoIKT_T0_EES8_S8_bS8_S8_NS5_IS6_S8_EES8_NS5_IlS8_EES8_PS6_.has_dyn_sized_stack, 0
	.set _ZN2at6native6sbtopk10gatherTopKIdjLi2ELb0EEEvNS_4cuda6detail10TensorInfoIKT_T0_EES8_S8_bS8_S8_NS5_IS6_S8_EES8_NS5_IlS8_EES8_PS6_.has_recursion, 0
	.set _ZN2at6native6sbtopk10gatherTopKIdjLi2ELb0EEEvNS_4cuda6detail10TensorInfoIKT_T0_EES8_S8_bS8_S8_NS5_IS6_S8_EES8_NS5_IlS8_EES8_PS6_.has_indirect_call, 0
	.section	.AMDGPU.csdata,"",@progbits
; Kernel info:
; codeLenInByte = 16172
; TotalNumSgprs: 107
; NumVgprs: 58
; ScratchSize: 0
; MemoryBound: 0
; FloatMode: 240
; IeeeMode: 1
; LDSByteSize: 4112 bytes/workgroup (compile time only)
; SGPRBlocks: 0
; VGPRBlocks: 3
; NumSGPRsForWavesPerEU: 107
; NumVGPRsForWavesPerEU: 58
; NamedBarCnt: 0
; Occupancy: 16
; WaveLimiterHint : 1
; COMPUTE_PGM_RSRC2:SCRATCH_EN: 0
; COMPUTE_PGM_RSRC2:USER_SGPR: 2
; COMPUTE_PGM_RSRC2:TRAP_HANDLER: 0
; COMPUTE_PGM_RSRC2:TGID_X_EN: 1
; COMPUTE_PGM_RSRC2:TGID_Y_EN: 1
; COMPUTE_PGM_RSRC2:TGID_Z_EN: 1
; COMPUTE_PGM_RSRC2:TIDIG_COMP_CNT: 0
	.section	.text._ZN2at6native6mbtopk23computeBlockDigitCountsIdjmLi3EEEvNS_4cuda6detail10TensorInfoIKT_T0_EEjPjjS8_iijT1_PSB_Ps,"axG",@progbits,_ZN2at6native6mbtopk23computeBlockDigitCountsIdjmLi3EEEvNS_4cuda6detail10TensorInfoIKT_T0_EEjPjjS8_iijT1_PSB_Ps,comdat
	.protected	_ZN2at6native6mbtopk23computeBlockDigitCountsIdjmLi3EEEvNS_4cuda6detail10TensorInfoIKT_T0_EEjPjjS8_iijT1_PSB_Ps ; -- Begin function _ZN2at6native6mbtopk23computeBlockDigitCountsIdjmLi3EEEvNS_4cuda6detail10TensorInfoIKT_T0_EEjPjjS8_iijT1_PSB_Ps
	.globl	_ZN2at6native6mbtopk23computeBlockDigitCountsIdjmLi3EEEvNS_4cuda6detail10TensorInfoIKT_T0_EEjPjjS8_iijT1_PSB_Ps
	.p2align	8
	.type	_ZN2at6native6mbtopk23computeBlockDigitCountsIdjmLi3EEEvNS_4cuda6detail10TensorInfoIKT_T0_EEjPjjS8_iijT1_PSB_Ps,@function
_ZN2at6native6mbtopk23computeBlockDigitCountsIdjmLi3EEEvNS_4cuda6detail10TensorInfoIKT_T0_EEjPjjS8_iijT1_PSB_Ps: ; @_ZN2at6native6mbtopk23computeBlockDigitCountsIdjmLi3EEEvNS_4cuda6detail10TensorInfoIKT_T0_EEjPjjS8_iijT1_PSB_Ps
; %bb.0:
	s_load_b32 s19, s[0:1], 0xf8
	s_bfe_u32 s2, ttmp6, 0x40010
	s_and_b32 s8, ttmp7, 0xffff
	s_add_co_i32 s4, s2, 1
	s_bfe_u32 s5, ttmp6, 0x40004
	s_mul_i32 s4, s8, s4
	s_load_b64 s[2:3], s[0:1], 0x118
	s_add_co_i32 s9, s5, s4
	s_bfe_u32 s6, ttmp6, 0x4000c
	s_bfe_u32 s7, ttmp6, 0x40014
	s_add_co_i32 s6, s6, 1
	s_and_b32 s5, ttmp6, 15
	s_mul_i32 s6, ttmp9, s6
	s_add_co_i32 s7, s7, 1
	s_add_co_i32 s10, s5, s6
	s_bfe_u32 s6, ttmp6, 0x40008
	s_mov_b32 s13, 0
	s_wait_kmcnt 0x0
	s_cvt_f32_u32 s4, s19
	s_delay_alu instid0(SALU_CYCLE_3) | instskip(SKIP_1) | instid1(SALU_CYCLE_1)
	v_rcp_iflag_f32_e32 v1, s4
	s_lshr_b32 s4, ttmp7, 16
	s_mul_i32 s5, s4, s7
	s_getreg_b32 s7, hwreg(HW_REG_IB_STS2, 6, 4)
	s_add_co_i32 s6, s6, s5
	s_cmp_eq_u32 s7, 0
	v_nop
	v_readfirstlane_b32 s11, v1
	s_cselect_b32 s12, s4, s6
	s_load_b128 s[4:7], s[0:1], 0xe8
	s_mul_i32 s3, s3, s12
	s_cselect_b32 s10, ttmp9, s10
	s_mul_f32 s11, s11, 0x4f7ffffe
	s_cselect_b32 s8, s8, s9
	s_sub_co_i32 s9, 0, s19
	s_add_co_i32 s3, s3, s8
	s_cvt_u32_f32 s11, s11
	s_mul_i32 s18, s3, s2
	s_delay_alu instid0(SALU_CYCLE_1) | instskip(NEXT) | instid1(SALU_CYCLE_1)
	s_add_co_i32 s18, s18, s10
	s_mul_i32 s9, s9, s11
	s_delay_alu instid0(SALU_CYCLE_1) | instskip(NEXT) | instid1(SALU_CYCLE_1)
	s_mul_hi_u32 s2, s11, s9
	s_add_co_i32 s11, s11, s2
	s_delay_alu instid0(SALU_CYCLE_1) | instskip(NEXT) | instid1(SALU_CYCLE_1)
	s_mul_hi_u32 s2, s18, s11
	s_mul_i32 s3, s2, s19
	s_add_co_i32 s8, s2, 1
	s_sub_co_i32 s3, s18, s3
	s_delay_alu instid0(SALU_CYCLE_1)
	s_sub_co_i32 s9, s3, s19
	s_cmp_ge_u32 s3, s19
	s_cselect_b32 s2, s8, s2
	s_cselect_b32 s3, s9, s3
	s_add_co_i32 s8, s2, 1
	s_cmp_ge_u32 s3, s19
	s_cselect_b32 s20, s8, s2
	s_wait_kmcnt 0x0
	s_cmp_ge_u32 s20, s4
	s_cbranch_scc1 .LBB73_21
; %bb.1:
	s_clause 0x1
	s_load_b64 s[14:15], s[0:1], 0xc
	s_load_b128 s[8:11], s[0:1], 0x100
	v_cmp_gt_u32_e32 vcc_lo, 0x100, v0
	s_wait_kmcnt 0x0
	s_cvt_f32_u32 s2, s15
	s_cvt_f32_u32 s16, s14
	s_delay_alu instid0(SALU_CYCLE_2) | instskip(SKIP_1) | instid1(TRANS32_DEP_1)
	v_rcp_iflag_f32_e32 v1, s2
	v_nop
	v_readfirstlane_b32 s2, v1
	v_rcp_iflag_f32_e32 v1, s16
	s_mul_f32 s2, s2, 0x4f7ffffe
	v_nop
	s_delay_alu instid0(TRANS32_DEP_1) | instskip(NEXT) | instid1(SALU_CYCLE_1)
	v_readfirstlane_b32 s22, v1
	s_cvt_u32_f32 s4, s2
	s_sub_co_i32 s2, 0, s15
	v_lshlrev_b32_e32 v1, 2, v0
	s_delay_alu instid0(SALU_CYCLE_1) | instskip(SKIP_2) | instid1(SALU_CYCLE_1)
	s_mul_i32 s12, s2, s4
	s_load_b64 s[2:3], s[0:1], 0x110
	s_mul_hi_u32 s12, s4, s12
	s_add_co_i32 s4, s4, s12
	s_delay_alu instid0(SALU_CYCLE_1) | instskip(NEXT) | instid1(SALU_CYCLE_1)
	s_mul_hi_u32 s4, s20, s4
	s_mul_i32 s12, s4, s15
	s_add_co_i32 s16, s4, 1
	s_sub_co_i32 s12, s20, s12
	s_delay_alu instid0(SALU_CYCLE_1)
	s_sub_co_i32 s17, s12, s15
	s_cmp_ge_u32 s12, s15
	s_cselect_b32 s4, s16, s4
	s_cselect_b32 s12, s17, s12
	s_add_co_i32 s16, s4, 1
	s_cmp_ge_u32 s12, s15
	s_cselect_b32 s12, s16, s4
	s_and_saveexec_b32 s4, vcc_lo
; %bb.2:
	v_mov_b32_e32 v2, 0
	ds_store_b32 v1, v2
; %bb.3:
	s_or_b32 exec_lo, exec_lo, s4
	s_load_b32 s4, s[0:1], 0xd8
	s_mul_i32 s16, s20, s19
	s_mov_b32 s17, 0
	s_sub_co_i32 s23, s18, s16
	s_wait_dscnt 0x0
	s_mul_i32 s16, s7, s23
	s_add_co_i32 s23, s23, 1
	s_lshl_b32 s21, s16, 8
	s_barrier_signal -1
	s_barrier_wait -1
	s_wait_kmcnt 0x0
	s_sub_co_i32 s16, s4, s21
	s_delay_alu instid0(SALU_CYCLE_1) | instskip(NEXT) | instid1(SALU_CYCLE_1)
	s_add_nc_u64 s[24:25], s[16:17], 0xff
	s_lshr_b64 s[24:25], s[24:25], 8
	s_cmp_lt_u32 s23, s19
	s_cselect_b32 s19, s7, s24
	s_delay_alu instid0(SALU_CYCLE_1)
	s_cmp_lt_i32 s19, 1
	s_cbranch_scc1 .LBB73_19
; %bb.4:
	s_mul_f32 s7, s22, 0x4f7ffffe
	s_sub_co_i32 s16, 0, s14
	s_mov_b32 s23, s13
	s_clause 0x1
	s_load_b96 s[24:26], s[0:1], 0x6c
	s_load_b64 s[28:29], s[0:1], 0x0
	s_cvt_u32_f32 s7, s7
	s_load_b64 s[10:11], s[10:11], s20 offset:0x0 scale_offset
	v_add_nc_u32_e32 v4, s21, v0
	s_delay_alu instid0(SALU_CYCLE_1) | instskip(NEXT) | instid1(SALU_CYCLE_1)
	s_mul_i32 s16, s16, s7
	s_mul_hi_u32 s16, s7, s16
	s_delay_alu instid0(SALU_CYCLE_1)
	s_add_co_i32 s22, s7, s16
	s_mul_i32 s7, s12, s15
	s_mul_u64 s[22:23], s[12:13], s[22:23]
	s_sub_co_i32 s7, s20, s7
	s_mul_i32 s13, s23, s14
	s_add_co_i32 s15, s23, 1
	s_sub_co_i32 s13, s12, s13
	s_delay_alu instid0(SALU_CYCLE_1)
	s_sub_co_i32 s16, s13, s14
	s_cmp_ge_u32 s13, s14
	s_wait_kmcnt 0x0
	s_mul_i32 s7, s7, s26
	s_cselect_b32 s0, s15, s23
	s_cselect_b32 s1, s16, s13
	s_add_co_i32 s13, s0, 1
	s_cmp_ge_u32 s1, s14
	s_cselect_b32 s0, s13, s0
	s_delay_alu instid0(SALU_CYCLE_1) | instskip(SKIP_2) | instid1(SALU_CYCLE_1)
	s_mul_i32 s1, s0, s14
	s_mul_i32 s0, s0, s24
	s_sub_co_i32 s1, s12, s1
	s_mul_i32 s1, s1, s25
	s_delay_alu instid0(SALU_CYCLE_1) | instskip(NEXT) | instid1(SALU_CYCLE_1)
	s_add_co_i32 s1, s1, s7
	s_add_co_i32 s16, s1, s0
	s_and_b32 s1, s6, 0xff
	s_lshl_b64 s[12:13], s[16:17], 3
	s_cmp_eq_u32 s19, 1
	s_add_nc_u64 s[6:7], s[28:29], s[12:13]
	s_cbranch_scc1 .LBB73_14
; %bb.5:
	v_dual_mov_b32 v7, 1 :: v_dual_add_nc_u32 v2, 0x100, v4
	v_mul_lo_u32 v6, s5, v4
	v_mov_b32_e32 v8, v4
	s_and_b32 s12, s19, 0x7ffffffe
	s_delay_alu instid0(VALU_DEP_3)
	v_mul_lo_u32 v5, s5, v2
	s_lshl_b32 s13, s5, 9
	s_mov_b32 s14, 0
	s_mov_b32 s15, 0
	s_branch .LBB73_7
.LBB73_6:                               ;   in Loop: Header=BB73_7 Depth=1
	s_or_b32 exec_lo, exec_lo, s16
	v_add_nc_u32_e32 v8, 0x200, v8
	s_add_co_i32 s15, s15, 2
	s_add_co_i32 s14, s14, s13
	s_cmp_eq_u32 s12, s15
	s_cbranch_scc1 .LBB73_13
.LBB73_7:                               ; =>This Inner Loop Header: Depth=1
	s_mov_b32 s16, exec_lo
	v_cmpx_gt_u32_e64 s4, v8
	s_cbranch_execz .LBB73_10
; %bb.8:                                ;   in Loop: Header=BB73_7 Depth=1
	v_add_nc_u32_e32 v2, s14, v6
	global_load_b64 v[2:3], v2, s[6:7] scale_offset
	s_wait_loadcnt 0x0
	v_cmp_o_f64_e64 s0, v[2:3], v[2:3]
	v_ashrrev_i32_e32 v9, 31, v3
	s_delay_alu instid0(VALU_DEP_1) | instskip(SKIP_2) | instid1(VALU_DEP_1)
	v_or_b32_e32 v10, 0x80000000, v9
	s_wait_xcnt 0x0
	v_xor_b32_e32 v2, v9, v2
	v_dual_cndmask_b32 v2, -1, v2, s0 :: v_dual_bitop2_b32 v10, v10, v3 bitop3:0x14
	s_delay_alu instid0(VALU_DEP_1) | instskip(NEXT) | instid1(VALU_DEP_2)
	v_cndmask_b32_e64 v3, -1, v10, s0
	v_xor_b32_e32 v10, s10, v2
	s_delay_alu instid0(VALU_DEP_2) | instskip(NEXT) | instid1(VALU_DEP_2)
	v_xor_b32_e32 v9, s11, v3
	v_and_b32_e32 v10, s8, v10
	s_delay_alu instid0(VALU_DEP_2) | instskip(NEXT) | instid1(VALU_DEP_1)
	v_and_b32_e32 v11, s9, v9
	v_cmp_eq_u64_e64 s0, 0, v[10:11]
	s_and_b32 exec_lo, exec_lo, s0
	s_cbranch_execz .LBB73_10
; %bb.9:                                ;   in Loop: Header=BB73_7 Depth=1
	v_lshrrev_b64 v[2:3], s1, v[2:3]
	s_delay_alu instid0(VALU_DEP_1) | instskip(NEXT) | instid1(VALU_DEP_1)
	v_and_b32_e32 v2, 0xff, v2
	v_lshlrev_b32_e32 v2, 2, v2
	ds_add_u32 v2, v7
.LBB73_10:                              ;   in Loop: Header=BB73_7 Depth=1
	s_or_b32 exec_lo, exec_lo, s16
	v_add_nc_u32_e32 v2, 0x100, v8
	s_mov_b32 s16, exec_lo
	s_delay_alu instid0(VALU_DEP_1)
	v_cmpx_gt_u32_e64 s4, v2
	s_cbranch_execz .LBB73_6
; %bb.11:                               ;   in Loop: Header=BB73_7 Depth=1
	v_add_nc_u32_e32 v2, s14, v5
	global_load_b64 v[2:3], v2, s[6:7] scale_offset
	s_wait_loadcnt 0x0
	v_cmp_o_f64_e64 s0, v[2:3], v[2:3]
	v_ashrrev_i32_e32 v9, 31, v3
	s_delay_alu instid0(VALU_DEP_1) | instskip(SKIP_1) | instid1(VALU_DEP_1)
	v_or_b32_e32 v10, 0x80000000, v9
	v_xor_b32_e32 v2, v9, v2
	v_dual_cndmask_b32 v2, -1, v2, s0 :: v_dual_bitop2_b32 v10, v10, v3 bitop3:0x14
	s_delay_alu instid0(VALU_DEP_1) | instskip(NEXT) | instid1(VALU_DEP_2)
	v_cndmask_b32_e64 v3, -1, v10, s0
	v_xor_b32_e32 v10, s10, v2
	s_delay_alu instid0(VALU_DEP_2) | instskip(NEXT) | instid1(VALU_DEP_2)
	v_xor_b32_e32 v9, s11, v3
	v_and_b32_e32 v10, s8, v10
	s_delay_alu instid0(VALU_DEP_2) | instskip(NEXT) | instid1(VALU_DEP_1)
	v_and_b32_e32 v11, s9, v9
	v_cmp_eq_u64_e64 s0, 0, v[10:11]
	s_and_b32 exec_lo, exec_lo, s0
	s_cbranch_execz .LBB73_6
; %bb.12:                               ;   in Loop: Header=BB73_7 Depth=1
	v_lshrrev_b64 v[2:3], s1, v[2:3]
	s_delay_alu instid0(VALU_DEP_1) | instskip(NEXT) | instid1(VALU_DEP_1)
	v_and_b32_e32 v2, 0xff, v2
	v_lshlrev_b32_e32 v2, 2, v2
	ds_add_u32 v2, v7
	s_branch .LBB73_6
.LBB73_13:
	s_lshl_b32 s17, s12, 8
.LBB73_14:
	s_bitcmp0_b32 s19, 0
	s_cbranch_scc1 .LBB73_19
; %bb.15:
	v_add_nc_u32_e32 v2, s17, v4
	s_delay_alu instid0(VALU_DEP_1)
	v_cmp_gt_u32_e64 s0, s4, v2
	s_and_saveexec_b32 s4, s0
	s_cbranch_execz .LBB73_18
; %bb.16:
	v_mul_lo_u32 v2, v2, s5
	global_load_b64 v[2:3], v2, s[6:7] scale_offset
	s_wait_loadcnt 0x0
	v_cmp_o_f64_e64 s0, v[2:3], v[2:3]
	v_ashrrev_i32_e32 v4, 31, v3
	s_delay_alu instid0(VALU_DEP_1) | instskip(NEXT) | instid1(VALU_DEP_1)
	v_or_b32_e32 v5, 0x80000000, v4
	v_xor_b32_e32 v5, v5, v3
	s_delay_alu instid0(VALU_DEP_1) | instskip(NEXT) | instid1(VALU_DEP_1)
	v_dual_cndmask_b32 v3, -1, v5, s0 :: v_dual_bitop2_b32 v2, v4, v2 bitop3:0x14
	v_dual_cndmask_b32 v2, -1, v2, s0 :: v_dual_bitop2_b32 v4, s11, v3 bitop3:0x14
	s_delay_alu instid0(VALU_DEP_1) | instskip(NEXT) | instid1(VALU_DEP_2)
	v_xor_b32_e32 v6, s10, v2
	v_and_b32_e32 v5, s9, v4
	s_delay_alu instid0(VALU_DEP_2) | instskip(NEXT) | instid1(VALU_DEP_1)
	v_and_b32_e32 v4, s8, v6
	v_cmp_eq_u64_e64 s0, 0, v[4:5]
	s_and_b32 exec_lo, exec_lo, s0
	s_cbranch_execz .LBB73_18
; %bb.17:
	v_lshrrev_b64 v[2:3], s1, v[2:3]
	v_mov_b32_e32 v3, 1
	s_delay_alu instid0(VALU_DEP_2) | instskip(NEXT) | instid1(VALU_DEP_1)
	v_and_b32_e32 v2, 0xff, v2
	v_lshlrev_b32_e32 v2, 2, v2
	ds_add_u32 v2, v3
.LBB73_18:
	s_or_b32 exec_lo, exec_lo, s4
.LBB73_19:
	s_wait_dscnt 0x0
	s_barrier_signal -1
	s_barrier_wait -1
	s_and_saveexec_b32 s0, vcc_lo
	s_cbranch_execz .LBB73_21
; %bb.20:
	ds_load_b32 v1, v1
	v_lshl_or_b32 v0, s18, 8, v0
	s_wait_dscnt 0x0
	global_store_b16 v0, v1, s[2:3] scale_offset
.LBB73_21:
	s_endpgm
	.section	.rodata,"a",@progbits
	.p2align	6, 0x0
	.amdhsa_kernel _ZN2at6native6mbtopk23computeBlockDigitCountsIdjmLi3EEEvNS_4cuda6detail10TensorInfoIKT_T0_EEjPjjS8_iijT1_PSB_Ps
		.amdhsa_group_segment_fixed_size 1024
		.amdhsa_private_segment_fixed_size 0
		.amdhsa_kernarg_size 536
		.amdhsa_user_sgpr_count 2
		.amdhsa_user_sgpr_dispatch_ptr 0
		.amdhsa_user_sgpr_queue_ptr 0
		.amdhsa_user_sgpr_kernarg_segment_ptr 1
		.amdhsa_user_sgpr_dispatch_id 0
		.amdhsa_user_sgpr_kernarg_preload_length 0
		.amdhsa_user_sgpr_kernarg_preload_offset 0
		.amdhsa_user_sgpr_private_segment_size 0
		.amdhsa_wavefront_size32 1
		.amdhsa_uses_dynamic_stack 0
		.amdhsa_enable_private_segment 0
		.amdhsa_system_sgpr_workgroup_id_x 1
		.amdhsa_system_sgpr_workgroup_id_y 1
		.amdhsa_system_sgpr_workgroup_id_z 1
		.amdhsa_system_sgpr_workgroup_info 0
		.amdhsa_system_vgpr_workitem_id 0
		.amdhsa_next_free_vgpr 12
		.amdhsa_next_free_sgpr 30
		.amdhsa_named_barrier_count 0
		.amdhsa_reserve_vcc 1
		.amdhsa_float_round_mode_32 0
		.amdhsa_float_round_mode_16_64 0
		.amdhsa_float_denorm_mode_32 3
		.amdhsa_float_denorm_mode_16_64 3
		.amdhsa_fp16_overflow 0
		.amdhsa_memory_ordered 1
		.amdhsa_forward_progress 1
		.amdhsa_inst_pref_size 12
		.amdhsa_round_robin_scheduling 0
		.amdhsa_exception_fp_ieee_invalid_op 0
		.amdhsa_exception_fp_denorm_src 0
		.amdhsa_exception_fp_ieee_div_zero 0
		.amdhsa_exception_fp_ieee_overflow 0
		.amdhsa_exception_fp_ieee_underflow 0
		.amdhsa_exception_fp_ieee_inexact 0
		.amdhsa_exception_int_div_zero 0
	.end_amdhsa_kernel
	.section	.text._ZN2at6native6mbtopk23computeBlockDigitCountsIdjmLi3EEEvNS_4cuda6detail10TensorInfoIKT_T0_EEjPjjS8_iijT1_PSB_Ps,"axG",@progbits,_ZN2at6native6mbtopk23computeBlockDigitCountsIdjmLi3EEEvNS_4cuda6detail10TensorInfoIKT_T0_EEjPjjS8_iijT1_PSB_Ps,comdat
.Lfunc_end73:
	.size	_ZN2at6native6mbtopk23computeBlockDigitCountsIdjmLi3EEEvNS_4cuda6detail10TensorInfoIKT_T0_EEjPjjS8_iijT1_PSB_Ps, .Lfunc_end73-_ZN2at6native6mbtopk23computeBlockDigitCountsIdjmLi3EEEvNS_4cuda6detail10TensorInfoIKT_T0_EEjPjjS8_iijT1_PSB_Ps
                                        ; -- End function
	.set _ZN2at6native6mbtopk23computeBlockDigitCountsIdjmLi3EEEvNS_4cuda6detail10TensorInfoIKT_T0_EEjPjjS8_iijT1_PSB_Ps.num_vgpr, 12
	.set _ZN2at6native6mbtopk23computeBlockDigitCountsIdjmLi3EEEvNS_4cuda6detail10TensorInfoIKT_T0_EEjPjjS8_iijT1_PSB_Ps.num_agpr, 0
	.set _ZN2at6native6mbtopk23computeBlockDigitCountsIdjmLi3EEEvNS_4cuda6detail10TensorInfoIKT_T0_EEjPjjS8_iijT1_PSB_Ps.numbered_sgpr, 30
	.set _ZN2at6native6mbtopk23computeBlockDigitCountsIdjmLi3EEEvNS_4cuda6detail10TensorInfoIKT_T0_EEjPjjS8_iijT1_PSB_Ps.num_named_barrier, 0
	.set _ZN2at6native6mbtopk23computeBlockDigitCountsIdjmLi3EEEvNS_4cuda6detail10TensorInfoIKT_T0_EEjPjjS8_iijT1_PSB_Ps.private_seg_size, 0
	.set _ZN2at6native6mbtopk23computeBlockDigitCountsIdjmLi3EEEvNS_4cuda6detail10TensorInfoIKT_T0_EEjPjjS8_iijT1_PSB_Ps.uses_vcc, 1
	.set _ZN2at6native6mbtopk23computeBlockDigitCountsIdjmLi3EEEvNS_4cuda6detail10TensorInfoIKT_T0_EEjPjjS8_iijT1_PSB_Ps.uses_flat_scratch, 0
	.set _ZN2at6native6mbtopk23computeBlockDigitCountsIdjmLi3EEEvNS_4cuda6detail10TensorInfoIKT_T0_EEjPjjS8_iijT1_PSB_Ps.has_dyn_sized_stack, 0
	.set _ZN2at6native6mbtopk23computeBlockDigitCountsIdjmLi3EEEvNS_4cuda6detail10TensorInfoIKT_T0_EEjPjjS8_iijT1_PSB_Ps.has_recursion, 0
	.set _ZN2at6native6mbtopk23computeBlockDigitCountsIdjmLi3EEEvNS_4cuda6detail10TensorInfoIKT_T0_EEjPjjS8_iijT1_PSB_Ps.has_indirect_call, 0
	.section	.AMDGPU.csdata,"",@progbits
; Kernel info:
; codeLenInByte = 1428
; TotalNumSgprs: 32
; NumVgprs: 12
; ScratchSize: 0
; MemoryBound: 0
; FloatMode: 240
; IeeeMode: 1
; LDSByteSize: 1024 bytes/workgroup (compile time only)
; SGPRBlocks: 0
; VGPRBlocks: 0
; NumSGPRsForWavesPerEU: 32
; NumVGPRsForWavesPerEU: 12
; NamedBarCnt: 0
; Occupancy: 16
; WaveLimiterHint : 1
; COMPUTE_PGM_RSRC2:SCRATCH_EN: 0
; COMPUTE_PGM_RSRC2:USER_SGPR: 2
; COMPUTE_PGM_RSRC2:TRAP_HANDLER: 0
; COMPUTE_PGM_RSRC2:TGID_X_EN: 1
; COMPUTE_PGM_RSRC2:TGID_Y_EN: 1
; COMPUTE_PGM_RSRC2:TGID_Z_EN: 1
; COMPUTE_PGM_RSRC2:TIDIG_COMP_CNT: 0
	.section	.text._ZN2at6native6mbtopk10gatherTopKIdjLi3EEEvNS_4cuda6detail10TensorInfoIKT_T0_EES8_S8_bjS8_NS5_IS6_S8_EES8_NS5_IlS8_EES8_jjPS6_PjSD_j,"axG",@progbits,_ZN2at6native6mbtopk10gatherTopKIdjLi3EEEvNS_4cuda6detail10TensorInfoIKT_T0_EES8_S8_bjS8_NS5_IS6_S8_EES8_NS5_IlS8_EES8_jjPS6_PjSD_j,comdat
	.protected	_ZN2at6native6mbtopk10gatherTopKIdjLi3EEEvNS_4cuda6detail10TensorInfoIKT_T0_EES8_S8_bjS8_NS5_IS6_S8_EES8_NS5_IlS8_EES8_jjPS6_PjSD_j ; -- Begin function _ZN2at6native6mbtopk10gatherTopKIdjLi3EEEvNS_4cuda6detail10TensorInfoIKT_T0_EES8_S8_bjS8_NS5_IS6_S8_EES8_NS5_IlS8_EES8_jjPS6_PjSD_j
	.globl	_ZN2at6native6mbtopk10gatherTopKIdjLi3EEEvNS_4cuda6detail10TensorInfoIKT_T0_EES8_S8_bjS8_NS5_IS6_S8_EES8_NS5_IlS8_EES8_jjPS6_PjSD_j
	.p2align	8
	.type	_ZN2at6native6mbtopk10gatherTopKIdjLi3EEEvNS_4cuda6detail10TensorInfoIKT_T0_EES8_S8_bjS8_NS5_IS6_S8_EES8_NS5_IlS8_EES8_jjPS6_PjSD_j,@function
_ZN2at6native6mbtopk10gatherTopKIdjLi3EEEvNS_4cuda6detail10TensorInfoIKT_T0_EES8_S8_bjS8_NS5_IS6_S8_EES8_NS5_IlS8_EES8_jjPS6_PjSD_j: ; @_ZN2at6native6mbtopk10gatherTopKIdjLi3EEEvNS_4cuda6detail10TensorInfoIKT_T0_EES8_S8_bjS8_NS5_IS6_S8_EES8_NS5_IlS8_EES8_jjPS6_PjSD_j
; %bb.0:
	s_bfe_u32 s2, ttmp6, 0x40010
	s_and_b32 s4, ttmp7, 0xffff
	s_add_co_i32 s5, s2, 1
	s_clause 0x1
	s_load_b32 s6, s[0:1], 0x2d0
	s_load_b64 s[2:3], s[0:1], 0x2d8
	s_bfe_u32 s8, ttmp6, 0x4000c
	s_mul_i32 s5, s4, s5
	s_bfe_u32 s7, ttmp6, 0x40004
	s_add_co_i32 s8, s8, 1
	s_bfe_u32 s9, ttmp6, 0x40014
	s_add_co_i32 s7, s7, s5
	s_and_b32 s5, ttmp6, 15
	s_mul_i32 s8, ttmp9, s8
	s_lshr_b32 s10, ttmp7, 16
	s_add_co_i32 s9, s9, 1
	s_add_co_i32 s5, s5, s8
	s_mul_i32 s8, s10, s9
	s_bfe_u32 s9, ttmp6, 0x40008
	s_getreg_b32 s11, hwreg(HW_REG_IB_STS2, 6, 4)
	s_add_co_i32 s9, s9, s8
	s_cmp_eq_u32 s11, 0
	s_mov_b32 s29, 0
	s_cselect_b32 s8, s10, s9
	s_cselect_b32 s4, s4, s7
	s_wait_kmcnt 0x0
	s_mul_i32 s3, s3, s8
	s_cselect_b32 s5, ttmp9, s5
	s_add_co_i32 s3, s3, s4
	s_delay_alu instid0(SALU_CYCLE_1) | instskip(NEXT) | instid1(SALU_CYCLE_1)
	s_mul_i32 s2, s3, s2
	s_add_co_i32 s2, s2, s5
	s_delay_alu instid0(SALU_CYCLE_1)
	s_cmp_ge_u32 s2, s6
	s_cbranch_scc1 .LBB74_40
; %bb.1:
	s_clause 0x4
	s_load_b96 s[12:14], s[0:1], 0x2a8
	s_load_b64 s[30:31], s[0:1], 0xc
	s_load_b64 s[26:27], s[0:1], 0xfc
	;; [unrolled: 1-line block ×3, first 2 shown]
	s_load_b128 s[4:7], s[0:1], 0x2b8
	s_mov_b32 s39, s29
	s_mov_b32 s35, s29
	;; [unrolled: 1-line block ×4, first 2 shown]
	s_wait_kmcnt 0x0
	s_cvt_f32_u32 s3, s14
	s_cvt_f32_u32 s9, s31
	;; [unrolled: 1-line block ×4, first 2 shown]
	v_rcp_iflag_f32_e32 v1, s3
	s_sub_co_i32 s3, 0, s14
	s_cvt_f32_u32 s16, s25
	v_rcp_iflag_f32_e32 v2, s10
	v_rcp_iflag_f32_e32 v4, s15
	s_cvt_f32_u32 s11, s27
	v_rcp_iflag_f32_e32 v5, s16
	v_readfirstlane_b32 s8, v1
	v_rcp_iflag_f32_e32 v1, s9
	v_rcp_iflag_f32_e32 v3, s11
	v_readfirstlane_b32 s9, v2
	s_cvt_f32_u32 s17, s24
	s_mul_f32 s8, s8, 0x4f7ffffe
	s_delay_alu instid0(SALU_CYCLE_2) | instskip(NEXT) | instid1(SALU_CYCLE_2)
	v_rcp_iflag_f32_e32 v6, s17
	s_cvt_u32_f32 s8, s8
	s_delay_alu instid0(TRANS32_DEP_2) | instskip(SKIP_1) | instid1(SALU_CYCLE_1)
	v_readfirstlane_b32 s11, v3
	v_readfirstlane_b32 s17, v5
	s_mul_i32 s3, s3, s8
	s_mul_f32 s11, s11, 0x4f7ffffe
	s_mul_hi_u32 s3, s8, s3
	v_readfirstlane_b32 s18, v6
	s_add_co_i32 s8, s8, s3
	v_readfirstlane_b32 s3, v1
	s_mul_hi_u32 s8, s2, s8
	s_delay_alu instid0(SALU_CYCLE_1)
	s_mul_i32 s10, s8, s14
	s_add_co_i32 s15, s8, 1
	s_sub_co_i32 s10, s2, s10
	s_mul_f32 s3, s3, 0x4f7ffffe
	s_sub_co_i32 s16, s10, s14
	s_cmp_ge_u32 s10, s14
	s_cselect_b32 s8, s15, s8
	s_cselect_b32 s10, s16, s10
	s_add_co_i32 s15, s8, 1
	s_cmp_ge_u32 s10, s14
	s_cvt_u32_f32 s3, s3
	s_cselect_b32 s15, s15, s8
	s_sub_co_i32 s8, 0, s31
	s_mul_i32 s16, s15, s14
	s_mul_i32 s8, s8, s3
	s_sub_co_i32 s33, s2, s16
	s_mul_hi_u32 s8, s3, s8
	v_readfirstlane_b32 s10, v4
	s_add_co_i32 s3, s3, s8
	s_mul_f32 s8, s9, 0x4f7ffffe
	s_mul_hi_u32 s3, s15, s3
	s_load_b64 s[36:37], s[4:5], s15 offset:0x0 scale_offset
	s_mul_i32 s9, s3, s31
	s_cvt_u32_f32 s8, s8
	s_sub_co_i32 s2, s15, s9
	s_add_co_i32 s9, s3, 1
	s_sub_co_i32 s19, s2, s31
	s_cmp_ge_u32 s2, s31
	s_cselect_b32 s3, s9, s3
	s_cselect_b32 s2, s19, s2
	s_add_co_i32 s9, s3, 1
	s_cmp_ge_u32 s2, s31
	s_cvt_u32_f32 s2, s11
	s_cselect_b32 s28, s9, s3
	s_sub_co_i32 s3, 0, s27
	s_mul_f32 s9, s10, 0x4f7ffffe
	s_mul_i32 s3, s3, s2
	s_sub_co_i32 s10, 0, s30
	s_mul_hi_u32 s3, s2, s3
	s_mul_i32 s10, s10, s8
	s_add_co_i32 s2, s2, s3
	s_mul_hi_u32 s3, s8, s10
	s_mul_hi_u32 s2, s15, s2
	s_add_co_i32 s38, s8, s3
	s_mul_i32 s10, s2, s27
	s_add_co_i32 s8, s2, 1
	s_sub_co_i32 s3, s15, s10
	s_mul_f32 s11, s17, 0x4f7ffffe
	s_sub_co_i32 s10, s3, s27
	s_cmp_ge_u32 s3, s27
	s_cselect_b32 s2, s8, s2
	s_cselect_b32 s3, s10, s3
	s_add_co_i32 s8, s2, 1
	s_cmp_ge_u32 s3, s27
	s_cvt_u32_f32 s3, s11
	s_cselect_b32 s34, s8, s2
	s_sub_co_i32 s2, 0, s25
	s_cvt_u32_f32 s8, s9
	s_mul_i32 s2, s2, s3
	s_wait_xcnt 0x0
	s_sub_co_i32 s4, 0, s26
	s_mul_hi_u32 s2, s3, s2
	s_mul_i32 s4, s4, s8
	s_add_co_i32 s3, s3, s2
	s_delay_alu instid0(SALU_CYCLE_1)
	s_mul_hi_u32 s2, s15, s3
	s_mul_hi_u32 s3, s8, s4
	s_mul_i32 s4, s2, s25
	s_add_co_i32 s40, s8, s3
	s_sub_co_i32 s3, s15, s4
	s_add_co_i32 s4, s2, 1
	s_sub_co_i32 s5, s3, s25
	s_cmp_ge_u32 s3, s25
	s_mul_f32 s8, s18, 0x4f7ffffe
	s_cselect_b32 s2, s4, s2
	s_cselect_b32 s3, s5, s3
	s_add_co_i32 s4, s2, 1
	s_cmp_ge_u32 s3, s25
	s_cvt_u32_f32 s5, s8
	s_cselect_b32 s42, s4, s2
	s_sub_co_i32 s3, 0, s24
	v_cmp_ne_u32_e64 s2, 0, v0
	s_mul_i32 s4, s3, s5
	v_cmp_eq_u32_e64 s3, 0, v0
	s_mul_hi_u32 s4, s5, s4
	s_delay_alu instid0(SALU_CYCLE_1)
	s_add_co_i32 s4, s5, s4
	s_mov_b32 s5, s29
	s_and_saveexec_b32 s46, s3
	s_cbranch_execz .LBB74_17
; %bb.2:
	s_load_b64 s[20:21], s[0:1], 0x2c8
	s_mov_b32 s17, 0
	s_delay_alu instid0(SALU_CYCLE_1)
	s_lshl_b64 s[22:23], s[16:17], 2
	s_cmp_lt_u32 s14, 4
	s_cbranch_scc1 .LBB74_14
; %bb.3:
	s_mov_b64 s[18:19], 0
	s_mov_b32 s16, 0
.LBB74_4:                               ; =>This Inner Loop Header: Depth=1
	s_add_nc_u64 s[44:45], s[6:7], s[22:23]
	s_cmp_ge_u32 s16, s33
	s_load_b128 s[8:11], s[44:45], 0x0
	s_wait_kmcnt 0x0
	s_add_nc_u64 s[44:45], s[20:21], s[22:23]
	s_cbranch_scc0 .LBB74_11
; %bb.5:                                ;   in Loop: Header=BB74_4 Depth=1
	s_add_co_i32 s47, s16, 1
	s_delay_alu instid0(SALU_CYCLE_1)
	s_cmp_ge_u32 s47, s33
	s_cbranch_scc0 .LBB74_12
.LBB74_6:                               ;   in Loop: Header=BB74_4 Depth=1
	s_add_co_i32 s47, s47, 1
	s_delay_alu instid0(SALU_CYCLE_1)
	s_cmp_ge_u32 s47, s33
	s_cbranch_scc0 .LBB74_13
.LBB74_7:                               ;   in Loop: Header=BB74_4 Depth=1
	s_add_co_i32 s47, s47, 1
	s_delay_alu instid0(SALU_CYCLE_1)
	s_cmp_ge_u32 s47, s33
	s_cbranch_scc1 .LBB74_9
.LBB74_8:                               ;   in Loop: Header=BB74_4 Depth=1
	s_load_b32 s44, s[44:45], 0xc
	s_add_co_i32 s19, s11, s19
	s_wait_kmcnt 0x0
	s_add_co_i32 s18, s44, s18
.LBB74_9:                               ;   in Loop: Header=BB74_4 Depth=1
	s_add_co_i32 s8, s8, s17
	s_add_nc_u64 s[6:7], s[6:7], 16
	s_add_co_i32 s8, s8, s9
	s_add_co_i32 s9, s47, 4
	;; [unrolled: 1-line block ×3, first 2 shown]
	s_add_nc_u64 s[20:21], s[20:21], 16
	s_add_co_i32 s17, s8, s11
	s_add_co_i32 s8, s47, 1
	s_cmp_ge_u32 s9, s14
	s_cbranch_scc1 .LBB74_15
; %bb.10:                               ;   in Loop: Header=BB74_4 Depth=1
	s_mov_b32 s16, s8
	s_branch .LBB74_4
.LBB74_11:                              ;   in Loop: Header=BB74_4 Depth=1
	s_load_b32 s47, s[44:45], 0x0
	s_add_co_i32 s19, s8, s19
	s_wait_kmcnt 0x0
	s_add_co_i32 s18, s47, s18
	s_add_co_i32 s47, s16, 1
	s_delay_alu instid0(SALU_CYCLE_1)
	s_cmp_ge_u32 s47, s33
	s_cbranch_scc1 .LBB74_6
.LBB74_12:                              ;   in Loop: Header=BB74_4 Depth=1
	s_load_b32 s48, s[44:45], 0x4
	s_add_co_i32 s19, s9, s19
	s_wait_kmcnt 0x0
	s_add_co_i32 s18, s48, s18
	s_add_co_i32 s47, s47, 1
	s_delay_alu instid0(SALU_CYCLE_1)
	s_cmp_ge_u32 s47, s33
	s_cbranch_scc1 .LBB74_7
.LBB74_13:                              ;   in Loop: Header=BB74_4 Depth=1
	s_load_b32 s48, s[44:45], 0x8
	s_add_co_i32 s19, s10, s19
	s_wait_kmcnt 0x0
	s_add_co_i32 s18, s48, s18
	s_add_co_i32 s47, s47, 1
	s_delay_alu instid0(SALU_CYCLE_1)
	s_cmp_ge_u32 s47, s33
	s_cbranch_scc0 .LBB74_8
	s_branch .LBB74_9
.LBB74_14:
	s_mov_b64 s[18:19], 0
	s_add_nc_u64 s[6:7], s[6:7], s[22:23]
	s_wait_kmcnt 0x0
	s_add_nc_u64 s[8:9], s[20:21], s[22:23]
	s_mov_b32 s10, 0
	s_delay_alu instid0(SALU_CYCLE_1)
	s_cmp_ge_u32 s10, s14
	s_cbranch_scc0 .LBB74_38
	s_branch .LBB74_16
.LBB74_15:
	s_add_co_i32 s10, s16, 4
	s_add_nc_u64 s[8:9], s[20:21], s[22:23]
	s_add_nc_u64 s[6:7], s[6:7], s[22:23]
	s_cmp_ge_u32 s10, s14
	s_cbranch_scc0 .LBB74_38
.LBB74_16:
	v_dual_mov_b32 v2, s18 :: v_dual_mov_b32 v3, s17
	v_dual_mov_b32 v4, s19 :: v_dual_mov_b32 v1, 0
	ds_store_b96 v1, v[2:4] offset:1056
.LBB74_17:
	s_or_b32 exec_lo, exec_lo, s46
	s_mul_u64 s[6:7], s[42:43], s[4:5]
	s_clause 0x6
	s_load_b96 s[4:6], s[0:1], 0xd8
	s_load_b96 s[8:10], s[0:1], 0x23c
	s_load_b64 s[44:45], s[0:1], 0x1d0
	s_load_b96 s[16:18], s[0:1], 0x15c
	s_load_b64 s[46:47], s[0:1], 0xf0
	s_load_b96 s[20:22], s[0:1], 0x6c
	s_load_b64 s[48:49], s[0:1], 0x0
	s_mul_i32 s11, s13, s33
	s_mul_u64 s[50:51], s[28:29], s[38:39]
	s_lshl_b32 s19, s11, 8
	s_mov_b32 s39, 0
	s_add_co_i32 s33, s33, 1
	s_mul_u64 s[40:41], s[34:35], s[40:41]
	s_wait_dscnt 0x0
	s_barrier_signal -1
	s_barrier_wait -1
	s_wait_kmcnt 0x0
	s_sub_co_i32 s38, s4, s19
	s_delay_alu instid0(SALU_CYCLE_1) | instskip(NEXT) | instid1(SALU_CYCLE_1)
	s_add_nc_u64 s[52:53], s[38:39], 0xff
	s_lshr_b64 s[52:53], s[52:53], 8
	s_cmp_lt_u32 s33, s14
	s_cselect_b32 s13, s13, s52
	s_delay_alu instid0(SALU_CYCLE_1)
	s_cmp_eq_u32 s13, 0
	s_cbranch_scc1 .LBB74_40
; %bb.18:
	s_mul_i32 s14, s51, s30
	s_mul_i32 s11, s28, s31
	s_sub_co_i32 s14, s28, s14
	s_sub_co_i32 s11, s15, s11
	s_add_co_i32 s23, s51, 1
	s_sub_co_i32 s29, s14, s30
	s_cmp_ge_u32 s14, s30
	s_mul_i32 s11, s11, s22
	s_cselect_b32 s23, s23, s51
	s_cselect_b32 s14, s29, s14
	s_add_co_i32 s29, s23, 1
	s_cmp_ge_u32 s14, s30
	s_mul_i32 s14, s34, s27
	s_cselect_b32 s23, s29, s23
	s_mul_i32 s27, s41, s26
	s_mul_i32 s29, s23, s30
	;; [unrolled: 1-line block ×3, first 2 shown]
	s_sub_co_i32 s22, s28, s29
	s_sub_co_i32 s20, s34, s27
	s_mul_i32 s21, s22, s21
	s_sub_co_i32 s14, s15, s14
	s_add_co_i32 s11, s21, s11
	s_sub_co_i32 s21, s20, s26
	s_add_co_i32 s38, s11, s23
	s_add_co_i32 s11, s41, 1
	s_cmp_ge_u32 s20, s26
	s_mul_i32 s14, s14, s18
	s_cselect_b32 s11, s11, s41
	s_cselect_b32 s20, s21, s20
	s_add_co_i32 s21, s11, 1
	s_cmp_ge_u32 s20, s26
	s_mul_i32 s22, s7, s24
	s_cselect_b32 s11, s21, s11
	s_mul_i32 s20, s42, s25
	s_mul_i32 s21, s11, s26
	;; [unrolled: 1-line block ×3, first 2 shown]
	s_sub_co_i32 s21, s34, s21
	s_sub_co_i32 s15, s15, s20
	s_mul_i32 s17, s21, s17
	s_add_co_i32 s16, s7, 1
	s_add_co_i32 s14, s17, s14
	v_cmp_o_f64_e64 s18, s[36:37], s[36:37]
	s_add_co_i32 s14, s14, s11
	s_sub_co_i32 s11, s42, s22
	v_dual_mov_b32 v7, 0 :: v_dual_lshrrev_b32 v1, 3, v0
	s_sub_co_i32 s17, s11, s24
	s_cmp_ge_u32 s11, s24
	s_load_b32 s22, s[0:1], 0xe8
	s_cselect_b32 s7, s16, s7
	s_cselect_b32 s11, s17, s11
	s_add_co_i32 s16, s7, 1
	s_cmp_ge_u32 s11, s24
	ds_load_b96 v[2:4], v7 offset:1056
	s_cselect_b32 s7, s16, s7
	s_mul_i32 s15, s15, s10
	s_mul_i32 s11, s7, s24
	;; [unrolled: 1-line block ×3, first 2 shown]
	s_sub_co_i32 s11, s42, s11
	s_mov_b32 s17, s39
	s_mul_i32 s9, s11, s9
	v_dual_add_nc_u32 v9, -1, v0 :: v_dual_bitop2_b32 v1, 28, v1 bitop3:0x40
	s_add_co_i32 s8, s9, s15
	v_dual_add_nc_u32 v6, s19, v0 :: v_dual_lshlrev_b32 v11, 5, v0
	s_add_co_i32 s16, s8, s7
	s_delay_alu instid0(VALU_DEP_2)
	v_lshrrev_b32_e32 v5, 3, v9
	s_lshl_b64 s[20:21], s[16:17], 3
	s_load_b32 s16, s[0:1], 0x1c8
	s_mov_b32 s15, s39
	s_wait_kmcnt 0x0
	v_mul_lo_u32 v8, s22, v6
	s_lshl_b64 s[10:11], s[14:15], 3
	s_ashr_i32 s14, s37, 31
	s_wait_dscnt 0x0
	v_add_nc_u32_e32 v2, v2, v3
	s_mov_b32 s15, s14
	v_lshl_add_u32 v3, v0, 2, v1
	v_and_b32_e32 v1, 0xfc, v0
	v_and_b32_e32 v10, 0x1ffffffc, v5
	v_mbcnt_lo_u32_b32 v5, -1, 0
	s_or_b64 s[14:15], s[14:15], 0x8000000000000000
	s_lshl_b64 s[8:9], s[38:39], 3
	s_xor_b64 s[14:15], s[14:15], s[36:37]
	s_and_b32 s7, s18, exec_lo
	v_cmp_gt_u32_e64 s0, 32, v0
	v_lshl_add_u32 v9, v9, 2, v10
	v_dual_add_nc_u32 v10, v1, v11 :: v_dual_bitop2_b32 v11, 15, v5 bitop3:0x40
	v_bfe_i32 v12, v5, 4, 1
	v_add_nc_u32_e32 v13, -1, v5
	s_cselect_b32 s15, s15, -1
	s_cselect_b32 s14, s14, -1
	s_bitcmp1_b32 s6, 0
	s_add_nc_u64 s[8:9], s[48:49], s[8:9]
	s_add_nc_u64 s[10:11], s[46:47], s[10:11]
	;; [unrolled: 1-line block ×3, first 2 shown]
	s_cselect_b32 s1, -1, 0
	s_lshl_b32 s17, s22, 8
                                        ; implicit-def: $vgpr0_vgpr1
	s_branch .LBB74_21
.LBB74_19:                              ;   in Loop: Header=BB74_21 Depth=1
	s_wait_xcnt 0x0
	s_or_b32 exec_lo, exec_lo, s18
	v_add_nc_u32_e32 v2, v16, v2
.LBB74_20:                              ;   in Loop: Header=BB74_21 Depth=1
	v_add_nc_u32_e32 v4, v15, v4
	v_add_nc_u32_e32 v8, s17, v8
	;; [unrolled: 1-line block ×3, first 2 shown]
	s_add_co_i32 s13, s13, -1
	s_delay_alu instid0(SALU_CYCLE_1)
	s_cmp_lg_u32 s13, 0
	s_cbranch_scc0 .LBB74_40
.LBB74_21:                              ; =>This Inner Loop Header: Depth=1
	v_dual_mov_b32 v16, 0 :: v_dual_mov_b32 v14, 0
	s_mov_b32 s18, exec_lo
	v_cmpx_gt_u32_e64 s4, v6
	s_cbranch_execz .LBB74_23
; %bb.22:                               ;   in Loop: Header=BB74_21 Depth=1
	global_load_b64 v[0:1], v8, s[8:9] scale_offset
	s_wait_loadcnt 0x0
	v_cmp_o_f64_e32 vcc_lo, v[0:1], v[0:1]
	v_ashrrev_i32_e32 v14, 31, v1
	s_delay_alu instid0(VALU_DEP_1) | instskip(NEXT) | instid1(VALU_DEP_1)
	v_or_b32_e32 v15, 0x80000000, v14
	v_xor_b32_e32 v15, v15, v1
	s_delay_alu instid0(VALU_DEP_1) | instskip(NEXT) | instid1(VALU_DEP_1)
	v_dual_cndmask_b32 v15, -1, v15, vcc_lo :: v_dual_bitop2_b32 v14, v14, v0 bitop3:0x14
	v_cndmask_b32_e32 v14, -1, v14, vcc_lo
	s_delay_alu instid0(VALU_DEP_1) | instskip(SKIP_3) | instid1(VALU_DEP_1)
	v_cmp_lt_u64_e32 vcc_lo, s[14:15], v[14:15]
	v_cndmask_b32_e64 v16, 0, 1, vcc_lo
	v_cmp_gt_u64_e32 vcc_lo, s[14:15], v[14:15]
	v_cndmask_b32_e64 v17, 0, 1, vcc_lo
	v_cndmask_b32_e64 v16, v17, v16, s1
	v_cmp_eq_u64_e32 vcc_lo, s[14:15], v[14:15]
	s_delay_alu instid0(VALU_DEP_2)
	v_and_b32_e32 v16, 1, v16
	v_cndmask_b32_e64 v14, 0, 1, vcc_lo
.LBB74_23:                              ;   in Loop: Header=BB74_21 Depth=1
	s_wait_xcnt 0x0
	s_or_b32 exec_lo, exec_lo, s18
	ds_store_b32 v3, v16
	s_wait_dscnt 0x0
	s_barrier_signal -1
	s_barrier_wait -1
	s_and_saveexec_b32 s18, s0
	s_cbranch_execz .LBB74_25
; %bb.24:                               ;   in Loop: Header=BB74_21 Depth=1
	ds_load_2addr_b32 v[18:19], v10 offset1:1
	ds_load_2addr_b32 v[20:21], v10 offset0:2 offset1:3
	ds_load_2addr_b32 v[22:23], v10 offset0:4 offset1:5
	;; [unrolled: 1-line block ×3, first 2 shown]
	v_cmp_ne_u32_e32 vcc_lo, 0, v11
	; wave barrier
	s_wait_dscnt 0x3
	v_add_nc_u32_e32 v15, v19, v18
	s_wait_dscnt 0x2
	s_delay_alu instid0(VALU_DEP_1) | instskip(SKIP_1) | instid1(VALU_DEP_1)
	v_add3_u32 v15, v15, v20, v21
	s_wait_dscnt 0x1
	v_add3_u32 v15, v15, v22, v23
	s_wait_dscnt 0x0
	s_delay_alu instid0(VALU_DEP_1) | instskip(NEXT) | instid1(VALU_DEP_1)
	v_add3_u32 v15, v15, v24, v25
	v_mov_b32_dpp v17, v15 row_shr:1 row_mask:0xf bank_mask:0xf
	s_delay_alu instid0(VALU_DEP_1) | instskip(SKIP_1) | instid1(VALU_DEP_2)
	v_cndmask_b32_e32 v17, 0, v17, vcc_lo
	v_cmp_lt_u32_e32 vcc_lo, 1, v11
	v_add_nc_u32_e32 v15, v17, v15
	s_delay_alu instid0(VALU_DEP_1) | instskip(NEXT) | instid1(VALU_DEP_1)
	v_mov_b32_dpp v17, v15 row_shr:2 row_mask:0xf bank_mask:0xf
	v_cndmask_b32_e32 v17, 0, v17, vcc_lo
	v_cmp_lt_u32_e32 vcc_lo, 3, v11
	s_delay_alu instid0(VALU_DEP_2) | instskip(NEXT) | instid1(VALU_DEP_1)
	v_add_nc_u32_e32 v15, v15, v17
	v_mov_b32_dpp v17, v15 row_shr:4 row_mask:0xf bank_mask:0xf
	s_delay_alu instid0(VALU_DEP_1) | instskip(SKIP_1) | instid1(VALU_DEP_2)
	v_cndmask_b32_e32 v17, 0, v17, vcc_lo
	v_cmp_lt_u32_e32 vcc_lo, 7, v11
	v_add_nc_u32_e32 v15, v15, v17
	s_delay_alu instid0(VALU_DEP_1) | instskip(NEXT) | instid1(VALU_DEP_1)
	v_mov_b32_dpp v17, v15 row_shr:8 row_mask:0xf bank_mask:0xf
	v_cndmask_b32_e32 v17, 0, v17, vcc_lo
	v_cmp_gt_i32_e32 vcc_lo, 0, v13
	s_delay_alu instid0(VALU_DEP_2) | instskip(SKIP_4) | instid1(VALU_DEP_1)
	v_add_nc_u32_e32 v15, v15, v17
	v_cndmask_b32_e32 v19, v13, v5, vcc_lo
	ds_swizzle_b32 v17, v15 offset:swizzle(BROADCAST,32,15)
	s_wait_dscnt 0x0
	v_dual_lshlrev_b32 v19, 2, v19 :: v_dual_bitop2_b32 v17, v12, v17 bitop3:0x40
	v_add_nc_u32_e32 v15, v15, v17
	ds_bpermute_b32 v15, v19, v15
	s_wait_dscnt 0x0
	v_add_nc_u32_e32 v15, v15, v18
	s_delay_alu instid0(VALU_DEP_1)
	v_cndmask_b32_e64 v15, v15, v16, s3
	ds_store_b32 v10, v15
	; wave barrier
	ds_load_2addr_b32 v[18:19], v10 offset0:1 offset1:2
	ds_load_2addr_b32 v[20:21], v10 offset0:3 offset1:4
	;; [unrolled: 1-line block ×3, first 2 shown]
	ds_load_b32 v17, v10 offset:28
	s_wait_dscnt 0x3
	v_add_nc_u32_e32 v15, v18, v15
	s_delay_alu instid0(VALU_DEP_1) | instskip(SKIP_1) | instid1(VALU_DEP_1)
	v_add_nc_u32_e32 v18, v19, v15
	s_wait_dscnt 0x2
	v_add_nc_u32_e32 v19, v20, v18
	s_delay_alu instid0(VALU_DEP_1) | instskip(SKIP_1) | instid1(VALU_DEP_1)
	v_add_nc_u32_e32 v20, v21, v19
	;; [unrolled: 4-line block ×3, first 2 shown]
	s_wait_dscnt 0x0
	v_add_nc_u32_e32 v17, v17, v22
	ds_store_2addr_b32 v10, v15, v18 offset0:1 offset1:2
	ds_store_2addr_b32 v10, v19, v20 offset0:3 offset1:4
	;; [unrolled: 1-line block ×3, first 2 shown]
	ds_store_b32 v10, v17 offset:28
.LBB74_25:                              ;   in Loop: Header=BB74_21 Depth=1
	s_or_b32 exec_lo, exec_lo, s18
	v_mov_b32_e32 v17, 0
	s_wait_dscnt 0x0
	s_barrier_signal -1
	s_barrier_wait -1
	s_and_saveexec_b32 s18, s2
; %bb.26:                               ;   in Loop: Header=BB74_21 Depth=1
	ds_load_b32 v17, v9
; %bb.27:                               ;   in Loop: Header=BB74_21 Depth=1
	s_or_b32 exec_lo, exec_lo, s18
	ds_load_b32 v15, v7 offset:1048
	s_mov_b32 s18, exec_lo
	s_wait_dscnt 0x0
	s_barrier_signal -1
	s_barrier_wait -1
	v_cmpx_ne_u32_e32 0, v16
	s_cbranch_execz .LBB74_29
; %bb.28:                               ;   in Loop: Header=BB74_21 Depth=1
	v_add_nc_u32_e32 v16, v17, v4
	s_delay_alu instid0(VALU_DEP_1)
	v_mul_lo_u32 v17, v16, s16
	v_mul_lo_u32 v16, v16, s12
	global_store_b64 v17, v[0:1], s[10:11] scale_offset
	global_store_b64 v16, v[6:7], s[6:7] scale_offset
.LBB74_29:                              ;   in Loop: Header=BB74_21 Depth=1
	s_wait_xcnt 0x0
	s_or_b32 exec_lo, exec_lo, s18
	v_cmp_le_u32_e32 vcc_lo, s5, v2
	s_cbranch_vccnz .LBB74_20
; %bb.30:                               ;   in Loop: Header=BB74_21 Depth=1
	ds_store_b32 v3, v14
	s_wait_storecnt_dscnt 0x0
	s_barrier_signal -1
	s_barrier_wait -1
	s_and_saveexec_b32 s18, s0
	s_cbranch_execz .LBB74_32
; %bb.31:                               ;   in Loop: Header=BB74_21 Depth=1
	ds_load_2addr_b32 v[16:17], v10 offset1:1
	ds_load_2addr_b32 v[18:19], v10 offset0:2 offset1:3
	ds_load_2addr_b32 v[20:21], v10 offset0:4 offset1:5
	;; [unrolled: 1-line block ×3, first 2 shown]
	v_cmp_ne_u32_e32 vcc_lo, 0, v11
	; wave barrier
	s_wait_dscnt 0x3
	v_add_nc_u32_e32 v17, v17, v16
	s_wait_dscnt 0x2
	s_delay_alu instid0(VALU_DEP_1) | instskip(SKIP_1) | instid1(VALU_DEP_1)
	v_add3_u32 v17, v17, v18, v19
	s_wait_dscnt 0x1
	v_add3_u32 v17, v17, v20, v21
	s_wait_dscnt 0x0
	s_delay_alu instid0(VALU_DEP_1) | instskip(NEXT) | instid1(VALU_DEP_1)
	v_add3_u32 v17, v17, v22, v23
	v_mov_b32_dpp v18, v17 row_shr:1 row_mask:0xf bank_mask:0xf
	s_delay_alu instid0(VALU_DEP_1) | instskip(SKIP_1) | instid1(VALU_DEP_2)
	v_cndmask_b32_e32 v18, 0, v18, vcc_lo
	v_cmp_lt_u32_e32 vcc_lo, 1, v11
	v_add_nc_u32_e32 v17, v18, v17
	s_delay_alu instid0(VALU_DEP_1) | instskip(NEXT) | instid1(VALU_DEP_1)
	v_mov_b32_dpp v18, v17 row_shr:2 row_mask:0xf bank_mask:0xf
	v_cndmask_b32_e32 v18, 0, v18, vcc_lo
	v_cmp_lt_u32_e32 vcc_lo, 3, v11
	s_delay_alu instid0(VALU_DEP_2) | instskip(NEXT) | instid1(VALU_DEP_1)
	v_add_nc_u32_e32 v17, v17, v18
	v_mov_b32_dpp v18, v17 row_shr:4 row_mask:0xf bank_mask:0xf
	s_delay_alu instid0(VALU_DEP_1) | instskip(SKIP_1) | instid1(VALU_DEP_2)
	v_cndmask_b32_e32 v18, 0, v18, vcc_lo
	v_cmp_lt_u32_e32 vcc_lo, 7, v11
	v_add_nc_u32_e32 v17, v17, v18
	s_delay_alu instid0(VALU_DEP_1) | instskip(NEXT) | instid1(VALU_DEP_1)
	v_mov_b32_dpp v18, v17 row_shr:8 row_mask:0xf bank_mask:0xf
	v_cndmask_b32_e32 v18, 0, v18, vcc_lo
	v_cmp_gt_i32_e32 vcc_lo, 0, v13
	s_delay_alu instid0(VALU_DEP_2) | instskip(SKIP_4) | instid1(VALU_DEP_1)
	v_add_nc_u32_e32 v17, v17, v18
	v_cndmask_b32_e32 v19, v13, v5, vcc_lo
	ds_swizzle_b32 v18, v17 offset:swizzle(BROADCAST,32,15)
	s_wait_dscnt 0x0
	v_dual_lshlrev_b32 v19, 2, v19 :: v_dual_bitop2_b32 v18, v12, v18 bitop3:0x40
	v_add_nc_u32_e32 v17, v17, v18
	ds_bpermute_b32 v17, v19, v17
	s_wait_dscnt 0x0
	v_add_nc_u32_e32 v16, v17, v16
	s_delay_alu instid0(VALU_DEP_1)
	v_cndmask_b32_e64 v22, v16, v14, s3
	ds_store_b32 v10, v22
	; wave barrier
	ds_load_2addr_b32 v[16:17], v10 offset0:1 offset1:2
	ds_load_2addr_b32 v[18:19], v10 offset0:3 offset1:4
	;; [unrolled: 1-line block ×3, first 2 shown]
	ds_load_b32 v23, v10 offset:28
	s_wait_dscnt 0x3
	v_add_nc_u32_e32 v16, v16, v22
	s_delay_alu instid0(VALU_DEP_1) | instskip(SKIP_1) | instid1(VALU_DEP_1)
	v_add_nc_u32_e32 v17, v17, v16
	s_wait_dscnt 0x2
	v_add_nc_u32_e32 v18, v18, v17
	s_delay_alu instid0(VALU_DEP_1) | instskip(SKIP_1) | instid1(VALU_DEP_1)
	v_add_nc_u32_e32 v19, v19, v18
	;; [unrolled: 4-line block ×3, first 2 shown]
	s_wait_dscnt 0x0
	v_add_nc_u32_e32 v22, v23, v21
	ds_store_2addr_b32 v10, v16, v17 offset0:1 offset1:2
	ds_store_2addr_b32 v10, v18, v19 offset0:3 offset1:4
	;; [unrolled: 1-line block ×3, first 2 shown]
	ds_store_b32 v10, v22 offset:28
.LBB74_32:                              ;   in Loop: Header=BB74_21 Depth=1
	s_or_b32 exec_lo, exec_lo, s18
	v_mov_b32_e32 v17, 0
	s_wait_dscnt 0x0
	s_barrier_signal -1
	s_barrier_wait -1
	s_and_saveexec_b32 s18, s2
; %bb.33:                               ;   in Loop: Header=BB74_21 Depth=1
	ds_load_b32 v17, v9
; %bb.34:                               ;   in Loop: Header=BB74_21 Depth=1
	s_or_b32 exec_lo, exec_lo, s18
	ds_load_b32 v16, v7 offset:1048
	s_mov_b32 s18, exec_lo
	s_wait_dscnt 0x0
	s_barrier_signal -1
	s_barrier_wait -1
	v_cmpx_ne_u32_e32 0, v14
	s_cbranch_execz .LBB74_19
; %bb.35:                               ;   in Loop: Header=BB74_21 Depth=1
	v_add_nc_u32_e32 v14, v17, v2
	s_delay_alu instid0(VALU_DEP_1)
	v_cmp_gt_u32_e32 vcc_lo, s5, v14
	s_and_b32 exec_lo, exec_lo, vcc_lo
	s_cbranch_execz .LBB74_19
; %bb.36:                               ;   in Loop: Header=BB74_21 Depth=1
	v_mul_lo_u32 v17, v14, s16
	v_mul_lo_u32 v14, v14, s12
	global_store_b64 v17, v[0:1], s[10:11] scale_offset
	global_store_b64 v14, v[6:7], s[6:7] scale_offset
	s_branch .LBB74_19
.LBB74_37:                              ;   in Loop: Header=BB74_38 Depth=1
	s_add_co_i32 s10, s10, 1
	s_wait_kmcnt 0x0
	s_add_co_i32 s17, s11, s17
	s_add_nc_u64 s[6:7], s[6:7], 4
	s_cmp_lt_u32 s10, s14
	s_add_nc_u64 s[8:9], s[8:9], 4
	s_cbranch_scc0 .LBB74_16
.LBB74_38:                              ; =>This Inner Loop Header: Depth=1
	s_load_b32 s11, s[6:7], 0x0
	s_cmp_ge_u32 s10, s33
	s_cbranch_scc1 .LBB74_37
; %bb.39:                               ;   in Loop: Header=BB74_38 Depth=1
	s_load_b32 s16, s[8:9], 0x0
	s_wait_kmcnt 0x0
	s_add_co_i32 s19, s11, s19
	s_add_co_i32 s18, s16, s18
	s_branch .LBB74_37
.LBB74_40:
	s_endpgm
	.section	.rodata,"a",@progbits
	.p2align	6, 0x0
	.amdhsa_kernel _ZN2at6native6mbtopk10gatherTopKIdjLi3EEEvNS_4cuda6detail10TensorInfoIKT_T0_EES8_S8_bjS8_NS5_IS6_S8_EES8_NS5_IlS8_EES8_jjPS6_PjSD_j
		.amdhsa_group_segment_fixed_size 1068
		.amdhsa_private_segment_fixed_size 0
		.amdhsa_kernarg_size 984
		.amdhsa_user_sgpr_count 2
		.amdhsa_user_sgpr_dispatch_ptr 0
		.amdhsa_user_sgpr_queue_ptr 0
		.amdhsa_user_sgpr_kernarg_segment_ptr 1
		.amdhsa_user_sgpr_dispatch_id 0
		.amdhsa_user_sgpr_kernarg_preload_length 0
		.amdhsa_user_sgpr_kernarg_preload_offset 0
		.amdhsa_user_sgpr_private_segment_size 0
		.amdhsa_wavefront_size32 1
		.amdhsa_uses_dynamic_stack 0
		.amdhsa_enable_private_segment 0
		.amdhsa_system_sgpr_workgroup_id_x 1
		.amdhsa_system_sgpr_workgroup_id_y 1
		.amdhsa_system_sgpr_workgroup_id_z 1
		.amdhsa_system_sgpr_workgroup_info 0
		.amdhsa_system_vgpr_workitem_id 0
		.amdhsa_next_free_vgpr 26
		.amdhsa_next_free_sgpr 54
		.amdhsa_named_barrier_count 0
		.amdhsa_reserve_vcc 1
		.amdhsa_float_round_mode_32 0
		.amdhsa_float_round_mode_16_64 0
		.amdhsa_float_denorm_mode_32 3
		.amdhsa_float_denorm_mode_16_64 3
		.amdhsa_fp16_overflow 0
		.amdhsa_memory_ordered 1
		.amdhsa_forward_progress 1
		.amdhsa_inst_pref_size 25
		.amdhsa_round_robin_scheduling 0
		.amdhsa_exception_fp_ieee_invalid_op 0
		.amdhsa_exception_fp_denorm_src 0
		.amdhsa_exception_fp_ieee_div_zero 0
		.amdhsa_exception_fp_ieee_overflow 0
		.amdhsa_exception_fp_ieee_underflow 0
		.amdhsa_exception_fp_ieee_inexact 0
		.amdhsa_exception_int_div_zero 0
	.end_amdhsa_kernel
	.section	.text._ZN2at6native6mbtopk10gatherTopKIdjLi3EEEvNS_4cuda6detail10TensorInfoIKT_T0_EES8_S8_bjS8_NS5_IS6_S8_EES8_NS5_IlS8_EES8_jjPS6_PjSD_j,"axG",@progbits,_ZN2at6native6mbtopk10gatherTopKIdjLi3EEEvNS_4cuda6detail10TensorInfoIKT_T0_EES8_S8_bjS8_NS5_IS6_S8_EES8_NS5_IlS8_EES8_jjPS6_PjSD_j,comdat
.Lfunc_end74:
	.size	_ZN2at6native6mbtopk10gatherTopKIdjLi3EEEvNS_4cuda6detail10TensorInfoIKT_T0_EES8_S8_bjS8_NS5_IS6_S8_EES8_NS5_IlS8_EES8_jjPS6_PjSD_j, .Lfunc_end74-_ZN2at6native6mbtopk10gatherTopKIdjLi3EEEvNS_4cuda6detail10TensorInfoIKT_T0_EES8_S8_bjS8_NS5_IS6_S8_EES8_NS5_IlS8_EES8_jjPS6_PjSD_j
                                        ; -- End function
	.set _ZN2at6native6mbtopk10gatherTopKIdjLi3EEEvNS_4cuda6detail10TensorInfoIKT_T0_EES8_S8_bjS8_NS5_IS6_S8_EES8_NS5_IlS8_EES8_jjPS6_PjSD_j.num_vgpr, 26
	.set _ZN2at6native6mbtopk10gatherTopKIdjLi3EEEvNS_4cuda6detail10TensorInfoIKT_T0_EES8_S8_bjS8_NS5_IS6_S8_EES8_NS5_IlS8_EES8_jjPS6_PjSD_j.num_agpr, 0
	.set _ZN2at6native6mbtopk10gatherTopKIdjLi3EEEvNS_4cuda6detail10TensorInfoIKT_T0_EES8_S8_bjS8_NS5_IS6_S8_EES8_NS5_IlS8_EES8_jjPS6_PjSD_j.numbered_sgpr, 54
	.set _ZN2at6native6mbtopk10gatherTopKIdjLi3EEEvNS_4cuda6detail10TensorInfoIKT_T0_EES8_S8_bjS8_NS5_IS6_S8_EES8_NS5_IlS8_EES8_jjPS6_PjSD_j.num_named_barrier, 0
	.set _ZN2at6native6mbtopk10gatherTopKIdjLi3EEEvNS_4cuda6detail10TensorInfoIKT_T0_EES8_S8_bjS8_NS5_IS6_S8_EES8_NS5_IlS8_EES8_jjPS6_PjSD_j.private_seg_size, 0
	.set _ZN2at6native6mbtopk10gatherTopKIdjLi3EEEvNS_4cuda6detail10TensorInfoIKT_T0_EES8_S8_bjS8_NS5_IS6_S8_EES8_NS5_IlS8_EES8_jjPS6_PjSD_j.uses_vcc, 1
	.set _ZN2at6native6mbtopk10gatherTopKIdjLi3EEEvNS_4cuda6detail10TensorInfoIKT_T0_EES8_S8_bjS8_NS5_IS6_S8_EES8_NS5_IlS8_EES8_jjPS6_PjSD_j.uses_flat_scratch, 0
	.set _ZN2at6native6mbtopk10gatherTopKIdjLi3EEEvNS_4cuda6detail10TensorInfoIKT_T0_EES8_S8_bjS8_NS5_IS6_S8_EES8_NS5_IlS8_EES8_jjPS6_PjSD_j.has_dyn_sized_stack, 0
	.set _ZN2at6native6mbtopk10gatherTopKIdjLi3EEEvNS_4cuda6detail10TensorInfoIKT_T0_EES8_S8_bjS8_NS5_IS6_S8_EES8_NS5_IlS8_EES8_jjPS6_PjSD_j.has_recursion, 0
	.set _ZN2at6native6mbtopk10gatherTopKIdjLi3EEEvNS_4cuda6detail10TensorInfoIKT_T0_EES8_S8_bjS8_NS5_IS6_S8_EES8_NS5_IlS8_EES8_jjPS6_PjSD_j.has_indirect_call, 0
	.section	.AMDGPU.csdata,"",@progbits
; Kernel info:
; codeLenInByte = 3108
; TotalNumSgprs: 56
; NumVgprs: 26
; ScratchSize: 0
; MemoryBound: 0
; FloatMode: 240
; IeeeMode: 1
; LDSByteSize: 1068 bytes/workgroup (compile time only)
; SGPRBlocks: 0
; VGPRBlocks: 1
; NumSGPRsForWavesPerEU: 56
; NumVGPRsForWavesPerEU: 26
; NamedBarCnt: 0
; Occupancy: 16
; WaveLimiterHint : 1
; COMPUTE_PGM_RSRC2:SCRATCH_EN: 0
; COMPUTE_PGM_RSRC2:USER_SGPR: 2
; COMPUTE_PGM_RSRC2:TRAP_HANDLER: 0
; COMPUTE_PGM_RSRC2:TGID_X_EN: 1
; COMPUTE_PGM_RSRC2:TGID_Y_EN: 1
; COMPUTE_PGM_RSRC2:TGID_Z_EN: 1
; COMPUTE_PGM_RSRC2:TIDIG_COMP_CNT: 0
	.section	.text._ZN2at6native6sbtopk10gatherTopKIdjLi3ELb0EEEvNS_4cuda6detail10TensorInfoIKT_T0_EES8_S8_bS8_S8_NS5_IS6_S8_EES8_NS5_IlS8_EES8_PS6_,"axG",@progbits,_ZN2at6native6sbtopk10gatherTopKIdjLi3ELb0EEEvNS_4cuda6detail10TensorInfoIKT_T0_EES8_S8_bS8_S8_NS5_IS6_S8_EES8_NS5_IlS8_EES8_PS6_,comdat
	.protected	_ZN2at6native6sbtopk10gatherTopKIdjLi3ELb0EEEvNS_4cuda6detail10TensorInfoIKT_T0_EES8_S8_bS8_S8_NS5_IS6_S8_EES8_NS5_IlS8_EES8_PS6_ ; -- Begin function _ZN2at6native6sbtopk10gatherTopKIdjLi3ELb0EEEvNS_4cuda6detail10TensorInfoIKT_T0_EES8_S8_bS8_S8_NS5_IS6_S8_EES8_NS5_IlS8_EES8_PS6_
	.globl	_ZN2at6native6sbtopk10gatherTopKIdjLi3ELb0EEEvNS_4cuda6detail10TensorInfoIKT_T0_EES8_S8_bS8_S8_NS5_IS6_S8_EES8_NS5_IlS8_EES8_PS6_
	.p2align	8
	.type	_ZN2at6native6sbtopk10gatherTopKIdjLi3ELb0EEEvNS_4cuda6detail10TensorInfoIKT_T0_EES8_S8_bS8_S8_NS5_IS6_S8_EES8_NS5_IlS8_EES8_PS6_,@function
_ZN2at6native6sbtopk10gatherTopKIdjLi3ELb0EEEvNS_4cuda6detail10TensorInfoIKT_T0_EES8_S8_bS8_S8_NS5_IS6_S8_EES8_NS5_IlS8_EES8_PS6_: ; @_ZN2at6native6sbtopk10gatherTopKIdjLi3ELb0EEEvNS_4cuda6detail10TensorInfoIKT_T0_EES8_S8_bS8_S8_NS5_IS6_S8_EES8_NS5_IlS8_EES8_PS6_
; %bb.0:
	s_clause 0x1
	s_load_b128 s[36:39], s[0:1], 0xd8
	s_load_b64 s[4:5], s[0:1], 0x2b8
	s_bfe_u32 s2, ttmp6, 0x40010
	s_and_b32 s3, ttmp7, 0xffff
	s_add_co_i32 s2, s2, 1
	s_bfe_u32 s7, ttmp6, 0x4000c
	s_mul_i32 s2, s3, s2
	s_bfe_u32 s6, ttmp6, 0x40004
	s_add_co_i32 s7, s7, 1
	s_bfe_u32 s8, ttmp6, 0x40014
	s_add_co_i32 s6, s6, s2
	s_and_b32 s2, ttmp6, 15
	s_mul_i32 s7, ttmp9, s7
	s_lshr_b32 s9, ttmp7, 16
	s_add_co_i32 s8, s8, 1
	s_add_co_i32 s2, s2, s7
	s_mul_i32 s7, s9, s8
	s_bfe_u32 s8, ttmp6, 0x40008
	s_getreg_b32 s10, hwreg(HW_REG_IB_STS2, 6, 4)
	s_add_co_i32 s8, s8, s7
	s_cmp_eq_u32 s10, 0
	s_mov_b32 s49, 0
	s_cselect_b32 s7, s9, s8
	s_cselect_b32 s3, s3, s6
	s_wait_kmcnt 0x0
	s_mul_i32 s5, s5, s7
	s_cselect_b32 s11, ttmp9, s2
	s_add_co_i32 s2, s5, s3
	s_delay_alu instid0(SALU_CYCLE_1) | instskip(NEXT) | instid1(SALU_CYCLE_1)
	s_mul_i32 s72, s2, s4
	s_add_co_i32 s72, s72, s11
	s_delay_alu instid0(SALU_CYCLE_1)
	s_cmp_ge_u32 s72, s39
	s_cbranch_scc1 .LBB75_415
; %bb.1:
	s_clause 0x2
	s_load_b64 s[2:3], s[0:1], 0xc
	s_load_b64 s[50:51], s[0:1], 0xfc
	s_load_b64 s[34:35], s[0:1], 0x1dc
	s_mov_b32 s15, s49
	s_clause 0x2
	s_load_b64 s[6:7], s[0:1], 0x0
	s_load_b32 s33, s[0:1], 0xe8
	s_load_b96 s[8:10], s[0:1], 0x6c
	s_add_nc_u64 s[12:13], s[0:1], 0x2b8
	s_mov_b32 s53, s49
	s_wait_kmcnt 0x0
	s_cvt_f32_u32 s5, s3
	s_cvt_f32_u32 s14, s2
	;; [unrolled: 1-line block ×4, first 2 shown]
	v_rcp_iflag_f32_e32 v1, s5
	s_sub_co_i32 s5, 0, s3
	v_rcp_iflag_f32_e32 v2, s17
	v_rcp_iflag_f32_e32 v4, s19
	s_cvt_f32_u32 s18, s50
	s_delay_alu instid0(TRANS32_DEP_3) | instskip(SKIP_1) | instid1(TRANS32_DEP_3)
	v_readfirstlane_b32 s16, v1
	v_rcp_iflag_f32_e32 v1, s14
	v_readfirstlane_b32 s17, v2
	v_rcp_iflag_f32_e32 v3, s18
	s_mul_f32 s14, s16, 0x4f7ffffe
	s_cvt_f32_u32 s16, s34
	s_mul_f32 s17, s17, 0x4f7ffffe
	s_delay_alu instid0(SALU_CYCLE_1) | instskip(NEXT) | instid1(SALU_CYCLE_1)
	s_cvt_u32_f32 s14, s14
	v_rcp_iflag_f32_e32 v5, s16
	v_nop
	v_readfirstlane_b32 s16, v1
	s_cvt_u32_f32 s17, s17
	s_mul_i32 s5, s5, s14
	v_readfirstlane_b32 s18, v3
	s_mul_hi_u32 s5, s14, s5
	s_mul_f32 s16, s16, 0x4f7ffffe
	s_add_co_i32 s14, s14, s5
	v_readfirstlane_b32 s5, v4
	s_mul_hi_u32 s14, s72, s14
	s_cvt_u32_f32 s16, s16
	s_mul_i32 s19, s14, s3
	s_add_co_i32 s20, s14, 1
	s_sub_co_i32 s19, s72, s19
	s_mul_f32 s5, s5, 0x4f7ffffe
	s_sub_co_i32 s21, s19, s3
	s_cmp_ge_u32 s19, s3
	s_mul_f32 s18, s18, 0x4f7ffffe
	s_cselect_b32 s14, s20, s14
	s_cselect_b32 s19, s21, s19
	s_add_co_i32 s20, s14, 1
	s_cmp_ge_u32 s19, s3
	s_cvt_u32_f32 s5, s5
	s_cselect_b32 s14, s20, s14
	s_sub_co_i32 s19, 0, s51
	s_sub_co_i32 s20, 0, s2
	s_mul_i32 s19, s19, s17
	s_mul_i32 s20, s20, s16
	s_mul_hi_u32 s19, s17, s19
	s_delay_alu instid0(SALU_CYCLE_1)
	s_add_co_i32 s17, s17, s19
	s_mul_hi_u32 s19, s16, s20
	s_mul_hi_u32 s17, s72, s17
	s_add_co_i32 s48, s16, s19
	s_mul_i32 s20, s17, s51
	s_add_co_i32 s19, s17, 1
	s_sub_co_i32 s16, s72, s20
	s_delay_alu instid0(SALU_CYCLE_1)
	s_sub_co_i32 s20, s16, s51
	s_cmp_ge_u32 s16, s51
	s_cselect_b32 s17, s19, s17
	s_cselect_b32 s16, s20, s16
	s_add_co_i32 s19, s17, 1
	s_cmp_ge_u32 s16, s51
	s_mul_u64 s[20:21], s[14:15], s[48:49]
	s_cselect_b32 s48, s19, s17
	s_sub_co_i32 s15, 0, s35
	s_cvt_u32_f32 s16, s18
	s_mul_i32 s15, s15, s5
	s_sub_co_i32 s18, 0, s50
	s_mul_hi_u32 s15, s5, s15
	s_mul_i32 s18, s18, s16
	s_add_co_i32 s5, s5, s15
	s_mul_hi_u32 s15, s16, s18
	s_mul_hi_u32 s5, s72, s5
	v_readfirstlane_b32 s17, v5
	s_mul_i32 s18, s5, s35
	s_add_co_i32 s16, s16, s15
	s_sub_co_i32 s15, s72, s18
	s_add_co_i32 s18, s5, 1
	s_sub_co_i32 s19, s15, s35
	s_cmp_ge_u32 s15, s35
	s_mul_f32 s17, s17, 0x4f7ffffe
	s_cselect_b32 s5, s18, s5
	s_cselect_b32 s15, s19, s15
	s_add_co_i32 s18, s5, 1
	s_cmp_ge_u32 s15, s35
	s_cvt_u32_f32 s15, s17
	s_cselect_b32 s52, s18, s5
	s_sub_co_i32 s5, 0, s34
	s_mov_b32 s17, s49
	s_mul_i32 s18, s5, s15
	v_cmp_eq_u32_e64 s5, 0, v0
	s_mul_hi_u32 s18, s15, s18
	s_mov_b32 s19, s49
	s_add_co_i32 s18, s15, s18
	s_and_saveexec_b32 s15, s5
; %bb.2:
	v_dual_mov_b32 v2, 0 :: v_dual_mov_b32 v3, s36
	s_delay_alu instid0(VALU_DEP_1)
	v_mov_b32_e32 v4, v2
	ds_store_b96 v2, v[2:4] offset:4096
; %bb.3:
	s_or_b32 exec_lo, exec_lo, s15
	s_mul_i32 s15, s21, s2
	s_mul_i32 s3, s14, s3
	s_sub_co_i32 s15, s14, s15
	s_sub_co_i32 s3, s72, s3
	s_add_co_i32 s20, s21, 1
	s_sub_co_i32 s22, s15, s2
	s_cmp_ge_u32 s15, s2
	s_wait_dscnt 0x0
	s_cselect_b32 s20, s20, s21
	s_cselect_b32 s15, s22, s15
	s_add_co_i32 s21, s20, 1
	s_cmp_ge_u32 s15, s2
	s_barrier_signal -1
	s_cselect_b32 s15, s21, s20
	s_barrier_wait -1
	s_load_b32 s20, s[12:13], 0xc
	s_mul_i32 s2, s15, s2
	s_mul_i32 s3, s3, s10
	s_sub_co_i32 s2, s14, s2
	v_mbcnt_lo_u32_b32 v1, -1, 0
	s_mul_i32 s2, s2, s9
	s_mul_i32 s15, s15, s8
	s_add_co_i32 s2, s2, s3
	s_mov_b32 s61, 0
	s_add_co_i32 s60, s2, s15
	v_cmp_gt_u32_e32 vcc_lo, 32, v0
	s_lshl_b64 s[8:9], s[60:61], 3
	v_cmp_gt_i32_e64 s2, 4, v1
	s_bitcmp1_b32 s38, 0
	s_mul_u64 s[58:59], s[48:49], s[16:17]
	s_cselect_b32 s3, -1, 0
	s_add_nc_u64 s[30:31], s[6:7], s[8:9]
	s_xor_b32 s73, s3, -1
	s_and_b32 s75, vcc_lo, s2
	s_mul_u64 s[56:57], s[52:53], s[18:19]
	s_wait_kmcnt 0x0
	s_and_b32 s43, s20, 0xffff
	s_clause 0x1
	s_load_b96 s[40:42], s[0:1], 0x23c
	s_load_b64 s[14:15], s[0:1], 0x1d0
	s_lshl_b32 s74, s43, 2
	s_cmp_gt_u32 s36, 0x180
	s_cvt_f32_u32 s2, s74
	s_cselect_b32 s76, -1, 0
	s_cmp_gt_u32 s43, 31
	s_cvt_f32_u32 s7, s43
	s_cselect_b32 s77, -1, 0
	s_add_co_i32 s78, s43, -1
	v_rcp_iflag_f32_e32 v2, s2
	s_add_co_i32 s10, s78, s36
	s_cmp_lt_u32 s11, s4
	v_mul_lo_u32 v20, s33, v0
	s_cselect_b32 s60, 12, 18
	s_bfe_u32 s49, s20, 0xb0005
	v_dual_lshlrev_b32 v17, 2, v0 :: v_dual_mov_b32 v23, 0
	s_add_co_i32 s4, s49, -2
	s_load_b64 s[54:55], s[0:1], 0xf0
	s_lshr_b32 s6, s4, 1
                                        ; implicit-def: $vgpr58 : SGPR spill to VGPR lane
	s_delay_alu instid0(VALU_DEP_1)
	v_dual_lshlrev_b32 v40, 5, v0 :: v_dual_bitop2_b32 v4, 3, v17 bitop3:0x54
	s_add_co_i32 s6, s6, 1
	s_cmp_gt_u32 s43, 63
	s_wait_kmcnt 0x0
	v_writelane_b32 v58, s14, 0
	s_cselect_b32 s53, -1, 0
	s_and_b32 s56, s49, 0x7fe
	s_and_b32 s58, s6, 7
	s_cmp_gt_u32 s4, 13
	v_readfirstlane_b32 s4, v2
	s_cselect_b32 s79, -1, 0
	s_and_b32 s80, s6, -8
	s_cmp_lg_u32 s58, 0
	v_rcp_iflag_f32_e32 v2, s7
	s_mul_f32 s4, s4, 0x4f7ffffe
	s_cselect_b32 s81, -1, 0
	s_cmp_lg_u32 s56, s49
	v_writelane_b32 v58, s15, 1
	s_cvt_u32_f32 s6, s4
	s_cselect_b32 s82, -1, 0
	s_sub_co_i32 s4, 0, s74
	v_mad_u32 v35, s33, v17, s33
	s_mul_i32 s4, s4, s6
	v_mul_lo_u32 v37, s33, v4
	s_mul_hi_u32 s8, s6, s4
	v_lshlrev_b32_e32 v38, 2, v20
	s_add_co_i32 s62, s6, s8
	v_readfirstlane_b32 s8, v2
	s_mul_hi_u32 s7, s36, s62
	v_lshlrev_b64_e64 v[2:3], v1, -1
	s_mul_i32 s7, s7, s74
	v_or_b32_e32 v3, 2, v17
	s_sub_co_i32 s7, s36, s7
	s_mul_f32 s8, s8, 0x4f7ffffe
	s_sub_co_i32 s9, s7, s74
	s_cmp_ge_u32 s7, s74
	v_not_b32_e32 v16, v2
	s_cselect_b32 s7, s9, s7
	s_cvt_u32_f32 s8, s8
	s_sub_co_i32 s9, s7, s74
	s_cmp_ge_u32 s7, s74
	v_lshrrev_b32_e32 v2, 1, v0
	s_cselect_b32 s11, s9, s7
	s_sub_co_i32 s7, 0, s43
	s_sub_co_i32 s83, s36, s11
	s_delay_alu instid0(SALU_CYCLE_1) | instskip(SKIP_3) | instid1(VALU_DEP_2)
	v_dual_mov_b32 v21, v23 :: v_dual_add_nc_u32 v33, s83, v0
	s_mul_i32 s7, s7, s8
	v_mul_lo_u32 v36, s33, v3
	s_mul_hi_u32 s7, s8, s7
	v_lshl_add_u64 v[18:19], v[20:21], 3, s[30:31]
	v_lshlrev_b32_e32 v21, 3, v0
	s_add_co_i32 s64, s8, s7
	s_movk_i32 s8, 0x1f0
	s_mul_hi_u32 s7, s10, s64
	v_and_or_b32 v34, v2, s8, 0xc00
	s_mul_i32 s7, s7, s43
	v_add3_u32 v2, s43, s36, v0
	s_sub_co_i32 s7, s10, s7
	v_mul_lo_u32 v22, v33, s33
	s_sub_co_i32 s8, s7, s43
	s_cmp_ge_u32 s7, s43
	v_subrev_nc_u32_e32 v2, s11, v2
	s_cselect_b32 s9, s8, s7
	v_mov_b64_e32 v[28:29], 0
	s_sub_co_i32 s14, s9, s43
	s_cmp_ge_u32 s9, s43
	v_mul_lo_u32 v39, s33, v2
	s_cselect_b32 s9, s14, s9
	v_mov_b64_e32 v[6:7], 0
	s_sub_co_i32 s84, s10, s9
	v_mov_b64_e32 v[26:27], 0
	v_mov_b64_e32 v[30:31], 0
	v_cmp_eq_u32_e64 s2, 0, v1
	v_cmp_gt_u32_e64 s4, s36, v0
	v_cmp_gt_u32_e64 s6, 2, v0
	v_add_nc_u32_e32 v32, 0xc00, v21
	v_cmp_gt_u32_e64 s7, s83, v17
	v_cmp_gt_u32_e64 s8, s36, v33
	v_lshl_add_u64 v[24:25], v[22:23], 3, s[30:31]
	v_cmp_gt_u32_e64 s9, s84, v0
	v_lshl_or_b32 v41, v1, 2, 0xc00
	v_dual_mov_b32 v42, s37 :: v_dual_mov_b32 v3, 0x3ff00000
	s_mul_i32 s47, s33, s43
	s_mov_b32 s63, s61
	s_mov_b32 s65, s61
	s_lshl_b32 s85, s47, 2
	s_lshl_b32 s86, s43, 5
	;; [unrolled: 1-line block ×3, first 2 shown]
	s_mov_b32 s88, 62
	s_add_nc_u64 s[66:67], s[12:13], s[60:61]
	s_mov_b32 s89, 0
	s_mov_b32 s91, 0
                                        ; implicit-def: $sgpr90
                                        ; implicit-def: $sgpr94
                                        ; implicit-def: $sgpr93
                                        ; implicit-def: $sgpr95
                                        ; implicit-def: $sgpr92
                                        ; implicit-def: $sgpr99
                                        ; implicit-def: $sgpr100
                                        ; implicit-def: $sgpr96
                                        ; implicit-def: $sgpr98
                                        ; implicit-def: $sgpr97
	s_branch .LBB75_6
.LBB75_4:                               ;   in Loop: Header=BB75_6 Depth=1
	s_or_b32 exec_lo, exec_lo, s13
	v_mov_b32_e32 v42, v43
	s_and_not1_b32 s13, s97, exec_lo
	s_and_b32 s12, s12, exec_lo
	s_and_not1_b32 s98, s98, exec_lo
	s_or_b32 s97, s13, s12
	s_and_not1_b32 s96, s96, exec_lo
	s_and_not1_b32 s100, s100, exec_lo
	;; [unrolled: 1-line block ×3, first 2 shown]
	s_or_not1_b32 s12, s11, exec_lo
.LBB75_5:                               ;   in Loop: Header=BB75_6 Depth=1
	s_or_b32 exec_lo, exec_lo, s10
	s_delay_alu instid0(SALU_CYCLE_1) | instskip(NEXT) | instid1(SALU_CYCLE_1)
	s_and_b32 s10, exec_lo, s12
	s_or_b32 s89, s10, s89
	s_and_not1_b32 s10, s92, exec_lo
	s_and_b32 s11, s97, exec_lo
	s_and_not1_b32 s12, s95, exec_lo
	s_or_b32 s92, s10, s11
	s_and_b32 s10, s98, exec_lo
	s_and_not1_b32 s11, s93, exec_lo
	s_and_b32 s13, s96, exec_lo
	s_or_b32 s95, s12, s10
	s_or_b32 s93, s11, s13
	s_and_not1_b32 s10, s94, exec_lo
	s_and_b32 s11, s100, exec_lo
	s_and_not1_b32 s12, s90, exec_lo
	s_and_b32 s13, s99, exec_lo
	s_or_b32 s94, s10, s11
	s_or_b32 s90, s12, s13
	s_and_not1_b32 exec_lo, exec_lo, s89
	s_cbranch_execz .LBB75_411
.LBB75_6:                               ; =>This Loop Header: Depth=1
                                        ;     Child Loop BB75_12 Depth 2
                                        ;     Child Loop BB75_25 Depth 2
	;; [unrolled: 1-line block ×25, first 2 shown]
	ds_load_b64 v[4:5], v23 offset:4096
	s_wait_dscnt 0x0
	v_readfirstlane_b32 s60, v4
	s_cmp_lg_u32 s60, 0
	s_cbranch_scc1 .LBB75_33
; %bb.7:                                ;   in Loop: Header=BB75_6 Depth=1
	s_and_b32 vcc_lo, exec_lo, s76
	s_cbranch_vccz .LBB75_20
; %bb.8:                                ;   in Loop: Header=BB75_6 Depth=1
	v_cmp_gt_u32_e32 vcc_lo, 0x181, v5
	s_mov_b32 s12, 0
	s_mov_b32 s10, 0
	s_cbranch_vccz .LBB75_21
; %bb.9:                                ;   in Loop: Header=BB75_6 Depth=1
	s_and_saveexec_b32 s13, s4
	s_cbranch_execz .LBB75_84
; %bb.10:                               ;   in Loop: Header=BB75_6 Depth=1
	global_load_b64 v[4:5], v[18:19], off
	s_load_u16 s14, s[66:67], 0x0
	s_mov_b32 s16, 0
	s_wait_kmcnt 0x0
	v_dual_mov_b32 v10, v0 :: v_dual_add_nc_u32 v2, s14, v0
	s_mul_i32 s15, s33, s14
	s_delay_alu instid0(VALU_DEP_1)
	v_mul_lo_u32 v2, s33, v2
	s_branch .LBB75_12
.LBB75_11:                              ;   in Loop: Header=BB75_12 Depth=2
	s_or_b32 exec_lo, exec_lo, s11
	v_mov_b64_e32 v[4:5], v[8:9]
	v_add_nc_u32_e32 v2, s15, v2
	s_and_not1_b32 exec_lo, exec_lo, s16
	s_cbranch_execz .LBB75_84
.LBB75_12:                              ;   Parent Loop BB75_6 Depth=1
                                        ; =>  This Inner Loop Header: Depth=2
	v_mov_b64_e32 v[8:9], 0
	v_add_nc_u32_e32 v10, s14, v10
	s_mov_b32 s11, exec_lo
	s_delay_alu instid0(VALU_DEP_1)
	v_cmp_le_u32_e32 vcc_lo, s36, v10
	v_cmpx_gt_u32_e64 s36, v10
	s_cbranch_execz .LBB75_14
; %bb.13:                               ;   in Loop: Header=BB75_12 Depth=2
	global_load_b64 v[8:9], v2, s[30:31] scale_offset
.LBB75_14:                              ;   in Loop: Header=BB75_12 Depth=2
	s_wait_xcnt 0x0
	s_or_b32 exec_lo, exec_lo, s11
	s_wait_loadcnt 0x0
	v_cmp_o_f64_e64 s10, v[4:5], v[4:5]
	s_wait_dscnt 0x0
	v_ashrrev_i32_e32 v11, 31, v5
	s_delay_alu instid0(VALU_DEP_1) | instskip(NEXT) | instid1(VALU_DEP_1)
	v_or_b32_e32 v12, 0x80000000, v11
	v_xor_b32_e32 v12, v12, v5
	v_xor_b32_e32 v11, v11, v4
	s_delay_alu instid0(VALU_DEP_1) | instskip(NEXT) | instid1(VALU_DEP_1)
	v_dual_cndmask_b32 v12, -1, v12, s10 :: v_dual_cndmask_b32 v11, -1, v11, s10
	v_and_b32_e32 v13, v12, v31
	s_delay_alu instid0(VALU_DEP_2) | instskip(NEXT) | instid1(VALU_DEP_1)
	v_dual_mov_b32 v11, 0 :: v_dual_bitop2_b32 v12, v11, v30 bitop3:0x40
	v_cmp_eq_u64_e64 s10, v[12:13], v[26:27]
	s_cmp_lg_u32 s10, 0
	s_cselect_b32 s11, -1, 0
	s_delay_alu instid0(SALU_CYCLE_1) | instskip(NEXT) | instid1(SALU_CYCLE_1)
	s_and_b32 s11, s2, s11
	s_and_saveexec_b32 s17, s11
	s_cbranch_execz .LBB75_18
; %bb.15:                               ;   in Loop: Header=BB75_12 Depth=2
	s_mov_b32 s20, exec_lo
	s_bcnt1_i32_b32 s18, s10
	v_mbcnt_lo_u32_b32 v11, s20, 0
	s_mov_b32 s19, exec_lo
                                        ; implicit-def: $vgpr12
	s_delay_alu instid0(VALU_DEP_1)
	v_cmpx_eq_u32_e32 0, v11
; %bb.16:                               ;   in Loop: Header=BB75_12 Depth=2
	s_bcnt1_i32_b32 s11, s20
	s_delay_alu instid0(SALU_CYCLE_1) | instskip(NEXT) | instid1(SALU_CYCLE_1)
	s_mul_i32 s11, s18, s11
	v_mov_b32_e32 v12, s11
	ds_add_rtn_u32 v12, v23, v12 offset:4104
; %bb.17:                               ;   in Loop: Header=BB75_12 Depth=2
	s_or_b32 exec_lo, exec_lo, s19
	s_wait_dscnt 0x0
	v_readfirstlane_b32 s11, v12
	s_delay_alu instid0(VALU_DEP_1)
	v_mad_u32_u24 v11, s18, v11, s11
.LBB75_18:                              ;   in Loop: Header=BB75_12 Depth=2
	s_or_b32 exec_lo, exec_lo, s17
	ds_bpermute_b32 v11, v23, v11
	s_and_b32 s11, exec_lo, vcc_lo
	s_delay_alu instid0(SALU_CYCLE_1)
	s_or_b32 s16, s11, s16
	s_and_saveexec_b32 s11, s10
	s_cbranch_execz .LBB75_11
; %bb.19:                               ;   in Loop: Header=BB75_12 Depth=2
	v_and_b32_e32 v12, s10, v16
	s_delay_alu instid0(VALU_DEP_1) | instskip(NEXT) | instid1(VALU_DEP_1)
	v_bcnt_u32_b32 v12, v12, 0
	v_lshlrev_b32_e32 v12, 3, v12
	s_wait_dscnt 0x0
	s_delay_alu instid0(VALU_DEP_1)
	v_lshl_add_u32 v11, v11, 3, v12
	ds_store_b64 v11, v[4:5]
	s_branch .LBB75_11
.LBB75_20:                              ;   in Loop: Header=BB75_6 Depth=1
	s_mov_b32 s12, -1
	s_mov_b32 s10, 0
.LBB75_21:                              ;   in Loop: Header=BB75_6 Depth=1
	s_and_b32 vcc_lo, exec_lo, s12
	s_cbranch_vccz .LBB75_31
.LBB75_22:                              ;   in Loop: Header=BB75_6 Depth=1
	s_and_saveexec_b32 s10, s4
	s_cbranch_execz .LBB75_28
; %bb.23:                               ;   in Loop: Header=BB75_6 Depth=1
	global_load_b64 v[4:5], v[18:19], off
	s_load_u16 s12, s[66:67], 0x0
	s_mov_b32 s11, exec_lo
	s_wait_kmcnt 0x0
	v_dual_mov_b32 v2, v0 :: v_dual_add_nc_u32 v8, s12, v0
	s_delay_alu instid0(VALU_DEP_1)
	v_cmpx_gt_u32_e64 s36, v8
	s_cbranch_execz .LBB75_27
; %bb.24:                               ;   in Loop: Header=BB75_6 Depth=1
	v_mul_lo_u32 v10, s33, v8
	v_dual_mov_b32 v11, v21 :: v_dual_mov_b32 v2, v0
	s_lshl_b32 s13, s12, 3
	s_mul_i32 s15, s33, s12
	s_mov_b32 s14, 0
.LBB75_25:                              ;   Parent Loop BB75_6 Depth=1
                                        ; =>  This Inner Loop Header: Depth=2
	global_load_b64 v[8:9], v10, s[30:31] scale_offset
	v_add_nc_u32_e32 v2, s12, v2
	s_wait_loadcnt 0x1
	ds_store_b64 v11, v[4:5]
	s_wait_xcnt 0x0
	v_dual_add_nc_u32 v11, s13, v11 :: v_dual_add_nc_u32 v10, s15, v10
	v_add_nc_u32_e32 v12, s12, v2
	s_delay_alu instid0(VALU_DEP_1)
	v_cmp_le_u32_e32 vcc_lo, s36, v12
	s_or_b32 s14, vcc_lo, s14
	s_wait_loadcnt 0x0
	v_mov_b64_e32 v[4:5], v[8:9]
	s_and_not1_b32 exec_lo, exec_lo, s14
	s_cbranch_execnz .LBB75_25
; %bb.26:                               ;   in Loop: Header=BB75_6 Depth=1
	s_or_b32 exec_lo, exec_lo, s14
	v_mov_b64_e32 v[4:5], v[8:9]
.LBB75_27:                              ;   in Loop: Header=BB75_6 Depth=1
	s_or_b32 exec_lo, exec_lo, s11
	s_delay_alu instid0(VALU_DEP_2)
	v_lshlrev_b32_e32 v2, 3, v2
	s_wait_loadcnt 0x0
	ds_store_b64 v2, v[4:5]
.LBB75_28:                              ;   in Loop: Header=BB75_6 Depth=1
	s_or_b32 exec_lo, exec_lo, s10
	s_wait_dscnt 0x0
	s_barrier_signal -1
	s_barrier_wait -1
	s_and_saveexec_b32 s10, s5
; %bb.29:                               ;   in Loop: Header=BB75_6 Depth=1
	v_mov_b32_e32 v2, s36
	ds_store_b32 v23, v2 offset:4096
; %bb.30:                               ;   in Loop: Header=BB75_6 Depth=1
	s_or_b32 exec_lo, exec_lo, s10
	s_mov_b32 s10, -1
	s_wait_dscnt 0x0
	s_barrier_signal -1
	s_barrier_wait -1
.LBB75_31:                              ;   in Loop: Header=BB75_6 Depth=1
	s_and_b32 vcc_lo, exec_lo, s10
	s_mov_b32 s60, 0
	s_cbranch_vccz .LBB75_33
; %bb.32:                               ;   in Loop: Header=BB75_6 Depth=1
	ds_load_b32 v2, v23 offset:4096
	s_wait_dscnt 0x0
	v_readfirstlane_b32 s60, v2
.LBB75_33:                              ;   in Loop: Header=BB75_6 Depth=1
	s_delay_alu instid0(VALU_DEP_1)
	s_cmp_lt_i32 s60, 1
	s_mov_b32 s10, -1
                                        ; implicit-def: $vgpr10_vgpr11
	s_cbranch_scc1 .LBB75_46
; %bb.34:                               ;   in Loop: Header=BB75_6 Depth=1
	s_and_b32 vcc_lo, exec_lo, s10
	s_cbranch_vccnz .LBB75_57
.LBB75_35:                              ;   in Loop: Header=BB75_6 Depth=1
	s_lshl_b32 s12, s91, 7
	s_and_saveexec_b32 s10, s2
.LBB75_36:                              ;   in Loop: Header=BB75_6 Depth=1
	v_lshl_add_u32 v2, s12, 2, v34
	ds_store_b128 v2, v[8:11]
.LBB75_37:                              ;   in Loop: Header=BB75_6 Depth=1
	s_or_b32 exec_lo, exec_lo, s10
	s_wait_dscnt 0x0
	s_barrier_signal -1
	s_barrier_wait -1
	s_and_saveexec_b32 s13, s75
	s_cbranch_execz .LBB75_70
; %bb.38:                               ;   in Loop: Header=BB75_6 Depth=1
	v_dual_add_nc_u32 v2, s12, v1 :: v_dual_mov_b32 v4, 0
	s_and_not1_b32 vcc_lo, exec_lo, s77
	s_cbranch_vccnz .LBB75_69
; %bb.39:                               ;   in Loop: Header=BB75_6 Depth=1
	s_and_not1_b32 vcc_lo, exec_lo, s53
	s_cbranch_vccnz .LBB75_66
; %bb.40:                               ;   in Loop: Header=BB75_6 Depth=1
	v_lshl_add_u32 v8, v2, 2, 0xc00
	s_and_not1_b32 vcc_lo, exec_lo, s79
	s_cbranch_vccnz .LBB75_99
; %bb.41:                               ;   in Loop: Header=BB75_6 Depth=1
	v_dual_mov_b32 v4, 0 :: v_dual_mov_b32 v5, 0
	s_mov_b32 s11, 1
	s_mov_b32 s10, 0
	s_mov_b32 s14, s80
.LBB75_42:                              ;   Parent Loop BB75_6 Depth=1
                                        ; =>  This Inner Loop Header: Depth=2
	v_lshl_add_u32 v9, s11, 4, v8
	v_lshl_add_u32 v22, s10, 4, v8
	s_add_co_i32 s14, s14, -8
	s_add_co_i32 s11, s11, 16
	s_add_co_i32 s10, s10, 16
	ds_load_2addr_b32 v[10:11], v9 offset1:8
	ds_load_2addr_b32 v[12:13], v22 offset1:8
	ds_load_2addr_b32 v[14:15], v9 offset0:16 offset1:24
	ds_load_2addr_b32 v[44:45], v22 offset0:16 offset1:24
	;; [unrolled: 1-line block ×6, first 2 shown]
	s_cmp_lg_u32 s14, 0
	s_wait_dscnt 0x7
	v_add3_u32 v5, v10, v5, v11
	s_wait_dscnt 0x6
	v_add3_u32 v4, v12, v4, v13
	s_wait_dscnt 0x5
	s_delay_alu instid0(VALU_DEP_2) | instskip(SKIP_1) | instid1(VALU_DEP_2)
	v_add3_u32 v5, v14, v5, v15
	s_wait_dscnt 0x4
	v_add3_u32 v4, v44, v4, v45
	s_wait_dscnt 0x3
	s_delay_alu instid0(VALU_DEP_2) | instskip(SKIP_1) | instid1(VALU_DEP_2)
	;; [unrolled: 5-line block ×3, first 2 shown]
	v_add3_u32 v5, v50, v5, v51
	s_wait_dscnt 0x0
	v_add3_u32 v4, v52, v4, v53
	s_cbranch_scc1 .LBB75_42
; %bb.43:                               ;   in Loop: Header=BB75_6 Depth=1
	s_and_not1_b32 vcc_lo, exec_lo, s81
	s_mov_b32 s14, s58
	s_cbranch_vccnz .LBB75_45
.LBB75_44:                              ;   Parent Loop BB75_6 Depth=1
                                        ; =>  This Inner Loop Header: Depth=2
	v_lshl_add_u32 v9, s11, 4, v8
	v_lshl_add_u32 v10, s10, 4, v8
	s_add_co_i32 s14, s14, -1
	s_add_co_i32 s11, s11, 2
	s_add_co_i32 s10, s10, 2
	ds_load_b32 v9, v9
	ds_load_b32 v10, v10
	s_cmp_lg_u32 s14, 0
	s_wait_dscnt 0x0
	v_dual_add_nc_u32 v5, v9, v5 :: v_dual_add_nc_u32 v4, v10, v4
	s_cbranch_scc1 .LBB75_44
.LBB75_45:                              ;   in Loop: Header=BB75_6 Depth=1
	s_delay_alu instid0(VALU_DEP_1) | instskip(SKIP_2) | instid1(SALU_CYCLE_1)
	v_add_nc_u32_e32 v4, v4, v5
	s_mov_b32 s10, s56
	s_mov_b32 s11, s82
	s_and_b32 vcc_lo, exec_lo, s11
	s_cbranch_vccnz .LBB75_67
	s_branch .LBB75_69
.LBB75_46:                              ;   in Loop: Header=BB75_6 Depth=1
	v_mov_b64_e32 v[10:11], 0
	v_mov_b64_e32 v[8:9], 0
	s_and_saveexec_b32 s101, s7
	s_cbranch_execz .LBB75_50
; %bb.47:                               ;   in Loop: Header=BB75_6 Depth=1
	v_mov_b32_e32 v2, v17
	s_mov_b32 s102, 0
	s_mov_b32 s103, 0
	;; [unrolled: 1-line block ×6, first 2 shown]
.LBB75_48:                              ;   Parent Loop BB75_6 Depth=1
                                        ; =>  This Inner Loop Header: Depth=2
	v_dual_add_nc_u32 v4, s103, v38 :: v_dual_add_nc_u32 v5, s103, v35
	v_dual_add_nc_u32 v8, s103, v36 :: v_dual_add_nc_u32 v14, s103, v37
	v_dual_mov_b32 v15, v23 :: v_dual_add_nc_u32 v2, s74, v2
	s_clause 0x3
	global_load_b64 v[12:13], v4, s[30:31] scale_offset
	global_load_b64 v[10:11], v5, s[30:31] scale_offset
	;; [unrolled: 1-line block ×4, first 2 shown]
	v_dual_mov_b32 v45, v23 :: v_dual_mov_b32 v47, v23
	v_cmp_le_u32_e32 vcc_lo, s83, v2
	s_add_co_i32 s103, s103, s85
	s_wait_loadcnt 0x3
	v_cmp_o_f64_e64 s10, v[12:13], v[12:13]
	s_wait_loadcnt 0x2
	v_cmp_o_f64_e64 s11, v[10:11], v[10:11]
	;; [unrolled: 2-line block ×4, first 2 shown]
	v_dual_ashrrev_i32 v14, 31, v13 :: v_dual_ashrrev_i32 v22, 31, v11
	v_ashrrev_i32_e32 v43, 31, v9
	v_ashrrev_i32_e32 v44, 31, v5
	s_delay_alu instid0(VALU_DEP_3) | instskip(NEXT) | instid1(VALU_DEP_4)
	v_or_b32_e32 v46, 0x80000000, v14
	v_or_b32_e32 v48, 0x80000000, v22
	v_xor_b32_e32 v14, v14, v12
	v_xor_b32_e32 v22, v22, v10
	v_or_b32_e32 v49, 0x80000000, v43
	v_or_b32_e32 v50, 0x80000000, v44
	v_xor_b32_e32 v12, v48, v11
	v_xor_b32_e32 v46, v46, v13
	s_delay_alu instid0(VALU_DEP_4) | instskip(SKIP_1) | instid1(VALU_DEP_4)
	v_xor_b32_e32 v10, v49, v9
	v_dual_cndmask_b32 v4, -1, v14, s10 :: v_dual_bitop2_b32 v44, v44, v4 bitop3:0x14
	v_cndmask_b32_e64 v9, -1, v12, s11
	v_xor_b32_e32 v43, v43, v8
	v_dual_cndmask_b32 v5, -1, v46, s10 :: v_dual_bitop2_b32 v8, v50, v5 bitop3:0x14
	v_cndmask_b32_e64 v11, -1, v10, s12
	s_delay_alu instid0(VALU_DEP_3) | instskip(NEXT) | instid1(VALU_DEP_3)
	v_dual_cndmask_b32 v10, -1, v43, s12 :: v_dual_bitop2_b32 v48, v4, v30 bitop3:0x40
	v_dual_cndmask_b32 v13, -1, v8, s13 :: v_dual_bitop2_b32 v49, v5, v31 bitop3:0x40
	v_cndmask_b32_e64 v8, -1, v22, s11
	v_lshrrev_b64 v[4:5], s88, v[4:5]
	v_dual_cndmask_b32 v12, -1, v44, s13 :: v_dual_bitop2_b32 v51, v9, v31 bitop3:0x40
	v_and_b32_e32 v53, v11, v31
	s_delay_alu instid0(VALU_DEP_4)
	v_and_b32_e32 v50, v8, v30
	v_lshrrev_b64 v[8:9], s88, v[8:9]
	v_and_b32_e32 v52, v10, v30
	v_lshrrev_b64 v[10:11], s88, v[10:11]
	v_and_b32_e32 v55, v13, v31
	v_and_b32_e32 v54, v12, v30
	v_lshrrev_b64 v[12:13], s88, v[12:13]
	v_and_b32_e32 v22, 3, v4
	v_and_b32_e32 v14, 3, v8
	v_cmp_eq_u64_e64 s10, v[48:49], v[26:27]
	v_and_b32_e32 v44, 3, v10
	v_cmp_eq_u64_e64 s11, v[50:51], v[26:27]
	v_cmp_eq_u64_e64 s14, 0, v[22:23]
	v_and_b32_e32 v46, 3, v12
	v_cmp_eq_u64_e64 s15, 0, v[14:15]
	v_cmp_eq_u64_e64 s12, v[52:53], v[26:27]
	;; [unrolled: 1-line block ×5, first 2 shown]
	s_and_b32 s14, s10, s14
	v_cmp_eq_u64_e64 s18, 1, v[22:23]
	v_cndmask_b32_e64 v4, 0, 1, s14
	s_and_b32 s14, s11, s15
	v_cmp_eq_u64_e64 s19, 1, v[14:15]
	v_cndmask_b32_e64 v5, 0, 1, s14
	;; [unrolled: 3-line block ×4, first 2 shown]
	s_and_b32 s14, s10, s18
	v_cmp_eq_u64_e64 s22, 2, v[22:23]
	v_cmp_eq_u64_e64 s26, 3, v[22:23]
	v_cndmask_b32_e64 v10, 0, 1, s14
	s_and_b32 s14, s11, s19
	v_cmp_eq_u64_e64 s23, 2, v[14:15]
	v_cmp_eq_u64_e64 s27, 3, v[14:15]
	v_cndmask_b32_e64 v11, 0, 1, s14
	;; [unrolled: 4-line block ×4, first 2 shown]
	s_and_b32 s14, s10, s22
	s_and_b32 s10, s10, s26
	v_cndmask_b32_e64 v14, 0, 1, s14
	s_and_b32 s14, s11, s23
	v_cndmask_b32_e64 v44, 0, 1, s10
	s_and_b32 s10, s11, s27
	v_cndmask_b32_e64 v15, 0, 1, s14
	s_and_b32 s14, s12, s24
	v_cndmask_b32_e64 v45, 0, 1, s10
	s_and_b32 s10, s12, s28
	v_cndmask_b32_e64 v22, 0, 1, s14
	s_and_b32 s14, s13, s25
	v_cndmask_b32_e64 v46, 0, 1, s10
	s_and_b32 s10, s13, s29
	v_cndmask_b32_e64 v43, 0, 1, s14
	v_cndmask_b32_e64 v47, 0, 1, s10
	v_cmp_ne_u32_e64 s10, 0, v4
	v_cmp_ne_u32_e64 s14, 0, v10
	;; [unrolled: 1-line block ×12, first 2 shown]
	s_bcnt1_i32_b32 s10, s10
	s_bcnt1_i32_b32 s14, s14
	;; [unrolled: 1-line block ×4, first 2 shown]
	v_cmp_ne_u32_e64 s13, 0, v9
	v_cmp_ne_u32_e64 s17, 0, v13
	;; [unrolled: 1-line block ×4, first 2 shown]
	s_bcnt1_i32_b32 s11, s11
	s_bcnt1_i32_b32 s15, s15
	s_bcnt1_i32_b32 s19, s19
	s_bcnt1_i32_b32 s23, s23
	s_add_co_i32 s10, s10, s68
	s_add_co_i32 s14, s14, s69
	s_add_co_i32 s18, s18, s70
	s_add_co_i32 s22, s22, s71
	s_bcnt1_i32_b32 s12, s12
	s_bcnt1_i32_b32 s16, s16
	s_bcnt1_i32_b32 s20, s20
	s_bcnt1_i32_b32 s24, s24
	s_add_co_i32 s14, s14, s15
	s_add_co_i32 s10, s10, s11
	s_add_co_i32 s11, s22, s23
	s_add_co_i32 s15, s18, s19
	;; [unrolled: 8-line block ×3, first 2 shown]
	s_add_co_i32 s69, s12, s17
	s_add_co_i32 s68, s10, s13
	;; [unrolled: 1-line block ×4, first 2 shown]
	v_mov_b64_e32 v[8:9], s[68:69]
	v_mov_b64_e32 v[10:11], s[70:71]
	s_or_b32 s102, vcc_lo, s102
	s_delay_alu instid0(SALU_CYCLE_1)
	s_and_not1_b32 exec_lo, exec_lo, s102
	s_cbranch_execnz .LBB75_48
; %bb.49:                               ;   in Loop: Header=BB75_6 Depth=1
	s_or_b32 exec_lo, exec_lo, s102
.LBB75_50:                              ;   in Loop: Header=BB75_6 Depth=1
	s_delay_alu instid0(SALU_CYCLE_1)
	s_or_b32 exec_lo, exec_lo, s101
	s_and_saveexec_b32 s14, s8
	s_cbranch_execz .LBB75_56
; %bb.51:                               ;   in Loop: Header=BB75_6 Depth=1
	global_load_b64 v[12:13], v[24:25], off
	v_dual_mov_b32 v2, v39 :: v_dual_mov_b32 v14, v33
	s_mov_b32 s15, 0
	s_branch .LBB75_53
.LBB75_52:                              ;   in Loop: Header=BB75_53 Depth=2
	s_wait_xcnt 0x0
	s_or_b32 exec_lo, exec_lo, s11
	s_wait_loadcnt 0x0
	v_cmp_o_f64_e64 s10, v[12:13], v[12:13]
	v_ashrrev_i32_e32 v15, 31, v13
	s_and_b32 s13, exec_lo, vcc_lo
	v_add_nc_u32_e32 v2, s47, v2
	s_or_b32 s15, s13, s15
	s_delay_alu instid0(VALU_DEP_2) | instskip(NEXT) | instid1(VALU_DEP_1)
	v_or_b32_e32 v22, 0x80000000, v15
	v_xor_b32_e32 v22, v22, v13
	s_delay_alu instid0(VALU_DEP_1) | instskip(NEXT) | instid1(VALU_DEP_1)
	v_dual_cndmask_b32 v13, -1, v22, s10 :: v_dual_bitop2_b32 v12, v15, v12 bitop3:0x14
	v_cndmask_b32_e64 v12, -1, v12, s10
	s_delay_alu instid0(VALU_DEP_1) | instskip(SKIP_2) | instid1(VALU_DEP_3)
	v_lshrrev_b64 v[44:45], s88, v[12:13]
	v_and_b32_e32 v13, v13, v31
	v_and_b32_e32 v12, v12, v30
	;; [unrolled: 1-line block ×3, first 2 shown]
	s_delay_alu instid0(VALU_DEP_2) | instskip(NEXT) | instid1(VALU_DEP_2)
	v_cmp_eq_u64_e64 s10, v[12:13], v[26:27]
	v_cmp_eq_u64_e64 s11, 0, v[22:23]
	;; [unrolled: 1-line block ×3, first 2 shown]
	v_cmp_eq_u64_e32 vcc_lo, 2, v[22:23]
	v_cmp_eq_u64_e64 s13, 3, v[22:23]
	s_and_b32 s11, s10, s11
	s_delay_alu instid0(SALU_CYCLE_1) | instskip(SKIP_1) | instid1(SALU_CYCLE_1)
	v_cndmask_b32_e64 v12, 0, 1, s11
	s_and_b32 s11, s10, s12
	v_cndmask_b32_e64 v13, 0, 1, s11
	s_and_b32 s11, s10, vcc_lo
	s_and_b32 s10, s10, s13
	v_cndmask_b32_e64 v15, 0, 1, s11
	v_cndmask_b32_e64 v22, 0, 1, s10
	v_cmp_ne_u32_e32 vcc_lo, 0, v12
	v_cmp_ne_u32_e64 s10, 0, v13
	v_mov_b64_e32 v[12:13], v[4:5]
	v_cmp_ne_u32_e64 s11, 0, v15
	v_cmp_ne_u32_e64 s12, 0, v22
	s_bcnt1_i32_b32 s13, vcc_lo
	s_bcnt1_i32_b32 s10, s10
	s_bcnt1_i32_b32 s11, s11
	;; [unrolled: 1-line block ×3, first 2 shown]
	v_dual_add_nc_u32 v9, s10, v9 :: v_dual_add_nc_u32 v8, s13, v8
	v_dual_add_nc_u32 v11, s12, v11 :: v_dual_add_nc_u32 v10, s11, v10
	s_and_not1_b32 exec_lo, exec_lo, s15
	s_cbranch_execz .LBB75_55
.LBB75_53:                              ;   Parent Loop BB75_6 Depth=1
                                        ; =>  This Inner Loop Header: Depth=2
	v_mov_b64_e32 v[4:5], 0
	s_delay_alu instid0(VALU_DEP_2) | instskip(SKIP_1) | instid1(VALU_DEP_1)
	v_add_nc_u32_e32 v14, s43, v14
	s_mov_b32 s11, exec_lo
	v_cmp_le_u32_e32 vcc_lo, s36, v14
	s_wait_xcnt 0x0
	v_cmpx_gt_u32_e64 s36, v14
	s_cbranch_execz .LBB75_52
; %bb.54:                               ;   in Loop: Header=BB75_53 Depth=2
	global_load_b64 v[4:5], v2, s[30:31] scale_offset
	s_branch .LBB75_52
.LBB75_55:                              ;   in Loop: Header=BB75_6 Depth=1
	s_or_b32 exec_lo, exec_lo, s15
.LBB75_56:                              ;   in Loop: Header=BB75_6 Depth=1
	s_delay_alu instid0(SALU_CYCLE_1)
	s_or_b32 exec_lo, exec_lo, s14
	s_branch .LBB75_35
.LBB75_57:                              ;   in Loop: Header=BB75_6 Depth=1
	s_mul_u64 s[10:11], s[60:61], s[62:63]
	v_mov_b64_e32 v[10:11], 0
	s_mul_i32 s10, s11, s74
	v_mov_b64_e32 v[8:9], 0
	s_sub_co_i32 s10, s60, s10
	s_mov_b32 s102, exec_lo
	s_sub_co_i32 s11, s10, s74
	s_cmp_ge_u32 s10, s74
	s_cselect_b32 s10, s11, s10
	s_delay_alu instid0(SALU_CYCLE_1) | instskip(SKIP_2) | instid1(SALU_CYCLE_1)
	s_sub_co_i32 s11, s10, s74
	s_cmp_ge_u32 s10, s74
	s_cselect_b32 s10, s11, s10
	s_sub_co_i32 s101, s60, s10
	s_delay_alu instid0(SALU_CYCLE_1)
	v_cmpx_gt_u32_e64 s101, v17
	s_cbranch_execz .LBB75_61
; %bb.58:                               ;   in Loop: Header=BB75_6 Depth=1
	v_dual_mov_b32 v2, v40 :: v_dual_mov_b32 v4, v17
	s_mov_b32 s103, 0
	s_mov_b32 s68, 0
	;; [unrolled: 1-line block ×5, first 2 shown]
.LBB75_59:                              ;   Parent Loop BB75_6 Depth=1
                                        ; =>  This Inner Loop Header: Depth=2
	ds_load_b128 v[12:15], v2
	ds_load_b128 v[8:11], v2 offset:16
	v_dual_add_nc_u32 v2, s86, v2 :: v_dual_add_nc_u32 v4, s74, v4
	v_dual_mov_b32 v45, v23 :: v_dual_mov_b32 v47, v23
	v_mov_b32_e32 v49, v23
	s_delay_alu instid0(VALU_DEP_3)
	v_cmp_le_u32_e32 vcc_lo, s101, v4
	s_wait_dscnt 0x1
	v_cmp_o_f64_e64 s10, v[12:13], v[12:13]
	s_wait_dscnt 0x0
	v_cmp_o_f64_e64 s13, v[10:11], v[10:11]
	v_cmp_o_f64_e64 s11, v[14:15], v[14:15]
	;; [unrolled: 1-line block ×3, first 2 shown]
	v_dual_ashrrev_i32 v5, 31, v13 :: v_dual_ashrrev_i32 v44, 31, v11
	v_dual_ashrrev_i32 v22, 31, v15 :: v_dual_ashrrev_i32 v43, 31, v9
	s_delay_alu instid0(VALU_DEP_2) | instskip(SKIP_1) | instid1(VALU_DEP_4)
	v_or_b32_e32 v46, 0x80000000, v5
	v_xor_b32_e32 v5, v5, v12
	v_or_b32_e32 v51, 0x80000000, v44
	s_delay_alu instid0(VALU_DEP_4) | instskip(SKIP_4) | instid1(VALU_DEP_1)
	v_or_b32_e32 v48, 0x80000000, v22
	v_or_b32_e32 v50, 0x80000000, v43
	v_xor_b32_e32 v46, v46, v13
	v_xor_b32_e32 v43, v43, v8
	;; [unrolled: 1-line block ×3, first 2 shown]
	v_dual_cndmask_b32 v15, -1, v8, s13 :: v_dual_bitop2_b32 v12, v48, v15 bitop3:0x14
	v_dual_cndmask_b32 v8, -1, v5, s10 :: v_dual_bitop2_b32 v22, v22, v14 bitop3:0x14
	s_delay_alu instid0(VALU_DEP_2) | instskip(SKIP_2) | instid1(VALU_DEP_4)
	v_dual_cndmask_b32 v11, -1, v12, s11 :: v_dual_bitop2_b32 v13, v50, v9 bitop3:0x14
	v_cndmask_b32_e64 v9, -1, v46, s10
	v_xor_b32_e32 v44, v44, v10
	v_dual_cndmask_b32 v10, -1, v22, s11 :: v_dual_cndmask_b32 v12, -1, v43, s12
	s_delay_alu instid0(VALU_DEP_4) | instskip(NEXT) | instid1(VALU_DEP_4)
	v_dual_cndmask_b32 v13, -1, v13, s12 :: v_dual_bitop2_b32 v50, v8, v30 bitop3:0x40
	v_and_b32_e32 v51, v9, v31
	v_lshrrev_b64 v[8:9], s88, v[8:9]
	v_dual_cndmask_b32 v14, -1, v44, s13 :: v_dual_bitop2_b32 v53, v11, v31 bitop3:0x40
	v_and_b32_e32 v52, v10, v30
	v_lshrrev_b64 v[10:11], s88, v[10:11]
	v_and_b32_e32 v55, v13, v31
	v_and_b32_e32 v54, v12, v30
	v_lshrrev_b64 v[12:13], s88, v[12:13]
	v_and_b32_e32 v57, v15, v31
	;; [unrolled: 3-line block ×3, first 2 shown]
	v_and_b32_e32 v44, 3, v10
	v_cmp_eq_u64_e64 s10, v[50:51], v[26:27]
	v_and_b32_e32 v46, 3, v12
	v_cmp_eq_u64_e64 s11, v[52:53], v[26:27]
	v_cmp_eq_u64_e64 s14, 0, v[22:23]
	v_and_b32_e32 v48, 3, v14
	v_cmp_eq_u64_e64 s15, 0, v[44:45]
	v_cmp_eq_u64_e64 s12, v[54:55], v[26:27]
	;; [unrolled: 1-line block ×5, first 2 shown]
	s_and_b32 s14, s10, s14
	v_cmp_eq_u64_e64 s18, 1, v[22:23]
	v_cndmask_b32_e64 v5, 0, 1, s14
	s_and_b32 s14, s11, s15
	v_cmp_eq_u64_e64 s19, 1, v[44:45]
	v_cndmask_b32_e64 v8, 0, 1, s14
	;; [unrolled: 3-line block ×4, first 2 shown]
	s_and_b32 s14, s10, s18
	v_cmp_eq_u64_e64 s22, 2, v[22:23]
	v_cmp_eq_u64_e64 s26, 3, v[22:23]
	v_cndmask_b32_e64 v11, 0, 1, s14
	s_and_b32 s14, s11, s19
	v_cmp_eq_u64_e64 s23, 2, v[44:45]
	v_cmp_eq_u64_e64 s27, 3, v[44:45]
	v_cndmask_b32_e64 v12, 0, 1, s14
	;; [unrolled: 4-line block ×4, first 2 shown]
	s_and_b32 s14, s10, s22
	s_and_b32 s10, s10, s26
	v_cndmask_b32_e64 v15, 0, 1, s14
	s_and_b32 s14, s11, s23
	v_cndmask_b32_e64 v45, 0, 1, s10
	;; [unrolled: 2-line block ×7, first 2 shown]
	v_cndmask_b32_e64 v48, 0, 1, s10
	v_cmp_ne_u32_e64 s10, 0, v5
	v_cmp_ne_u32_e64 s14, 0, v11
	;; [unrolled: 1-line block ×12, first 2 shown]
	s_bcnt1_i32_b32 s10, s10
	s_bcnt1_i32_b32 s14, s14
	;; [unrolled: 1-line block ×4, first 2 shown]
	v_cmp_ne_u32_e64 s13, 0, v10
	v_cmp_ne_u32_e64 s17, 0, v14
	;; [unrolled: 1-line block ×4, first 2 shown]
	s_bcnt1_i32_b32 s11, s11
	s_bcnt1_i32_b32 s15, s15
	s_bcnt1_i32_b32 s19, s19
	s_bcnt1_i32_b32 s23, s23
	s_add_co_i32 s10, s10, s68
	s_add_co_i32 s14, s14, s69
	s_add_co_i32 s18, s18, s70
	s_add_co_i32 s22, s22, s71
	s_bcnt1_i32_b32 s12, s12
	s_bcnt1_i32_b32 s16, s16
	s_bcnt1_i32_b32 s20, s20
	s_bcnt1_i32_b32 s24, s24
	s_add_co_i32 s14, s14, s15
	s_add_co_i32 s10, s10, s11
	s_add_co_i32 s11, s22, s23
	s_add_co_i32 s15, s18, s19
	;; [unrolled: 8-line block ×3, first 2 shown]
	s_add_co_i32 s69, s12, s17
	s_add_co_i32 s68, s10, s13
	;; [unrolled: 1-line block ×4, first 2 shown]
	v_mov_b64_e32 v[8:9], s[68:69]
	v_mov_b64_e32 v[10:11], s[70:71]
	s_or_b32 s103, vcc_lo, s103
	s_delay_alu instid0(SALU_CYCLE_1)
	s_and_not1_b32 exec_lo, exec_lo, s103
	s_cbranch_execnz .LBB75_59
; %bb.60:                               ;   in Loop: Header=BB75_6 Depth=1
	s_or_b32 exec_lo, exec_lo, s103
.LBB75_61:                              ;   in Loop: Header=BB75_6 Depth=1
	s_delay_alu instid0(SALU_CYCLE_1) | instskip(SKIP_2) | instid1(VALU_DEP_1)
	s_or_b32 exec_lo, exec_lo, s102
	v_add_nc_u32_e32 v2, s101, v0
	s_mov_b32 s15, exec_lo
	v_cmpx_gt_u32_e64 s60, v2
	s_cbranch_execz .LBB75_65
; %bb.62:                               ;   in Loop: Header=BB75_6 Depth=1
	v_lshlrev_b32_e32 v4, 3, v2
	s_mov_b32 s16, 0
.LBB75_63:                              ;   Parent Loop BB75_6 Depth=1
                                        ; =>  This Inner Loop Header: Depth=2
	ds_load_b64 v[12:13], v4
	v_dual_add_nc_u32 v2, s43, v2 :: v_dual_add_nc_u32 v4, s87, v4
	s_delay_alu instid0(VALU_DEP_1) | instskip(SKIP_3) | instid1(VALU_DEP_1)
	v_cmp_le_u32_e64 s10, s60, v2
	s_wait_dscnt 0x0
	v_cmp_o_f64_e32 vcc_lo, v[12:13], v[12:13]
	v_ashrrev_i32_e32 v5, 31, v13
	v_or_b32_e32 v14, 0x80000000, v5
	s_delay_alu instid0(VALU_DEP_1) | instskip(NEXT) | instid1(VALU_DEP_1)
	v_xor_b32_e32 v14, v14, v13
	v_dual_cndmask_b32 v13, -1, v14, vcc_lo :: v_dual_bitop2_b32 v5, v5, v12 bitop3:0x14
	s_delay_alu instid0(VALU_DEP_1) | instskip(NEXT) | instid1(VALU_DEP_1)
	v_dual_cndmask_b32 v12, -1, v5, vcc_lo :: v_dual_bitop2_b32 v15, v13, v31 bitop3:0x40
	v_lshrrev_b64 v[44:45], s88, v[12:13]
	v_and_b32_e32 v14, v12, v30
	s_delay_alu instid0(VALU_DEP_1) | instskip(NEXT) | instid1(VALU_DEP_3)
	v_cmp_eq_u64_e32 vcc_lo, v[14:15], v[26:27]
	v_and_b32_e32 v22, 3, v44
	s_delay_alu instid0(VALU_DEP_1) | instskip(SKIP_4) | instid1(SALU_CYCLE_1)
	v_cmp_eq_u64_e64 s11, 0, v[22:23]
	v_cmp_eq_u64_e64 s12, 1, v[22:23]
	;; [unrolled: 1-line block ×4, first 2 shown]
	s_and_b32 s11, vcc_lo, s11
	v_cndmask_b32_e64 v5, 0, 1, s11
	s_and_b32 s11, vcc_lo, s12
	s_delay_alu instid0(SALU_CYCLE_1) | instskip(SKIP_1) | instid1(SALU_CYCLE_1)
	v_cndmask_b32_e64 v12, 0, 1, s11
	s_and_b32 s11, vcc_lo, s13
	v_cndmask_b32_e64 v13, 0, 1, s11
	s_and_b32 s11, vcc_lo, s14
	v_cmp_ne_u32_e32 vcc_lo, 0, v5
	v_cndmask_b32_e64 v14, 0, 1, s11
	v_cmp_ne_u32_e64 s11, 0, v12
	v_cmp_ne_u32_e64 s12, 0, v13
	s_bcnt1_i32_b32 s14, vcc_lo
	v_cmp_ne_u32_e64 s13, 0, v14
	s_bcnt1_i32_b32 s11, s11
	s_bcnt1_i32_b32 s12, s12
	v_dual_add_nc_u32 v9, s11, v9 :: v_dual_add_nc_u32 v8, s14, v8
	v_add_nc_u32_e32 v10, s12, v10
	s_bcnt1_i32_b32 s13, s13
	s_or_b32 s16, s10, s16
	v_add_nc_u32_e32 v11, s13, v11
	s_and_not1_b32 exec_lo, exec_lo, s16
	s_cbranch_execnz .LBB75_63
; %bb.64:                               ;   in Loop: Header=BB75_6 Depth=1
	s_or_b32 exec_lo, exec_lo, s16
.LBB75_65:                              ;   in Loop: Header=BB75_6 Depth=1
	s_delay_alu instid0(SALU_CYCLE_1)
	s_or_b32 exec_lo, exec_lo, s15
	s_lshl_b32 s12, s91, 7
	s_and_saveexec_b32 s10, s2
	s_cbranch_execnz .LBB75_36
	s_branch .LBB75_37
.LBB75_66:                              ;   in Loop: Header=BB75_6 Depth=1
	v_mov_b32_e32 v4, 0
	s_mov_b32 s10, 0
	s_cbranch_execz .LBB75_69
.LBB75_67:                              ;   in Loop: Header=BB75_6 Depth=1
	s_lshl_b32 s11, s91, 9
	s_lshl_b32 s14, s10, 4
	s_sub_co_i32 s10, s49, s10
	v_add3_u32 v5, s11, s14, v41
.LBB75_68:                              ;   Parent Loop BB75_6 Depth=1
                                        ; =>  This Inner Loop Header: Depth=2
	ds_load_b32 v8, v5
	v_add_nc_u32_e32 v5, 16, v5
	s_add_co_i32 s10, s10, -1
	s_delay_alu instid0(SALU_CYCLE_1)
	s_cmp_eq_u32 s10, 0
	s_wait_dscnt 0x0
	v_add_nc_u32_e32 v4, v8, v4
	s_cbranch_scc0 .LBB75_68
.LBB75_69:                              ;   in Loop: Header=BB75_6 Depth=1
	s_delay_alu instid0(VALU_DEP_1)
	v_lshlrev_b32_e32 v2, 2, v2
	ds_store_b32 v2, v4 offset:3072
.LBB75_70:                              ;   in Loop: Header=BB75_6 Depth=1
	s_or_b32 exec_lo, exec_lo, s13
	s_lshl_b32 s10, s12, 2
	s_wait_dscnt 0x0
	v_mov_b32_e32 v2, s10
	s_barrier_signal -1
	s_barrier_wait -1
	v_cmp_eq_u32_e64 s10, 1, v42
	ds_load_b128 v[8:11], v2 offset:3072
	s_lshl_b64 s[12:13], 3, s88
	s_mov_b32 s24, -1
	s_not_b64 s[14:15], s[12:13]
	s_mov_b32 s16, 0
	s_and_not1_b32 vcc_lo, exec_lo, s73
	s_mov_b32 s21, 0
	s_mov_b32 s11, 0
                                        ; implicit-def: $sgpr22
                                        ; implicit-def: $sgpr23
                                        ; implicit-def: $vgpr43
                                        ; implicit-def: $vgpr22
                                        ; implicit-def: $vgpr14_vgpr15
                                        ; implicit-def: $vgpr12_vgpr13
	s_wait_dscnt 0x0
	v_readfirstlane_b32 s17, v8
	v_readfirstlane_b32 s18, v9
	;; [unrolled: 1-line block ×4, first 2 shown]
                                        ; implicit-def: $vgpr10_vgpr11
	s_cbranch_vccnz .LBB75_240
; %bb.71:                               ;   in Loop: Header=BB75_6 Depth=1
	v_mov_b64_e32 v[14:15], v[26:27]
	v_mov_b64_e32 v[12:13], v[30:31]
	;; [unrolled: 1-line block ×3, first 2 shown]
	s_cmp_eq_u32 s17, 1
	s_mov_b32 s27, -1
	s_cselect_b32 s11, -1, 0
                                        ; implicit-def: $sgpr23
                                        ; implicit-def: $sgpr22
	s_delay_alu instid0(SALU_CYCLE_1) | instskip(NEXT) | instid1(SALU_CYCLE_1)
	s_and_b32 s26, s11, s10
	s_and_saveexec_b32 s11, s26
	s_cbranch_execz .LBB75_103
; %bb.72:                               ;   in Loop: Header=BB75_6 Depth=1
	ds_load_b32 v2, v23 offset:4096
	s_wait_dscnt 0x0
	s_barrier_signal -1
	s_barrier_wait -1
	v_readfirstlane_b32 s24, v2
	s_and_saveexec_b32 s21, s6
; %bb.73:                               ;   in Loop: Header=BB75_6 Depth=1
	ds_store_b64 v32, v[28:29]
; %bb.74:                               ;   in Loop: Header=BB75_6 Depth=1
	s_or_b32 exec_lo, exec_lo, s21
	v_and_b32_e32 v15, s15, v27
	v_and_b32_e32 v14, s14, v26
	v_or_b32_e32 v13, s13, v31
	v_or_b32_e32 v12, s12, v30
	s_mov_b32 s22, -1
	s_mov_b32 s23, 0
	s_cmp_eq_u32 s24, 0
	s_mov_b32 s21, 0
	s_mov_b32 s25, -1
	s_wait_dscnt 0x0
	s_barrier_signal -1
	s_barrier_wait -1
                                        ; implicit-def: $vgpr10_vgpr11
	s_cbranch_scc1 .LBB75_89
; %bb.75:                               ;   in Loop: Header=BB75_6 Depth=1
	s_add_co_i32 s60, s24, s78
	s_mov_b32 s27, exec_lo
	s_mul_u64 s[28:29], s[60:61], s[64:65]
                                        ; implicit-def: $vgpr10_vgpr11
	s_delay_alu instid0(SALU_CYCLE_1) | instskip(NEXT) | instid1(SALU_CYCLE_1)
	s_mul_i32 s21, s29, s43
	s_sub_co_i32 s21, s60, s21
	s_delay_alu instid0(SALU_CYCLE_1) | instskip(SKIP_2) | instid1(SALU_CYCLE_1)
	s_sub_co_i32 s25, s21, s43
	s_cmp_ge_u32 s21, s43
	s_cselect_b32 s21, s25, s21
	s_sub_co_i32 s25, s21, s43
	s_cmp_ge_u32 s21, s43
	s_cselect_b32 s21, s25, s21
	s_mov_b32 s25, 0
	s_sub_co_i32 s28, s60, s21
	s_mov_b32 s21, 0
	v_cmpx_gt_u32_e64 s28, v0
	s_cbranch_execz .LBB75_88
; %bb.76:                               ;   in Loop: Header=BB75_6 Depth=1
	v_dual_mov_b32 v22, v21 :: v_dual_mov_b32 v43, v0
                                        ; implicit-def: $sgpr29
	s_branch .LBB75_80
.LBB75_77:                              ;   in Loop: Header=BB75_80 Depth=2
	s_or_b32 exec_lo, exec_lo, s38
	s_wait_dscnt 0x0
	s_barrier_signal -1
	s_barrier_wait -1
	ds_load_b128 v[8:11], v23 offset:3072
	s_wait_dscnt 0x0
	s_barrier_signal -1
	s_barrier_wait -1
	v_cmp_neq_f64_e32 vcc_lo, 0, v[8:9]
	s_cbranch_vccnz .LBB75_83
; %bb.78:                               ;   in Loop: Header=BB75_80 Depth=2
	v_dual_add_nc_u32 v43, s43, v43 :: v_dual_add_nc_u32 v22, s87, v22
	s_mov_b32 s38, 0
	s_delay_alu instid0(VALU_DEP_1)
	v_cmp_le_u32_e32 vcc_lo, s28, v43
	s_or_not1_b32 s39, vcc_lo, exec_lo
.LBB75_79:                              ;   in Loop: Header=BB75_80 Depth=2
	s_delay_alu instid0(SALU_CYCLE_1) | instskip(NEXT) | instid1(SALU_CYCLE_1)
	s_and_b32 s39, exec_lo, s39
	s_or_b32 s21, s39, s21
	s_and_not1_b32 s29, s29, exec_lo
	s_and_b32 s38, s38, exec_lo
	s_delay_alu instid0(SALU_CYCLE_1)
	s_or_b32 s29, s29, s38
	s_and_not1_b32 exec_lo, exec_lo, s21
	s_cbranch_execz .LBB75_87
.LBB75_80:                              ;   Parent Loop BB75_6 Depth=1
                                        ; =>  This Inner Loop Header: Depth=2
	s_mov_b32 s38, exec_lo
	s_delay_alu instid0(VALU_DEP_1)
	v_cmpx_gt_u32_e64 s24, v43
	s_cbranch_execz .LBB75_77
; %bb.81:                               ;   in Loop: Header=BB75_80 Depth=2
	ds_load_b64 v[4:5], v22
	s_wait_dscnt 0x0
	v_cmp_o_f64_e32 vcc_lo, v[4:5], v[4:5]
	v_ashrrev_i32_e32 v2, 31, v5
	s_delay_alu instid0(VALU_DEP_1) | instskip(NEXT) | instid1(VALU_DEP_1)
	v_or_b32_e32 v8, 0x80000000, v2
	v_xor_b32_e32 v8, v8, v5
	v_xor_b32_e32 v2, v2, v4
	s_delay_alu instid0(VALU_DEP_1) | instskip(NEXT) | instid1(VALU_DEP_1)
	v_dual_cndmask_b32 v8, -1, v8, vcc_lo :: v_dual_cndmask_b32 v2, -1, v2, vcc_lo
	v_and_b32_e32 v9, v8, v13
	s_delay_alu instid0(VALU_DEP_2) | instskip(NEXT) | instid1(VALU_DEP_1)
	v_and_b32_e32 v8, v2, v12
	v_cmp_eq_u64_e32 vcc_lo, v[8:9], v[14:15]
	s_and_b32 exec_lo, exec_lo, vcc_lo
	s_cbranch_execz .LBB75_77
; %bb.82:                               ;   in Loop: Header=BB75_80 Depth=2
	v_mov_b32_e32 v2, v23
	ds_store_b128 v23, v[2:5] offset:3072
	s_branch .LBB75_77
.LBB75_83:                              ;   in Loop: Header=BB75_80 Depth=2
	s_mov_b32 s39, -1
	s_mov_b32 s38, -1
                                        ; implicit-def: $vgpr43
                                        ; implicit-def: $vgpr22
	s_branch .LBB75_79
.LBB75_84:                              ;   in Loop: Header=BB75_6 Depth=1
	s_or_b32 exec_lo, exec_lo, s13
	s_wait_dscnt 0x0
	s_barrier_signal -1
	s_barrier_wait -1
	s_and_saveexec_b32 s10, s5
	s_cbranch_execz .LBB75_86
; %bb.85:                               ;   in Loop: Header=BB75_6 Depth=1
	ds_load_b32 v2, v23 offset:4104
	s_wait_dscnt 0x0
	ds_store_b32 v23, v2 offset:4096
.LBB75_86:                              ;   in Loop: Header=BB75_6 Depth=1
	s_or_b32 exec_lo, exec_lo, s10
	s_wait_dscnt 0x0
	s_barrier_signal -1
	s_mov_b32 s10, -1
	s_barrier_wait -1
	s_and_b32 vcc_lo, exec_lo, s12
	s_cbranch_vccnz .LBB75_22
	s_branch .LBB75_31
.LBB75_87:                              ;   in Loop: Header=BB75_6 Depth=1
	s_or_b32 exec_lo, exec_lo, s21
	s_delay_alu instid0(SALU_CYCLE_1)
	s_and_b32 s21, s29, exec_lo
.LBB75_88:                              ;   in Loop: Header=BB75_6 Depth=1
	s_or_b32 exec_lo, exec_lo, s27
.LBB75_89:                              ;   in Loop: Header=BB75_6 Depth=1
	s_delay_alu instid0(SALU_CYCLE_1)
	s_and_b32 vcc_lo, exec_lo, s25
	s_cbranch_vccz .LBB75_102
; %bb.90:                               ;   in Loop: Header=BB75_6 Depth=1
                                        ; implicit-def: $vgpr10_vgpr11
	s_and_saveexec_b32 s22, s9
	s_cbranch_execz .LBB75_101
; %bb.91:                               ;   in Loop: Header=BB75_6 Depth=1
	v_dual_mov_b32 v22, v20 :: v_dual_mov_b32 v43, v0
	s_mov_b32 s24, 0
                                        ; implicit-def: $sgpr23
	s_branch .LBB75_95
.LBB75_92:                              ;   in Loop: Header=BB75_95 Depth=2
	s_or_b32 exec_lo, exec_lo, s25
	s_wait_dscnt 0x0
	s_barrier_signal -1
	s_barrier_wait -1
	ds_load_b128 v[8:11], v23 offset:3072
	s_wait_dscnt 0x0
	s_barrier_signal -1
	s_barrier_wait -1
	v_cmp_neq_f64_e32 vcc_lo, 0, v[8:9]
	s_cbranch_vccnz .LBB75_98
; %bb.93:                               ;   in Loop: Header=BB75_95 Depth=2
	v_dual_add_nc_u32 v43, s43, v43 :: v_dual_add_nc_u32 v22, s47, v22
	s_mov_b32 s25, 0
	s_delay_alu instid0(VALU_DEP_1)
	v_cmp_le_u32_e32 vcc_lo, s84, v43
	s_or_not1_b32 s27, vcc_lo, exec_lo
.LBB75_94:                              ;   in Loop: Header=BB75_95 Depth=2
	s_delay_alu instid0(SALU_CYCLE_1) | instskip(NEXT) | instid1(SALU_CYCLE_1)
	s_and_b32 s27, exec_lo, s27
	s_or_b32 s24, s27, s24
	s_and_not1_b32 s23, s23, exec_lo
	s_and_b32 s25, s25, exec_lo
	s_delay_alu instid0(SALU_CYCLE_1)
	s_or_b32 s23, s23, s25
	s_and_not1_b32 exec_lo, exec_lo, s24
	s_cbranch_execz .LBB75_100
.LBB75_95:                              ;   Parent Loop BB75_6 Depth=1
                                        ; =>  This Inner Loop Header: Depth=2
	s_mov_b32 s25, exec_lo
	s_delay_alu instid0(VALU_DEP_1)
	v_cmpx_gt_u32_e64 s36, v43
	s_cbranch_execz .LBB75_92
; %bb.96:                               ;   in Loop: Header=BB75_95 Depth=2
	global_load_b64 v[4:5], v22, s[30:31] scale_offset
	s_wait_loadcnt 0x0
	v_cmp_o_f64_e32 vcc_lo, v[4:5], v[4:5]
	v_ashrrev_i32_e32 v2, 31, v5
	s_delay_alu instid0(VALU_DEP_1) | instskip(NEXT) | instid1(VALU_DEP_1)
	v_or_b32_e32 v8, 0x80000000, v2
	v_xor_b32_e32 v8, v8, v5
	v_xor_b32_e32 v2, v2, v4
	s_delay_alu instid0(VALU_DEP_1) | instskip(NEXT) | instid1(VALU_DEP_1)
	v_dual_cndmask_b32 v8, -1, v8, vcc_lo :: v_dual_cndmask_b32 v2, -1, v2, vcc_lo
	v_and_b32_e32 v9, v8, v13
	s_delay_alu instid0(VALU_DEP_2) | instskip(NEXT) | instid1(VALU_DEP_1)
	v_and_b32_e32 v8, v2, v12
	v_cmp_eq_u64_e32 vcc_lo, v[8:9], v[14:15]
	s_and_b32 exec_lo, exec_lo, vcc_lo
	s_cbranch_execz .LBB75_92
; %bb.97:                               ;   in Loop: Header=BB75_95 Depth=2
	v_mov_b32_e32 v2, v23
	ds_store_b128 v23, v[2:5] offset:3072
	s_branch .LBB75_92
.LBB75_98:                              ;   in Loop: Header=BB75_95 Depth=2
	s_mov_b32 s27, -1
	s_mov_b32 s25, -1
                                        ; implicit-def: $vgpr43
                                        ; implicit-def: $vgpr22
	s_branch .LBB75_94
.LBB75_99:                              ;   in Loop: Header=BB75_6 Depth=1
	s_mov_b64 s[10:11], 0x100000000
	v_mov_b64_e32 v[4:5], 0
	s_and_not1_b32 vcc_lo, exec_lo, s81
	s_mov_b32 s14, s58
	s_cbranch_vccz .LBB75_44
	s_branch .LBB75_45
.LBB75_100:                             ;   in Loop: Header=BB75_6 Depth=1
	s_or_b32 exec_lo, exec_lo, s24
	s_delay_alu instid0(SALU_CYCLE_1) | instskip(SKIP_1) | instid1(SALU_CYCLE_1)
	s_and_not1_b32 s21, s21, exec_lo
	s_and_b32 s23, s23, exec_lo
	s_or_b32 s21, s21, s23
.LBB75_101:                             ;   in Loop: Header=BB75_6 Depth=1
	s_or_b32 exec_lo, exec_lo, s22
	s_mov_b32 s22, 0
	s_mov_b32 s23, -1
.LBB75_102:                             ;   in Loop: Header=BB75_6 Depth=1
	s_or_not1_b32 s27, s21, exec_lo
.LBB75_103:                             ;   in Loop: Header=BB75_6 Depth=1
	s_or_b32 exec_lo, exec_lo, s11
	s_mov_b32 s24, 0
	s_mov_b32 s21, 0
	;; [unrolled: 1-line block ×3, first 2 shown]
                                        ; implicit-def: $vgpr43
                                        ; implicit-def: $vgpr22
	s_and_saveexec_b32 s25, s27
	s_cbranch_execz .LBB75_239
; %bb.104:                              ;   in Loop: Header=BB75_6 Depth=1
	v_dual_mov_b32 v43, 1 :: v_dual_mov_b32 v22, 1
	s_xor_b32 s21, s26, -1
	s_mov_b32 s28, 0
	s_and_saveexec_b32 s11, s21
	s_cbranch_execz .LBB75_113
; %bb.105:                              ;   in Loop: Header=BB75_6 Depth=1
	s_mov_b32 s21, exec_lo
	v_cmpx_ge_u32_e64 s17, v42
	s_xor_b32 s21, exec_lo, s21
	s_cbranch_execz .LBB75_110
; %bb.106:                              ;   in Loop: Header=BB75_6 Depth=1
	ds_load_b32 v2, v23 offset:4096
	v_and_b32_e32 v15, s15, v15
	v_and_b32_e32 v14, s14, v14
	v_or_b32_e32 v13, s13, v13
	v_or_b32_e32 v12, s12, v12
	s_wait_dscnt 0x0
	v_cmp_ne_u32_e32 vcc_lo, 0, v2
	s_cbranch_vccnz .LBB75_110
; %bb.107:                              ;   in Loop: Header=BB75_6 Depth=1
	s_and_saveexec_b32 s26, s5
; %bb.108:                              ;   in Loop: Header=BB75_6 Depth=1
	v_mov_b32_e32 v2, s17
	ds_store_b32 v23, v2 offset:4100
; %bb.109:                              ;   in Loop: Header=BB75_6 Depth=1
	s_or_b32 exec_lo, exec_lo, s26
	s_wait_dscnt 0x0
	s_barrier_signal -1
	s_barrier_wait -1
.LBB75_110:                             ;   in Loop: Header=BB75_6 Depth=1
	s_or_saveexec_b32 s21, s21
	v_dual_mov_b32 v22, 8 :: v_dual_mov_b32 v43, v42
	s_mov_b32 s26, 0
	s_xor_b32 exec_lo, exec_lo, s21
; %bb.111:                              ;   in Loop: Header=BB75_6 Depth=1
	v_subrev_nc_u32_e32 v43, s17, v42
	v_mov_b32_e32 v22, 0
	s_mov_b32 s26, exec_lo
; %bb.112:                              ;   in Loop: Header=BB75_6 Depth=1
	s_or_b32 exec_lo, exec_lo, s21
	s_delay_alu instid0(SALU_CYCLE_1)
	s_and_b32 s28, s26, exec_lo
.LBB75_113:                             ;   in Loop: Header=BB75_6 Depth=1
	s_or_b32 exec_lo, exec_lo, s11
	s_mov_b32 s27, -1
                                        ; implicit-def: $sgpr21
                                        ; implicit-def: $sgpr26
	s_and_saveexec_b32 s11, s28
	s_delay_alu instid0(SALU_CYCLE_1)
	s_xor_b32 s11, exec_lo, s11
	s_cbranch_execz .LBB75_236
; %bb.114:                              ;   in Loop: Header=BB75_6 Depth=1
	v_cmp_eq_u32_e32 vcc_lo, 1, v43
	s_cmp_eq_u32 s18, 1
	s_mov_b32 s29, -1
	s_cselect_b32 s21, -1, 0
                                        ; implicit-def: $sgpr26
	s_delay_alu instid0(SALU_CYCLE_1) | instskip(NEXT) | instid1(SALU_CYCLE_1)
	s_and_b32 s28, s21, vcc_lo
                                        ; implicit-def: $sgpr21
	s_and_saveexec_b32 s27, s28
	s_cbranch_execz .LBB75_142
; %bb.115:                              ;   in Loop: Header=BB75_6 Depth=1
	ds_load_b32 v2, v23 offset:4096
	s_wait_dscnt 0x0
	s_barrier_signal -1
	s_barrier_wait -1
	v_readfirstlane_b32 s68, v2
	s_and_saveexec_b32 s21, s6
; %bb.116:                              ;   in Loop: Header=BB75_6 Depth=1
	ds_store_b64 v32, v[28:29]
; %bb.117:                              ;   in Loop: Header=BB75_6 Depth=1
	s_or_b32 exec_lo, exec_lo, s21
	v_and_b32_e32 v2, s15, v15
	v_and_b32_e32 v4, s14, v14
	s_lshl_b64 s[38:39], 1, s88
	v_or_b32_e32 v13, s13, v13
	v_or_b32_e32 v12, s12, v12
	v_or_b32_e32 v15, s39, v2
	v_or_b32_e32 v14, s38, v4
	s_mov_b32 s21, -1
	s_mov_b32 s26, 0
	s_cmp_eq_u32 s68, 0
	s_mov_b32 s29, 0
	s_mov_b32 s60, -1
	s_wait_dscnt 0x0
	s_barrier_signal -1
	s_barrier_wait -1
                                        ; implicit-def: $vgpr10_vgpr11
	s_cbranch_scc1 .LBB75_129
; %bb.118:                              ;   in Loop: Header=BB75_6 Depth=1
	s_add_co_i32 s60, s68, s78
	s_mov_b32 s44, exec_lo
	s_mul_u64 s[38:39], s[60:61], s[64:65]
                                        ; implicit-def: $vgpr10_vgpr11
	s_delay_alu instid0(SALU_CYCLE_1) | instskip(NEXT) | instid1(SALU_CYCLE_1)
	s_mul_i32 s29, s39, s43
	s_sub_co_i32 s29, s60, s29
	s_delay_alu instid0(SALU_CYCLE_1) | instskip(SKIP_2) | instid1(SALU_CYCLE_1)
	s_sub_co_i32 s38, s29, s43
	s_cmp_ge_u32 s29, s43
	s_cselect_b32 s29, s38, s29
	s_sub_co_i32 s38, s29, s43
	s_cmp_ge_u32 s29, s43
	s_cselect_b32 s29, s38, s29
	s_delay_alu instid0(SALU_CYCLE_1)
	s_sub_co_i32 s45, s60, s29
	s_mov_b32 s60, 0
	s_mov_b32 s29, 0
	v_cmpx_gt_u32_e64 s45, v0
	s_cbranch_execz .LBB75_128
; %bb.119:                              ;   in Loop: Header=BB75_6 Depth=1
	v_dual_mov_b32 v44, v21 :: v_dual_mov_b32 v45, v0
                                        ; implicit-def: $sgpr46
	s_branch .LBB75_123
.LBB75_120:                             ;   in Loop: Header=BB75_123 Depth=2
	s_or_b32 exec_lo, exec_lo, s38
	s_wait_dscnt 0x0
	s_barrier_signal -1
	s_barrier_wait -1
	ds_load_b128 v[8:11], v23 offset:3072
	s_wait_dscnt 0x0
	s_barrier_signal -1
	s_barrier_wait -1
	v_cmp_neq_f64_e32 vcc_lo, 0, v[8:9]
	s_cbranch_vccnz .LBB75_126
; %bb.121:                              ;   in Loop: Header=BB75_123 Depth=2
	v_dual_add_nc_u32 v45, s43, v45 :: v_dual_add_nc_u32 v44, s87, v44
	s_mov_b32 s38, 0
	s_delay_alu instid0(VALU_DEP_1)
	v_cmp_le_u32_e32 vcc_lo, s45, v45
	s_or_not1_b32 s39, vcc_lo, exec_lo
.LBB75_122:                             ;   in Loop: Header=BB75_123 Depth=2
	s_delay_alu instid0(SALU_CYCLE_1) | instskip(NEXT) | instid1(SALU_CYCLE_1)
	s_and_b32 s39, exec_lo, s39
	s_or_b32 s29, s39, s29
	s_and_not1_b32 s39, s46, exec_lo
	s_and_b32 s38, s38, exec_lo
	s_delay_alu instid0(SALU_CYCLE_1)
	s_or_b32 s46, s39, s38
	s_and_not1_b32 exec_lo, exec_lo, s29
	s_cbranch_execz .LBB75_127
.LBB75_123:                             ;   Parent Loop BB75_6 Depth=1
                                        ; =>  This Inner Loop Header: Depth=2
	s_mov_b32 s38, exec_lo
	s_delay_alu instid0(VALU_DEP_1)
	v_cmpx_gt_u32_e64 s68, v45
	s_cbranch_execz .LBB75_120
; %bb.124:                              ;   in Loop: Header=BB75_123 Depth=2
	ds_load_b64 v[4:5], v44
	s_wait_dscnt 0x0
	v_cmp_o_f64_e32 vcc_lo, v[4:5], v[4:5]
	v_ashrrev_i32_e32 v2, 31, v5
	s_delay_alu instid0(VALU_DEP_1) | instskip(NEXT) | instid1(VALU_DEP_1)
	v_or_b32_e32 v8, 0x80000000, v2
	v_xor_b32_e32 v8, v8, v5
	v_xor_b32_e32 v2, v2, v4
	s_delay_alu instid0(VALU_DEP_1) | instskip(NEXT) | instid1(VALU_DEP_1)
	v_dual_cndmask_b32 v8, -1, v8, vcc_lo :: v_dual_cndmask_b32 v2, -1, v2, vcc_lo
	v_and_b32_e32 v9, v8, v13
	s_delay_alu instid0(VALU_DEP_2) | instskip(NEXT) | instid1(VALU_DEP_1)
	v_and_b32_e32 v8, v2, v12
	v_cmp_eq_u64_e32 vcc_lo, v[8:9], v[14:15]
	s_and_b32 exec_lo, exec_lo, vcc_lo
	s_cbranch_execz .LBB75_120
; %bb.125:                              ;   in Loop: Header=BB75_123 Depth=2
	v_mov_b32_e32 v2, v23
	ds_store_b128 v23, v[2:5] offset:3072
	s_branch .LBB75_120
.LBB75_126:                             ;   in Loop: Header=BB75_123 Depth=2
	s_mov_b32 s39, -1
	s_mov_b32 s38, -1
                                        ; implicit-def: $vgpr45
                                        ; implicit-def: $vgpr44
	s_branch .LBB75_122
.LBB75_127:                             ;   in Loop: Header=BB75_6 Depth=1
	s_or_b32 exec_lo, exec_lo, s29
	s_delay_alu instid0(SALU_CYCLE_1)
	s_and_b32 s29, s46, exec_lo
.LBB75_128:                             ;   in Loop: Header=BB75_6 Depth=1
	s_or_b32 exec_lo, exec_lo, s44
.LBB75_129:                             ;   in Loop: Header=BB75_6 Depth=1
	s_delay_alu instid0(SALU_CYCLE_1)
	s_and_b32 vcc_lo, exec_lo, s60
	s_cbranch_vccz .LBB75_141
; %bb.130:                              ;   in Loop: Header=BB75_6 Depth=1
                                        ; implicit-def: $vgpr10_vgpr11
	s_and_saveexec_b32 s21, s9
	s_cbranch_execz .LBB75_140
; %bb.131:                              ;   in Loop: Header=BB75_6 Depth=1
	v_dual_mov_b32 v44, v20 :: v_dual_mov_b32 v45, v0
	s_mov_b32 s26, 0
                                        ; implicit-def: $sgpr44
	s_branch .LBB75_135
.LBB75_132:                             ;   in Loop: Header=BB75_135 Depth=2
	s_or_b32 exec_lo, exec_lo, s38
	s_wait_dscnt 0x0
	s_barrier_signal -1
	s_barrier_wait -1
	ds_load_b128 v[8:11], v23 offset:3072
	s_wait_dscnt 0x0
	s_barrier_signal -1
	s_barrier_wait -1
	v_cmp_eq_f64_e32 vcc_lo, 0, v[8:9]
	s_cbranch_vccz .LBB75_138
; %bb.133:                              ;   in Loop: Header=BB75_135 Depth=2
	v_dual_add_nc_u32 v45, s43, v45 :: v_dual_add_nc_u32 v44, s47, v44
	s_mov_b32 s38, 0
	s_delay_alu instid0(VALU_DEP_1)
	v_cmp_le_u32_e32 vcc_lo, s84, v45
	s_or_not1_b32 s39, vcc_lo, exec_lo
.LBB75_134:                             ;   in Loop: Header=BB75_135 Depth=2
	s_delay_alu instid0(SALU_CYCLE_1) | instskip(NEXT) | instid1(SALU_CYCLE_1)
	s_and_b32 s39, exec_lo, s39
	s_or_b32 s26, s39, s26
	s_and_not1_b32 s39, s44, exec_lo
	s_and_b32 s38, s38, exec_lo
	s_delay_alu instid0(SALU_CYCLE_1)
	s_or_b32 s44, s39, s38
	s_and_not1_b32 exec_lo, exec_lo, s26
	s_cbranch_execz .LBB75_139
.LBB75_135:                             ;   Parent Loop BB75_6 Depth=1
                                        ; =>  This Inner Loop Header: Depth=2
	s_mov_b32 s38, exec_lo
	s_delay_alu instid0(VALU_DEP_1)
	v_cmpx_gt_u32_e64 s36, v45
	s_cbranch_execz .LBB75_132
; %bb.136:                              ;   in Loop: Header=BB75_135 Depth=2
	global_load_b64 v[4:5], v44, s[30:31] scale_offset
	s_wait_loadcnt 0x0
	v_cmp_o_f64_e32 vcc_lo, v[4:5], v[4:5]
	v_ashrrev_i32_e32 v2, 31, v5
	s_delay_alu instid0(VALU_DEP_1) | instskip(NEXT) | instid1(VALU_DEP_1)
	v_or_b32_e32 v8, 0x80000000, v2
	v_xor_b32_e32 v8, v8, v5
	v_xor_b32_e32 v2, v2, v4
	s_delay_alu instid0(VALU_DEP_1) | instskip(NEXT) | instid1(VALU_DEP_1)
	v_dual_cndmask_b32 v8, -1, v8, vcc_lo :: v_dual_cndmask_b32 v2, -1, v2, vcc_lo
	v_and_b32_e32 v9, v8, v13
	s_delay_alu instid0(VALU_DEP_2) | instskip(NEXT) | instid1(VALU_DEP_1)
	v_and_b32_e32 v8, v2, v12
	v_cmp_eq_u64_e32 vcc_lo, v[8:9], v[14:15]
	s_and_b32 exec_lo, exec_lo, vcc_lo
	s_cbranch_execz .LBB75_132
; %bb.137:                              ;   in Loop: Header=BB75_135 Depth=2
	v_mov_b32_e32 v2, v23
	ds_store_b128 v23, v[2:5] offset:3072
	s_branch .LBB75_132
.LBB75_138:                             ;   in Loop: Header=BB75_135 Depth=2
	s_mov_b32 s39, -1
	s_mov_b32 s38, -1
                                        ; implicit-def: $vgpr45
                                        ; implicit-def: $vgpr44
	s_branch .LBB75_134
.LBB75_139:                             ;   in Loop: Header=BB75_6 Depth=1
	s_or_b32 exec_lo, exec_lo, s26
	s_delay_alu instid0(SALU_CYCLE_1) | instskip(SKIP_1) | instid1(SALU_CYCLE_1)
	s_and_not1_b32 s26, s29, exec_lo
	s_and_b32 s29, s44, exec_lo
	s_or_b32 s29, s26, s29
.LBB75_140:                             ;   in Loop: Header=BB75_6 Depth=1
	s_or_b32 exec_lo, exec_lo, s21
	s_mov_b32 s21, 0
	s_mov_b32 s26, -1
.LBB75_141:                             ;   in Loop: Header=BB75_6 Depth=1
	s_or_not1_b32 s29, s29, exec_lo
.LBB75_142:                             ;   in Loop: Header=BB75_6 Depth=1
	s_or_b32 exec_lo, exec_lo, s27
	s_mov_b32 s38, 0
	s_and_saveexec_b32 s27, s29
	s_cbranch_execz .LBB75_235
; %bb.143:                              ;   in Loop: Header=BB75_6 Depth=1
	v_dual_mov_b32 v44, 1 :: v_dual_mov_b32 v22, 1
	s_xor_b32 s29, s28, -1
	s_delay_alu instid0(SALU_CYCLE_1)
	s_and_saveexec_b32 s28, s29
	s_cbranch_execz .LBB75_152
; %bb.144:                              ;   in Loop: Header=BB75_6 Depth=1
	s_mov_b32 s29, exec_lo
	v_cmpx_ge_u32_e64 s18, v43
	s_xor_b32 s29, exec_lo, s29
	s_cbranch_execz .LBB75_149
; %bb.145:                              ;   in Loop: Header=BB75_6 Depth=1
	ds_load_b32 v2, v23 offset:4096
	v_and_b32_e32 v4, s15, v15
	v_and_b32_e32 v5, s14, v14
	s_lshl_b64 s[38:39], 1, s88
	v_or_b32_e32 v13, s13, v13
	v_or_b32_e32 v12, s12, v12
	v_or_b32_e32 v15, s39, v4
	v_or_b32_e32 v14, s38, v5
	s_wait_dscnt 0x0
	v_cmp_ne_u32_e32 vcc_lo, 0, v2
	s_cbranch_vccnz .LBB75_149
; %bb.146:                              ;   in Loop: Header=BB75_6 Depth=1
	s_and_saveexec_b32 s38, s5
; %bb.147:                              ;   in Loop: Header=BB75_6 Depth=1
	v_mov_b32_e32 v2, s18
	ds_store_b32 v23, v2 offset:4100
; %bb.148:                              ;   in Loop: Header=BB75_6 Depth=1
	s_or_b32 exec_lo, exec_lo, s38
	s_wait_dscnt 0x0
	s_barrier_signal -1
	s_barrier_wait -1
.LBB75_149:                             ;   in Loop: Header=BB75_6 Depth=1
	s_or_saveexec_b32 s29, s29
	v_mov_b32_e32 v22, 8
	s_mov_b32 s38, 0
	s_xor_b32 exec_lo, exec_lo, s29
; %bb.150:                              ;   in Loop: Header=BB75_6 Depth=1
	v_subrev_nc_u32_e32 v43, s18, v43
	v_mov_b32_e32 v22, 0
	s_mov_b32 s38, exec_lo
; %bb.151:                              ;   in Loop: Header=BB75_6 Depth=1
	s_or_b32 exec_lo, exec_lo, s29
	s_delay_alu instid0(VALU_DEP_2)
	v_mov_b32_e32 v44, v43
	s_and_b32 s38, s38, exec_lo
.LBB75_152:                             ;   in Loop: Header=BB75_6 Depth=1
	s_or_b32 exec_lo, exec_lo, s28
	s_mov_b32 s44, -1
                                        ; implicit-def: $sgpr29
                                        ; implicit-def: $sgpr68
	s_and_saveexec_b32 s28, s38
	s_cbranch_execz .LBB75_234
; %bb.153:                              ;   in Loop: Header=BB75_6 Depth=1
	v_cmp_eq_u32_e32 vcc_lo, 1, v44
	s_cmp_eq_u32 s19, 1
                                        ; implicit-def: $sgpr68
	s_cselect_b32 s29, -1, 0
	s_delay_alu instid0(SALU_CYCLE_1) | instskip(NEXT) | instid1(SALU_CYCLE_1)
	s_and_b32 s70, s29, vcc_lo
                                        ; implicit-def: $sgpr29
	s_and_saveexec_b32 s69, s70
	s_cbranch_execz .LBB75_181
; %bb.154:                              ;   in Loop: Header=BB75_6 Depth=1
	ds_load_b32 v2, v23 offset:4096
	s_wait_dscnt 0x0
	s_barrier_signal -1
	s_barrier_wait -1
	v_readfirstlane_b32 s71, v2
	s_and_saveexec_b32 s29, s6
; %bb.155:                              ;   in Loop: Header=BB75_6 Depth=1
	ds_store_b64 v32, v[28:29]
; %bb.156:                              ;   in Loop: Header=BB75_6 Depth=1
	s_or_b32 exec_lo, exec_lo, s29
	v_and_b32_e32 v2, s15, v15
	v_and_b32_e32 v4, s14, v14
	s_lshl_b64 s[38:39], 2, s88
	v_or_b32_e32 v13, s13, v13
	v_or_b32_e32 v12, s12, v12
	;; [unrolled: 1-line block ×4, first 2 shown]
	s_mov_b32 s29, -1
	s_mov_b32 s68, 0
	s_cmp_eq_u32 s71, 0
	s_mov_b32 s60, 0
	s_mov_b32 s101, -1
	s_wait_dscnt 0x0
	s_barrier_signal -1
	s_barrier_wait -1
                                        ; implicit-def: $vgpr10_vgpr11
	s_cbranch_scc1 .LBB75_168
; %bb.157:                              ;   in Loop: Header=BB75_6 Depth=1
	s_add_co_i32 s60, s71, s78
	s_mov_b32 s101, 0
	s_mul_u64 s[38:39], s[60:61], s[64:65]
	s_mov_b32 s44, exec_lo
	s_mul_i32 s38, s39, s43
                                        ; implicit-def: $vgpr10_vgpr11
	s_delay_alu instid0(SALU_CYCLE_1) | instskip(NEXT) | instid1(SALU_CYCLE_1)
	s_sub_co_i32 s38, s60, s38
	s_sub_co_i32 s39, s38, s43
	s_cmp_ge_u32 s38, s43
	s_cselect_b32 s38, s39, s38
	s_delay_alu instid0(SALU_CYCLE_1) | instskip(SKIP_2) | instid1(SALU_CYCLE_1)
	s_sub_co_i32 s39, s38, s43
	s_cmp_ge_u32 s38, s43
	s_cselect_b32 s38, s39, s38
	s_sub_co_i32 s45, s60, s38
	s_mov_b32 s60, 0
	v_cmpx_gt_u32_e64 s45, v0
	s_cbranch_execz .LBB75_167
; %bb.158:                              ;   in Loop: Header=BB75_6 Depth=1
	v_dual_mov_b32 v43, v21 :: v_dual_mov_b32 v45, v0
	s_mov_b32 s46, 0
                                        ; implicit-def: $sgpr60
	s_branch .LBB75_162
.LBB75_159:                             ;   in Loop: Header=BB75_162 Depth=2
	s_or_b32 exec_lo, exec_lo, s38
	s_wait_dscnt 0x0
	s_barrier_signal -1
	s_barrier_wait -1
	ds_load_b128 v[8:11], v23 offset:3072
	s_wait_dscnt 0x0
	s_barrier_signal -1
	s_barrier_wait -1
	v_cmp_neq_f64_e32 vcc_lo, 0, v[8:9]
	s_cbranch_vccnz .LBB75_165
; %bb.160:                              ;   in Loop: Header=BB75_162 Depth=2
	v_dual_add_nc_u32 v45, s43, v45 :: v_dual_add_nc_u32 v43, s87, v43
	s_mov_b32 s38, 0
	s_delay_alu instid0(VALU_DEP_1)
	v_cmp_le_u32_e32 vcc_lo, s45, v45
	s_or_not1_b32 s39, vcc_lo, exec_lo
.LBB75_161:                             ;   in Loop: Header=BB75_162 Depth=2
	s_delay_alu instid0(SALU_CYCLE_1) | instskip(NEXT) | instid1(SALU_CYCLE_1)
	s_and_b32 s39, exec_lo, s39
	s_or_b32 s46, s39, s46
	s_and_not1_b32 s39, s60, exec_lo
	s_and_b32 s38, s38, exec_lo
	s_delay_alu instid0(SALU_CYCLE_1)
	s_or_b32 s60, s39, s38
	s_and_not1_b32 exec_lo, exec_lo, s46
	s_cbranch_execz .LBB75_166
.LBB75_162:                             ;   Parent Loop BB75_6 Depth=1
                                        ; =>  This Inner Loop Header: Depth=2
	s_mov_b32 s38, exec_lo
	s_delay_alu instid0(VALU_DEP_1)
	v_cmpx_gt_u32_e64 s71, v45
	s_cbranch_execz .LBB75_159
; %bb.163:                              ;   in Loop: Header=BB75_162 Depth=2
	ds_load_b64 v[4:5], v43
	s_wait_dscnt 0x0
	v_cmp_o_f64_e32 vcc_lo, v[4:5], v[4:5]
	v_ashrrev_i32_e32 v2, 31, v5
	s_delay_alu instid0(VALU_DEP_1) | instskip(NEXT) | instid1(VALU_DEP_1)
	v_or_b32_e32 v8, 0x80000000, v2
	v_xor_b32_e32 v8, v8, v5
	v_xor_b32_e32 v2, v2, v4
	s_delay_alu instid0(VALU_DEP_1) | instskip(NEXT) | instid1(VALU_DEP_1)
	v_dual_cndmask_b32 v8, -1, v8, vcc_lo :: v_dual_cndmask_b32 v2, -1, v2, vcc_lo
	v_and_b32_e32 v9, v8, v13
	s_delay_alu instid0(VALU_DEP_2) | instskip(NEXT) | instid1(VALU_DEP_1)
	v_and_b32_e32 v8, v2, v12
	v_cmp_eq_u64_e32 vcc_lo, v[8:9], v[14:15]
	s_and_b32 exec_lo, exec_lo, vcc_lo
	s_cbranch_execz .LBB75_159
; %bb.164:                              ;   in Loop: Header=BB75_162 Depth=2
	v_mov_b32_e32 v2, v23
	ds_store_b128 v23, v[2:5] offset:3072
	s_branch .LBB75_159
.LBB75_165:                             ;   in Loop: Header=BB75_162 Depth=2
	s_mov_b32 s39, -1
	s_mov_b32 s38, -1
                                        ; implicit-def: $vgpr45
                                        ; implicit-def: $vgpr43
	s_branch .LBB75_161
.LBB75_166:                             ;   in Loop: Header=BB75_6 Depth=1
	s_or_b32 exec_lo, exec_lo, s46
	s_delay_alu instid0(SALU_CYCLE_1)
	s_and_b32 s60, s60, exec_lo
.LBB75_167:                             ;   in Loop: Header=BB75_6 Depth=1
	s_or_b32 exec_lo, exec_lo, s44
.LBB75_168:                             ;   in Loop: Header=BB75_6 Depth=1
	s_delay_alu instid0(SALU_CYCLE_1)
	s_and_b32 vcc_lo, exec_lo, s101
	s_cbranch_vccz .LBB75_180
; %bb.169:                              ;   in Loop: Header=BB75_6 Depth=1
                                        ; implicit-def: $vgpr10_vgpr11
	s_and_saveexec_b32 s29, s9
	s_cbranch_execz .LBB75_179
; %bb.170:                              ;   in Loop: Header=BB75_6 Depth=1
	v_dual_mov_b32 v43, v20 :: v_dual_mov_b32 v45, v0
	s_mov_b32 s44, 0
                                        ; implicit-def: $sgpr45
	s_branch .LBB75_174
.LBB75_171:                             ;   in Loop: Header=BB75_174 Depth=2
	s_or_b32 exec_lo, exec_lo, s38
	s_wait_dscnt 0x0
	s_barrier_signal -1
	s_barrier_wait -1
	ds_load_b128 v[8:11], v23 offset:3072
	s_wait_dscnt 0x0
	s_barrier_signal -1
	s_barrier_wait -1
	v_cmp_eq_f64_e32 vcc_lo, 0, v[8:9]
	s_cbranch_vccz .LBB75_177
; %bb.172:                              ;   in Loop: Header=BB75_174 Depth=2
	v_dual_add_nc_u32 v45, s43, v45 :: v_dual_add_nc_u32 v43, s47, v43
	s_mov_b32 s38, 0
	s_delay_alu instid0(VALU_DEP_1)
	v_cmp_le_u32_e32 vcc_lo, s84, v45
	s_or_not1_b32 s39, vcc_lo, exec_lo
.LBB75_173:                             ;   in Loop: Header=BB75_174 Depth=2
	s_delay_alu instid0(SALU_CYCLE_1) | instskip(NEXT) | instid1(SALU_CYCLE_1)
	s_and_b32 s39, exec_lo, s39
	s_or_b32 s44, s39, s44
	s_and_not1_b32 s39, s45, exec_lo
	s_and_b32 s38, s38, exec_lo
	s_delay_alu instid0(SALU_CYCLE_1)
	s_or_b32 s45, s39, s38
	s_and_not1_b32 exec_lo, exec_lo, s44
	s_cbranch_execz .LBB75_178
.LBB75_174:                             ;   Parent Loop BB75_6 Depth=1
                                        ; =>  This Inner Loop Header: Depth=2
	s_mov_b32 s38, exec_lo
	s_delay_alu instid0(VALU_DEP_1)
	v_cmpx_gt_u32_e64 s36, v45
	s_cbranch_execz .LBB75_171
; %bb.175:                              ;   in Loop: Header=BB75_174 Depth=2
	global_load_b64 v[4:5], v43, s[30:31] scale_offset
	s_wait_loadcnt 0x0
	v_cmp_o_f64_e32 vcc_lo, v[4:5], v[4:5]
	v_ashrrev_i32_e32 v2, 31, v5
	s_delay_alu instid0(VALU_DEP_1) | instskip(NEXT) | instid1(VALU_DEP_1)
	v_or_b32_e32 v8, 0x80000000, v2
	v_xor_b32_e32 v8, v8, v5
	v_xor_b32_e32 v2, v2, v4
	s_delay_alu instid0(VALU_DEP_1) | instskip(NEXT) | instid1(VALU_DEP_1)
	v_dual_cndmask_b32 v8, -1, v8, vcc_lo :: v_dual_cndmask_b32 v2, -1, v2, vcc_lo
	v_and_b32_e32 v9, v8, v13
	s_delay_alu instid0(VALU_DEP_2) | instskip(NEXT) | instid1(VALU_DEP_1)
	v_and_b32_e32 v8, v2, v12
	v_cmp_eq_u64_e32 vcc_lo, v[8:9], v[14:15]
	s_and_b32 exec_lo, exec_lo, vcc_lo
	s_cbranch_execz .LBB75_171
; %bb.176:                              ;   in Loop: Header=BB75_174 Depth=2
	v_mov_b32_e32 v2, v23
	ds_store_b128 v23, v[2:5] offset:3072
	s_branch .LBB75_171
.LBB75_177:                             ;   in Loop: Header=BB75_174 Depth=2
	s_mov_b32 s39, -1
	s_mov_b32 s38, -1
                                        ; implicit-def: $vgpr45
                                        ; implicit-def: $vgpr43
	s_branch .LBB75_173
.LBB75_178:                             ;   in Loop: Header=BB75_6 Depth=1
	s_or_b32 exec_lo, exec_lo, s44
	s_delay_alu instid0(SALU_CYCLE_1) | instskip(SKIP_1) | instid1(SALU_CYCLE_1)
	s_and_not1_b32 s38, s60, exec_lo
	s_and_b32 s39, s45, exec_lo
	s_or_b32 s60, s38, s39
.LBB75_179:                             ;   in Loop: Header=BB75_6 Depth=1
	s_or_b32 exec_lo, exec_lo, s29
	s_mov_b32 s29, 0
	s_mov_b32 s68, -1
.LBB75_180:                             ;   in Loop: Header=BB75_6 Depth=1
	s_or_not1_b32 s44, s60, exec_lo
.LBB75_181:                             ;   in Loop: Header=BB75_6 Depth=1
	s_or_b32 exec_lo, exec_lo, s69
	s_mov_b32 s38, 0
	s_and_saveexec_b32 s69, s44
	s_cbranch_execz .LBB75_233
; %bb.182:                              ;   in Loop: Header=BB75_6 Depth=1
	v_dual_mov_b32 v43, 1 :: v_dual_mov_b32 v22, 1
	s_xor_b32 s39, s70, -1
	s_delay_alu instid0(SALU_CYCLE_1)
	s_and_saveexec_b32 s44, s39
	s_cbranch_execz .LBB75_191
; %bb.183:                              ;   in Loop: Header=BB75_6 Depth=1
	s_mov_b32 s38, exec_lo
	v_cmpx_ge_u32_e64 s19, v44
	s_xor_b32 s45, exec_lo, s38
	s_cbranch_execz .LBB75_188
; %bb.184:                              ;   in Loop: Header=BB75_6 Depth=1
	ds_load_b32 v2, v23 offset:4096
	v_and_b32_e32 v4, s15, v15
	v_and_b32_e32 v5, s14, v14
	s_lshl_b64 s[38:39], 2, s88
	v_or_b32_e32 v13, s13, v13
	v_or_b32_e32 v12, s12, v12
	;; [unrolled: 1-line block ×4, first 2 shown]
	s_wait_dscnt 0x0
	v_cmp_ne_u32_e32 vcc_lo, 0, v2
	s_cbranch_vccnz .LBB75_188
; %bb.185:                              ;   in Loop: Header=BB75_6 Depth=1
	s_and_saveexec_b32 s38, s5
; %bb.186:                              ;   in Loop: Header=BB75_6 Depth=1
	v_mov_b32_e32 v2, s19
	ds_store_b32 v23, v2 offset:4100
; %bb.187:                              ;   in Loop: Header=BB75_6 Depth=1
	s_or_b32 exec_lo, exec_lo, s38
	s_wait_dscnt 0x0
	s_barrier_signal -1
	s_barrier_wait -1
.LBB75_188:                             ;   in Loop: Header=BB75_6 Depth=1
	s_or_saveexec_b32 s38, s45
	v_mov_b32_e32 v22, 8
	s_mov_b32 s39, 0
	s_xor_b32 exec_lo, exec_lo, s38
; %bb.189:                              ;   in Loop: Header=BB75_6 Depth=1
	v_subrev_nc_u32_e32 v44, s19, v44
	v_mov_b32_e32 v22, 0
	s_mov_b32 s39, exec_lo
; %bb.190:                              ;   in Loop: Header=BB75_6 Depth=1
	s_or_b32 exec_lo, exec_lo, s38
	s_delay_alu instid0(VALU_DEP_2)
	v_mov_b32_e32 v43, v44
	s_and_b32 s38, s39, exec_lo
.LBB75_191:                             ;   in Loop: Header=BB75_6 Depth=1
	s_or_b32 exec_lo, exec_lo, s44
	s_mov_b32 s44, -1
                                        ; implicit-def: $sgpr102
                                        ; implicit-def: $sgpr101
	s_and_saveexec_b32 s70, s38
	s_cbranch_execz .LBB75_232
; %bb.192:                              ;   in Loop: Header=BB75_6 Depth=1
	v_cmp_eq_u32_e32 vcc_lo, 1, v43
	s_cmp_eq_u32 s20, 1
                                        ; implicit-def: $sgpr102
                                        ; implicit-def: $sgpr101
	s_cselect_b32 s38, -1, 0
	s_delay_alu instid0(SALU_CYCLE_1)
	s_and_b32 s71, s38, vcc_lo
	s_mov_b32 s38, -1
	s_and_saveexec_b32 s103, s71
	s_cbranch_execz .LBB75_220
; %bb.193:                              ;   in Loop: Header=BB75_6 Depth=1
	ds_load_b32 v2, v23 offset:4096
	s_wait_dscnt 0x0
	s_barrier_signal -1
	s_barrier_wait -1
	v_readfirstlane_b32 s104, v2
	s_and_saveexec_b32 s38, s6
; %bb.194:                              ;   in Loop: Header=BB75_6 Depth=1
	ds_store_b64 v32, v[28:29]
; %bb.195:                              ;   in Loop: Header=BB75_6 Depth=1
	s_or_b32 exec_lo, exec_lo, s38
	v_or_b32_e32 v15, s13, v15
	v_or_b32_e32 v14, s12, v14
	;; [unrolled: 1-line block ×4, first 2 shown]
	s_mov_b32 s101, -1
	s_mov_b32 s102, 0
	s_cmp_eq_u32 s104, 0
	s_mov_b32 s60, 0
	s_mov_b32 vcc_hi, -1
	s_wait_dscnt 0x0
	s_barrier_signal -1
	s_barrier_wait -1
                                        ; implicit-def: $vgpr10_vgpr11
	s_cbranch_scc1 .LBB75_207
; %bb.196:                              ;   in Loop: Header=BB75_6 Depth=1
	s_add_co_i32 s60, s104, s78
	s_mov_b32 vcc_hi, 0
	s_mul_u64 s[38:39], s[60:61], s[64:65]
	s_mov_b32 s44, exec_lo
	s_mul_i32 s38, s39, s43
                                        ; implicit-def: $vgpr10_vgpr11
	s_delay_alu instid0(SALU_CYCLE_1) | instskip(NEXT) | instid1(SALU_CYCLE_1)
	s_sub_co_i32 s38, s60, s38
	s_sub_co_i32 s39, s38, s43
	s_cmp_ge_u32 s38, s43
	s_cselect_b32 s38, s39, s38
	s_delay_alu instid0(SALU_CYCLE_1) | instskip(SKIP_2) | instid1(SALU_CYCLE_1)
	s_sub_co_i32 s39, s38, s43
	s_cmp_ge_u32 s38, s43
	s_cselect_b32 s38, s39, s38
	s_sub_co_i32 s45, s60, s38
	s_mov_b32 s60, 0
	v_cmpx_gt_u32_e64 s45, v0
	s_cbranch_execz .LBB75_206
; %bb.197:                              ;   in Loop: Header=BB75_6 Depth=1
	v_dual_mov_b32 v44, v21 :: v_dual_mov_b32 v45, v0
	s_mov_b32 s46, 0
                                        ; implicit-def: $sgpr60
	s_branch .LBB75_201
.LBB75_198:                             ;   in Loop: Header=BB75_201 Depth=2
	s_or_b32 exec_lo, exec_lo, s38
	s_wait_dscnt 0x0
	s_barrier_signal -1
	s_barrier_wait -1
	ds_load_b128 v[8:11], v23 offset:3072
	s_wait_dscnt 0x0
	s_barrier_signal -1
	s_barrier_wait -1
	v_cmp_neq_f64_e32 vcc_lo, 0, v[8:9]
	s_cbranch_vccnz .LBB75_204
; %bb.199:                              ;   in Loop: Header=BB75_201 Depth=2
	v_dual_add_nc_u32 v45, s43, v45 :: v_dual_add_nc_u32 v44, s87, v44
	s_mov_b32 s38, 0
	s_delay_alu instid0(VALU_DEP_1)
	v_cmp_le_u32_e32 vcc_lo, s45, v45
	s_or_not1_b32 s39, vcc_lo, exec_lo
.LBB75_200:                             ;   in Loop: Header=BB75_201 Depth=2
	s_delay_alu instid0(SALU_CYCLE_1) | instskip(NEXT) | instid1(SALU_CYCLE_1)
	s_and_b32 s39, exec_lo, s39
	s_or_b32 s46, s39, s46
	s_and_not1_b32 s39, s60, exec_lo
	s_and_b32 s38, s38, exec_lo
	s_delay_alu instid0(SALU_CYCLE_1)
	s_or_b32 s60, s39, s38
	s_and_not1_b32 exec_lo, exec_lo, s46
	s_cbranch_execz .LBB75_205
.LBB75_201:                             ;   Parent Loop BB75_6 Depth=1
                                        ; =>  This Inner Loop Header: Depth=2
	s_mov_b32 s38, exec_lo
	s_delay_alu instid0(VALU_DEP_1)
	v_cmpx_gt_u32_e64 s104, v45
	s_cbranch_execz .LBB75_198
; %bb.202:                              ;   in Loop: Header=BB75_201 Depth=2
	ds_load_b64 v[4:5], v44
	s_wait_dscnt 0x0
	v_cmp_o_f64_e32 vcc_lo, v[4:5], v[4:5]
	v_ashrrev_i32_e32 v2, 31, v5
	s_delay_alu instid0(VALU_DEP_1) | instskip(NEXT) | instid1(VALU_DEP_1)
	v_or_b32_e32 v8, 0x80000000, v2
	v_xor_b32_e32 v8, v8, v5
	v_xor_b32_e32 v2, v2, v4
	s_delay_alu instid0(VALU_DEP_1) | instskip(NEXT) | instid1(VALU_DEP_1)
	v_dual_cndmask_b32 v8, -1, v8, vcc_lo :: v_dual_cndmask_b32 v2, -1, v2, vcc_lo
	v_and_b32_e32 v9, v8, v13
	s_delay_alu instid0(VALU_DEP_2) | instskip(NEXT) | instid1(VALU_DEP_1)
	v_and_b32_e32 v8, v2, v12
	v_cmp_eq_u64_e32 vcc_lo, v[8:9], v[14:15]
	s_and_b32 exec_lo, exec_lo, vcc_lo
	s_cbranch_execz .LBB75_198
; %bb.203:                              ;   in Loop: Header=BB75_201 Depth=2
	v_mov_b32_e32 v2, v23
	ds_store_b128 v23, v[2:5] offset:3072
	s_branch .LBB75_198
.LBB75_204:                             ;   in Loop: Header=BB75_201 Depth=2
	s_mov_b32 s39, -1
	s_mov_b32 s38, -1
                                        ; implicit-def: $vgpr45
                                        ; implicit-def: $vgpr44
	s_branch .LBB75_200
.LBB75_205:                             ;   in Loop: Header=BB75_6 Depth=1
	s_or_b32 exec_lo, exec_lo, s46
	s_delay_alu instid0(SALU_CYCLE_1)
	s_and_b32 s60, s60, exec_lo
.LBB75_206:                             ;   in Loop: Header=BB75_6 Depth=1
	s_or_b32 exec_lo, exec_lo, s44
.LBB75_207:                             ;   in Loop: Header=BB75_6 Depth=1
	s_delay_alu instid0(SALU_CYCLE_1)
	s_and_b32 vcc_lo, exec_lo, vcc_hi
	s_cbranch_vccz .LBB75_219
; %bb.208:                              ;   in Loop: Header=BB75_6 Depth=1
                                        ; implicit-def: $vgpr10_vgpr11
	s_and_saveexec_b32 s44, s9
	s_cbranch_execz .LBB75_218
; %bb.209:                              ;   in Loop: Header=BB75_6 Depth=1
	v_dual_mov_b32 v44, v20 :: v_dual_mov_b32 v45, v0
	s_mov_b32 s45, 0
                                        ; implicit-def: $sgpr46
	s_branch .LBB75_213
.LBB75_210:                             ;   in Loop: Header=BB75_213 Depth=2
	s_or_b32 exec_lo, exec_lo, s38
	s_wait_dscnt 0x0
	s_barrier_signal -1
	s_barrier_wait -1
	ds_load_b128 v[8:11], v23 offset:3072
	s_wait_dscnt 0x0
	s_barrier_signal -1
	s_barrier_wait -1
	v_cmp_eq_f64_e32 vcc_lo, 0, v[8:9]
	s_cbranch_vccz .LBB75_216
; %bb.211:                              ;   in Loop: Header=BB75_213 Depth=2
	v_dual_add_nc_u32 v45, s43, v45 :: v_dual_add_nc_u32 v44, s47, v44
	s_mov_b32 s38, 0
	s_delay_alu instid0(VALU_DEP_1)
	v_cmp_le_u32_e32 vcc_lo, s84, v45
	s_or_not1_b32 s39, vcc_lo, exec_lo
.LBB75_212:                             ;   in Loop: Header=BB75_213 Depth=2
	s_delay_alu instid0(SALU_CYCLE_1) | instskip(NEXT) | instid1(SALU_CYCLE_1)
	s_and_b32 s39, exec_lo, s39
	s_or_b32 s45, s39, s45
	s_and_not1_b32 s39, s46, exec_lo
	s_and_b32 s38, s38, exec_lo
	s_delay_alu instid0(SALU_CYCLE_1)
	s_or_b32 s46, s39, s38
	s_and_not1_b32 exec_lo, exec_lo, s45
	s_cbranch_execz .LBB75_217
.LBB75_213:                             ;   Parent Loop BB75_6 Depth=1
                                        ; =>  This Inner Loop Header: Depth=2
	s_mov_b32 s38, exec_lo
	s_delay_alu instid0(VALU_DEP_1)
	v_cmpx_gt_u32_e64 s36, v45
	s_cbranch_execz .LBB75_210
; %bb.214:                              ;   in Loop: Header=BB75_213 Depth=2
	global_load_b64 v[4:5], v44, s[30:31] scale_offset
	s_wait_loadcnt 0x0
	v_cmp_o_f64_e32 vcc_lo, v[4:5], v[4:5]
	v_ashrrev_i32_e32 v2, 31, v5
	s_delay_alu instid0(VALU_DEP_1) | instskip(NEXT) | instid1(VALU_DEP_1)
	v_or_b32_e32 v8, 0x80000000, v2
	v_xor_b32_e32 v8, v8, v5
	v_xor_b32_e32 v2, v2, v4
	s_delay_alu instid0(VALU_DEP_1) | instskip(NEXT) | instid1(VALU_DEP_1)
	v_dual_cndmask_b32 v8, -1, v8, vcc_lo :: v_dual_cndmask_b32 v2, -1, v2, vcc_lo
	v_and_b32_e32 v9, v8, v13
	s_delay_alu instid0(VALU_DEP_2) | instskip(NEXT) | instid1(VALU_DEP_1)
	v_and_b32_e32 v8, v2, v12
	v_cmp_eq_u64_e32 vcc_lo, v[8:9], v[14:15]
	s_and_b32 exec_lo, exec_lo, vcc_lo
	s_cbranch_execz .LBB75_210
; %bb.215:                              ;   in Loop: Header=BB75_213 Depth=2
	v_mov_b32_e32 v2, v23
	ds_store_b128 v23, v[2:5] offset:3072
	s_branch .LBB75_210
.LBB75_216:                             ;   in Loop: Header=BB75_213 Depth=2
	s_mov_b32 s39, -1
	s_mov_b32 s38, -1
                                        ; implicit-def: $vgpr45
                                        ; implicit-def: $vgpr44
	s_branch .LBB75_212
.LBB75_217:                             ;   in Loop: Header=BB75_6 Depth=1
	s_or_b32 exec_lo, exec_lo, s45
	s_delay_alu instid0(SALU_CYCLE_1) | instskip(SKIP_1) | instid1(SALU_CYCLE_1)
	s_and_not1_b32 s38, s60, exec_lo
	s_and_b32 s39, s46, exec_lo
	s_or_b32 s60, s38, s39
.LBB75_218:                             ;   in Loop: Header=BB75_6 Depth=1
	s_or_b32 exec_lo, exec_lo, s44
	s_mov_b32 s101, 0
	s_mov_b32 s102, -1
.LBB75_219:                             ;   in Loop: Header=BB75_6 Depth=1
	s_or_not1_b32 s38, s60, exec_lo
.LBB75_220:                             ;   in Loop: Header=BB75_6 Depth=1
	s_or_b32 exec_lo, exec_lo, s103
	s_mov_b32 s39, 0
	s_and_saveexec_b32 s44, s38
	s_cbranch_execz .LBB75_231
; %bb.221:                              ;   in Loop: Header=BB75_6 Depth=1
	v_dual_mov_b32 v22, 1 :: v_dual_mov_b32 v2, 1
	s_xor_b32 s38, s71, -1
	s_delay_alu instid0(SALU_CYCLE_1)
	s_and_saveexec_b32 s45, s38
	s_cbranch_execz .LBB75_230
; %bb.222:                              ;   in Loop: Header=BB75_6 Depth=1
	s_mov_b32 s38, exec_lo
	v_cmpx_ge_u32_e64 s20, v43
	s_xor_b32 s46, exec_lo, s38
	s_cbranch_execz .LBB75_227
; %bb.223:                              ;   in Loop: Header=BB75_6 Depth=1
	ds_load_b32 v2, v23 offset:4096
	v_or_b32_e32 v15, s13, v15
	v_or_b32_e32 v14, s12, v14
	;; [unrolled: 1-line block ×4, first 2 shown]
	s_wait_dscnt 0x0
	v_cmp_ne_u32_e32 vcc_lo, 0, v2
	s_cbranch_vccnz .LBB75_227
; %bb.224:                              ;   in Loop: Header=BB75_6 Depth=1
	s_and_saveexec_b32 s38, s5
; %bb.225:                              ;   in Loop: Header=BB75_6 Depth=1
	v_mov_b32_e32 v2, s20
	ds_store_b32 v23, v2 offset:4100
; %bb.226:                              ;   in Loop: Header=BB75_6 Depth=1
	s_or_b32 exec_lo, exec_lo, s38
	s_wait_dscnt 0x0
	s_barrier_signal -1
	s_barrier_wait -1
.LBB75_227:                             ;   in Loop: Header=BB75_6 Depth=1
	s_and_not1_saveexec_b32 s38, s46
; %bb.228:                              ;   in Loop: Header=BB75_6 Depth=1
	v_subrev_nc_u32_e32 v43, s20, v43
; %bb.229:                              ;   in Loop: Header=BB75_6 Depth=1
	s_or_b32 exec_lo, exec_lo, s38
	s_delay_alu instid0(VALU_DEP_1)
	v_dual_mov_b32 v22, 8 :: v_dual_mov_b32 v2, v43
.LBB75_230:                             ;   in Loop: Header=BB75_6 Depth=1
	s_or_b32 exec_lo, exec_lo, s45
	s_delay_alu instid0(VALU_DEP_1)
	v_mov_b32_e32 v43, v2
	s_mov_b32 s39, exec_lo
.LBB75_231:                             ;   in Loop: Header=BB75_6 Depth=1
	s_or_b32 exec_lo, exec_lo, s44
	s_delay_alu instid0(SALU_CYCLE_1)
	s_or_not1_b32 s44, s39, exec_lo
.LBB75_232:                             ;   in Loop: Header=BB75_6 Depth=1
	s_or_b32 exec_lo, exec_lo, s70
	v_mov_b32_e32 v44, v43
	s_and_not1_b32 s38, s68, exec_lo
	s_and_b32 s39, s102, exec_lo
	s_and_not1_b32 s29, s29, exec_lo
	s_and_b32 s45, s101, exec_lo
	s_or_b32 s68, s38, s39
	s_or_b32 s29, s29, s45
	s_and_b32 s38, s44, exec_lo
.LBB75_233:                             ;   in Loop: Header=BB75_6 Depth=1
	s_or_b32 exec_lo, exec_lo, s69
	s_delay_alu instid0(SALU_CYCLE_1)
	s_or_not1_b32 s44, s38, exec_lo
.LBB75_234:                             ;   in Loop: Header=BB75_6 Depth=1
	s_or_b32 exec_lo, exec_lo, s28
	v_mov_b32_e32 v43, v44
	s_and_not1_b32 s26, s26, exec_lo
	s_and_b32 s28, s68, exec_lo
	s_and_not1_b32 s21, s21, exec_lo
	s_and_b32 s29, s29, exec_lo
	s_or_b32 s26, s26, s28
	s_or_b32 s21, s21, s29
	s_and_b32 s38, s44, exec_lo
.LBB75_235:                             ;   in Loop: Header=BB75_6 Depth=1
	s_or_b32 exec_lo, exec_lo, s27
	s_delay_alu instid0(SALU_CYCLE_1)
	s_or_not1_b32 s27, s38, exec_lo
.LBB75_236:                             ;   in Loop: Header=BB75_6 Depth=1
	s_or_b32 exec_lo, exec_lo, s11
	s_mov_b32 s28, 0
	s_mov_b32 s29, 0
	s_and_saveexec_b32 s11, s27
	s_delay_alu instid0(SALU_CYCLE_1)
	s_xor_b32 s27, exec_lo, s11
; %bb.237:                              ;   in Loop: Header=BB75_6 Depth=1
	v_cmp_ne_u32_e32 vcc_lo, 8, v22
	v_cmp_eq_u32_e64 s11, 8, v22
	s_and_b32 s29, vcc_lo, exec_lo
	s_and_b32 s28, s11, exec_lo
; %bb.238:                              ;   in Loop: Header=BB75_6 Depth=1
	s_or_b32 exec_lo, exec_lo, s27
	s_delay_alu instid0(SALU_CYCLE_1)
	s_and_not1_b32 s11, s23, exec_lo
	s_and_b32 s23, s26, exec_lo
	s_and_not1_b32 s22, s22, exec_lo
	s_and_b32 s21, s21, exec_lo
	s_or_b32 s23, s11, s23
	s_or_b32 s22, s22, s21
	s_and_b32 s11, s29, exec_lo
	s_and_b32 s21, s28, exec_lo
.LBB75_239:                             ;   in Loop: Header=BB75_6 Depth=1
	s_or_b32 exec_lo, exec_lo, s25
.LBB75_240:                             ;   in Loop: Header=BB75_6 Depth=1
	s_delay_alu instid0(SALU_CYCLE_1)
	s_and_b32 vcc_lo, exec_lo, s24
	s_cbranch_vccz .LBB75_254
; %bb.241:                              ;   in Loop: Header=BB75_6 Depth=1
	s_cmp_eq_u32 s20, 1
	s_mov_b32 s23, -1
	s_cselect_b32 s16, -1, 0
                                        ; implicit-def: $sgpr24
	s_delay_alu instid0(SALU_CYCLE_1) | instskip(NEXT) | instid1(SALU_CYCLE_1)
	s_and_b32 s10, s16, s10
                                        ; implicit-def: $sgpr16
	s_and_saveexec_b32 s22, s10
	s_cbranch_execz .LBB75_270
; %bb.242:                              ;   in Loop: Header=BB75_6 Depth=1
	ds_load_b32 v2, v23 offset:4096
	s_wait_dscnt 0x0
	s_barrier_signal -1
	s_barrier_wait -1
	v_readfirstlane_b32 s25, v2
	s_and_saveexec_b32 s16, s6
; %bb.243:                              ;   in Loop: Header=BB75_6 Depth=1
	ds_store_b64 v32, v[28:29]
; %bb.244:                              ;   in Loop: Header=BB75_6 Depth=1
	s_or_b32 exec_lo, exec_lo, s16
	v_or_b32_e32 v27, s13, v27
	v_or_b32_e32 v26, s12, v26
	;; [unrolled: 1-line block ×4, first 2 shown]
	s_mov_b32 s16, -1
	s_mov_b32 s24, 0
	s_cmp_eq_u32 s25, 0
	s_mov_b32 s23, 0
	s_mov_b32 s26, -1
	s_wait_dscnt 0x0
	s_barrier_signal -1
	s_barrier_wait -1
                                        ; implicit-def: $vgpr6_vgpr7
	s_cbranch_scc1 .LBB75_257
; %bb.245:                              ;   in Loop: Header=BB75_6 Depth=1
	s_add_co_i32 s60, s25, s78
                                        ; implicit-def: $vgpr6_vgpr7
	s_delay_alu instid0(SALU_CYCLE_1) | instskip(NEXT) | instid1(SALU_CYCLE_1)
	s_mul_u64 s[26:27], s[60:61], s[64:65]
	s_mul_i32 s23, s27, s43
	s_mov_b32 s27, exec_lo
	s_sub_co_i32 s23, s60, s23
	s_delay_alu instid0(SALU_CYCLE_1) | instskip(SKIP_2) | instid1(SALU_CYCLE_1)
	s_sub_co_i32 s26, s23, s43
	s_cmp_ge_u32 s23, s43
	s_cselect_b32 s23, s26, s23
	s_sub_co_i32 s26, s23, s43
	s_cmp_ge_u32 s23, s43
	s_cselect_b32 s23, s26, s23
	s_mov_b32 s26, 0
	s_sub_co_i32 s28, s60, s23
	s_mov_b32 s23, 0
	v_cmpx_gt_u32_e64 s28, v0
	s_cbranch_execz .LBB75_256
; %bb.246:                              ;   in Loop: Header=BB75_6 Depth=1
	v_dual_mov_b32 v8, v21 :: v_dual_mov_b32 v9, v0
                                        ; implicit-def: $sgpr29
	s_branch .LBB75_250
.LBB75_247:                             ;   in Loop: Header=BB75_250 Depth=2
	s_or_b32 exec_lo, exec_lo, s38
	s_wait_dscnt 0x0
	s_barrier_signal -1
	s_barrier_wait -1
	ds_load_b128 v[4:7], v23 offset:3072
	s_wait_dscnt 0x0
	s_barrier_signal -1
	s_barrier_wait -1
	v_cmp_neq_f64_e32 vcc_lo, 0, v[4:5]
	s_cbranch_vccnz .LBB75_253
; %bb.248:                              ;   in Loop: Header=BB75_250 Depth=2
	v_dual_add_nc_u32 v9, s43, v9 :: v_dual_add_nc_u32 v8, s87, v8
	s_mov_b32 s38, 0
	s_delay_alu instid0(VALU_DEP_1)
	v_cmp_le_u32_e32 vcc_lo, s28, v9
	s_or_not1_b32 s39, vcc_lo, exec_lo
.LBB75_249:                             ;   in Loop: Header=BB75_250 Depth=2
	s_delay_alu instid0(SALU_CYCLE_1) | instskip(NEXT) | instid1(SALU_CYCLE_1)
	s_and_b32 s39, exec_lo, s39
	s_or_b32 s23, s39, s23
	s_and_not1_b32 s29, s29, exec_lo
	s_and_b32 s38, s38, exec_lo
	s_delay_alu instid0(SALU_CYCLE_1)
	s_or_b32 s29, s29, s38
	s_and_not1_b32 exec_lo, exec_lo, s23
	s_cbranch_execz .LBB75_255
.LBB75_250:                             ;   Parent Loop BB75_6 Depth=1
                                        ; =>  This Inner Loop Header: Depth=2
	s_mov_b32 s38, exec_lo
	s_delay_alu instid0(VALU_DEP_1)
	v_cmpx_gt_u32_e64 s25, v9
	s_cbranch_execz .LBB75_247
; %bb.251:                              ;   in Loop: Header=BB75_250 Depth=2
	ds_load_b64 v[4:5], v8
	s_wait_dscnt 0x0
	v_cmp_o_f64_e32 vcc_lo, v[4:5], v[4:5]
	v_ashrrev_i32_e32 v2, 31, v5
	s_delay_alu instid0(VALU_DEP_1) | instskip(NEXT) | instid1(VALU_DEP_1)
	v_or_b32_e32 v6, 0x80000000, v2
	v_xor_b32_e32 v6, v6, v5
	s_delay_alu instid0(VALU_DEP_1) | instskip(NEXT) | instid1(VALU_DEP_1)
	v_dual_cndmask_b32 v6, -1, v6, vcc_lo :: v_dual_bitop2_b32 v2, v2, v4 bitop3:0x14
	v_dual_cndmask_b32 v2, -1, v2, vcc_lo :: v_dual_bitop2_b32 v7, v6, v31 bitop3:0x40
	s_delay_alu instid0(VALU_DEP_1) | instskip(NEXT) | instid1(VALU_DEP_1)
	v_and_b32_e32 v6, v2, v30
	v_cmp_eq_u64_e32 vcc_lo, v[6:7], v[26:27]
	s_and_b32 exec_lo, exec_lo, vcc_lo
	s_cbranch_execz .LBB75_247
; %bb.252:                              ;   in Loop: Header=BB75_250 Depth=2
	v_mov_b32_e32 v2, v23
	ds_store_b128 v23, v[2:5] offset:3072
	s_branch .LBB75_247
.LBB75_253:                             ;   in Loop: Header=BB75_250 Depth=2
	s_mov_b32 s39, -1
	s_mov_b32 s38, -1
                                        ; implicit-def: $vgpr9
                                        ; implicit-def: $vgpr8
	s_branch .LBB75_249
.LBB75_254:                             ;   in Loop: Header=BB75_6 Depth=1
	v_mov_b64_e32 v[26:27], v[14:15]
	v_mov_b64_e32 v[30:31], v[12:13]
	;; [unrolled: 1-line block ×3, first 2 shown]
	s_mov_b32 s24, 0
	s_and_saveexec_b32 s10, s21
	s_cbranch_execnz .LBB75_407
	s_branch .LBB75_408
.LBB75_255:                             ;   in Loop: Header=BB75_6 Depth=1
	s_or_b32 exec_lo, exec_lo, s23
	s_delay_alu instid0(SALU_CYCLE_1)
	s_and_b32 s23, s29, exec_lo
.LBB75_256:                             ;   in Loop: Header=BB75_6 Depth=1
	s_or_b32 exec_lo, exec_lo, s27
.LBB75_257:                             ;   in Loop: Header=BB75_6 Depth=1
	s_delay_alu instid0(SALU_CYCLE_1)
	s_and_b32 vcc_lo, exec_lo, s26
	s_cbranch_vccz .LBB75_269
; %bb.258:                              ;   in Loop: Header=BB75_6 Depth=1
                                        ; implicit-def: $vgpr6_vgpr7
	s_and_saveexec_b32 s16, s9
	s_cbranch_execz .LBB75_268
; %bb.259:                              ;   in Loop: Header=BB75_6 Depth=1
	v_dual_mov_b32 v8, v20 :: v_dual_mov_b32 v9, v0
	s_mov_b32 s25, 0
                                        ; implicit-def: $sgpr24
	s_branch .LBB75_263
.LBB75_260:                             ;   in Loop: Header=BB75_263 Depth=2
	s_or_b32 exec_lo, exec_lo, s26
	s_wait_dscnt 0x0
	s_barrier_signal -1
	s_barrier_wait -1
	ds_load_b128 v[4:7], v23 offset:3072
	s_wait_dscnt 0x0
	s_barrier_signal -1
	s_barrier_wait -1
	v_cmp_neq_f64_e32 vcc_lo, 0, v[4:5]
	s_cbranch_vccnz .LBB75_266
; %bb.261:                              ;   in Loop: Header=BB75_263 Depth=2
	v_dual_add_nc_u32 v9, s43, v9 :: v_dual_add_nc_u32 v8, s47, v8
	s_mov_b32 s26, 0
	s_delay_alu instid0(VALU_DEP_1)
	v_cmp_le_u32_e32 vcc_lo, s84, v9
	s_or_not1_b32 s27, vcc_lo, exec_lo
.LBB75_262:                             ;   in Loop: Header=BB75_263 Depth=2
	s_delay_alu instid0(SALU_CYCLE_1) | instskip(NEXT) | instid1(SALU_CYCLE_1)
	s_and_b32 s27, exec_lo, s27
	s_or_b32 s25, s27, s25
	s_and_not1_b32 s24, s24, exec_lo
	s_and_b32 s26, s26, exec_lo
	s_delay_alu instid0(SALU_CYCLE_1)
	s_or_b32 s24, s24, s26
	s_and_not1_b32 exec_lo, exec_lo, s25
	s_cbranch_execz .LBB75_267
.LBB75_263:                             ;   Parent Loop BB75_6 Depth=1
                                        ; =>  This Inner Loop Header: Depth=2
	s_mov_b32 s26, exec_lo
	s_delay_alu instid0(VALU_DEP_1)
	v_cmpx_gt_u32_e64 s36, v9
	s_cbranch_execz .LBB75_260
; %bb.264:                              ;   in Loop: Header=BB75_263 Depth=2
	global_load_b64 v[4:5], v8, s[30:31] scale_offset
	s_wait_loadcnt 0x0
	v_cmp_o_f64_e32 vcc_lo, v[4:5], v[4:5]
	v_ashrrev_i32_e32 v2, 31, v5
	s_delay_alu instid0(VALU_DEP_1) | instskip(NEXT) | instid1(VALU_DEP_1)
	v_or_b32_e32 v6, 0x80000000, v2
	v_xor_b32_e32 v6, v6, v5
	s_delay_alu instid0(VALU_DEP_1) | instskip(NEXT) | instid1(VALU_DEP_1)
	v_dual_cndmask_b32 v6, -1, v6, vcc_lo :: v_dual_bitop2_b32 v2, v2, v4 bitop3:0x14
	v_dual_cndmask_b32 v2, -1, v2, vcc_lo :: v_dual_bitop2_b32 v7, v6, v31 bitop3:0x40
	s_delay_alu instid0(VALU_DEP_1) | instskip(NEXT) | instid1(VALU_DEP_1)
	v_and_b32_e32 v6, v2, v30
	v_cmp_eq_u64_e32 vcc_lo, v[6:7], v[26:27]
	s_and_b32 exec_lo, exec_lo, vcc_lo
	s_cbranch_execz .LBB75_260
; %bb.265:                              ;   in Loop: Header=BB75_263 Depth=2
	v_mov_b32_e32 v2, v23
	ds_store_b128 v23, v[2:5] offset:3072
	s_branch .LBB75_260
.LBB75_266:                             ;   in Loop: Header=BB75_263 Depth=2
	s_mov_b32 s27, -1
	s_mov_b32 s26, -1
                                        ; implicit-def: $vgpr9
                                        ; implicit-def: $vgpr8
	s_branch .LBB75_262
.LBB75_267:                             ;   in Loop: Header=BB75_6 Depth=1
	s_or_b32 exec_lo, exec_lo, s25
	s_delay_alu instid0(SALU_CYCLE_1) | instskip(SKIP_1) | instid1(SALU_CYCLE_1)
	s_and_not1_b32 s23, s23, exec_lo
	s_and_b32 s24, s24, exec_lo
	s_or_b32 s23, s23, s24
.LBB75_268:                             ;   in Loop: Header=BB75_6 Depth=1
	s_or_b32 exec_lo, exec_lo, s16
	s_mov_b32 s16, 0
	s_mov_b32 s24, -1
.LBB75_269:                             ;   in Loop: Header=BB75_6 Depth=1
	s_or_not1_b32 s23, s23, exec_lo
.LBB75_270:                             ;   in Loop: Header=BB75_6 Depth=1
	s_or_b32 exec_lo, exec_lo, s22
                                        ; implicit-def: $vgpr43
                                        ; implicit-def: $vgpr22
	s_and_saveexec_b32 s22, s23
	s_cbranch_execz .LBB75_406
; %bb.271:                              ;   in Loop: Header=BB75_6 Depth=1
	v_dual_mov_b32 v43, 1 :: v_dual_mov_b32 v22, 1
	s_xor_b32 s23, s10, -1
	s_mov_b32 s26, 0
	s_and_saveexec_b32 s10, s23
	s_cbranch_execz .LBB75_280
; %bb.272:                              ;   in Loop: Header=BB75_6 Depth=1
	s_mov_b32 s23, exec_lo
	v_cmpx_ge_u32_e64 s20, v42
	s_xor_b32 s23, exec_lo, s23
	s_cbranch_execz .LBB75_277
; %bb.273:                              ;   in Loop: Header=BB75_6 Depth=1
	ds_load_b32 v2, v23 offset:4096
	v_or_b32_e32 v27, s13, v27
	v_or_b32_e32 v26, s12, v26
	;; [unrolled: 1-line block ×4, first 2 shown]
	s_wait_dscnt 0x0
	v_cmp_ne_u32_e32 vcc_lo, 0, v2
	s_cbranch_vccnz .LBB75_277
; %bb.274:                              ;   in Loop: Header=BB75_6 Depth=1
	s_and_saveexec_b32 s25, s5
; %bb.275:                              ;   in Loop: Header=BB75_6 Depth=1
	v_mov_b32_e32 v2, s20
	ds_store_b32 v23, v2 offset:4100
; %bb.276:                              ;   in Loop: Header=BB75_6 Depth=1
	s_or_b32 exec_lo, exec_lo, s25
	s_wait_dscnt 0x0
	s_barrier_signal -1
	s_barrier_wait -1
.LBB75_277:                             ;   in Loop: Header=BB75_6 Depth=1
	s_or_saveexec_b32 s23, s23
	v_mov_b32_e32 v22, 5
	s_mov_b32 s25, 0
	s_xor_b32 exec_lo, exec_lo, s23
; %bb.278:                              ;   in Loop: Header=BB75_6 Depth=1
	v_subrev_nc_u32_e32 v42, s20, v42
	v_mov_b32_e32 v22, 0
	s_mov_b32 s25, exec_lo
; %bb.279:                              ;   in Loop: Header=BB75_6 Depth=1
	s_or_b32 exec_lo, exec_lo, s23
	s_delay_alu instid0(VALU_DEP_2)
	v_mov_b32_e32 v43, v42
	s_and_b32 s26, s25, exec_lo
.LBB75_280:                             ;   in Loop: Header=BB75_6 Depth=1
	s_or_b32 exec_lo, exec_lo, s10
	s_mov_b32 s25, -1
                                        ; implicit-def: $sgpr20
                                        ; implicit-def: $sgpr23
	s_and_saveexec_b32 s10, s26
	s_delay_alu instid0(SALU_CYCLE_1)
	s_xor_b32 s10, exec_lo, s10
	s_cbranch_execz .LBB75_403
; %bb.281:                              ;   in Loop: Header=BB75_6 Depth=1
	v_cmp_eq_u32_e32 vcc_lo, 1, v43
	s_cmp_eq_u32 s19, 1
	s_mov_b32 s27, -1
	s_cselect_b32 s20, -1, 0
                                        ; implicit-def: $sgpr23
	s_delay_alu instid0(SALU_CYCLE_1) | instskip(NEXT) | instid1(SALU_CYCLE_1)
	s_and_b32 s26, s20, vcc_lo
                                        ; implicit-def: $sgpr20
	s_and_saveexec_b32 s25, s26
	s_cbranch_execz .LBB75_309
; %bb.282:                              ;   in Loop: Header=BB75_6 Depth=1
	ds_load_b32 v2, v23 offset:4096
	s_wait_dscnt 0x0
	s_barrier_signal -1
	s_barrier_wait -1
	v_readfirstlane_b32 s28, v2
	s_and_saveexec_b32 s20, s6
; %bb.283:                              ;   in Loop: Header=BB75_6 Depth=1
	ds_store_b64 v32, v[28:29]
; %bb.284:                              ;   in Loop: Header=BB75_6 Depth=1
	s_or_b32 exec_lo, exec_lo, s20
	v_and_b32_e32 v2, s15, v27
	v_and_b32_e32 v4, s14, v26
	s_lshl_b64 s[38:39], 2, s88
	v_or_b32_e32 v31, s13, v31
	v_or_b32_e32 v30, s12, v30
	v_or_b32_e32 v27, s39, v2
	v_or_b32_e32 v26, s38, v4
	s_mov_b32 s20, -1
	s_mov_b32 s23, 0
	s_cmp_eq_u32 s28, 0
	s_mov_b32 s27, 0
	s_mov_b32 s29, -1
	s_wait_dscnt 0x0
	s_barrier_signal -1
	s_barrier_wait -1
                                        ; implicit-def: $vgpr6_vgpr7
	s_cbranch_scc1 .LBB75_296
; %bb.285:                              ;   in Loop: Header=BB75_6 Depth=1
	s_add_co_i32 s60, s28, s78
	s_mov_b32 s44, exec_lo
	s_mul_u64 s[38:39], s[60:61], s[64:65]
                                        ; implicit-def: $vgpr6_vgpr7
	s_delay_alu instid0(SALU_CYCLE_1) | instskip(NEXT) | instid1(SALU_CYCLE_1)
	s_mul_i32 s27, s39, s43
	s_sub_co_i32 s27, s60, s27
	s_delay_alu instid0(SALU_CYCLE_1) | instskip(SKIP_2) | instid1(SALU_CYCLE_1)
	s_sub_co_i32 s29, s27, s43
	s_cmp_ge_u32 s27, s43
	s_cselect_b32 s27, s29, s27
	s_sub_co_i32 s29, s27, s43
	s_cmp_ge_u32 s27, s43
	s_cselect_b32 s27, s29, s27
	s_mov_b32 s29, 0
	s_sub_co_i32 s45, s60, s27
	s_mov_b32 s27, 0
	v_cmpx_gt_u32_e64 s45, v0
	s_cbranch_execz .LBB75_295
; %bb.286:                              ;   in Loop: Header=BB75_6 Depth=1
	v_dual_mov_b32 v8, v21 :: v_dual_mov_b32 v9, v0
                                        ; implicit-def: $sgpr46
	s_branch .LBB75_290
.LBB75_287:                             ;   in Loop: Header=BB75_290 Depth=2
	s_or_b32 exec_lo, exec_lo, s38
	s_wait_dscnt 0x0
	s_barrier_signal -1
	s_barrier_wait -1
	ds_load_b128 v[4:7], v23 offset:3072
	s_wait_dscnt 0x0
	s_barrier_signal -1
	s_barrier_wait -1
	v_cmp_neq_f64_e32 vcc_lo, 0, v[4:5]
	s_cbranch_vccnz .LBB75_293
; %bb.288:                              ;   in Loop: Header=BB75_290 Depth=2
	v_dual_add_nc_u32 v9, s43, v9 :: v_dual_add_nc_u32 v8, s87, v8
	s_mov_b32 s38, 0
	s_delay_alu instid0(VALU_DEP_1)
	v_cmp_le_u32_e32 vcc_lo, s45, v9
	s_or_not1_b32 s39, vcc_lo, exec_lo
.LBB75_289:                             ;   in Loop: Header=BB75_290 Depth=2
	s_delay_alu instid0(SALU_CYCLE_1) | instskip(NEXT) | instid1(SALU_CYCLE_1)
	s_and_b32 s39, exec_lo, s39
	s_or_b32 s27, s39, s27
	s_and_not1_b32 s39, s46, exec_lo
	s_and_b32 s38, s38, exec_lo
	s_delay_alu instid0(SALU_CYCLE_1)
	s_or_b32 s46, s39, s38
	s_and_not1_b32 exec_lo, exec_lo, s27
	s_cbranch_execz .LBB75_294
.LBB75_290:                             ;   Parent Loop BB75_6 Depth=1
                                        ; =>  This Inner Loop Header: Depth=2
	s_mov_b32 s38, exec_lo
	s_delay_alu instid0(VALU_DEP_1)
	v_cmpx_gt_u32_e64 s28, v9
	s_cbranch_execz .LBB75_287
; %bb.291:                              ;   in Loop: Header=BB75_290 Depth=2
	ds_load_b64 v[4:5], v8
	s_wait_dscnt 0x0
	v_cmp_o_f64_e32 vcc_lo, v[4:5], v[4:5]
	v_ashrrev_i32_e32 v2, 31, v5
	s_delay_alu instid0(VALU_DEP_1) | instskip(NEXT) | instid1(VALU_DEP_1)
	v_or_b32_e32 v6, 0x80000000, v2
	v_xor_b32_e32 v6, v6, v5
	s_delay_alu instid0(VALU_DEP_1) | instskip(NEXT) | instid1(VALU_DEP_1)
	v_dual_cndmask_b32 v6, -1, v6, vcc_lo :: v_dual_bitop2_b32 v2, v2, v4 bitop3:0x14
	v_dual_cndmask_b32 v2, -1, v2, vcc_lo :: v_dual_bitop2_b32 v7, v6, v31 bitop3:0x40
	s_delay_alu instid0(VALU_DEP_1) | instskip(NEXT) | instid1(VALU_DEP_1)
	v_and_b32_e32 v6, v2, v30
	v_cmp_eq_u64_e32 vcc_lo, v[6:7], v[26:27]
	s_and_b32 exec_lo, exec_lo, vcc_lo
	s_cbranch_execz .LBB75_287
; %bb.292:                              ;   in Loop: Header=BB75_290 Depth=2
	v_mov_b32_e32 v2, v23
	ds_store_b128 v23, v[2:5] offset:3072
	s_branch .LBB75_287
.LBB75_293:                             ;   in Loop: Header=BB75_290 Depth=2
	s_mov_b32 s39, -1
	s_mov_b32 s38, -1
                                        ; implicit-def: $vgpr9
                                        ; implicit-def: $vgpr8
	s_branch .LBB75_289
.LBB75_294:                             ;   in Loop: Header=BB75_6 Depth=1
	s_or_b32 exec_lo, exec_lo, s27
	s_delay_alu instid0(SALU_CYCLE_1)
	s_and_b32 s27, s46, exec_lo
.LBB75_295:                             ;   in Loop: Header=BB75_6 Depth=1
	s_or_b32 exec_lo, exec_lo, s44
.LBB75_296:                             ;   in Loop: Header=BB75_6 Depth=1
	s_delay_alu instid0(SALU_CYCLE_1)
	s_and_b32 vcc_lo, exec_lo, s29
	s_cbranch_vccz .LBB75_308
; %bb.297:                              ;   in Loop: Header=BB75_6 Depth=1
                                        ; implicit-def: $vgpr6_vgpr7
	s_and_saveexec_b32 s20, s9
	s_cbranch_execz .LBB75_307
; %bb.298:                              ;   in Loop: Header=BB75_6 Depth=1
	v_dual_mov_b32 v8, v20 :: v_dual_mov_b32 v9, v0
	s_mov_b32 s23, 0
                                        ; implicit-def: $sgpr28
	s_branch .LBB75_302
.LBB75_299:                             ;   in Loop: Header=BB75_302 Depth=2
	s_or_b32 exec_lo, exec_lo, s29
	s_wait_dscnt 0x0
	s_barrier_signal -1
	s_barrier_wait -1
	ds_load_b128 v[4:7], v23 offset:3072
	s_wait_dscnt 0x0
	s_barrier_signal -1
	s_barrier_wait -1
	v_cmp_eq_f64_e32 vcc_lo, 0, v[4:5]
	s_cbranch_vccz .LBB75_305
; %bb.300:                              ;   in Loop: Header=BB75_302 Depth=2
	v_dual_add_nc_u32 v9, s43, v9 :: v_dual_add_nc_u32 v8, s47, v8
	s_mov_b32 s29, 0
	s_delay_alu instid0(VALU_DEP_1)
	v_cmp_le_u32_e32 vcc_lo, s84, v9
	s_or_not1_b32 s38, vcc_lo, exec_lo
.LBB75_301:                             ;   in Loop: Header=BB75_302 Depth=2
	s_delay_alu instid0(SALU_CYCLE_1) | instskip(NEXT) | instid1(SALU_CYCLE_1)
	s_and_b32 s38, exec_lo, s38
	s_or_b32 s23, s38, s23
	s_and_not1_b32 s28, s28, exec_lo
	s_and_b32 s29, s29, exec_lo
	s_delay_alu instid0(SALU_CYCLE_1)
	s_or_b32 s28, s28, s29
	s_and_not1_b32 exec_lo, exec_lo, s23
	s_cbranch_execz .LBB75_306
.LBB75_302:                             ;   Parent Loop BB75_6 Depth=1
                                        ; =>  This Inner Loop Header: Depth=2
	s_mov_b32 s29, exec_lo
	s_delay_alu instid0(VALU_DEP_1)
	v_cmpx_gt_u32_e64 s36, v9
	s_cbranch_execz .LBB75_299
; %bb.303:                              ;   in Loop: Header=BB75_302 Depth=2
	global_load_b64 v[4:5], v8, s[30:31] scale_offset
	s_wait_loadcnt 0x0
	v_cmp_o_f64_e32 vcc_lo, v[4:5], v[4:5]
	v_ashrrev_i32_e32 v2, 31, v5
	s_delay_alu instid0(VALU_DEP_1) | instskip(NEXT) | instid1(VALU_DEP_1)
	v_or_b32_e32 v6, 0x80000000, v2
	v_xor_b32_e32 v6, v6, v5
	s_delay_alu instid0(VALU_DEP_1) | instskip(NEXT) | instid1(VALU_DEP_1)
	v_dual_cndmask_b32 v6, -1, v6, vcc_lo :: v_dual_bitop2_b32 v2, v2, v4 bitop3:0x14
	v_dual_cndmask_b32 v2, -1, v2, vcc_lo :: v_dual_bitop2_b32 v7, v6, v31 bitop3:0x40
	s_delay_alu instid0(VALU_DEP_1) | instskip(NEXT) | instid1(VALU_DEP_1)
	v_and_b32_e32 v6, v2, v30
	v_cmp_eq_u64_e32 vcc_lo, v[6:7], v[26:27]
	s_and_b32 exec_lo, exec_lo, vcc_lo
	s_cbranch_execz .LBB75_299
; %bb.304:                              ;   in Loop: Header=BB75_302 Depth=2
	v_mov_b32_e32 v2, v23
	ds_store_b128 v23, v[2:5] offset:3072
	s_branch .LBB75_299
.LBB75_305:                             ;   in Loop: Header=BB75_302 Depth=2
	s_mov_b32 s38, -1
	s_mov_b32 s29, -1
                                        ; implicit-def: $vgpr9
                                        ; implicit-def: $vgpr8
	s_branch .LBB75_301
.LBB75_306:                             ;   in Loop: Header=BB75_6 Depth=1
	s_or_b32 exec_lo, exec_lo, s23
	s_delay_alu instid0(SALU_CYCLE_1) | instskip(SKIP_1) | instid1(SALU_CYCLE_1)
	s_and_not1_b32 s23, s27, exec_lo
	s_and_b32 s27, s28, exec_lo
	s_or_b32 s27, s23, s27
.LBB75_307:                             ;   in Loop: Header=BB75_6 Depth=1
	s_or_b32 exec_lo, exec_lo, s20
	s_mov_b32 s20, 0
	s_mov_b32 s23, -1
.LBB75_308:                             ;   in Loop: Header=BB75_6 Depth=1
	s_or_not1_b32 s27, s27, exec_lo
.LBB75_309:                             ;   in Loop: Header=BB75_6 Depth=1
	s_or_b32 exec_lo, exec_lo, s25
	s_mov_b32 s28, 0
	s_and_saveexec_b32 s25, s27
	s_cbranch_execz .LBB75_402
; %bb.310:                              ;   in Loop: Header=BB75_6 Depth=1
	v_dual_mov_b32 v8, 1 :: v_dual_mov_b32 v22, 1
	s_xor_b32 s27, s26, -1
	s_mov_b32 s29, 0
	s_and_saveexec_b32 s26, s27
	s_cbranch_execz .LBB75_319
; %bb.311:                              ;   in Loop: Header=BB75_6 Depth=1
	s_mov_b32 s27, exec_lo
	v_cmpx_ge_u32_e64 s19, v43
	s_xor_b32 s27, exec_lo, s27
	s_cbranch_execz .LBB75_316
; %bb.312:                              ;   in Loop: Header=BB75_6 Depth=1
	ds_load_b32 v2, v23 offset:4096
	v_and_b32_e32 v4, s15, v27
	v_and_b32_e32 v5, s14, v26
	s_lshl_b64 s[28:29], 2, s88
	v_or_b32_e32 v31, s13, v31
	v_or_b32_e32 v30, s12, v30
	;; [unrolled: 1-line block ×4, first 2 shown]
	s_wait_dscnt 0x0
	v_cmp_ne_u32_e32 vcc_lo, 0, v2
	s_cbranch_vccnz .LBB75_316
; %bb.313:                              ;   in Loop: Header=BB75_6 Depth=1
	s_and_saveexec_b32 s28, s5
; %bb.314:                              ;   in Loop: Header=BB75_6 Depth=1
	v_mov_b32_e32 v2, s19
	ds_store_b32 v23, v2 offset:4100
; %bb.315:                              ;   in Loop: Header=BB75_6 Depth=1
	s_or_b32 exec_lo, exec_lo, s28
	s_wait_dscnt 0x0
	s_barrier_signal -1
	s_barrier_wait -1
.LBB75_316:                             ;   in Loop: Header=BB75_6 Depth=1
	s_or_saveexec_b32 s27, s27
	v_mov_b32_e32 v22, 5
	s_mov_b32 s28, 0
	s_xor_b32 exec_lo, exec_lo, s27
; %bb.317:                              ;   in Loop: Header=BB75_6 Depth=1
	v_subrev_nc_u32_e32 v43, s19, v43
	v_mov_b32_e32 v22, 0
	s_mov_b32 s28, exec_lo
; %bb.318:                              ;   in Loop: Header=BB75_6 Depth=1
	s_or_b32 exec_lo, exec_lo, s27
	s_delay_alu instid0(VALU_DEP_2)
	v_mov_b32_e32 v8, v43
	s_and_b32 s29, s28, exec_lo
.LBB75_319:                             ;   in Loop: Header=BB75_6 Depth=1
	s_or_b32 exec_lo, exec_lo, s26
	s_mov_b32 s28, -1
                                        ; implicit-def: $sgpr26
                                        ; implicit-def: $sgpr27
	s_and_saveexec_b32 s19, s29
	s_cbranch_execz .LBB75_401
; %bb.320:                              ;   in Loop: Header=BB75_6 Depth=1
	v_cmp_eq_u32_e32 vcc_lo, 1, v8
	s_cmp_eq_u32 s18, 1
	s_mov_b32 s44, -1
	s_cselect_b32 s26, -1, 0
                                        ; implicit-def: $sgpr27
	s_delay_alu instid0(SALU_CYCLE_1) | instskip(NEXT) | instid1(SALU_CYCLE_1)
	s_and_b32 s29, s26, vcc_lo
                                        ; implicit-def: $sgpr26
	s_and_saveexec_b32 s28, s29
	s_cbranch_execz .LBB75_348
; %bb.321:                              ;   in Loop: Header=BB75_6 Depth=1
	ds_load_b32 v2, v23 offset:4096
	s_wait_dscnt 0x0
	s_barrier_signal -1
	s_barrier_wait -1
	v_readfirstlane_b32 s68, v2
	s_and_saveexec_b32 s26, s6
; %bb.322:                              ;   in Loop: Header=BB75_6 Depth=1
	ds_store_b64 v32, v[28:29]
; %bb.323:                              ;   in Loop: Header=BB75_6 Depth=1
	s_or_b32 exec_lo, exec_lo, s26
	v_and_b32_e32 v2, s15, v27
	v_and_b32_e32 v4, s14, v26
	s_lshl_b64 s[26:27], 1, s88
	v_or_b32_e32 v31, s13, v31
	v_or_b32_e32 v30, s12, v30
	;; [unrolled: 1-line block ×4, first 2 shown]
	s_mov_b32 s26, -1
	s_mov_b32 s27, 0
	s_cmp_eq_u32 s68, 0
	s_mov_b32 s60, 0
	s_mov_b32 s69, -1
	s_wait_dscnt 0x0
	s_barrier_signal -1
	s_barrier_wait -1
                                        ; implicit-def: $vgpr6_vgpr7
	s_cbranch_scc1 .LBB75_335
; %bb.324:                              ;   in Loop: Header=BB75_6 Depth=1
	s_add_co_i32 s60, s68, s78
	s_mov_b32 s69, 0
	s_mul_u64 s[38:39], s[60:61], s[64:65]
	s_mov_b32 s44, exec_lo
	s_mul_i32 s38, s39, s43
                                        ; implicit-def: $vgpr6_vgpr7
	s_delay_alu instid0(SALU_CYCLE_1) | instskip(NEXT) | instid1(SALU_CYCLE_1)
	s_sub_co_i32 s38, s60, s38
	s_sub_co_i32 s39, s38, s43
	s_cmp_ge_u32 s38, s43
	s_cselect_b32 s38, s39, s38
	s_delay_alu instid0(SALU_CYCLE_1) | instskip(SKIP_2) | instid1(SALU_CYCLE_1)
	s_sub_co_i32 s39, s38, s43
	s_cmp_ge_u32 s38, s43
	s_cselect_b32 s38, s39, s38
	s_sub_co_i32 s45, s60, s38
	s_mov_b32 s60, 0
	v_cmpx_gt_u32_e64 s45, v0
	s_cbranch_execz .LBB75_334
; %bb.325:                              ;   in Loop: Header=BB75_6 Depth=1
	v_dual_mov_b32 v9, v21 :: v_dual_mov_b32 v10, v0
	s_mov_b32 s46, 0
                                        ; implicit-def: $sgpr60
	s_branch .LBB75_329
.LBB75_326:                             ;   in Loop: Header=BB75_329 Depth=2
	s_or_b32 exec_lo, exec_lo, s38
	s_wait_dscnt 0x0
	s_barrier_signal -1
	s_barrier_wait -1
	ds_load_b128 v[4:7], v23 offset:3072
	s_wait_dscnt 0x0
	s_barrier_signal -1
	s_barrier_wait -1
	v_cmp_neq_f64_e32 vcc_lo, 0, v[4:5]
	s_cbranch_vccnz .LBB75_332
; %bb.327:                              ;   in Loop: Header=BB75_329 Depth=2
	v_dual_add_nc_u32 v10, s43, v10 :: v_dual_add_nc_u32 v9, s87, v9
	s_mov_b32 s38, 0
	s_delay_alu instid0(VALU_DEP_1)
	v_cmp_le_u32_e32 vcc_lo, s45, v10
	s_or_not1_b32 s39, vcc_lo, exec_lo
.LBB75_328:                             ;   in Loop: Header=BB75_329 Depth=2
	s_delay_alu instid0(SALU_CYCLE_1) | instskip(NEXT) | instid1(SALU_CYCLE_1)
	s_and_b32 s39, exec_lo, s39
	s_or_b32 s46, s39, s46
	s_and_not1_b32 s39, s60, exec_lo
	s_and_b32 s38, s38, exec_lo
	s_delay_alu instid0(SALU_CYCLE_1)
	s_or_b32 s60, s39, s38
	s_and_not1_b32 exec_lo, exec_lo, s46
	s_cbranch_execz .LBB75_333
.LBB75_329:                             ;   Parent Loop BB75_6 Depth=1
                                        ; =>  This Inner Loop Header: Depth=2
	s_mov_b32 s38, exec_lo
	s_delay_alu instid0(VALU_DEP_1)
	v_cmpx_gt_u32_e64 s68, v10
	s_cbranch_execz .LBB75_326
; %bb.330:                              ;   in Loop: Header=BB75_329 Depth=2
	ds_load_b64 v[4:5], v9
	s_wait_dscnt 0x0
	v_cmp_o_f64_e32 vcc_lo, v[4:5], v[4:5]
	v_ashrrev_i32_e32 v2, 31, v5
	s_delay_alu instid0(VALU_DEP_1) | instskip(NEXT) | instid1(VALU_DEP_1)
	v_or_b32_e32 v6, 0x80000000, v2
	v_xor_b32_e32 v6, v6, v5
	s_delay_alu instid0(VALU_DEP_1) | instskip(NEXT) | instid1(VALU_DEP_1)
	v_dual_cndmask_b32 v6, -1, v6, vcc_lo :: v_dual_bitop2_b32 v2, v2, v4 bitop3:0x14
	v_dual_cndmask_b32 v2, -1, v2, vcc_lo :: v_dual_bitop2_b32 v7, v6, v31 bitop3:0x40
	s_delay_alu instid0(VALU_DEP_1) | instskip(NEXT) | instid1(VALU_DEP_1)
	v_and_b32_e32 v6, v2, v30
	v_cmp_eq_u64_e32 vcc_lo, v[6:7], v[26:27]
	s_and_b32 exec_lo, exec_lo, vcc_lo
	s_cbranch_execz .LBB75_326
; %bb.331:                              ;   in Loop: Header=BB75_329 Depth=2
	v_mov_b32_e32 v2, v23
	ds_store_b128 v23, v[2:5] offset:3072
	s_branch .LBB75_326
.LBB75_332:                             ;   in Loop: Header=BB75_329 Depth=2
	s_mov_b32 s39, -1
	s_mov_b32 s38, -1
                                        ; implicit-def: $vgpr10
                                        ; implicit-def: $vgpr9
	s_branch .LBB75_328
.LBB75_333:                             ;   in Loop: Header=BB75_6 Depth=1
	s_or_b32 exec_lo, exec_lo, s46
	s_delay_alu instid0(SALU_CYCLE_1)
	s_and_b32 s60, s60, exec_lo
.LBB75_334:                             ;   in Loop: Header=BB75_6 Depth=1
	s_or_b32 exec_lo, exec_lo, s44
.LBB75_335:                             ;   in Loop: Header=BB75_6 Depth=1
	s_delay_alu instid0(SALU_CYCLE_1)
	s_and_b32 vcc_lo, exec_lo, s69
	s_cbranch_vccz .LBB75_347
; %bb.336:                              ;   in Loop: Header=BB75_6 Depth=1
                                        ; implicit-def: $vgpr6_vgpr7
	s_and_saveexec_b32 s26, s9
	s_cbranch_execz .LBB75_346
; %bb.337:                              ;   in Loop: Header=BB75_6 Depth=1
	v_dual_mov_b32 v9, v20 :: v_dual_mov_b32 v10, v0
	s_mov_b32 s27, 0
                                        ; implicit-def: $sgpr44
	s_branch .LBB75_341
.LBB75_338:                             ;   in Loop: Header=BB75_341 Depth=2
	s_or_b32 exec_lo, exec_lo, s38
	s_wait_dscnt 0x0
	s_barrier_signal -1
	s_barrier_wait -1
	ds_load_b128 v[4:7], v23 offset:3072
	s_wait_dscnt 0x0
	s_barrier_signal -1
	s_barrier_wait -1
	v_cmp_eq_f64_e32 vcc_lo, 0, v[4:5]
	s_cbranch_vccz .LBB75_344
; %bb.339:                              ;   in Loop: Header=BB75_341 Depth=2
	v_dual_add_nc_u32 v10, s43, v10 :: v_dual_add_nc_u32 v9, s47, v9
	s_mov_b32 s38, 0
	s_delay_alu instid0(VALU_DEP_1)
	v_cmp_le_u32_e32 vcc_lo, s84, v10
	s_or_not1_b32 s39, vcc_lo, exec_lo
.LBB75_340:                             ;   in Loop: Header=BB75_341 Depth=2
	s_delay_alu instid0(SALU_CYCLE_1) | instskip(NEXT) | instid1(SALU_CYCLE_1)
	s_and_b32 s39, exec_lo, s39
	s_or_b32 s27, s39, s27
	s_and_not1_b32 s39, s44, exec_lo
	s_and_b32 s38, s38, exec_lo
	s_delay_alu instid0(SALU_CYCLE_1)
	s_or_b32 s44, s39, s38
	s_and_not1_b32 exec_lo, exec_lo, s27
	s_cbranch_execz .LBB75_345
.LBB75_341:                             ;   Parent Loop BB75_6 Depth=1
                                        ; =>  This Inner Loop Header: Depth=2
	s_mov_b32 s38, exec_lo
	s_delay_alu instid0(VALU_DEP_1)
	v_cmpx_gt_u32_e64 s36, v10
	s_cbranch_execz .LBB75_338
; %bb.342:                              ;   in Loop: Header=BB75_341 Depth=2
	global_load_b64 v[4:5], v9, s[30:31] scale_offset
	s_wait_loadcnt 0x0
	v_cmp_o_f64_e32 vcc_lo, v[4:5], v[4:5]
	v_ashrrev_i32_e32 v2, 31, v5
	s_delay_alu instid0(VALU_DEP_1) | instskip(NEXT) | instid1(VALU_DEP_1)
	v_or_b32_e32 v6, 0x80000000, v2
	v_xor_b32_e32 v6, v6, v5
	s_delay_alu instid0(VALU_DEP_1) | instskip(NEXT) | instid1(VALU_DEP_1)
	v_dual_cndmask_b32 v6, -1, v6, vcc_lo :: v_dual_bitop2_b32 v2, v2, v4 bitop3:0x14
	v_dual_cndmask_b32 v2, -1, v2, vcc_lo :: v_dual_bitop2_b32 v7, v6, v31 bitop3:0x40
	s_delay_alu instid0(VALU_DEP_1) | instskip(NEXT) | instid1(VALU_DEP_1)
	v_and_b32_e32 v6, v2, v30
	v_cmp_eq_u64_e32 vcc_lo, v[6:7], v[26:27]
	s_and_b32 exec_lo, exec_lo, vcc_lo
	s_cbranch_execz .LBB75_338
; %bb.343:                              ;   in Loop: Header=BB75_341 Depth=2
	v_mov_b32_e32 v2, v23
	ds_store_b128 v23, v[2:5] offset:3072
	s_branch .LBB75_338
.LBB75_344:                             ;   in Loop: Header=BB75_341 Depth=2
	s_mov_b32 s39, -1
	s_mov_b32 s38, -1
                                        ; implicit-def: $vgpr10
                                        ; implicit-def: $vgpr9
	s_branch .LBB75_340
.LBB75_345:                             ;   in Loop: Header=BB75_6 Depth=1
	s_or_b32 exec_lo, exec_lo, s27
	s_delay_alu instid0(SALU_CYCLE_1) | instskip(SKIP_1) | instid1(SALU_CYCLE_1)
	s_and_not1_b32 s27, s60, exec_lo
	s_and_b32 s38, s44, exec_lo
	s_or_b32 s60, s27, s38
.LBB75_346:                             ;   in Loop: Header=BB75_6 Depth=1
	s_or_b32 exec_lo, exec_lo, s26
	s_mov_b32 s26, 0
	s_mov_b32 s27, -1
.LBB75_347:                             ;   in Loop: Header=BB75_6 Depth=1
	s_or_not1_b32 s44, s60, exec_lo
.LBB75_348:                             ;   in Loop: Header=BB75_6 Depth=1
	s_or_b32 exec_lo, exec_lo, s28
	s_mov_b32 s38, 0
	s_and_saveexec_b32 s28, s44
	s_cbranch_execz .LBB75_400
; %bb.349:                              ;   in Loop: Header=BB75_6 Depth=1
	v_dual_mov_b32 v9, 1 :: v_dual_mov_b32 v22, 1
	s_xor_b32 s39, s29, -1
	s_delay_alu instid0(SALU_CYCLE_1)
	s_and_saveexec_b32 s29, s39
	s_cbranch_execz .LBB75_358
; %bb.350:                              ;   in Loop: Header=BB75_6 Depth=1
	s_mov_b32 s38, exec_lo
	v_cmpx_ge_u32_e64 s18, v8
	s_xor_b32 s44, exec_lo, s38
	s_cbranch_execz .LBB75_355
; %bb.351:                              ;   in Loop: Header=BB75_6 Depth=1
	ds_load_b32 v2, v23 offset:4096
	v_and_b32_e32 v4, s15, v27
	v_and_b32_e32 v5, s14, v26
	s_lshl_b64 s[38:39], 1, s88
	v_or_b32_e32 v31, s13, v31
	v_or_b32_e32 v30, s12, v30
	;; [unrolled: 1-line block ×4, first 2 shown]
	s_wait_dscnt 0x0
	v_cmp_ne_u32_e32 vcc_lo, 0, v2
	s_cbranch_vccnz .LBB75_355
; %bb.352:                              ;   in Loop: Header=BB75_6 Depth=1
	s_and_saveexec_b32 s38, s5
; %bb.353:                              ;   in Loop: Header=BB75_6 Depth=1
	v_mov_b32_e32 v2, s18
	ds_store_b32 v23, v2 offset:4100
; %bb.354:                              ;   in Loop: Header=BB75_6 Depth=1
	s_or_b32 exec_lo, exec_lo, s38
	s_wait_dscnt 0x0
	s_barrier_signal -1
	s_barrier_wait -1
.LBB75_355:                             ;   in Loop: Header=BB75_6 Depth=1
	s_or_saveexec_b32 s38, s44
	v_mov_b32_e32 v22, 5
	s_mov_b32 s39, 0
	s_xor_b32 exec_lo, exec_lo, s38
; %bb.356:                              ;   in Loop: Header=BB75_6 Depth=1
	v_subrev_nc_u32_e32 v8, s18, v8
	v_mov_b32_e32 v22, 0
	s_mov_b32 s39, exec_lo
; %bb.357:                              ;   in Loop: Header=BB75_6 Depth=1
	s_or_b32 exec_lo, exec_lo, s38
	s_delay_alu instid0(VALU_DEP_2)
	v_mov_b32_e32 v9, v8
	s_and_b32 s38, s39, exec_lo
.LBB75_358:                             ;   in Loop: Header=BB75_6 Depth=1
	s_or_b32 exec_lo, exec_lo, s29
	s_mov_b32 s29, -1
                                        ; implicit-def: $sgpr69
                                        ; implicit-def: $sgpr68
	s_and_saveexec_b32 s18, s38
	s_cbranch_execz .LBB75_399
; %bb.359:                              ;   in Loop: Header=BB75_6 Depth=1
	v_cmp_eq_u32_e32 vcc_lo, 1, v9
	s_cmp_eq_u32 s17, 1
	s_mov_b32 s38, -1
	s_cselect_b32 s29, -1, 0
                                        ; implicit-def: $sgpr69
                                        ; implicit-def: $sgpr68
	s_delay_alu instid0(SALU_CYCLE_1) | instskip(NEXT) | instid1(SALU_CYCLE_1)
	s_and_b32 s29, s29, vcc_lo
	s_and_saveexec_b32 s70, s29
	s_cbranch_execz .LBB75_387
; %bb.360:                              ;   in Loop: Header=BB75_6 Depth=1
	ds_load_b32 v2, v23 offset:4096
	s_wait_dscnt 0x0
	s_barrier_signal -1
	s_barrier_wait -1
	v_readfirstlane_b32 s71, v2
	s_and_saveexec_b32 s38, s6
; %bb.361:                              ;   in Loop: Header=BB75_6 Depth=1
	ds_store_b64 v32, v[28:29]
; %bb.362:                              ;   in Loop: Header=BB75_6 Depth=1
	s_or_b32 exec_lo, exec_lo, s38
	v_and_b32_e32 v27, s15, v27
	v_and_b32_e32 v26, s14, v26
	v_or_b32_e32 v31, s13, v31
	v_or_b32_e32 v30, s12, v30
	s_mov_b32 s68, -1
	s_mov_b32 s69, 0
	s_cmp_eq_u32 s71, 0
	s_mov_b32 s60, 0
	s_mov_b32 s101, -1
	s_wait_dscnt 0x0
	s_barrier_signal -1
	s_barrier_wait -1
                                        ; implicit-def: $vgpr6_vgpr7
	s_cbranch_scc1 .LBB75_374
; %bb.363:                              ;   in Loop: Header=BB75_6 Depth=1
	s_add_co_i32 s60, s71, s78
	s_mov_b32 s101, 0
	s_mul_u64 s[38:39], s[60:61], s[64:65]
	s_mov_b32 s44, exec_lo
	s_mul_i32 s38, s39, s43
                                        ; implicit-def: $vgpr6_vgpr7
	s_delay_alu instid0(SALU_CYCLE_1) | instskip(NEXT) | instid1(SALU_CYCLE_1)
	s_sub_co_i32 s38, s60, s38
	s_sub_co_i32 s39, s38, s43
	s_cmp_ge_u32 s38, s43
	s_cselect_b32 s38, s39, s38
	s_delay_alu instid0(SALU_CYCLE_1) | instskip(SKIP_2) | instid1(SALU_CYCLE_1)
	s_sub_co_i32 s39, s38, s43
	s_cmp_ge_u32 s38, s43
	s_cselect_b32 s38, s39, s38
	s_sub_co_i32 s45, s60, s38
	s_mov_b32 s60, 0
	v_cmpx_gt_u32_e64 s45, v0
	s_cbranch_execz .LBB75_373
; %bb.364:                              ;   in Loop: Header=BB75_6 Depth=1
	v_dual_mov_b32 v8, v21 :: v_dual_mov_b32 v10, v0
	s_mov_b32 s46, 0
                                        ; implicit-def: $sgpr60
	s_branch .LBB75_368
.LBB75_365:                             ;   in Loop: Header=BB75_368 Depth=2
	s_or_b32 exec_lo, exec_lo, s38
	s_wait_dscnt 0x0
	s_barrier_signal -1
	s_barrier_wait -1
	ds_load_b128 v[4:7], v23 offset:3072
	s_wait_dscnt 0x0
	s_barrier_signal -1
	s_barrier_wait -1
	v_cmp_neq_f64_e32 vcc_lo, 0, v[4:5]
	s_cbranch_vccnz .LBB75_371
; %bb.366:                              ;   in Loop: Header=BB75_368 Depth=2
	v_dual_add_nc_u32 v10, s43, v10 :: v_dual_add_nc_u32 v8, s87, v8
	s_mov_b32 s38, 0
	s_delay_alu instid0(VALU_DEP_1)
	v_cmp_le_u32_e32 vcc_lo, s45, v10
	s_or_not1_b32 s39, vcc_lo, exec_lo
.LBB75_367:                             ;   in Loop: Header=BB75_368 Depth=2
	s_delay_alu instid0(SALU_CYCLE_1) | instskip(NEXT) | instid1(SALU_CYCLE_1)
	s_and_b32 s39, exec_lo, s39
	s_or_b32 s46, s39, s46
	s_and_not1_b32 s39, s60, exec_lo
	s_and_b32 s38, s38, exec_lo
	s_delay_alu instid0(SALU_CYCLE_1)
	s_or_b32 s60, s39, s38
	s_and_not1_b32 exec_lo, exec_lo, s46
	s_cbranch_execz .LBB75_372
.LBB75_368:                             ;   Parent Loop BB75_6 Depth=1
                                        ; =>  This Inner Loop Header: Depth=2
	s_mov_b32 s38, exec_lo
	s_delay_alu instid0(VALU_DEP_1)
	v_cmpx_gt_u32_e64 s71, v10
	s_cbranch_execz .LBB75_365
; %bb.369:                              ;   in Loop: Header=BB75_368 Depth=2
	ds_load_b64 v[4:5], v8
	s_wait_dscnt 0x0
	v_cmp_o_f64_e32 vcc_lo, v[4:5], v[4:5]
	v_ashrrev_i32_e32 v2, 31, v5
	s_delay_alu instid0(VALU_DEP_1) | instskip(NEXT) | instid1(VALU_DEP_1)
	v_or_b32_e32 v6, 0x80000000, v2
	v_xor_b32_e32 v6, v6, v5
	s_delay_alu instid0(VALU_DEP_1) | instskip(NEXT) | instid1(VALU_DEP_1)
	v_dual_cndmask_b32 v6, -1, v6, vcc_lo :: v_dual_bitop2_b32 v2, v2, v4 bitop3:0x14
	v_dual_cndmask_b32 v2, -1, v2, vcc_lo :: v_dual_bitop2_b32 v7, v6, v31 bitop3:0x40
	s_delay_alu instid0(VALU_DEP_1) | instskip(NEXT) | instid1(VALU_DEP_1)
	v_and_b32_e32 v6, v2, v30
	v_cmp_eq_u64_e32 vcc_lo, v[6:7], v[26:27]
	s_and_b32 exec_lo, exec_lo, vcc_lo
	s_cbranch_execz .LBB75_365
; %bb.370:                              ;   in Loop: Header=BB75_368 Depth=2
	v_mov_b32_e32 v2, v23
	ds_store_b128 v23, v[2:5] offset:3072
	s_branch .LBB75_365
.LBB75_371:                             ;   in Loop: Header=BB75_368 Depth=2
	s_mov_b32 s39, -1
	s_mov_b32 s38, -1
                                        ; implicit-def: $vgpr10
                                        ; implicit-def: $vgpr8
	s_branch .LBB75_367
.LBB75_372:                             ;   in Loop: Header=BB75_6 Depth=1
	s_or_b32 exec_lo, exec_lo, s46
	s_delay_alu instid0(SALU_CYCLE_1)
	s_and_b32 s60, s60, exec_lo
.LBB75_373:                             ;   in Loop: Header=BB75_6 Depth=1
	s_or_b32 exec_lo, exec_lo, s44
.LBB75_374:                             ;   in Loop: Header=BB75_6 Depth=1
	s_delay_alu instid0(SALU_CYCLE_1)
	s_and_b32 vcc_lo, exec_lo, s101
	s_cbranch_vccz .LBB75_386
; %bb.375:                              ;   in Loop: Header=BB75_6 Depth=1
                                        ; implicit-def: $vgpr6_vgpr7
	s_and_saveexec_b32 s44, s9
	s_cbranch_execz .LBB75_385
; %bb.376:                              ;   in Loop: Header=BB75_6 Depth=1
	v_dual_mov_b32 v8, v20 :: v_dual_mov_b32 v10, v0
	s_mov_b32 s45, 0
                                        ; implicit-def: $sgpr46
	s_branch .LBB75_380
.LBB75_377:                             ;   in Loop: Header=BB75_380 Depth=2
	s_or_b32 exec_lo, exec_lo, s38
	s_wait_dscnt 0x0
	s_barrier_signal -1
	s_barrier_wait -1
	ds_load_b128 v[4:7], v23 offset:3072
	s_wait_dscnt 0x0
	s_barrier_signal -1
	s_barrier_wait -1
	v_cmp_eq_f64_e32 vcc_lo, 0, v[4:5]
	s_cbranch_vccz .LBB75_383
; %bb.378:                              ;   in Loop: Header=BB75_380 Depth=2
	v_dual_add_nc_u32 v10, s43, v10 :: v_dual_add_nc_u32 v8, s47, v8
	s_mov_b32 s38, 0
	s_delay_alu instid0(VALU_DEP_1)
	v_cmp_le_u32_e32 vcc_lo, s84, v10
	s_or_not1_b32 s39, vcc_lo, exec_lo
.LBB75_379:                             ;   in Loop: Header=BB75_380 Depth=2
	s_delay_alu instid0(SALU_CYCLE_1) | instskip(NEXT) | instid1(SALU_CYCLE_1)
	s_and_b32 s39, exec_lo, s39
	s_or_b32 s45, s39, s45
	s_and_not1_b32 s39, s46, exec_lo
	s_and_b32 s38, s38, exec_lo
	s_delay_alu instid0(SALU_CYCLE_1)
	s_or_b32 s46, s39, s38
	s_and_not1_b32 exec_lo, exec_lo, s45
	s_cbranch_execz .LBB75_384
.LBB75_380:                             ;   Parent Loop BB75_6 Depth=1
                                        ; =>  This Inner Loop Header: Depth=2
	s_mov_b32 s38, exec_lo
	s_delay_alu instid0(VALU_DEP_1)
	v_cmpx_gt_u32_e64 s36, v10
	s_cbranch_execz .LBB75_377
; %bb.381:                              ;   in Loop: Header=BB75_380 Depth=2
	global_load_b64 v[4:5], v8, s[30:31] scale_offset
	s_wait_loadcnt 0x0
	v_cmp_o_f64_e32 vcc_lo, v[4:5], v[4:5]
	v_ashrrev_i32_e32 v2, 31, v5
	s_delay_alu instid0(VALU_DEP_1) | instskip(NEXT) | instid1(VALU_DEP_1)
	v_or_b32_e32 v6, 0x80000000, v2
	v_xor_b32_e32 v6, v6, v5
	s_delay_alu instid0(VALU_DEP_1) | instskip(NEXT) | instid1(VALU_DEP_1)
	v_dual_cndmask_b32 v6, -1, v6, vcc_lo :: v_dual_bitop2_b32 v2, v2, v4 bitop3:0x14
	v_dual_cndmask_b32 v2, -1, v2, vcc_lo :: v_dual_bitop2_b32 v7, v6, v31 bitop3:0x40
	s_delay_alu instid0(VALU_DEP_1) | instskip(NEXT) | instid1(VALU_DEP_1)
	v_and_b32_e32 v6, v2, v30
	v_cmp_eq_u64_e32 vcc_lo, v[6:7], v[26:27]
	s_and_b32 exec_lo, exec_lo, vcc_lo
	s_cbranch_execz .LBB75_377
; %bb.382:                              ;   in Loop: Header=BB75_380 Depth=2
	v_mov_b32_e32 v2, v23
	ds_store_b128 v23, v[2:5] offset:3072
	s_branch .LBB75_377
.LBB75_383:                             ;   in Loop: Header=BB75_380 Depth=2
	s_mov_b32 s39, -1
	s_mov_b32 s38, -1
                                        ; implicit-def: $vgpr10
                                        ; implicit-def: $vgpr8
	s_branch .LBB75_379
.LBB75_384:                             ;   in Loop: Header=BB75_6 Depth=1
	s_or_b32 exec_lo, exec_lo, s45
	s_delay_alu instid0(SALU_CYCLE_1) | instskip(SKIP_1) | instid1(SALU_CYCLE_1)
	s_and_not1_b32 s38, s60, exec_lo
	s_and_b32 s39, s46, exec_lo
	s_or_b32 s60, s38, s39
.LBB75_385:                             ;   in Loop: Header=BB75_6 Depth=1
	s_or_b32 exec_lo, exec_lo, s44
	s_mov_b32 s68, 0
	s_mov_b32 s69, -1
.LBB75_386:                             ;   in Loop: Header=BB75_6 Depth=1
	s_or_not1_b32 s38, s60, exec_lo
.LBB75_387:                             ;   in Loop: Header=BB75_6 Depth=1
	s_or_b32 exec_lo, exec_lo, s70
	s_mov_b32 s39, 0
	s_and_saveexec_b32 s44, s38
	s_cbranch_execz .LBB75_398
; %bb.388:                              ;   in Loop: Header=BB75_6 Depth=1
	v_dual_mov_b32 v22, 1 :: v_dual_mov_b32 v2, 1
	s_xor_b32 s38, s29, -1
	s_delay_alu instid0(SALU_CYCLE_1)
	s_and_saveexec_b32 s29, s38
	s_cbranch_execz .LBB75_397
; %bb.389:                              ;   in Loop: Header=BB75_6 Depth=1
	s_mov_b32 s38, exec_lo
	v_cmpx_ge_u32_e64 s17, v9
	s_xor_b32 s45, exec_lo, s38
	s_cbranch_execz .LBB75_394
; %bb.390:                              ;   in Loop: Header=BB75_6 Depth=1
	ds_load_b32 v2, v23 offset:4096
	v_and_b32_e32 v27, s15, v27
	v_and_b32_e32 v26, s14, v26
	v_or_b32_e32 v31, s13, v31
	v_or_b32_e32 v30, s12, v30
	s_wait_dscnt 0x0
	v_cmp_ne_u32_e32 vcc_lo, 0, v2
	s_cbranch_vccnz .LBB75_394
; %bb.391:                              ;   in Loop: Header=BB75_6 Depth=1
	s_and_saveexec_b32 s12, s5
; %bb.392:                              ;   in Loop: Header=BB75_6 Depth=1
	v_mov_b32_e32 v2, s17
	ds_store_b32 v23, v2 offset:4100
; %bb.393:                              ;   in Loop: Header=BB75_6 Depth=1
	s_or_b32 exec_lo, exec_lo, s12
	s_wait_dscnt 0x0
	s_barrier_signal -1
	s_barrier_wait -1
.LBB75_394:                             ;   in Loop: Header=BB75_6 Depth=1
	s_and_not1_saveexec_b32 s12, s45
; %bb.395:                              ;   in Loop: Header=BB75_6 Depth=1
	v_subrev_nc_u32_e32 v9, s17, v9
; %bb.396:                              ;   in Loop: Header=BB75_6 Depth=1
	s_or_b32 exec_lo, exec_lo, s12
	s_delay_alu instid0(VALU_DEP_1)
	v_dual_mov_b32 v22, 5 :: v_dual_mov_b32 v2, v9
.LBB75_397:                             ;   in Loop: Header=BB75_6 Depth=1
	s_or_b32 exec_lo, exec_lo, s29
	s_delay_alu instid0(VALU_DEP_1)
	v_mov_b32_e32 v9, v2
	s_mov_b32 s39, exec_lo
.LBB75_398:                             ;   in Loop: Header=BB75_6 Depth=1
	s_or_b32 exec_lo, exec_lo, s44
	s_delay_alu instid0(SALU_CYCLE_1)
	s_or_not1_b32 s29, s39, exec_lo
.LBB75_399:                             ;   in Loop: Header=BB75_6 Depth=1
	s_or_b32 exec_lo, exec_lo, s18
	s_delay_alu instid0(SALU_CYCLE_1)
	s_and_not1_b32 s12, s27, exec_lo
	s_and_b32 s13, s69, exec_lo
	s_and_not1_b32 s14, s26, exec_lo
	s_and_b32 s15, s68, exec_lo
	v_mov_b32_e32 v8, v9
	s_or_b32 s27, s12, s13
	s_or_b32 s26, s14, s15
	s_and_b32 s38, s29, exec_lo
.LBB75_400:                             ;   in Loop: Header=BB75_6 Depth=1
	s_or_b32 exec_lo, exec_lo, s28
	s_delay_alu instid0(SALU_CYCLE_1)
	s_or_not1_b32 s28, s38, exec_lo
.LBB75_401:                             ;   in Loop: Header=BB75_6 Depth=1
	s_or_b32 exec_lo, exec_lo, s19
	s_delay_alu instid0(SALU_CYCLE_1)
	s_and_not1_b32 s12, s23, exec_lo
	s_and_b32 s13, s27, exec_lo
	s_and_not1_b32 s14, s20, exec_lo
	s_and_b32 s15, s26, exec_lo
	v_mov_b32_e32 v43, v8
	s_or_b32 s23, s12, s13
	s_or_b32 s20, s14, s15
	s_and_b32 s28, s28, exec_lo
.LBB75_402:                             ;   in Loop: Header=BB75_6 Depth=1
	s_or_b32 exec_lo, exec_lo, s25
	s_delay_alu instid0(SALU_CYCLE_1)
	s_or_not1_b32 s25, s28, exec_lo
.LBB75_403:                             ;   in Loop: Header=BB75_6 Depth=1
	s_or_b32 exec_lo, exec_lo, s10
	s_mov_b32 s10, s21
	s_mov_b32 s12, s11
	s_and_saveexec_b32 s13, s25
; %bb.404:                              ;   in Loop: Header=BB75_6 Depth=1
	v_cmp_ne_u32_e32 vcc_lo, 5, v22
	v_cmp_eq_u32_e64 s10, 5, v22
	s_and_not1_b32 s12, s11, exec_lo
	s_and_not1_b32 s14, s21, exec_lo
	s_and_b32 s15, vcc_lo, exec_lo
	s_and_b32 s10, s10, exec_lo
	s_or_b32 s12, s12, s15
	s_or_b32 s10, s14, s10
; %bb.405:                              ;   in Loop: Header=BB75_6 Depth=1
	s_or_b32 exec_lo, exec_lo, s13
	s_delay_alu instid0(SALU_CYCLE_1)
	s_and_not1_b32 s13, s24, exec_lo
	s_and_b32 s14, s23, exec_lo
	s_and_not1_b32 s15, s16, exec_lo
	s_and_b32 s16, s20, exec_lo
	s_or_b32 s24, s13, s14
	s_and_not1_b32 s11, s11, exec_lo
	s_and_b32 s12, s12, exec_lo
	s_and_not1_b32 s13, s21, exec_lo
	s_and_b32 s10, s10, exec_lo
	s_or_b32 s16, s15, s16
	s_or_b32 s11, s11, s12
	s_or_b32 s21, s13, s10
.LBB75_406:                             ;   in Loop: Header=BB75_6 Depth=1
	s_or_b32 exec_lo, exec_lo, s22
	s_mov_b32 s22, 0
	s_mov_b32 s23, 0
	s_and_saveexec_b32 s10, s21
.LBB75_407:                             ;   in Loop: Header=BB75_6 Depth=1
	v_mov_b32_e32 v22, 0
	s_or_b32 s11, s11, exec_lo
.LBB75_408:                             ;   in Loop: Header=BB75_6 Depth=1
	s_or_b32 exec_lo, exec_lo, s10
	s_delay_alu instid0(SALU_CYCLE_1)
	s_and_not1_b32 s10, s98, exec_lo
	s_and_b32 s13, s24, exec_lo
	s_and_not1_b32 s14, s96, exec_lo
	s_and_b32 s15, s16, exec_lo
	v_mov_b32_e32 v42, v43
	s_or_b32 s98, s10, s13
	s_or_b32 s96, s14, s15
	s_and_not1_b32 s10, s100, exec_lo
	s_and_b32 s13, s23, exec_lo
	s_and_not1_b32 s14, s99, exec_lo
	s_and_b32 s15, s22, exec_lo
	s_mov_b32 s12, -1
	s_and_not1_b32 s97, s97, exec_lo
	s_or_b32 s100, s10, s13
	s_or_b32 s99, s14, s15
	s_and_saveexec_b32 s10, s11
	s_delay_alu instid0(SALU_CYCLE_1)
	s_xor_b32 s10, exec_lo, s10
	s_cbranch_execz .LBB75_5
; %bb.409:                              ;   in Loop: Header=BB75_6 Depth=1
	s_mov_b32 s11, -1
	s_mov_b32 s13, exec_lo
	v_cmpx_eq_u32_e32 0, v22
	s_cbranch_execz .LBB75_4
; %bb.410:                              ;   in Loop: Header=BB75_6 Depth=1
	s_xor_b32 s91, s91, 1
	s_add_co_i32 s14, s88, -2
	s_cmp_eq_u32 s88, 0
	s_mov_b32 s88, s14
	s_cselect_b32 s11, -1, 0
	s_xor_b32 s12, exec_lo, -1
	s_or_not1_b32 s11, s11, exec_lo
	s_branch .LBB75_4
.LBB75_411:
	s_or_b32 exec_lo, exec_lo, s89
	s_xor_b32 s7, s95, -1
	s_xor_b32 s9, s93, -1
	;; [unrolled: 1-line block ×5, first 2 shown]
	s_mov_b32 s8, 0
	s_and_saveexec_b32 s12, s11
	s_delay_alu instid0(SALU_CYCLE_1)
	s_xor_b32 s12, exec_lo, s12
	s_cbranch_execnz .LBB75_416
; %bb.412:
	s_and_not1_saveexec_b32 s0, s12
	s_cbranch_execnz .LBB75_435
.LBB75_413:
	s_or_b32 exec_lo, exec_lo, s0
	s_and_saveexec_b32 s0, s8
.LBB75_414:
	; divergent unreachable
.LBB75_415:
	s_endpgm
.LBB75_416:
	s_and_saveexec_b32 s11, s10
	s_delay_alu instid0(SALU_CYCLE_1)
	s_xor_b32 s13, exec_lo, s11
	s_cbranch_execz .LBB75_433
; %bb.417:
	s_and_saveexec_b32 s10, s9
	s_delay_alu instid0(SALU_CYCLE_1)
	s_xor_b32 s14, exec_lo, s10
	s_cbranch_execz .LBB75_431
; %bb.418:
	;; [unrolled: 5-line block ×3, first 2 shown]
	s_and_saveexec_b32 s7, s6
	s_delay_alu instid0(SALU_CYCLE_1)
	s_xor_b32 s6, exec_lo, s7
; %bb.420:
	v_dual_mov_b32 v3, 0 :: v_dual_lshrrev_b32 v2, 31, v27
	s_delay_alu instid0(VALU_DEP_1) | instskip(NEXT) | instid1(VALU_DEP_1)
	v_add_nc_u64_e32 v[2:3], -1, v[2:3]
	v_or_b32_e32 v1, 0x80000000, v3
	s_delay_alu instid0(VALU_DEP_2) | instskip(NEXT) | instid1(VALU_DEP_2)
	v_xor_b32_e32 v6, v2, v26
	v_xor_b32_e32 v7, v1, v27
; %bb.421:
	s_or_b32 exec_lo, exec_lo, s6
	s_and_saveexec_b32 s6, s5
; %bb.422:
	v_mov_b32_e32 v1, 0
	ds_store_b32 v1, v1 offset:4108
; %bb.423:
	s_or_b32 exec_lo, exec_lo, s6
	v_mov_b64_e32 v[4:5], 0
	s_wait_dscnt 0x0
	s_barrier_signal -1
	s_barrier_wait -1
	s_and_saveexec_b32 s5, s4
	s_cbranch_execz .LBB75_425
; %bb.424:
	global_load_b64 v[4:5], v[18:19], off
.LBB75_425:
	s_wait_xcnt 0x0
	s_or_b32 exec_lo, exec_lo, s5
	s_load_b96 s[16:18], s[0:1], 0x15c
	s_mul_i32 s7, s59, s50
	s_add_co_i32 s5, s36, 31
	s_mul_i32 s6, s48, s51
	s_sub_co_i32 s7, s48, s7
	s_and_not1_b32 s5, s5, 31
	s_sub_co_i32 s6, s72, s6
	s_add_co_i32 s8, s59, 1
	s_sub_co_i32 s9, s7, s50
	s_cmp_ge_u32 s7, s50
	v_cmp_o_f64_e32 vcc_lo, v[6:7], v[6:7]
	s_cselect_b32 s8, s8, s59
	s_cselect_b32 s7, s9, s7
	s_add_co_i32 s9, s8, 1
	s_cmp_ge_u32 s7, s50
	v_ashrrev_i32_e32 v1, 31, v7
	s_cselect_b32 s7, s9, s8
	s_mov_b32 s11, 0
	s_mul_i32 s8, s7, s50
	s_delay_alu instid0(SALU_CYCLE_1)
	s_sub_co_i32 s8, s48, s8
	s_wait_kmcnt 0x0
	s_mul_i32 s6, s6, s18
	s_mul_i32 s8, s8, s17
	;; [unrolled: 1-line block ×3, first 2 shown]
	s_add_co_i32 s6, s8, s6
	s_add_co_i32 s8, s57, 1
	;; [unrolled: 1-line block ×3, first 2 shown]
	s_mul_i32 s7, s57, s34
	s_mul_i32 s6, s52, s35
	s_sub_co_i32 s7, s52, s7
	s_sub_co_i32 s6, s72, s6
	;; [unrolled: 1-line block ×3, first 2 shown]
	s_cmp_ge_u32 s7, s34
	s_clause 0x1
	s_load_b32 s16, s[0:1], 0x1c8
	s_load_b32 s17, s[0:1], 0x2a8
	s_cselect_b32 s8, s8, s57
	s_cselect_b32 s7, s9, s7
	s_add_co_i32 s9, s8, 1
	s_cmp_ge_u32 s7, s34
	v_or_b32_e32 v2, 0x80000000, v1
	s_cselect_b32 s7, s9, s8
	s_mul_i32 s6, s6, s42
	s_wait_xcnt 0x0
	s_mul_i32 s1, s7, s34
	s_mul_i32 s7, s7, s40
	s_sub_co_i32 s1, s52, s1
	v_xor_b32_e32 v2, v2, v7
	s_mul_i32 s1, s1, s41
	v_xor_b32_e32 v1, v1, v6
	s_add_co_i32 s1, s1, s6
	s_lshl_b64 s[8:9], s[10:11], 3
	s_add_co_i32 s6, s1, s7
	s_mov_b32 s7, s11
	v_dual_cndmask_b32 v3, -1, v2 :: v_dual_cndmask_b32 v2, -1, v1
	s_lshl_b64 s[18:19], s[6:7], 3
	s_add_nc_u64 s[6:7], s[54:55], s[8:9]
	v_readlane_b32 s8, v58, 0
	v_readlane_b32 s9, v58, 1
	v_cmp_gt_u32_e32 vcc_lo, s5, v0
	s_mov_b32 s0, -1
	s_mov_b32 s1, 0
	s_add_nc_u64 s[8:9], s[8:9], s[18:19]
	s_and_saveexec_b32 s10, vcc_lo
	s_cbranch_execnz .LBB75_436
; %bb.426:
	s_or_b32 exec_lo, exec_lo, s10
	s_and_saveexec_b32 s3, s0
	s_cbranch_execnz .LBB75_453
.LBB75_427:
	s_or_b32 exec_lo, exec_lo, s3
	s_and_saveexec_b32 s0, s1
	s_delay_alu instid0(SALU_CYCLE_1)
	s_xor_b32 s0, exec_lo, s0
	s_cbranch_execnz .LBB75_478
.LBB75_428:
	s_or_b32 exec_lo, exec_lo, s0
	s_delay_alu instid0(SALU_CYCLE_1)
	s_and_b32 s8, s11, exec_lo
.LBB75_429:
	s_and_not1_saveexec_b32 s0, s15
	s_cbranch_execnz .LBB75_480
.LBB75_430:
	s_or_b32 exec_lo, exec_lo, s0
	s_delay_alu instid0(SALU_CYCLE_1)
	s_and_b32 s8, s8, exec_lo
.LBB75_431:
	s_and_not1_saveexec_b32 s0, s14
	s_cbranch_execnz .LBB75_479
.LBB75_432:
	s_or_b32 exec_lo, exec_lo, s0
	s_delay_alu instid0(SALU_CYCLE_1)
	s_and_b32 s8, s8, exec_lo
.LBB75_433:
	s_and_not1_saveexec_b32 s0, s13
	s_cbranch_execnz .LBB75_474
.LBB75_434:
	s_or_b32 exec_lo, exec_lo, s0
	s_delay_alu instid0(SALU_CYCLE_1)
	s_and_b32 s8, s8, exec_lo
	s_and_not1_saveexec_b32 s0, s12
	s_cbranch_execz .LBB75_413
.LBB75_435:
	s_or_b32 s8, s8, exec_lo
	s_trap 2
	s_or_b32 exec_lo, exec_lo, s0
	s_and_saveexec_b32 s0, s8
	s_cbranch_execnz .LBB75_414
	s_branch .LBB75_415
.LBB75_436:
	v_dual_add_nc_u32 v1, s43, v0 :: v_dual_mov_b32 v7, 0
	v_mov_b32_e32 v6, v0
	s_mov_b32 s18, 0
                                        ; implicit-def: $sgpr19
                                        ; implicit-def: $vgpr11
	s_delay_alu instid0(VALU_DEP_2)
	v_mul_lo_u32 v1, s33, v1
	s_branch .LBB75_438
.LBB75_437:                             ;   in Loop: Header=BB75_438 Depth=1
	s_or_b32 exec_lo, exec_lo, s21
	s_xor_b32 s0, s20, -1
	s_and_b32 s1, exec_lo, s1
	s_wait_loadcnt 0x0
	v_mov_b64_e32 v[4:5], v[8:9]
	s_or_b32 s18, s1, s18
	v_mov_b32_e32 v6, v10
	s_and_not1_b32 s1, s19, exec_lo
	s_and_b32 s0, s0, exec_lo
	s_delay_alu instid0(SALU_CYCLE_1)
	s_or_b32 s19, s1, s0
	s_and_not1_b32 exec_lo, exec_lo, s18
	s_cbranch_execz .LBB75_452
.LBB75_438:                             ; =>This Inner Loop Header: Depth=1
	v_mov_b64_e32 v[8:9], 0
	v_add_nc_u32_e32 v10, s43, v6
	s_mov_b32 s1, exec_lo
	s_delay_alu instid0(VALU_DEP_1)
	v_cmpx_gt_u32_e64 s36, v10
	s_cbranch_execz .LBB75_440
; %bb.439:                              ;   in Loop: Header=BB75_438 Depth=1
	global_load_b64 v[8:9], v1, s[30:31] scale_offset
.LBB75_440:                             ;   in Loop: Header=BB75_438 Depth=1
	s_wait_xcnt 0x0
	s_or_b32 exec_lo, exec_lo, s1
	s_mov_b32 s20, 0
	s_mov_b32 s1, exec_lo
	v_cmpx_gt_u32_e64 s36, v6
	s_cbranch_execz .LBB75_442
; %bb.441:                              ;   in Loop: Header=BB75_438 Depth=1
	s_wait_loadcnt 0x0
	v_cmp_o_f64_e64 s0, v[4:5], v[4:5]
	v_ashrrev_i32_e32 v12, 31, v5
	s_delay_alu instid0(VALU_DEP_1) | instskip(NEXT) | instid1(VALU_DEP_1)
	v_or_b32_e32 v13, 0x80000000, v12
	v_xor_b32_e32 v13, v13, v5
	s_delay_alu instid0(VALU_DEP_1) | instskip(NEXT) | instid1(VALU_DEP_1)
	v_dual_cndmask_b32 v13, -1, v13, s0 :: v_dual_bitop2_b32 v12, v12, v4 bitop3:0x14
	v_cndmask_b32_e64 v12, -1, v12, s0
	s_delay_alu instid0(VALU_DEP_1) | instskip(NEXT) | instid1(VALU_DEP_1)
	v_cmp_gt_u64_e64 s0, v[12:13], v[2:3]
	v_cndmask_b32_e64 v14, 0, 1, s0
	v_cmp_lt_u64_e64 s0, v[12:13], v[2:3]
	s_delay_alu instid0(VALU_DEP_1) | instskip(NEXT) | instid1(VALU_DEP_1)
	v_cndmask_b32_e64 v12, 0, 1, s0
	v_cndmask_b32_e64 v12, v12, v14, s3
	s_delay_alu instid0(VALU_DEP_1) | instskip(NEXT) | instid1(VALU_DEP_1)
	v_and_b32_e32 v12, 1, v12
	v_cmp_eq_u32_e64 s0, 1, v12
	s_and_b32 s20, s0, exec_lo
.LBB75_442:                             ;   in Loop: Header=BB75_438 Depth=1
	s_or_b32 exec_lo, exec_lo, s1
	v_cndmask_b32_e64 v12, 0, 1, s20
	s_delay_alu instid0(VALU_DEP_1) | instskip(SKIP_2) | instid1(SALU_CYCLE_1)
	v_cmp_ne_u32_e64 s0, 0, v12
	s_cmp_lg_u32 s0, 0
	s_cselect_b32 s1, -1, 0
	s_and_b32 s1, s2, s1
	s_delay_alu instid0(SALU_CYCLE_1)
	s_and_saveexec_b32 s21, s1
	s_cbranch_execz .LBB75_446
; %bb.443:                              ;   in Loop: Header=BB75_438 Depth=1
	s_mov_b32 s24, exec_lo
	s_bcnt1_i32_b32 s22, s0
	s_wait_dscnt 0x0
	v_mbcnt_lo_u32_b32 v11, s24, 0
	s_mov_b32 s23, exec_lo
                                        ; implicit-def: $vgpr12
	s_delay_alu instid0(VALU_DEP_1)
	v_cmpx_eq_u32_e32 0, v11
; %bb.444:                              ;   in Loop: Header=BB75_438 Depth=1
	s_bcnt1_i32_b32 s1, s24
	s_delay_alu instid0(SALU_CYCLE_1) | instskip(NEXT) | instid1(SALU_CYCLE_1)
	s_mul_i32 s1, s22, s1
	v_mov_b32_e32 v12, s1
	ds_add_rtn_u32 v12, v7, v12 offset:4108
; %bb.445:                              ;   in Loop: Header=BB75_438 Depth=1
	s_or_b32 exec_lo, exec_lo, s23
	s_wait_dscnt 0x0
	v_readfirstlane_b32 s1, v12
	s_delay_alu instid0(VALU_DEP_1)
	v_mad_u32_u24 v11, s22, v11, s1
.LBB75_446:                             ;   in Loop: Header=BB75_438 Depth=1
	s_or_b32 exec_lo, exec_lo, s21
	s_wait_dscnt 0x0
	ds_bpermute_b32 v11, v7, v11
	s_mov_b32 s1, -1
	s_mov_b32 s22, -1
	s_and_saveexec_b32 s21, s20
	s_cbranch_execz .LBB75_450
; %bb.447:                              ;   in Loop: Header=BB75_438 Depth=1
	v_and_b32_e32 v12, s0, v16
	s_mov_b32 s20, 0
	s_mov_b32 s22, exec_lo
	s_wait_dscnt 0x0
	s_delay_alu instid0(VALU_DEP_1) | instskip(NEXT) | instid1(VALU_DEP_1)
	v_bcnt_u32_b32 v12, v12, v11
	v_cmpx_gt_u32_e64 s37, v12
	s_cbranch_execz .LBB75_449
; %bb.448:                              ;   in Loop: Header=BB75_438 Depth=1
	s_wait_kmcnt 0x0
	v_mul_lo_u32 v13, v12, s16
	v_mul_lo_u32 v12, v12, s17
	s_mov_b32 s20, exec_lo
	s_wait_loadcnt 0x0
	global_store_b64 v13, v[4:5], s[6:7] scale_offset
	global_store_b64 v12, v[6:7], s[8:9] scale_offset
.LBB75_449:                             ;   in Loop: Header=BB75_438 Depth=1
	s_wait_xcnt 0x0
	s_or_b32 exec_lo, exec_lo, s22
	s_delay_alu instid0(SALU_CYCLE_1)
	s_or_not1_b32 s22, s20, exec_lo
.LBB75_450:                             ;   in Loop: Header=BB75_438 Depth=1
	s_or_b32 exec_lo, exec_lo, s21
	s_mov_b32 s20, -1
	s_and_saveexec_b32 s21, s22
	s_cbranch_execz .LBB75_437
; %bb.451:                              ;   in Loop: Header=BB75_438 Depth=1
	v_cmp_le_u32_e64 s0, s5, v10
	v_add_nc_u32_e32 v1, s47, v1
	s_xor_b32 s20, exec_lo, -1
	s_or_not1_b32 s1, s0, exec_lo
	s_branch .LBB75_437
.LBB75_452:
	s_or_b32 exec_lo, exec_lo, s18
	s_delay_alu instid0(SALU_CYCLE_1)
	s_mov_b32 s1, exec_lo
	s_or_not1_b32 s0, s19, exec_lo
	s_or_b32 exec_lo, exec_lo, s10
	s_and_saveexec_b32 s3, s0
	s_cbranch_execz .LBB75_427
.LBB75_453:
	v_mov_b64_e32 v[6:7], 0
	s_wait_storecnt 0x0
	s_wait_loadcnt_dscnt 0x0
	s_barrier_signal -1
	s_barrier_wait -1
	s_and_saveexec_b32 s0, s4
	s_cbranch_execz .LBB75_455
; %bb.454:
	global_load_b64 v[6:7], v[18:19], off
.LBB75_455:
	s_wait_xcnt 0x0
	s_or_b32 exec_lo, exec_lo, s0
	s_mov_b32 s0, 0
	s_and_saveexec_b32 s4, vcc_lo
	s_cbranch_execz .LBB75_477
; %bb.456:
	v_add_nc_u32_e32 v1, s43, v0
	s_mov_b32 s10, 0
                                        ; implicit-def: $sgpr11
                                        ; implicit-def: $vgpr10
	s_delay_alu instid0(VALU_DEP_1)
	v_mul_lo_u32 v8, s33, v1
	v_mov_b32_e32 v1, 0
	s_branch .LBB75_459
.LBB75_457:                             ;   in Loop: Header=BB75_459 Depth=1
	s_or_b32 exec_lo, exec_lo, s20
	s_delay_alu instid0(SALU_CYCLE_1)
	s_or_not1_b32 s20, s18, exec_lo
	s_or_not1_b32 s19, s19, exec_lo
.LBB75_458:                             ;   in Loop: Header=BB75_459 Depth=1
	s_or_b32 exec_lo, exec_lo, s0
	s_xor_b32 s0, s20, -1
	s_and_b32 s18, exec_lo, s19
	s_wait_loadcnt 0x0
	v_mov_b64_e32 v[6:7], v[4:5]
	v_mov_b32_e32 v0, v9
	s_or_b32 s10, s18, s10
	s_and_not1_b32 s11, s11, exec_lo
	s_and_b32 s0, s0, exec_lo
	s_delay_alu instid0(SALU_CYCLE_1)
	s_or_b32 s11, s11, s0
	s_and_not1_b32 exec_lo, exec_lo, s10
	s_cbranch_execz .LBB75_475
.LBB75_459:                             ; =>This Inner Loop Header: Depth=1
	v_mov_b64_e32 v[4:5], 0
	v_add_nc_u32_e32 v9, s43, v0
	s_mov_b32 s0, exec_lo
	s_delay_alu instid0(VALU_DEP_1)
	v_cmpx_gt_u32_e64 s36, v9
	s_cbranch_execz .LBB75_461
; %bb.460:                              ;   in Loop: Header=BB75_459 Depth=1
	global_load_b64 v[4:5], v8, s[30:31] scale_offset
.LBB75_461:                             ;   in Loop: Header=BB75_459 Depth=1
	s_wait_xcnt 0x0
	s_or_b32 exec_lo, exec_lo, s0
	s_mov_b32 s18, 0
	s_mov_b32 s0, exec_lo
	v_cmpx_gt_u32_e64 s36, v0
	s_cbranch_execz .LBB75_463
; %bb.462:                              ;   in Loop: Header=BB75_459 Depth=1
	s_wait_loadcnt 0x0
	v_cmp_o_f64_e32 vcc_lo, v[6:7], v[6:7]
	v_ashrrev_i32_e32 v11, 31, v7
	s_delay_alu instid0(VALU_DEP_1) | instskip(NEXT) | instid1(VALU_DEP_1)
	v_or_b32_e32 v12, 0x80000000, v11
	v_xor_b32_e32 v12, v12, v7
	s_delay_alu instid0(VALU_DEP_1) | instskip(NEXT) | instid1(VALU_DEP_1)
	v_dual_cndmask_b32 v13, -1, v12, vcc_lo :: v_dual_bitop2_b32 v11, v11, v6 bitop3:0x14
	v_cndmask_b32_e32 v12, -1, v11, vcc_lo
	s_delay_alu instid0(VALU_DEP_1)
	v_cmp_eq_u64_e32 vcc_lo, v[12:13], v[2:3]
	s_and_b32 s18, vcc_lo, exec_lo
.LBB75_463:                             ;   in Loop: Header=BB75_459 Depth=1
	s_or_b32 exec_lo, exec_lo, s0
	v_cndmask_b32_e64 v11, 0, 1, s18
	s_delay_alu instid0(VALU_DEP_1) | instskip(SKIP_2) | instid1(SALU_CYCLE_1)
	v_cmp_ne_u32_e32 vcc_lo, 0, v11
	s_cmp_lg_u32 vcc_lo, 0
	s_cselect_b32 s0, -1, 0
	s_and_b32 s0, s2, s0
	s_delay_alu instid0(SALU_CYCLE_1)
	s_and_saveexec_b32 s19, s0
	s_cbranch_execz .LBB75_467
; %bb.464:                              ;   in Loop: Header=BB75_459 Depth=1
	s_mov_b32 s22, exec_lo
	s_bcnt1_i32_b32 s20, vcc_lo
	v_mbcnt_lo_u32_b32 v10, s22, 0
	s_mov_b32 s21, exec_lo
                                        ; implicit-def: $vgpr11
	s_delay_alu instid0(VALU_DEP_1)
	v_cmpx_eq_u32_e32 0, v10
; %bb.465:                              ;   in Loop: Header=BB75_459 Depth=1
	s_bcnt1_i32_b32 s0, s22
	s_delay_alu instid0(SALU_CYCLE_1) | instskip(NEXT) | instid1(SALU_CYCLE_1)
	s_mul_i32 s0, s20, s0
	v_mov_b32_e32 v11, s0
	ds_add_rtn_u32 v11, v1, v11 offset:4108
; %bb.466:                              ;   in Loop: Header=BB75_459 Depth=1
	s_or_b32 exec_lo, exec_lo, s21
	s_wait_dscnt 0x0
	v_readfirstlane_b32 s0, v11
	s_delay_alu instid0(VALU_DEP_1)
	v_mad_u32_u24 v10, s20, v10, s0
.LBB75_467:                             ;   in Loop: Header=BB75_459 Depth=1
	s_or_b32 exec_lo, exec_lo, s19
	ds_bpermute_b32 v10, v1, v10
	s_cmp_eq_u32 vcc_lo, 0
	s_mov_b32 s19, -1
	s_cselect_b32 s20, -1, 0
	s_wait_dscnt 0x0
	v_cmp_gt_u32_e64 s0, s37, v10
	s_or_b32 s21, s20, s0
	s_mov_b32 s20, -1
	s_and_saveexec_b32 s0, s21
	s_cbranch_execz .LBB75_458
; %bb.468:                              ;   in Loop: Header=BB75_459 Depth=1
	v_dual_sub_nc_u32 v12, s37, v10 :: v_dual_bitop2_b32 v11, vcc_lo, v16 bitop3:0x40
	s_mov_b32 s21, -1
	s_delay_alu instid0(VALU_DEP_1) | instskip(NEXT) | instid1(VALU_DEP_1)
	v_bcnt_u32_b32 v11, v11, 0
	v_bcnt_u32_b32 v11, 0, v11
	s_delay_alu instid0(VALU_DEP_1)
	v_cmp_gt_u32_e32 vcc_lo, v12, v11
	s_and_b32 s22, s18, vcc_lo
	s_mov_b32 s18, -1
	s_and_saveexec_b32 s20, s22
	s_cbranch_execz .LBB75_472
; %bb.469:                              ;   in Loop: Header=BB75_459 Depth=1
	v_add_nc_u32_e32 v11, v10, v11
	s_mov_b32 s21, 0
	s_mov_b32 s18, exec_lo
	s_delay_alu instid0(VALU_DEP_1)
	v_cmpx_gt_u32_e64 s37, v11
	s_cbranch_execz .LBB75_471
; %bb.470:                              ;   in Loop: Header=BB75_459 Depth=1
	s_wait_kmcnt 0x0
	v_mul_lo_u32 v12, v11, s16
	v_mul_lo_u32 v11, v11, s17
	s_mov_b32 s21, exec_lo
	s_wait_loadcnt 0x0
	global_store_b64 v12, v[6:7], s[6:7] scale_offset
	global_store_b64 v11, v[0:1], s[8:9] scale_offset
.LBB75_471:                             ;   in Loop: Header=BB75_459 Depth=1
	s_wait_xcnt 0x0
	s_or_b32 exec_lo, exec_lo, s18
	s_delay_alu instid0(SALU_CYCLE_1)
	s_xor_b32 s18, exec_lo, -1
	s_or_not1_b32 s21, s21, exec_lo
.LBB75_472:                             ;   in Loop: Header=BB75_459 Depth=1
	s_or_b32 exec_lo, exec_lo, s20
	s_and_saveexec_b32 s20, s21
	s_cbranch_execz .LBB75_457
; %bb.473:                              ;   in Loop: Header=BB75_459 Depth=1
	v_cmp_le_u32_e32 vcc_lo, s5, v9
	v_add_nc_u32_e32 v8, s47, v8
	s_or_b32 s18, s18, exec_lo
	s_or_not1_b32 s19, vcc_lo, exec_lo
	s_branch .LBB75_457
.LBB75_474:
	s_or_b32 s8, s8, exec_lo
	s_trap 2
	s_branch .LBB75_434
.LBB75_475:
	s_or_b32 exec_lo, exec_lo, s10
	s_mov_b32 s0, 0
	s_and_saveexec_b32 s2, s11
	s_delay_alu instid0(SALU_CYCLE_1)
	s_xor_b32 s2, exec_lo, s2
	s_cbranch_execnz .LBB75_481
.LBB75_476:
	s_or_b32 exec_lo, exec_lo, s2
	s_delay_alu instid0(SALU_CYCLE_1)
	s_and_b32 s0, s0, exec_lo
.LBB75_477:
	s_or_b32 exec_lo, exec_lo, s4
	s_delay_alu instid0(SALU_CYCLE_1) | instskip(SKIP_3) | instid1(SALU_CYCLE_1)
	s_and_b32 s11, s0, exec_lo
	s_and_not1_b32 s1, s1, exec_lo
	s_or_b32 exec_lo, exec_lo, s3
	s_and_saveexec_b32 s0, s1
	s_xor_b32 s0, exec_lo, s0
	s_cbranch_execz .LBB75_428
.LBB75_478:
	s_or_b32 s11, s11, exec_lo
	s_trap 2
	s_branch .LBB75_428
.LBB75_479:
	s_or_b32 s8, s8, exec_lo
	s_trap 2
	s_branch .LBB75_432
.LBB75_480:
	s_or_b32 s8, s8, exec_lo
	s_trap 2
	s_branch .LBB75_430
.LBB75_481:
	s_mov_b32 s0, exec_lo
	s_trap 2
	s_branch .LBB75_476
	.section	.rodata,"a",@progbits
	.p2align	6, 0x0
	.amdhsa_kernel _ZN2at6native6sbtopk10gatherTopKIdjLi3ELb0EEEvNS_4cuda6detail10TensorInfoIKT_T0_EES8_S8_bS8_S8_NS5_IS6_S8_EES8_NS5_IlS8_EES8_PS6_
		.amdhsa_group_segment_fixed_size 4112
		.amdhsa_private_segment_fixed_size 0
		.amdhsa_kernarg_size 952
		.amdhsa_user_sgpr_count 2
		.amdhsa_user_sgpr_dispatch_ptr 0
		.amdhsa_user_sgpr_queue_ptr 0
		.amdhsa_user_sgpr_kernarg_segment_ptr 1
		.amdhsa_user_sgpr_dispatch_id 0
		.amdhsa_user_sgpr_kernarg_preload_length 0
		.amdhsa_user_sgpr_kernarg_preload_offset 0
		.amdhsa_user_sgpr_private_segment_size 0
		.amdhsa_wavefront_size32 1
		.amdhsa_uses_dynamic_stack 0
		.amdhsa_enable_private_segment 0
		.amdhsa_system_sgpr_workgroup_id_x 1
		.amdhsa_system_sgpr_workgroup_id_y 1
		.amdhsa_system_sgpr_workgroup_id_z 1
		.amdhsa_system_sgpr_workgroup_info 0
		.amdhsa_system_vgpr_workitem_id 0
		.amdhsa_next_free_vgpr 59
		.amdhsa_next_free_sgpr 105
		.amdhsa_named_barrier_count 0
		.amdhsa_reserve_vcc 1
		.amdhsa_float_round_mode_32 0
		.amdhsa_float_round_mode_16_64 0
		.amdhsa_float_denorm_mode_32 3
		.amdhsa_float_denorm_mode_16_64 3
		.amdhsa_fp16_overflow 0
		.amdhsa_memory_ordered 1
		.amdhsa_forward_progress 1
		.amdhsa_inst_pref_size 130
		.amdhsa_round_robin_scheduling 0
		.amdhsa_exception_fp_ieee_invalid_op 0
		.amdhsa_exception_fp_denorm_src 0
		.amdhsa_exception_fp_ieee_div_zero 0
		.amdhsa_exception_fp_ieee_overflow 0
		.amdhsa_exception_fp_ieee_underflow 0
		.amdhsa_exception_fp_ieee_inexact 0
		.amdhsa_exception_int_div_zero 0
	.end_amdhsa_kernel
	.section	.text._ZN2at6native6sbtopk10gatherTopKIdjLi3ELb0EEEvNS_4cuda6detail10TensorInfoIKT_T0_EES8_S8_bS8_S8_NS5_IS6_S8_EES8_NS5_IlS8_EES8_PS6_,"axG",@progbits,_ZN2at6native6sbtopk10gatherTopKIdjLi3ELb0EEEvNS_4cuda6detail10TensorInfoIKT_T0_EES8_S8_bS8_S8_NS5_IS6_S8_EES8_NS5_IlS8_EES8_PS6_,comdat
.Lfunc_end75:
	.size	_ZN2at6native6sbtopk10gatherTopKIdjLi3ELb0EEEvNS_4cuda6detail10TensorInfoIKT_T0_EES8_S8_bS8_S8_NS5_IS6_S8_EES8_NS5_IlS8_EES8_PS6_, .Lfunc_end75-_ZN2at6native6sbtopk10gatherTopKIdjLi3ELb0EEEvNS_4cuda6detail10TensorInfoIKT_T0_EES8_S8_bS8_S8_NS5_IS6_S8_EES8_NS5_IlS8_EES8_PS6_
                                        ; -- End function
	.set _ZN2at6native6sbtopk10gatherTopKIdjLi3ELb0EEEvNS_4cuda6detail10TensorInfoIKT_T0_EES8_S8_bS8_S8_NS5_IS6_S8_EES8_NS5_IlS8_EES8_PS6_.num_vgpr, 59
	.set _ZN2at6native6sbtopk10gatherTopKIdjLi3ELb0EEEvNS_4cuda6detail10TensorInfoIKT_T0_EES8_S8_bS8_S8_NS5_IS6_S8_EES8_NS5_IlS8_EES8_PS6_.num_agpr, 0
	.set _ZN2at6native6sbtopk10gatherTopKIdjLi3ELb0EEEvNS_4cuda6detail10TensorInfoIKT_T0_EES8_S8_bS8_S8_NS5_IS6_S8_EES8_NS5_IlS8_EES8_PS6_.numbered_sgpr, 105
	.set _ZN2at6native6sbtopk10gatherTopKIdjLi3ELb0EEEvNS_4cuda6detail10TensorInfoIKT_T0_EES8_S8_bS8_S8_NS5_IS6_S8_EES8_NS5_IlS8_EES8_PS6_.num_named_barrier, 0
	.set _ZN2at6native6sbtopk10gatherTopKIdjLi3ELb0EEEvNS_4cuda6detail10TensorInfoIKT_T0_EES8_S8_bS8_S8_NS5_IS6_S8_EES8_NS5_IlS8_EES8_PS6_.private_seg_size, 0
	.set _ZN2at6native6sbtopk10gatherTopKIdjLi3ELb0EEEvNS_4cuda6detail10TensorInfoIKT_T0_EES8_S8_bS8_S8_NS5_IS6_S8_EES8_NS5_IlS8_EES8_PS6_.uses_vcc, 1
	.set _ZN2at6native6sbtopk10gatherTopKIdjLi3ELb0EEEvNS_4cuda6detail10TensorInfoIKT_T0_EES8_S8_bS8_S8_NS5_IS6_S8_EES8_NS5_IlS8_EES8_PS6_.uses_flat_scratch, 0
	.set _ZN2at6native6sbtopk10gatherTopKIdjLi3ELb0EEEvNS_4cuda6detail10TensorInfoIKT_T0_EES8_S8_bS8_S8_NS5_IS6_S8_EES8_NS5_IlS8_EES8_PS6_.has_dyn_sized_stack, 0
	.set _ZN2at6native6sbtopk10gatherTopKIdjLi3ELb0EEEvNS_4cuda6detail10TensorInfoIKT_T0_EES8_S8_bS8_S8_NS5_IS6_S8_EES8_NS5_IlS8_EES8_PS6_.has_recursion, 0
	.set _ZN2at6native6sbtopk10gatherTopKIdjLi3ELb0EEEvNS_4cuda6detail10TensorInfoIKT_T0_EES8_S8_bS8_S8_NS5_IS6_S8_EES8_NS5_IlS8_EES8_PS6_.has_indirect_call, 0
	.section	.AMDGPU.csdata,"",@progbits
; Kernel info:
; codeLenInByte = 16516
; TotalNumSgprs: 107
; NumVgprs: 59
; ScratchSize: 0
; MemoryBound: 0
; FloatMode: 240
; IeeeMode: 1
; LDSByteSize: 4112 bytes/workgroup (compile time only)
; SGPRBlocks: 0
; VGPRBlocks: 3
; NumSGPRsForWavesPerEU: 107
; NumVGPRsForWavesPerEU: 59
; NamedBarCnt: 0
; Occupancy: 16
; WaveLimiterHint : 1
; COMPUTE_PGM_RSRC2:SCRATCH_EN: 0
; COMPUTE_PGM_RSRC2:USER_SGPR: 2
; COMPUTE_PGM_RSRC2:TRAP_HANDLER: 0
; COMPUTE_PGM_RSRC2:TGID_X_EN: 1
; COMPUTE_PGM_RSRC2:TGID_Y_EN: 1
; COMPUTE_PGM_RSRC2:TGID_Z_EN: 1
; COMPUTE_PGM_RSRC2:TIDIG_COMP_CNT: 0
	.section	.text._ZN2at6native6mbtopk23computeBlockDigitCountsIdjmLin1EEEvNS_4cuda6detail10TensorInfoIKT_T0_EEjPjjS8_iijT1_PSB_Ps,"axG",@progbits,_ZN2at6native6mbtopk23computeBlockDigitCountsIdjmLin1EEEvNS_4cuda6detail10TensorInfoIKT_T0_EEjPjjS8_iijT1_PSB_Ps,comdat
	.protected	_ZN2at6native6mbtopk23computeBlockDigitCountsIdjmLin1EEEvNS_4cuda6detail10TensorInfoIKT_T0_EEjPjjS8_iijT1_PSB_Ps ; -- Begin function _ZN2at6native6mbtopk23computeBlockDigitCountsIdjmLin1EEEvNS_4cuda6detail10TensorInfoIKT_T0_EEjPjjS8_iijT1_PSB_Ps
	.globl	_ZN2at6native6mbtopk23computeBlockDigitCountsIdjmLin1EEEvNS_4cuda6detail10TensorInfoIKT_T0_EEjPjjS8_iijT1_PSB_Ps
	.p2align	8
	.type	_ZN2at6native6mbtopk23computeBlockDigitCountsIdjmLin1EEEvNS_4cuda6detail10TensorInfoIKT_T0_EEjPjjS8_iijT1_PSB_Ps,@function
_ZN2at6native6mbtopk23computeBlockDigitCountsIdjmLin1EEEvNS_4cuda6detail10TensorInfoIKT_T0_EEjPjjS8_iijT1_PSB_Ps: ; @_ZN2at6native6mbtopk23computeBlockDigitCountsIdjmLin1EEEvNS_4cuda6detail10TensorInfoIKT_T0_EEjPjjS8_iijT1_PSB_Ps
; %bb.0:
	s_load_b32 s17, s[0:1], 0xf8
	s_bfe_u32 s2, ttmp6, 0x40010
	s_and_b32 s8, ttmp7, 0xffff
	s_add_co_i32 s4, s2, 1
	s_bfe_u32 s5, ttmp6, 0x40004
	s_mul_i32 s4, s8, s4
	s_load_b64 s[2:3], s[0:1], 0x118
	s_add_co_i32 s9, s5, s4
	s_bfe_u32 s6, ttmp6, 0x4000c
	s_bfe_u32 s7, ttmp6, 0x40014
	s_add_co_i32 s6, s6, 1
	s_and_b32 s5, ttmp6, 15
	s_mul_i32 s6, ttmp9, s6
	s_add_co_i32 s7, s7, 1
	s_add_co_i32 s10, s5, s6
	s_bfe_u32 s6, ttmp6, 0x40008
	s_mov_b32 s13, 0
	s_wait_kmcnt 0x0
	s_cvt_f32_u32 s4, s17
	s_delay_alu instid0(SALU_CYCLE_3) | instskip(SKIP_1) | instid1(SALU_CYCLE_1)
	v_rcp_iflag_f32_e32 v1, s4
	s_lshr_b32 s4, ttmp7, 16
	s_mul_i32 s5, s4, s7
	s_getreg_b32 s7, hwreg(HW_REG_IB_STS2, 6, 4)
	s_add_co_i32 s6, s6, s5
	s_cmp_eq_u32 s7, 0
	v_nop
	v_readfirstlane_b32 s11, v1
	s_cselect_b32 s12, s4, s6
	s_load_b128 s[4:7], s[0:1], 0xe8
	s_mul_i32 s3, s3, s12
	s_cselect_b32 s10, ttmp9, s10
	s_mul_f32 s11, s11, 0x4f7ffffe
	s_cselect_b32 s8, s8, s9
	s_sub_co_i32 s9, 0, s17
	s_add_co_i32 s3, s3, s8
	s_cvt_u32_f32 s11, s11
	s_mul_i32 s16, s3, s2
	s_delay_alu instid0(SALU_CYCLE_1) | instskip(NEXT) | instid1(SALU_CYCLE_1)
	s_add_co_i32 s16, s16, s10
	s_mul_i32 s9, s9, s11
	s_delay_alu instid0(SALU_CYCLE_1) | instskip(NEXT) | instid1(SALU_CYCLE_1)
	s_mul_hi_u32 s2, s11, s9
	s_add_co_i32 s11, s11, s2
	s_delay_alu instid0(SALU_CYCLE_1) | instskip(NEXT) | instid1(SALU_CYCLE_1)
	s_mul_hi_u32 s2, s16, s11
	s_mul_i32 s3, s2, s17
	s_add_co_i32 s8, s2, 1
	s_sub_co_i32 s3, s16, s3
	s_delay_alu instid0(SALU_CYCLE_1)
	s_sub_co_i32 s9, s3, s17
	s_cmp_ge_u32 s3, s17
	s_cselect_b32 s2, s8, s2
	s_cselect_b32 s3, s9, s3
	s_add_co_i32 s8, s2, 1
	s_cmp_ge_u32 s3, s17
	s_cselect_b32 s18, s8, s2
	s_wait_kmcnt 0x0
	s_cmp_ge_u32 s18, s4
	s_cbranch_scc1 .LBB76_24
; %bb.1:
	s_clause 0x2
	s_load_b128 s[8:11], s[0:1], 0x100
	s_load_b32 s4, s[0:1], 0xd0
	s_load_b64 s[2:3], s[0:1], 0x110
	s_mov_b32 s19, s18
	s_wait_kmcnt 0x0
	s_load_b64 s[10:11], s[10:11], s18 offset:0x0 scale_offset
	s_cmp_lt_i32 s4, 2
	s_cbranch_scc1 .LBB76_4
; %bb.2:
	s_add_co_i32 s12, s4, -1
	s_add_co_i32 s4, s4, 1
	s_lshl_b64 s[14:15], s[12:13], 2
	s_mov_b32 s19, s18
	s_add_nc_u64 s[14:15], s[0:1], s[14:15]
	s_delay_alu instid0(SALU_CYCLE_1)
	s_add_nc_u64 s[14:15], s[14:15], 8
.LBB76_3:                               ; =>This Inner Loop Header: Depth=1
	s_clause 0x1
	s_load_b32 s12, s[14:15], 0x0
	s_load_b32 s20, s[14:15], 0x64
	s_mov_b32 s23, s19
	s_wait_xcnt 0x0
	s_add_nc_u64 s[14:15], s[14:15], -4
	s_wait_kmcnt 0x0
	s_cvt_f32_u32 s21, s12
	s_sub_co_i32 s22, 0, s12
	s_delay_alu instid0(SALU_CYCLE_2) | instskip(SKIP_1) | instid1(TRANS32_DEP_1)
	v_rcp_iflag_f32_e32 v1, s21
	v_nop
	v_readfirstlane_b32 s21, v1
	s_mul_f32 s21, s21, 0x4f7ffffe
	s_delay_alu instid0(SALU_CYCLE_3) | instskip(NEXT) | instid1(SALU_CYCLE_3)
	s_cvt_u32_f32 s21, s21
	s_mul_i32 s22, s22, s21
	s_delay_alu instid0(SALU_CYCLE_1) | instskip(NEXT) | instid1(SALU_CYCLE_1)
	s_mul_hi_u32 s22, s21, s22
	s_add_co_i32 s21, s21, s22
	s_delay_alu instid0(SALU_CYCLE_1) | instskip(NEXT) | instid1(SALU_CYCLE_1)
	s_mul_hi_u32 s19, s19, s21
	s_mul_i32 s21, s19, s12
	s_add_co_i32 s22, s19, 1
	s_sub_co_i32 s21, s23, s21
	s_delay_alu instid0(SALU_CYCLE_1)
	s_sub_co_i32 s24, s21, s12
	s_cmp_ge_u32 s21, s12
	s_cselect_b32 s19, s22, s19
	s_cselect_b32 s21, s24, s21
	s_add_co_i32 s22, s19, 1
	s_cmp_ge_u32 s21, s12
	s_cselect_b32 s19, s22, s19
	s_add_co_i32 s4, s4, -1
	s_mul_i32 s12, s19, s12
	s_delay_alu instid0(SALU_CYCLE_1) | instskip(NEXT) | instid1(SALU_CYCLE_1)
	s_sub_co_i32 s12, s23, s12
	s_mul_i32 s12, s20, s12
	s_delay_alu instid0(SALU_CYCLE_1)
	s_add_co_i32 s13, s12, s13
	s_cmp_gt_u32 s4, 2
	s_cbranch_scc1 .LBB76_3
.LBB76_4:
	v_cmp_gt_u32_e32 vcc_lo, 0x100, v0
	v_lshlrev_b32_e32 v1, 2, v0
	s_and_saveexec_b32 s4, vcc_lo
; %bb.5:
	v_mov_b32_e32 v2, 0
	ds_store_b32 v1, v2
; %bb.6:
	s_or_b32 exec_lo, exec_lo, s4
	s_load_b32 s4, s[0:1], 0xd8
	s_wait_xcnt 0x0
	s_mul_i32 s18, s18, s17
	s_mov_b32 s15, 0
	s_sub_co_i32 s12, s16, s18
	s_wait_dscnt 0x0
	s_mul_i32 s14, s7, s12
	s_add_co_i32 s12, s12, 1
	s_lshl_b32 s18, s14, 8
	s_barrier_signal -1
	s_barrier_wait -1
	s_wait_kmcnt 0x0
	s_sub_co_i32 s14, s4, s18
	s_delay_alu instid0(SALU_CYCLE_1) | instskip(NEXT) | instid1(SALU_CYCLE_1)
	s_add_nc_u64 s[20:21], s[14:15], 0xff
	s_lshr_b64 s[20:21], s[20:21], 8
	s_cmp_lt_u32 s12, s17
	s_cselect_b32 s12, s7, s20
	s_delay_alu instid0(SALU_CYCLE_1)
	s_cmp_lt_i32 s12, 1
	s_cbranch_scc1 .LBB76_22
; %bb.7:
	s_clause 0x1
	s_load_b32 s7, s[0:1], 0x6c
	s_load_b64 s[20:21], s[0:1], 0x0
	v_add_nc_u32_e32 v4, s18, v0
	s_wait_xcnt 0x0
	s_and_b32 s1, s6, 0xff
	s_wait_kmcnt 0x0
	s_mul_i32 s0, s7, s19
	s_delay_alu instid0(SALU_CYCLE_1) | instskip(NEXT) | instid1(SALU_CYCLE_1)
	s_add_co_i32 s14, s0, s13
	s_lshl_b64 s[18:19], s[14:15], 3
	s_cmp_eq_u32 s12, 1
	s_add_nc_u64 s[6:7], s[20:21], s[18:19]
	s_cbranch_scc1 .LBB76_17
; %bb.8:
	v_dual_mov_b32 v7, 1 :: v_dual_add_nc_u32 v2, 0x100, v4
	v_mul_lo_u32 v6, s5, v4
	v_mov_b32_e32 v8, v4
	s_and_b32 s13, s12, 0x7ffffffe
	s_delay_alu instid0(VALU_DEP_3)
	v_mul_lo_u32 v5, s5, v2
	s_lshl_b32 s14, s5, 9
	s_mov_b32 s17, 0
	s_branch .LBB76_10
.LBB76_9:                               ;   in Loop: Header=BB76_10 Depth=1
	s_or_b32 exec_lo, exec_lo, s18
	v_add_nc_u32_e32 v8, 0x200, v8
	s_add_co_i32 s17, s17, 2
	s_add_co_i32 s15, s15, s14
	s_cmp_eq_u32 s13, s17
	s_cbranch_scc1 .LBB76_16
.LBB76_10:                              ; =>This Inner Loop Header: Depth=1
	s_mov_b32 s18, exec_lo
	v_cmpx_gt_u32_e64 s4, v8
	s_cbranch_execz .LBB76_13
; %bb.11:                               ;   in Loop: Header=BB76_10 Depth=1
	s_delay_alu instid0(VALU_DEP_4) | instskip(SKIP_4) | instid1(VALU_DEP_1)
	v_add_nc_u32_e32 v2, s15, v6
	global_load_b64 v[2:3], v2, s[6:7] scale_offset
	s_wait_loadcnt 0x0
	v_cmp_o_f64_e64 s0, v[2:3], v[2:3]
	v_ashrrev_i32_e32 v9, 31, v3
	v_or_b32_e32 v10, 0x80000000, v9
	s_wait_xcnt 0x0
	v_xor_b32_e32 v2, v9, v2
	s_delay_alu instid0(VALU_DEP_1) | instskip(NEXT) | instid1(VALU_DEP_1)
	v_dual_cndmask_b32 v2, -1, v2, s0 :: v_dual_bitop2_b32 v10, v10, v3 bitop3:0x14
	v_cndmask_b32_e64 v3, -1, v10, s0
	s_delay_alu instid0(VALU_DEP_2) | instskip(NEXT) | instid1(VALU_DEP_2)
	v_xor_b32_e32 v10, s10, v2
	v_xor_b32_e32 v9, s11, v3
	s_delay_alu instid0(VALU_DEP_2) | instskip(NEXT) | instid1(VALU_DEP_2)
	v_and_b32_e32 v10, s8, v10
	v_and_b32_e32 v11, s9, v9
	s_delay_alu instid0(VALU_DEP_1)
	v_cmp_eq_u64_e64 s0, 0, v[10:11]
	s_and_b32 exec_lo, exec_lo, s0
	s_cbranch_execz .LBB76_13
; %bb.12:                               ;   in Loop: Header=BB76_10 Depth=1
	v_lshrrev_b64 v[2:3], s1, v[2:3]
	s_delay_alu instid0(VALU_DEP_1) | instskip(NEXT) | instid1(VALU_DEP_1)
	v_and_b32_e32 v2, 0xff, v2
	v_lshlrev_b32_e32 v2, 2, v2
	ds_add_u32 v2, v7
.LBB76_13:                              ;   in Loop: Header=BB76_10 Depth=1
	s_or_b32 exec_lo, exec_lo, s18
	v_add_nc_u32_e32 v2, 0x100, v8
	s_mov_b32 s18, exec_lo
	s_delay_alu instid0(VALU_DEP_1)
	v_cmpx_gt_u32_e64 s4, v2
	s_cbranch_execz .LBB76_9
; %bb.14:                               ;   in Loop: Header=BB76_10 Depth=1
	v_add_nc_u32_e32 v2, s15, v5
	global_load_b64 v[2:3], v2, s[6:7] scale_offset
	s_wait_loadcnt 0x0
	v_cmp_o_f64_e64 s0, v[2:3], v[2:3]
	v_ashrrev_i32_e32 v9, 31, v3
	s_delay_alu instid0(VALU_DEP_1) | instskip(SKIP_1) | instid1(VALU_DEP_1)
	v_or_b32_e32 v10, 0x80000000, v9
	v_xor_b32_e32 v2, v9, v2
	v_dual_cndmask_b32 v2, -1, v2, s0 :: v_dual_bitop2_b32 v10, v10, v3 bitop3:0x14
	s_delay_alu instid0(VALU_DEP_1) | instskip(NEXT) | instid1(VALU_DEP_2)
	v_cndmask_b32_e64 v3, -1, v10, s0
	v_xor_b32_e32 v10, s10, v2
	s_delay_alu instid0(VALU_DEP_2) | instskip(NEXT) | instid1(VALU_DEP_2)
	v_xor_b32_e32 v9, s11, v3
	v_and_b32_e32 v10, s8, v10
	s_delay_alu instid0(VALU_DEP_2) | instskip(NEXT) | instid1(VALU_DEP_1)
	v_and_b32_e32 v11, s9, v9
	v_cmp_eq_u64_e64 s0, 0, v[10:11]
	s_and_b32 exec_lo, exec_lo, s0
	s_cbranch_execz .LBB76_9
; %bb.15:                               ;   in Loop: Header=BB76_10 Depth=1
	v_lshrrev_b64 v[2:3], s1, v[2:3]
	s_delay_alu instid0(VALU_DEP_1) | instskip(NEXT) | instid1(VALU_DEP_1)
	v_and_b32_e32 v2, 0xff, v2
	v_lshlrev_b32_e32 v2, 2, v2
	ds_add_u32 v2, v7
	s_branch .LBB76_9
.LBB76_16:
	s_lshl_b32 s15, s13, 8
.LBB76_17:
	s_bitcmp0_b32 s12, 0
	s_cbranch_scc1 .LBB76_22
; %bb.18:
	v_add_nc_u32_e32 v2, s15, v4
	s_delay_alu instid0(VALU_DEP_1)
	v_cmp_gt_u32_e64 s0, s4, v2
	s_and_saveexec_b32 s4, s0
	s_cbranch_execz .LBB76_21
; %bb.19:
	v_mul_lo_u32 v2, v2, s5
	global_load_b64 v[2:3], v2, s[6:7] scale_offset
	s_wait_loadcnt 0x0
	v_cmp_o_f64_e64 s0, v[2:3], v[2:3]
	v_ashrrev_i32_e32 v4, 31, v3
	s_delay_alu instid0(VALU_DEP_1) | instskip(NEXT) | instid1(VALU_DEP_1)
	v_or_b32_e32 v5, 0x80000000, v4
	v_xor_b32_e32 v5, v5, v3
	s_delay_alu instid0(VALU_DEP_1) | instskip(NEXT) | instid1(VALU_DEP_1)
	v_dual_cndmask_b32 v3, -1, v5, s0 :: v_dual_bitop2_b32 v2, v4, v2 bitop3:0x14
	v_dual_cndmask_b32 v2, -1, v2, s0 :: v_dual_bitop2_b32 v4, s11, v3 bitop3:0x14
	s_delay_alu instid0(VALU_DEP_1) | instskip(NEXT) | instid1(VALU_DEP_2)
	v_xor_b32_e32 v6, s10, v2
	v_and_b32_e32 v5, s9, v4
	s_delay_alu instid0(VALU_DEP_2) | instskip(NEXT) | instid1(VALU_DEP_1)
	v_and_b32_e32 v4, s8, v6
	v_cmp_eq_u64_e64 s0, 0, v[4:5]
	s_and_b32 exec_lo, exec_lo, s0
	s_cbranch_execz .LBB76_21
; %bb.20:
	v_lshrrev_b64 v[2:3], s1, v[2:3]
	v_mov_b32_e32 v3, 1
	s_delay_alu instid0(VALU_DEP_2) | instskip(NEXT) | instid1(VALU_DEP_1)
	v_and_b32_e32 v2, 0xff, v2
	v_lshlrev_b32_e32 v2, 2, v2
	ds_add_u32 v2, v3
.LBB76_21:
	s_or_b32 exec_lo, exec_lo, s4
.LBB76_22:
	s_wait_dscnt 0x0
	s_barrier_signal -1
	s_barrier_wait -1
	s_and_saveexec_b32 s0, vcc_lo
	s_cbranch_execz .LBB76_24
; %bb.23:
	ds_load_b32 v1, v1
	v_lshl_or_b32 v0, s16, 8, v0
	s_wait_dscnt 0x0
	global_store_b16 v0, v1, s[2:3] scale_offset
.LBB76_24:
	s_endpgm
	.section	.rodata,"a",@progbits
	.p2align	6, 0x0
	.amdhsa_kernel _ZN2at6native6mbtopk23computeBlockDigitCountsIdjmLin1EEEvNS_4cuda6detail10TensorInfoIKT_T0_EEjPjjS8_iijT1_PSB_Ps
		.amdhsa_group_segment_fixed_size 1024
		.amdhsa_private_segment_fixed_size 0
		.amdhsa_kernarg_size 536
		.amdhsa_user_sgpr_count 2
		.amdhsa_user_sgpr_dispatch_ptr 0
		.amdhsa_user_sgpr_queue_ptr 0
		.amdhsa_user_sgpr_kernarg_segment_ptr 1
		.amdhsa_user_sgpr_dispatch_id 0
		.amdhsa_user_sgpr_kernarg_preload_length 0
		.amdhsa_user_sgpr_kernarg_preload_offset 0
		.amdhsa_user_sgpr_private_segment_size 0
		.amdhsa_wavefront_size32 1
		.amdhsa_uses_dynamic_stack 0
		.amdhsa_enable_private_segment 0
		.amdhsa_system_sgpr_workgroup_id_x 1
		.amdhsa_system_sgpr_workgroup_id_y 1
		.amdhsa_system_sgpr_workgroup_id_z 1
		.amdhsa_system_sgpr_workgroup_info 0
		.amdhsa_system_vgpr_workitem_id 0
		.amdhsa_next_free_vgpr 12
		.amdhsa_next_free_sgpr 25
		.amdhsa_named_barrier_count 0
		.amdhsa_reserve_vcc 1
		.amdhsa_float_round_mode_32 0
		.amdhsa_float_round_mode_16_64 0
		.amdhsa_float_denorm_mode_32 3
		.amdhsa_float_denorm_mode_16_64 3
		.amdhsa_fp16_overflow 0
		.amdhsa_memory_ordered 1
		.amdhsa_forward_progress 1
		.amdhsa_inst_pref_size 12
		.amdhsa_round_robin_scheduling 0
		.amdhsa_exception_fp_ieee_invalid_op 0
		.amdhsa_exception_fp_denorm_src 0
		.amdhsa_exception_fp_ieee_div_zero 0
		.amdhsa_exception_fp_ieee_overflow 0
		.amdhsa_exception_fp_ieee_underflow 0
		.amdhsa_exception_fp_ieee_inexact 0
		.amdhsa_exception_int_div_zero 0
	.end_amdhsa_kernel
	.section	.text._ZN2at6native6mbtopk23computeBlockDigitCountsIdjmLin1EEEvNS_4cuda6detail10TensorInfoIKT_T0_EEjPjjS8_iijT1_PSB_Ps,"axG",@progbits,_ZN2at6native6mbtopk23computeBlockDigitCountsIdjmLin1EEEvNS_4cuda6detail10TensorInfoIKT_T0_EEjPjjS8_iijT1_PSB_Ps,comdat
.Lfunc_end76:
	.size	_ZN2at6native6mbtopk23computeBlockDigitCountsIdjmLin1EEEvNS_4cuda6detail10TensorInfoIKT_T0_EEjPjjS8_iijT1_PSB_Ps, .Lfunc_end76-_ZN2at6native6mbtopk23computeBlockDigitCountsIdjmLin1EEEvNS_4cuda6detail10TensorInfoIKT_T0_EEjPjjS8_iijT1_PSB_Ps
                                        ; -- End function
	.set _ZN2at6native6mbtopk23computeBlockDigitCountsIdjmLin1EEEvNS_4cuda6detail10TensorInfoIKT_T0_EEjPjjS8_iijT1_PSB_Ps.num_vgpr, 12
	.set _ZN2at6native6mbtopk23computeBlockDigitCountsIdjmLin1EEEvNS_4cuda6detail10TensorInfoIKT_T0_EEjPjjS8_iijT1_PSB_Ps.num_agpr, 0
	.set _ZN2at6native6mbtopk23computeBlockDigitCountsIdjmLin1EEEvNS_4cuda6detail10TensorInfoIKT_T0_EEjPjjS8_iijT1_PSB_Ps.numbered_sgpr, 25
	.set _ZN2at6native6mbtopk23computeBlockDigitCountsIdjmLin1EEEvNS_4cuda6detail10TensorInfoIKT_T0_EEjPjjS8_iijT1_PSB_Ps.num_named_barrier, 0
	.set _ZN2at6native6mbtopk23computeBlockDigitCountsIdjmLin1EEEvNS_4cuda6detail10TensorInfoIKT_T0_EEjPjjS8_iijT1_PSB_Ps.private_seg_size, 0
	.set _ZN2at6native6mbtopk23computeBlockDigitCountsIdjmLin1EEEvNS_4cuda6detail10TensorInfoIKT_T0_EEjPjjS8_iijT1_PSB_Ps.uses_vcc, 1
	.set _ZN2at6native6mbtopk23computeBlockDigitCountsIdjmLin1EEEvNS_4cuda6detail10TensorInfoIKT_T0_EEjPjjS8_iijT1_PSB_Ps.uses_flat_scratch, 0
	.set _ZN2at6native6mbtopk23computeBlockDigitCountsIdjmLin1EEEvNS_4cuda6detail10TensorInfoIKT_T0_EEjPjjS8_iijT1_PSB_Ps.has_dyn_sized_stack, 0
	.set _ZN2at6native6mbtopk23computeBlockDigitCountsIdjmLin1EEEvNS_4cuda6detail10TensorInfoIKT_T0_EEjPjjS8_iijT1_PSB_Ps.has_recursion, 0
	.set _ZN2at6native6mbtopk23computeBlockDigitCountsIdjmLin1EEEvNS_4cuda6detail10TensorInfoIKT_T0_EEjPjjS8_iijT1_PSB_Ps.has_indirect_call, 0
	.section	.AMDGPU.csdata,"",@progbits
; Kernel info:
; codeLenInByte = 1412
; TotalNumSgprs: 27
; NumVgprs: 12
; ScratchSize: 0
; MemoryBound: 0
; FloatMode: 240
; IeeeMode: 1
; LDSByteSize: 1024 bytes/workgroup (compile time only)
; SGPRBlocks: 0
; VGPRBlocks: 0
; NumSGPRsForWavesPerEU: 27
; NumVGPRsForWavesPerEU: 12
; NamedBarCnt: 0
; Occupancy: 16
; WaveLimiterHint : 1
; COMPUTE_PGM_RSRC2:SCRATCH_EN: 0
; COMPUTE_PGM_RSRC2:USER_SGPR: 2
; COMPUTE_PGM_RSRC2:TRAP_HANDLER: 0
; COMPUTE_PGM_RSRC2:TGID_X_EN: 1
; COMPUTE_PGM_RSRC2:TGID_Y_EN: 1
; COMPUTE_PGM_RSRC2:TGID_Z_EN: 1
; COMPUTE_PGM_RSRC2:TIDIG_COMP_CNT: 0
	.section	.text._ZN2at6native6mbtopk10gatherTopKIdjLin1EEEvNS_4cuda6detail10TensorInfoIKT_T0_EES8_S8_bjS8_NS5_IS6_S8_EES8_NS5_IlS8_EES8_jjPS6_PjSD_j,"axG",@progbits,_ZN2at6native6mbtopk10gatherTopKIdjLin1EEEvNS_4cuda6detail10TensorInfoIKT_T0_EES8_S8_bjS8_NS5_IS6_S8_EES8_NS5_IlS8_EES8_jjPS6_PjSD_j,comdat
	.protected	_ZN2at6native6mbtopk10gatherTopKIdjLin1EEEvNS_4cuda6detail10TensorInfoIKT_T0_EES8_S8_bjS8_NS5_IS6_S8_EES8_NS5_IlS8_EES8_jjPS6_PjSD_j ; -- Begin function _ZN2at6native6mbtopk10gatherTopKIdjLin1EEEvNS_4cuda6detail10TensorInfoIKT_T0_EES8_S8_bjS8_NS5_IS6_S8_EES8_NS5_IlS8_EES8_jjPS6_PjSD_j
	.globl	_ZN2at6native6mbtopk10gatherTopKIdjLin1EEEvNS_4cuda6detail10TensorInfoIKT_T0_EES8_S8_bjS8_NS5_IS6_S8_EES8_NS5_IlS8_EES8_jjPS6_PjSD_j
	.p2align	8
	.type	_ZN2at6native6mbtopk10gatherTopKIdjLin1EEEvNS_4cuda6detail10TensorInfoIKT_T0_EES8_S8_bjS8_NS5_IS6_S8_EES8_NS5_IlS8_EES8_jjPS6_PjSD_j,@function
_ZN2at6native6mbtopk10gatherTopKIdjLin1EEEvNS_4cuda6detail10TensorInfoIKT_T0_EES8_S8_bjS8_NS5_IS6_S8_EES8_NS5_IlS8_EES8_jjPS6_PjSD_j: ; @_ZN2at6native6mbtopk10gatherTopKIdjLin1EEEvNS_4cuda6detail10TensorInfoIKT_T0_EES8_S8_bjS8_NS5_IS6_S8_EES8_NS5_IlS8_EES8_jjPS6_PjSD_j
; %bb.0:
	s_bfe_u32 s2, ttmp6, 0x40010
	s_and_b32 s4, ttmp7, 0xffff
	s_add_co_i32 s5, s2, 1
	s_clause 0x1
	s_load_b32 s6, s[0:1], 0x2d0
	s_load_b64 s[2:3], s[0:1], 0x2d8
	s_bfe_u32 s8, ttmp6, 0x4000c
	s_mul_i32 s5, s4, s5
	s_bfe_u32 s7, ttmp6, 0x40004
	s_add_co_i32 s8, s8, 1
	s_bfe_u32 s9, ttmp6, 0x40014
	s_add_co_i32 s7, s7, s5
	s_and_b32 s5, ttmp6, 15
	s_mul_i32 s8, ttmp9, s8
	s_lshr_b32 s10, ttmp7, 16
	s_add_co_i32 s9, s9, 1
	s_add_co_i32 s5, s5, s8
	s_mul_i32 s8, s10, s9
	s_bfe_u32 s9, ttmp6, 0x40008
	s_getreg_b32 s11, hwreg(HW_REG_IB_STS2, 6, 4)
	s_add_co_i32 s9, s9, s8
	s_cmp_eq_u32 s11, 0
	s_mov_b32 s17, 0
	s_cselect_b32 s8, s10, s9
	s_cselect_b32 s4, s4, s7
	s_wait_kmcnt 0x0
	s_mul_i32 s3, s3, s8
	s_cselect_b32 s5, ttmp9, s5
	s_add_co_i32 s3, s3, s4
	s_delay_alu instid0(SALU_CYCLE_1) | instskip(NEXT) | instid1(SALU_CYCLE_1)
	s_mul_i32 s8, s3, s2
	s_add_co_i32 s8, s8, s5
	s_delay_alu instid0(SALU_CYCLE_1)
	s_cmp_ge_u32 s8, s6
	s_cbranch_scc1 .LBB77_49
; %bb.1:
	s_clause 0x1
	s_load_b96 s[12:14], s[0:1], 0x2a8
	s_load_b32 s2, s[0:1], 0xd0
	s_wait_kmcnt 0x0
	s_cvt_f32_u32 s3, s14
	s_sub_co_i32 s4, 0, s14
	s_delay_alu instid0(SALU_CYCLE_2) | instskip(SKIP_1) | instid1(TRANS32_DEP_1)
	v_rcp_iflag_f32_e32 v1, s3
	v_nop
	v_readfirstlane_b32 s3, v1
	s_mul_f32 s3, s3, 0x4f7ffffe
	s_delay_alu instid0(SALU_CYCLE_3) | instskip(NEXT) | instid1(SALU_CYCLE_3)
	s_cvt_u32_f32 s3, s3
	s_mul_i32 s4, s4, s3
	s_delay_alu instid0(SALU_CYCLE_1) | instskip(NEXT) | instid1(SALU_CYCLE_1)
	s_mul_hi_u32 s4, s3, s4
	s_add_co_i32 s3, s3, s4
	s_delay_alu instid0(SALU_CYCLE_1) | instskip(NEXT) | instid1(SALU_CYCLE_1)
	s_mul_hi_u32 s3, s8, s3
	s_mul_i32 s4, s3, s14
	s_add_co_i32 s5, s3, 1
	s_sub_co_i32 s4, s8, s4
	s_delay_alu instid0(SALU_CYCLE_1)
	s_sub_co_i32 s6, s4, s14
	s_cmp_ge_u32 s4, s14
	s_cselect_b32 s3, s5, s3
	s_cselect_b32 s4, s6, s4
	s_add_co_i32 s5, s3, 1
	s_cmp_ge_u32 s4, s14
	s_cselect_b32 s9, s5, s3
	s_cmp_lt_i32 s2, 2
	s_mov_b32 s15, s9
	s_cbranch_scc1 .LBB77_4
; %bb.2:
	s_add_co_i32 s16, s2, -1
	s_mov_b32 s15, s9
	s_lshl_b64 s[4:5], s[16:17], 2
	s_delay_alu instid0(SALU_CYCLE_1)
	s_add_nc_u64 s[6:7], s[0:1], s[4:5]
	s_add_co_i32 s4, s2, 1
	s_add_nc_u64 s[2:3], s[6:7], 8
.LBB77_3:                               ; =>This Inner Loop Header: Depth=1
	s_clause 0x1
	s_load_b32 s5, s[2:3], 0x0
	s_load_b32 s6, s[2:3], 0x64
	s_mov_b32 s11, s15
	s_wait_xcnt 0x0
	s_add_nc_u64 s[2:3], s[2:3], -4
	s_wait_kmcnt 0x0
	s_cvt_f32_u32 s7, s5
	s_sub_co_i32 s10, 0, s5
	s_delay_alu instid0(SALU_CYCLE_2) | instskip(SKIP_1) | instid1(TRANS32_DEP_1)
	v_rcp_iflag_f32_e32 v1, s7
	v_nop
	v_readfirstlane_b32 s7, v1
	s_mul_f32 s7, s7, 0x4f7ffffe
	s_delay_alu instid0(SALU_CYCLE_3) | instskip(NEXT) | instid1(SALU_CYCLE_3)
	s_cvt_u32_f32 s7, s7
	s_mul_i32 s10, s10, s7
	s_delay_alu instid0(SALU_CYCLE_1) | instskip(NEXT) | instid1(SALU_CYCLE_1)
	s_mul_hi_u32 s10, s7, s10
	s_add_co_i32 s7, s7, s10
	s_delay_alu instid0(SALU_CYCLE_1) | instskip(NEXT) | instid1(SALU_CYCLE_1)
	s_mul_hi_u32 s7, s15, s7
	s_mul_i32 s10, s7, s5
	s_delay_alu instid0(SALU_CYCLE_1)
	s_sub_co_i32 s10, s15, s10
	s_add_co_i32 s15, s7, 1
	s_sub_co_i32 s16, s10, s5
	s_cmp_ge_u32 s10, s5
	s_cselect_b32 s7, s15, s7
	s_cselect_b32 s10, s16, s10
	s_add_co_i32 s15, s7, 1
	s_cmp_ge_u32 s10, s5
	s_cselect_b32 s15, s15, s7
	s_add_co_i32 s4, s4, -1
	s_mul_i32 s5, s15, s5
	s_delay_alu instid0(SALU_CYCLE_1) | instskip(NEXT) | instid1(SALU_CYCLE_1)
	s_sub_co_i32 s5, s11, s5
	s_mul_i32 s5, s6, s5
	s_delay_alu instid0(SALU_CYCLE_1)
	s_add_co_i32 s17, s5, s17
	s_cmp_gt_u32 s4, 2
	s_cbranch_scc1 .LBB77_3
.LBB77_4:
	s_load_b32 s4, s[0:1], 0x1c0
	s_add_nc_u64 s[2:3], s[0:1], 0xf0
	s_mov_b32 s19, 0
	s_mov_b32 s16, s9
	s_wait_kmcnt 0x0
	s_cmp_lt_i32 s4, 2
	s_cbranch_scc1 .LBB77_7
; %bb.5:
	s_add_co_i32 s18, s4, -1
	s_mov_b32 s16, s9
	s_lshl_b64 s[6:7], s[18:19], 2
	s_delay_alu instid0(SALU_CYCLE_1)
	s_add_nc_u64 s[10:11], s[2:3], s[6:7]
	s_add_co_i32 s6, s4, 1
	s_add_nc_u64 s[4:5], s[10:11], 8
.LBB77_6:                               ; =>This Inner Loop Header: Depth=1
	s_clause 0x1
	s_load_b32 s7, s[4:5], 0x0
	s_load_b32 s10, s[4:5], 0x64
	s_mov_b32 s20, s16
	s_wait_xcnt 0x0
	s_add_nc_u64 s[4:5], s[4:5], -4
	s_wait_kmcnt 0x0
	s_cvt_f32_u32 s11, s7
	s_sub_co_i32 s18, 0, s7
	s_delay_alu instid0(SALU_CYCLE_2) | instskip(SKIP_1) | instid1(TRANS32_DEP_1)
	v_rcp_iflag_f32_e32 v1, s11
	v_nop
	v_readfirstlane_b32 s11, v1
	s_mul_f32 s11, s11, 0x4f7ffffe
	s_delay_alu instid0(SALU_CYCLE_3) | instskip(NEXT) | instid1(SALU_CYCLE_3)
	s_cvt_u32_f32 s11, s11
	s_mul_i32 s18, s18, s11
	s_delay_alu instid0(SALU_CYCLE_1) | instskip(NEXT) | instid1(SALU_CYCLE_1)
	s_mul_hi_u32 s18, s11, s18
	s_add_co_i32 s11, s11, s18
	s_delay_alu instid0(SALU_CYCLE_1) | instskip(NEXT) | instid1(SALU_CYCLE_1)
	s_mul_hi_u32 s11, s16, s11
	s_mul_i32 s16, s11, s7
	s_add_co_i32 s18, s11, 1
	s_sub_co_i32 s16, s20, s16
	s_delay_alu instid0(SALU_CYCLE_1)
	s_sub_co_i32 s21, s16, s7
	s_cmp_ge_u32 s16, s7
	s_cselect_b32 s11, s18, s11
	s_cselect_b32 s16, s21, s16
	s_add_co_i32 s18, s11, 1
	s_cmp_ge_u32 s16, s7
	s_cselect_b32 s16, s18, s11
	s_add_co_i32 s6, s6, -1
	s_mul_i32 s7, s16, s7
	s_delay_alu instid0(SALU_CYCLE_1) | instskip(NEXT) | instid1(SALU_CYCLE_1)
	s_sub_co_i32 s7, s20, s7
	s_mul_i32 s7, s10, s7
	s_delay_alu instid0(SALU_CYCLE_1)
	s_add_co_i32 s19, s7, s19
	s_cmp_gt_u32 s6, 2
	s_cbranch_scc1 .LBB77_6
.LBB77_7:
	s_clause 0x1
	s_load_b32 s18, s[0:1], 0x6c
	s_load_b32 s4, s[0:1], 0x2a0
	s_mov_b32 s21, 0
	s_mov_b32 s20, s9
	s_wait_kmcnt 0x0
	s_cmp_lt_i32 s4, 2
	s_cbranch_scc1 .LBB77_10
; %bb.8:
	s_add_co_i32 s20, s4, -1
	s_add_nc_u64 s[6:7], s[0:1], 0x1d0
	s_lshl_b64 s[10:11], s[20:21], 2
	s_mov_b32 s20, s9
	s_add_nc_u64 s[10:11], s[6:7], s[10:11]
	s_add_co_i32 s6, s4, 1
	s_add_nc_u64 s[4:5], s[10:11], 8
.LBB77_9:                               ; =>This Inner Loop Header: Depth=1
	s_clause 0x1
	s_load_b32 s7, s[4:5], 0x0
	s_load_b32 s10, s[4:5], 0x64
	s_mov_b32 s23, s20
	s_wait_xcnt 0x0
	s_add_nc_u64 s[4:5], s[4:5], -4
	s_wait_kmcnt 0x0
	s_cvt_f32_u32 s11, s7
	s_sub_co_i32 s22, 0, s7
	s_delay_alu instid0(SALU_CYCLE_2) | instskip(SKIP_1) | instid1(TRANS32_DEP_1)
	v_rcp_iflag_f32_e32 v1, s11
	v_nop
	v_readfirstlane_b32 s11, v1
	s_mul_f32 s11, s11, 0x4f7ffffe
	s_delay_alu instid0(SALU_CYCLE_3) | instskip(NEXT) | instid1(SALU_CYCLE_3)
	s_cvt_u32_f32 s11, s11
	s_mul_i32 s22, s22, s11
	s_delay_alu instid0(SALU_CYCLE_1) | instskip(NEXT) | instid1(SALU_CYCLE_1)
	s_mul_hi_u32 s22, s11, s22
	s_add_co_i32 s11, s11, s22
	s_delay_alu instid0(SALU_CYCLE_1) | instskip(NEXT) | instid1(SALU_CYCLE_1)
	s_mul_hi_u32 s11, s20, s11
	s_mul_i32 s20, s11, s7
	s_add_co_i32 s22, s11, 1
	s_sub_co_i32 s20, s23, s20
	s_delay_alu instid0(SALU_CYCLE_1)
	s_sub_co_i32 s24, s20, s7
	s_cmp_ge_u32 s20, s7
	s_cselect_b32 s11, s22, s11
	s_cselect_b32 s20, s24, s20
	s_add_co_i32 s22, s11, 1
	s_cmp_ge_u32 s20, s7
	s_cselect_b32 s20, s22, s11
	s_add_co_i32 s6, s6, -1
	s_mul_i32 s7, s20, s7
	s_delay_alu instid0(SALU_CYCLE_1) | instskip(NEXT) | instid1(SALU_CYCLE_1)
	s_sub_co_i32 s7, s23, s7
	s_mul_i32 s7, s10, s7
	s_delay_alu instid0(SALU_CYCLE_1)
	s_add_co_i32 s21, s7, s21
	s_cmp_gt_u32 s6, 2
	s_cbranch_scc1 .LBB77_9
.LBB77_10:
	s_clause 0x1
	s_load_b32 s33, s[2:3], 0x6c
	s_load_b128 s[4:7], s[0:1], 0x2b8
	s_wait_xcnt 0x0
	v_cmp_ne_u32_e64 s2, 0, v0
	v_cmp_eq_u32_e64 s3, 0, v0
	s_wait_kmcnt 0x0
	s_load_b64 s[22:23], s[4:5], s9 offset:0x0 scale_offset
	s_wait_xcnt 0x0
	s_mul_i32 s4, s9, s14
	s_mov_b32 s5, 0
	s_sub_co_i32 s34, s8, s4
	s_and_saveexec_b32 s35, s3
	s_cbranch_execz .LBB77_26
; %bb.11:
	s_load_b64 s[26:27], s[0:1], 0x2c8
	s_lshl_b64 s[28:29], s[4:5], 2
	s_cmp_lt_u32 s14, 4
	s_cbranch_scc1 .LBB77_23
; %bb.12:
	s_mov_b64 s[24:25], 0
	s_mov_b32 s4, 0
.LBB77_13:                              ; =>This Inner Loop Header: Depth=1
	s_add_nc_u64 s[30:31], s[6:7], s[28:29]
	s_cmp_ge_u32 s4, s34
	s_load_b128 s[8:11], s[30:31], 0x0
	s_wait_kmcnt 0x0
	s_add_nc_u64 s[30:31], s[26:27], s[28:29]
	s_cbranch_scc0 .LBB77_20
; %bb.14:                               ;   in Loop: Header=BB77_13 Depth=1
	s_add_co_i32 s36, s4, 1
	s_delay_alu instid0(SALU_CYCLE_1)
	s_cmp_ge_u32 s36, s34
	s_cbranch_scc0 .LBB77_21
.LBB77_15:                              ;   in Loop: Header=BB77_13 Depth=1
	s_add_co_i32 s36, s36, 1
	s_delay_alu instid0(SALU_CYCLE_1)
	s_cmp_ge_u32 s36, s34
	s_cbranch_scc0 .LBB77_22
.LBB77_16:                              ;   in Loop: Header=BB77_13 Depth=1
	s_add_co_i32 s36, s36, 1
	s_delay_alu instid0(SALU_CYCLE_1)
	s_cmp_ge_u32 s36, s34
	s_cbranch_scc1 .LBB77_18
.LBB77_17:                              ;   in Loop: Header=BB77_13 Depth=1
	s_load_b32 s30, s[30:31], 0xc
	s_add_co_i32 s25, s11, s25
	s_wait_kmcnt 0x0
	s_add_co_i32 s24, s30, s24
.LBB77_18:                              ;   in Loop: Header=BB77_13 Depth=1
	s_add_co_i32 s5, s8, s5
	s_add_co_i32 s8, s36, 1
	;; [unrolled: 1-line block ×5, first 2 shown]
	s_add_nc_u64 s[6:7], s[6:7], 16
	s_add_co_i32 s5, s5, s11
	s_cmp_ge_u32 s9, s14
	s_add_nc_u64 s[26:27], s[26:27], 16
	s_cbranch_scc1 .LBB77_24
; %bb.19:                               ;   in Loop: Header=BB77_13 Depth=1
	s_mov_b32 s4, s8
	s_branch .LBB77_13
.LBB77_20:                              ;   in Loop: Header=BB77_13 Depth=1
	s_load_b32 s36, s[30:31], 0x0
	s_add_co_i32 s25, s8, s25
	s_wait_kmcnt 0x0
	s_add_co_i32 s24, s36, s24
	s_add_co_i32 s36, s4, 1
	s_delay_alu instid0(SALU_CYCLE_1)
	s_cmp_ge_u32 s36, s34
	s_cbranch_scc1 .LBB77_15
.LBB77_21:                              ;   in Loop: Header=BB77_13 Depth=1
	s_load_b32 s37, s[30:31], 0x4
	s_add_co_i32 s25, s9, s25
	s_wait_kmcnt 0x0
	s_add_co_i32 s24, s37, s24
	s_add_co_i32 s36, s36, 1
	s_delay_alu instid0(SALU_CYCLE_1)
	s_cmp_ge_u32 s36, s34
	s_cbranch_scc1 .LBB77_16
.LBB77_22:                              ;   in Loop: Header=BB77_13 Depth=1
	s_load_b32 s37, s[30:31], 0x8
	s_add_co_i32 s25, s10, s25
	s_wait_kmcnt 0x0
	s_add_co_i32 s24, s37, s24
	s_add_co_i32 s36, s36, 1
	s_delay_alu instid0(SALU_CYCLE_1)
	s_cmp_ge_u32 s36, s34
	s_cbranch_scc0 .LBB77_17
	s_branch .LBB77_18
.LBB77_23:
	s_mov_b64 s[24:25], 0
	s_add_nc_u64 s[6:7], s[6:7], s[28:29]
	s_wait_kmcnt 0x0
	s_add_nc_u64 s[8:9], s[26:27], s[28:29]
	s_mov_b32 s4, 0
	s_delay_alu instid0(SALU_CYCLE_1)
	s_cmp_ge_u32 s4, s14
	s_cbranch_scc0 .LBB77_47
	s_branch .LBB77_25
.LBB77_24:
	s_add_co_i32 s4, s4, 4
	s_add_nc_u64 s[8:9], s[26:27], s[28:29]
	s_add_nc_u64 s[6:7], s[6:7], s[28:29]
	s_cmp_ge_u32 s4, s14
	s_cbranch_scc0 .LBB77_47
.LBB77_25:
	v_dual_mov_b32 v2, s24 :: v_dual_mov_b32 v3, s5
	v_dual_mov_b32 v4, s25 :: v_dual_mov_b32 v1, 0
	ds_store_b96 v1, v[2:4] offset:1056
.LBB77_26:
	s_or_b32 exec_lo, exec_lo, s35
	s_clause 0x4
	s_load_b32 s28, s[0:1], 0x23c
	s_load_b64 s[8:9], s[0:1], 0x0
	s_load_b64 s[10:11], s[0:1], 0xf0
	;; [unrolled: 1-line block ×3, first 2 shown]
	s_load_b96 s[4:6], s[0:1], 0xd8
	s_mul_i32 s7, s13, s34
	s_mov_b32 s27, 0
	s_lshl_b32 s7, s7, 8
	s_add_co_i32 s34, s34, 1
	s_wait_dscnt 0x0
	s_barrier_signal -1
	s_barrier_wait -1
	s_wait_kmcnt 0x0
	s_sub_co_i32 s26, s4, s7
	s_delay_alu instid0(SALU_CYCLE_1) | instskip(NEXT) | instid1(SALU_CYCLE_1)
	s_add_nc_u64 s[30:31], s[26:27], 0xff
	s_lshr_b64 s[30:31], s[30:31], 8
	s_cmp_lt_u32 s34, s14
	s_cselect_b32 s13, s13, s30
	s_delay_alu instid0(SALU_CYCLE_1)
	s_cmp_eq_u32 s13, 0
	s_cbranch_scc1 .LBB77_49
; %bb.27:
	v_cmp_o_f64_e64 s30, s[22:23], s[22:23]
	v_dual_mov_b32 v7, 0 :: v_dual_lshrrev_b32 v1, 3, v0
	s_mul_i32 s14, s33, s16
	v_dual_add_nc_u32 v9, -1, v0 :: v_dual_add_nc_u32 v6, s7, v0
	ds_load_b96 v[2:4], v7 offset:1056
	s_clause 0x1
	s_load_b32 s31, s[0:1], 0xe8
	s_load_b32 s16, s[0:1], 0x1c8
	v_and_b32_e32 v1, 28, v1
	v_dual_lshrrev_b32 v8, 3, v9 :: v_dual_lshlrev_b32 v11, 5, v0
	s_mul_i32 s26, s18, s15
	s_ashr_i32 s18, s23, 31
	s_mul_i32 s20, s28, s20
	s_add_co_i32 s14, s14, s19
	s_add_co_i32 s26, s26, s17
	s_mov_b32 s19, s18
	v_and_b32_e32 v10, 0xfc, v0
	s_mov_b32 s15, s27
	s_mov_b32 s29, s27
	s_add_co_i32 s28, s20, s21
	s_wait_xcnt 0x0
	s_lshl_b64 s[0:1], s[26:27], 3
	s_or_b64 s[18:19], s[18:19], 0x8000000000000000
	s_lshl_b64 s[14:15], s[14:15], 3
	s_lshl_b64 s[20:21], s[28:29], 3
	s_add_nc_u64 s[8:9], s[8:9], s[0:1]
	s_wait_dscnt 0x0
	v_add_nc_u32_e32 v2, v2, v3
	v_lshl_add_u32 v5, v0, 2, v1
	v_and_b32_e32 v1, 0x1ffffffc, v8
	s_wait_kmcnt 0x0
	v_mul_lo_u32 v8, s31, v6
	v_mbcnt_lo_u32_b32 v3, -1, 0
	s_xor_b64 s[0:1], s[18:19], s[22:23]
	s_and_b32 s7, s30, exec_lo
	s_add_nc_u64 s[10:11], s[10:11], s[14:15]
	s_cselect_b32 s14, s0, -1
	v_cmp_gt_u32_e64 s0, 32, v0
	v_lshl_add_u32 v9, v9, 2, v1
	v_add_nc_u32_e32 v10, v10, v11
	v_dual_add_nc_u32 v13, -1, v3 :: v_dual_bitop2_b32 v11, 15, v3 bitop3:0x40
	v_bfe_i32 v12, v3, 4, 1
	s_cselect_b32 s15, s1, -1
	s_bitcmp1_b32 s6, 0
	s_add_nc_u64 s[6:7], s[24:25], s[20:21]
	s_cselect_b32 s1, -1, 0
	s_lshl_b32 s17, s31, 8
                                        ; implicit-def: $vgpr0_vgpr1
	s_branch .LBB77_30
.LBB77_28:                              ;   in Loop: Header=BB77_30 Depth=1
	s_wait_xcnt 0x0
	s_or_b32 exec_lo, exec_lo, s18
	v_add_nc_u32_e32 v2, v16, v2
.LBB77_29:                              ;   in Loop: Header=BB77_30 Depth=1
	v_add_nc_u32_e32 v4, v15, v4
	v_add_nc_u32_e32 v8, s17, v8
	;; [unrolled: 1-line block ×3, first 2 shown]
	s_add_co_i32 s13, s13, -1
	s_delay_alu instid0(SALU_CYCLE_1)
	s_cmp_lg_u32 s13, 0
	s_cbranch_scc0 .LBB77_49
.LBB77_30:                              ; =>This Inner Loop Header: Depth=1
	v_dual_mov_b32 v16, 0 :: v_dual_mov_b32 v14, 0
	s_mov_b32 s18, exec_lo
	v_cmpx_gt_u32_e64 s4, v6
	s_cbranch_execz .LBB77_32
; %bb.31:                               ;   in Loop: Header=BB77_30 Depth=1
	global_load_b64 v[0:1], v8, s[8:9] scale_offset
	s_wait_loadcnt 0x0
	v_cmp_o_f64_e32 vcc_lo, v[0:1], v[0:1]
	v_ashrrev_i32_e32 v14, 31, v1
	s_delay_alu instid0(VALU_DEP_1) | instskip(NEXT) | instid1(VALU_DEP_1)
	v_or_b32_e32 v15, 0x80000000, v14
	v_xor_b32_e32 v15, v15, v1
	s_delay_alu instid0(VALU_DEP_1) | instskip(NEXT) | instid1(VALU_DEP_1)
	v_dual_cndmask_b32 v15, -1, v15, vcc_lo :: v_dual_bitop2_b32 v14, v14, v0 bitop3:0x14
	v_cndmask_b32_e32 v14, -1, v14, vcc_lo
	s_delay_alu instid0(VALU_DEP_1) | instskip(SKIP_3) | instid1(VALU_DEP_1)
	v_cmp_lt_u64_e32 vcc_lo, s[14:15], v[14:15]
	v_cndmask_b32_e64 v16, 0, 1, vcc_lo
	v_cmp_gt_u64_e32 vcc_lo, s[14:15], v[14:15]
	v_cndmask_b32_e64 v17, 0, 1, vcc_lo
	v_cndmask_b32_e64 v16, v17, v16, s1
	v_cmp_eq_u64_e32 vcc_lo, s[14:15], v[14:15]
	s_delay_alu instid0(VALU_DEP_2)
	v_and_b32_e32 v16, 1, v16
	v_cndmask_b32_e64 v14, 0, 1, vcc_lo
.LBB77_32:                              ;   in Loop: Header=BB77_30 Depth=1
	s_wait_xcnt 0x0
	s_or_b32 exec_lo, exec_lo, s18
	ds_store_b32 v5, v16
	s_wait_dscnt 0x0
	s_barrier_signal -1
	s_barrier_wait -1
	s_and_saveexec_b32 s18, s0
	s_cbranch_execz .LBB77_34
; %bb.33:                               ;   in Loop: Header=BB77_30 Depth=1
	ds_load_2addr_b32 v[18:19], v10 offset1:1
	ds_load_2addr_b32 v[20:21], v10 offset0:2 offset1:3
	ds_load_2addr_b32 v[22:23], v10 offset0:4 offset1:5
	;; [unrolled: 1-line block ×3, first 2 shown]
	v_cmp_ne_u32_e32 vcc_lo, 0, v11
	; wave barrier
	s_wait_dscnt 0x3
	v_add_nc_u32_e32 v15, v19, v18
	s_wait_dscnt 0x2
	s_delay_alu instid0(VALU_DEP_1) | instskip(SKIP_1) | instid1(VALU_DEP_1)
	v_add3_u32 v15, v15, v20, v21
	s_wait_dscnt 0x1
	v_add3_u32 v15, v15, v22, v23
	s_wait_dscnt 0x0
	s_delay_alu instid0(VALU_DEP_1) | instskip(NEXT) | instid1(VALU_DEP_1)
	v_add3_u32 v15, v15, v24, v25
	v_mov_b32_dpp v17, v15 row_shr:1 row_mask:0xf bank_mask:0xf
	s_delay_alu instid0(VALU_DEP_1) | instskip(SKIP_1) | instid1(VALU_DEP_2)
	v_cndmask_b32_e32 v17, 0, v17, vcc_lo
	v_cmp_lt_u32_e32 vcc_lo, 1, v11
	v_add_nc_u32_e32 v15, v17, v15
	s_delay_alu instid0(VALU_DEP_1) | instskip(NEXT) | instid1(VALU_DEP_1)
	v_mov_b32_dpp v17, v15 row_shr:2 row_mask:0xf bank_mask:0xf
	v_cndmask_b32_e32 v17, 0, v17, vcc_lo
	v_cmp_lt_u32_e32 vcc_lo, 3, v11
	s_delay_alu instid0(VALU_DEP_2) | instskip(NEXT) | instid1(VALU_DEP_1)
	v_add_nc_u32_e32 v15, v15, v17
	v_mov_b32_dpp v17, v15 row_shr:4 row_mask:0xf bank_mask:0xf
	s_delay_alu instid0(VALU_DEP_1) | instskip(SKIP_1) | instid1(VALU_DEP_2)
	v_cndmask_b32_e32 v17, 0, v17, vcc_lo
	v_cmp_lt_u32_e32 vcc_lo, 7, v11
	v_add_nc_u32_e32 v15, v15, v17
	s_delay_alu instid0(VALU_DEP_1) | instskip(NEXT) | instid1(VALU_DEP_1)
	v_mov_b32_dpp v17, v15 row_shr:8 row_mask:0xf bank_mask:0xf
	v_cndmask_b32_e32 v17, 0, v17, vcc_lo
	v_cmp_gt_i32_e32 vcc_lo, 0, v13
	s_delay_alu instid0(VALU_DEP_2) | instskip(SKIP_3) | instid1(VALU_DEP_1)
	v_dual_add_nc_u32 v15, v15, v17 :: v_dual_cndmask_b32 v19, v13, v3, vcc_lo
	ds_swizzle_b32 v17, v15 offset:swizzle(BROADCAST,32,15)
	s_wait_dscnt 0x0
	v_dual_lshlrev_b32 v19, 2, v19 :: v_dual_bitop2_b32 v17, v12, v17 bitop3:0x40
	v_add_nc_u32_e32 v15, v15, v17
	ds_bpermute_b32 v15, v19, v15
	s_wait_dscnt 0x0
	v_add_nc_u32_e32 v15, v15, v18
	s_delay_alu instid0(VALU_DEP_1)
	v_cndmask_b32_e64 v15, v15, v16, s3
	ds_store_b32 v10, v15
	; wave barrier
	ds_load_2addr_b32 v[18:19], v10 offset0:1 offset1:2
	ds_load_2addr_b32 v[20:21], v10 offset0:3 offset1:4
	ds_load_2addr_b32 v[22:23], v10 offset0:5 offset1:6
	ds_load_b32 v17, v10 offset:28
	s_wait_dscnt 0x3
	v_add_nc_u32_e32 v15, v18, v15
	s_delay_alu instid0(VALU_DEP_1) | instskip(SKIP_1) | instid1(VALU_DEP_1)
	v_add_nc_u32_e32 v18, v19, v15
	s_wait_dscnt 0x2
	v_add_nc_u32_e32 v19, v20, v18
	s_delay_alu instid0(VALU_DEP_1) | instskip(SKIP_1) | instid1(VALU_DEP_1)
	v_add_nc_u32_e32 v20, v21, v19
	;; [unrolled: 4-line block ×3, first 2 shown]
	s_wait_dscnt 0x0
	v_add_nc_u32_e32 v17, v17, v22
	ds_store_2addr_b32 v10, v15, v18 offset0:1 offset1:2
	ds_store_2addr_b32 v10, v19, v20 offset0:3 offset1:4
	;; [unrolled: 1-line block ×3, first 2 shown]
	ds_store_b32 v10, v17 offset:28
.LBB77_34:                              ;   in Loop: Header=BB77_30 Depth=1
	s_or_b32 exec_lo, exec_lo, s18
	v_mov_b32_e32 v17, 0
	s_wait_dscnt 0x0
	s_barrier_signal -1
	s_barrier_wait -1
	s_and_saveexec_b32 s18, s2
; %bb.35:                               ;   in Loop: Header=BB77_30 Depth=1
	ds_load_b32 v17, v9
; %bb.36:                               ;   in Loop: Header=BB77_30 Depth=1
	s_or_b32 exec_lo, exec_lo, s18
	ds_load_b32 v15, v7 offset:1048
	s_mov_b32 s18, exec_lo
	s_wait_dscnt 0x0
	s_barrier_signal -1
	s_barrier_wait -1
	v_cmpx_ne_u32_e32 0, v16
	s_cbranch_execz .LBB77_38
; %bb.37:                               ;   in Loop: Header=BB77_30 Depth=1
	v_add_nc_u32_e32 v16, v17, v4
	s_delay_alu instid0(VALU_DEP_1)
	v_mul_lo_u32 v17, v16, s16
	v_mul_lo_u32 v16, v16, s12
	global_store_b64 v17, v[0:1], s[10:11] scale_offset
	global_store_b64 v16, v[6:7], s[6:7] scale_offset
.LBB77_38:                              ;   in Loop: Header=BB77_30 Depth=1
	s_wait_xcnt 0x0
	s_or_b32 exec_lo, exec_lo, s18
	v_cmp_le_u32_e32 vcc_lo, s5, v2
	s_cbranch_vccnz .LBB77_29
; %bb.39:                               ;   in Loop: Header=BB77_30 Depth=1
	ds_store_b32 v5, v14
	s_wait_storecnt_dscnt 0x0
	s_barrier_signal -1
	s_barrier_wait -1
	s_and_saveexec_b32 s18, s0
	s_cbranch_execz .LBB77_41
; %bb.40:                               ;   in Loop: Header=BB77_30 Depth=1
	ds_load_2addr_b32 v[16:17], v10 offset1:1
	ds_load_2addr_b32 v[18:19], v10 offset0:2 offset1:3
	ds_load_2addr_b32 v[20:21], v10 offset0:4 offset1:5
	;; [unrolled: 1-line block ×3, first 2 shown]
	v_cmp_ne_u32_e32 vcc_lo, 0, v11
	; wave barrier
	s_wait_dscnt 0x3
	v_add_nc_u32_e32 v17, v17, v16
	s_wait_dscnt 0x2
	s_delay_alu instid0(VALU_DEP_1) | instskip(SKIP_1) | instid1(VALU_DEP_1)
	v_add3_u32 v17, v17, v18, v19
	s_wait_dscnt 0x1
	v_add3_u32 v17, v17, v20, v21
	s_wait_dscnt 0x0
	s_delay_alu instid0(VALU_DEP_1) | instskip(NEXT) | instid1(VALU_DEP_1)
	v_add3_u32 v17, v17, v22, v23
	v_mov_b32_dpp v18, v17 row_shr:1 row_mask:0xf bank_mask:0xf
	s_delay_alu instid0(VALU_DEP_1) | instskip(SKIP_1) | instid1(VALU_DEP_2)
	v_cndmask_b32_e32 v18, 0, v18, vcc_lo
	v_cmp_lt_u32_e32 vcc_lo, 1, v11
	v_add_nc_u32_e32 v17, v18, v17
	s_delay_alu instid0(VALU_DEP_1) | instskip(NEXT) | instid1(VALU_DEP_1)
	v_mov_b32_dpp v18, v17 row_shr:2 row_mask:0xf bank_mask:0xf
	v_cndmask_b32_e32 v18, 0, v18, vcc_lo
	v_cmp_lt_u32_e32 vcc_lo, 3, v11
	s_delay_alu instid0(VALU_DEP_2) | instskip(NEXT) | instid1(VALU_DEP_1)
	v_add_nc_u32_e32 v17, v17, v18
	v_mov_b32_dpp v18, v17 row_shr:4 row_mask:0xf bank_mask:0xf
	s_delay_alu instid0(VALU_DEP_1) | instskip(SKIP_1) | instid1(VALU_DEP_2)
	v_cndmask_b32_e32 v18, 0, v18, vcc_lo
	v_cmp_lt_u32_e32 vcc_lo, 7, v11
	v_add_nc_u32_e32 v17, v17, v18
	s_delay_alu instid0(VALU_DEP_1) | instskip(NEXT) | instid1(VALU_DEP_1)
	v_mov_b32_dpp v18, v17 row_shr:8 row_mask:0xf bank_mask:0xf
	v_cndmask_b32_e32 v18, 0, v18, vcc_lo
	v_cmp_gt_i32_e32 vcc_lo, 0, v13
	s_delay_alu instid0(VALU_DEP_2) | instskip(SKIP_4) | instid1(VALU_DEP_1)
	v_add_nc_u32_e32 v17, v17, v18
	v_cndmask_b32_e32 v19, v13, v3, vcc_lo
	ds_swizzle_b32 v18, v17 offset:swizzle(BROADCAST,32,15)
	s_wait_dscnt 0x0
	v_dual_lshlrev_b32 v19, 2, v19 :: v_dual_bitop2_b32 v18, v12, v18 bitop3:0x40
	v_add_nc_u32_e32 v17, v17, v18
	ds_bpermute_b32 v17, v19, v17
	s_wait_dscnt 0x0
	v_add_nc_u32_e32 v16, v17, v16
	s_delay_alu instid0(VALU_DEP_1)
	v_cndmask_b32_e64 v22, v16, v14, s3
	ds_store_b32 v10, v22
	; wave barrier
	ds_load_2addr_b32 v[16:17], v10 offset0:1 offset1:2
	ds_load_2addr_b32 v[18:19], v10 offset0:3 offset1:4
	;; [unrolled: 1-line block ×3, first 2 shown]
	ds_load_b32 v23, v10 offset:28
	s_wait_dscnt 0x3
	v_add_nc_u32_e32 v16, v16, v22
	s_delay_alu instid0(VALU_DEP_1) | instskip(SKIP_1) | instid1(VALU_DEP_1)
	v_add_nc_u32_e32 v17, v17, v16
	s_wait_dscnt 0x2
	v_add_nc_u32_e32 v18, v18, v17
	s_delay_alu instid0(VALU_DEP_1) | instskip(SKIP_1) | instid1(VALU_DEP_1)
	v_add_nc_u32_e32 v19, v19, v18
	;; [unrolled: 4-line block ×3, first 2 shown]
	s_wait_dscnt 0x0
	v_add_nc_u32_e32 v22, v23, v21
	ds_store_2addr_b32 v10, v16, v17 offset0:1 offset1:2
	ds_store_2addr_b32 v10, v18, v19 offset0:3 offset1:4
	ds_store_2addr_b32 v10, v20, v21 offset0:5 offset1:6
	ds_store_b32 v10, v22 offset:28
.LBB77_41:                              ;   in Loop: Header=BB77_30 Depth=1
	s_or_b32 exec_lo, exec_lo, s18
	v_mov_b32_e32 v17, 0
	s_wait_dscnt 0x0
	s_barrier_signal -1
	s_barrier_wait -1
	s_and_saveexec_b32 s18, s2
; %bb.42:                               ;   in Loop: Header=BB77_30 Depth=1
	ds_load_b32 v17, v9
; %bb.43:                               ;   in Loop: Header=BB77_30 Depth=1
	s_or_b32 exec_lo, exec_lo, s18
	ds_load_b32 v16, v7 offset:1048
	s_mov_b32 s18, exec_lo
	s_wait_dscnt 0x0
	s_barrier_signal -1
	s_barrier_wait -1
	v_cmpx_ne_u32_e32 0, v14
	s_cbranch_execz .LBB77_28
; %bb.44:                               ;   in Loop: Header=BB77_30 Depth=1
	v_add_nc_u32_e32 v14, v17, v2
	s_delay_alu instid0(VALU_DEP_1)
	v_cmp_gt_u32_e32 vcc_lo, s5, v14
	s_and_b32 exec_lo, exec_lo, vcc_lo
	s_cbranch_execz .LBB77_28
; %bb.45:                               ;   in Loop: Header=BB77_30 Depth=1
	v_mul_lo_u32 v17, v14, s16
	v_mul_lo_u32 v14, v14, s12
	global_store_b64 v17, v[0:1], s[10:11] scale_offset
	global_store_b64 v14, v[6:7], s[6:7] scale_offset
	s_branch .LBB77_28
.LBB77_46:                              ;   in Loop: Header=BB77_47 Depth=1
	s_add_co_i32 s4, s4, 1
	s_wait_kmcnt 0x0
	s_add_co_i32 s5, s10, s5
	s_add_nc_u64 s[6:7], s[6:7], 4
	s_cmp_lt_u32 s4, s14
	s_add_nc_u64 s[8:9], s[8:9], 4
	s_cbranch_scc0 .LBB77_25
.LBB77_47:                              ; =>This Inner Loop Header: Depth=1
	s_load_b32 s10, s[6:7], 0x0
	s_cmp_ge_u32 s4, s34
	s_cbranch_scc1 .LBB77_46
; %bb.48:                               ;   in Loop: Header=BB77_47 Depth=1
	s_load_b32 s11, s[8:9], 0x0
	s_wait_kmcnt 0x0
	s_add_co_i32 s25, s10, s25
	s_add_co_i32 s24, s11, s24
	s_branch .LBB77_46
.LBB77_49:
	s_endpgm
	.section	.rodata,"a",@progbits
	.p2align	6, 0x0
	.amdhsa_kernel _ZN2at6native6mbtopk10gatherTopKIdjLin1EEEvNS_4cuda6detail10TensorInfoIKT_T0_EES8_S8_bjS8_NS5_IS6_S8_EES8_NS5_IlS8_EES8_jjPS6_PjSD_j
		.amdhsa_group_segment_fixed_size 1068
		.amdhsa_private_segment_fixed_size 0
		.amdhsa_kernarg_size 984
		.amdhsa_user_sgpr_count 2
		.amdhsa_user_sgpr_dispatch_ptr 0
		.amdhsa_user_sgpr_queue_ptr 0
		.amdhsa_user_sgpr_kernarg_segment_ptr 1
		.amdhsa_user_sgpr_dispatch_id 0
		.amdhsa_user_sgpr_kernarg_preload_length 0
		.amdhsa_user_sgpr_kernarg_preload_offset 0
		.amdhsa_user_sgpr_private_segment_size 0
		.amdhsa_wavefront_size32 1
		.amdhsa_uses_dynamic_stack 0
		.amdhsa_enable_private_segment 0
		.amdhsa_system_sgpr_workgroup_id_x 1
		.amdhsa_system_sgpr_workgroup_id_y 1
		.amdhsa_system_sgpr_workgroup_id_z 1
		.amdhsa_system_sgpr_workgroup_info 0
		.amdhsa_system_vgpr_workitem_id 0
		.amdhsa_next_free_vgpr 26
		.amdhsa_next_free_sgpr 38
		.amdhsa_named_barrier_count 0
		.amdhsa_reserve_vcc 1
		.amdhsa_float_round_mode_32 0
		.amdhsa_float_round_mode_16_64 0
		.amdhsa_float_denorm_mode_32 3
		.amdhsa_float_denorm_mode_16_64 3
		.amdhsa_fp16_overflow 0
		.amdhsa_memory_ordered 1
		.amdhsa_forward_progress 1
		.amdhsa_inst_pref_size 26
		.amdhsa_round_robin_scheduling 0
		.amdhsa_exception_fp_ieee_invalid_op 0
		.amdhsa_exception_fp_denorm_src 0
		.amdhsa_exception_fp_ieee_div_zero 0
		.amdhsa_exception_fp_ieee_overflow 0
		.amdhsa_exception_fp_ieee_underflow 0
		.amdhsa_exception_fp_ieee_inexact 0
		.amdhsa_exception_int_div_zero 0
	.end_amdhsa_kernel
	.section	.text._ZN2at6native6mbtopk10gatherTopKIdjLin1EEEvNS_4cuda6detail10TensorInfoIKT_T0_EES8_S8_bjS8_NS5_IS6_S8_EES8_NS5_IlS8_EES8_jjPS6_PjSD_j,"axG",@progbits,_ZN2at6native6mbtopk10gatherTopKIdjLin1EEEvNS_4cuda6detail10TensorInfoIKT_T0_EES8_S8_bjS8_NS5_IS6_S8_EES8_NS5_IlS8_EES8_jjPS6_PjSD_j,comdat
.Lfunc_end77:
	.size	_ZN2at6native6mbtopk10gatherTopKIdjLin1EEEvNS_4cuda6detail10TensorInfoIKT_T0_EES8_S8_bjS8_NS5_IS6_S8_EES8_NS5_IlS8_EES8_jjPS6_PjSD_j, .Lfunc_end77-_ZN2at6native6mbtopk10gatherTopKIdjLin1EEEvNS_4cuda6detail10TensorInfoIKT_T0_EES8_S8_bjS8_NS5_IS6_S8_EES8_NS5_IlS8_EES8_jjPS6_PjSD_j
                                        ; -- End function
	.set _ZN2at6native6mbtopk10gatherTopKIdjLin1EEEvNS_4cuda6detail10TensorInfoIKT_T0_EES8_S8_bjS8_NS5_IS6_S8_EES8_NS5_IlS8_EES8_jjPS6_PjSD_j.num_vgpr, 26
	.set _ZN2at6native6mbtopk10gatherTopKIdjLin1EEEvNS_4cuda6detail10TensorInfoIKT_T0_EES8_S8_bjS8_NS5_IS6_S8_EES8_NS5_IlS8_EES8_jjPS6_PjSD_j.num_agpr, 0
	.set _ZN2at6native6mbtopk10gatherTopKIdjLin1EEEvNS_4cuda6detail10TensorInfoIKT_T0_EES8_S8_bjS8_NS5_IS6_S8_EES8_NS5_IlS8_EES8_jjPS6_PjSD_j.numbered_sgpr, 38
	.set _ZN2at6native6mbtopk10gatherTopKIdjLin1EEEvNS_4cuda6detail10TensorInfoIKT_T0_EES8_S8_bjS8_NS5_IS6_S8_EES8_NS5_IlS8_EES8_jjPS6_PjSD_j.num_named_barrier, 0
	.set _ZN2at6native6mbtopk10gatherTopKIdjLin1EEEvNS_4cuda6detail10TensorInfoIKT_T0_EES8_S8_bjS8_NS5_IS6_S8_EES8_NS5_IlS8_EES8_jjPS6_PjSD_j.private_seg_size, 0
	.set _ZN2at6native6mbtopk10gatherTopKIdjLin1EEEvNS_4cuda6detail10TensorInfoIKT_T0_EES8_S8_bjS8_NS5_IS6_S8_EES8_NS5_IlS8_EES8_jjPS6_PjSD_j.uses_vcc, 1
	.set _ZN2at6native6mbtopk10gatherTopKIdjLin1EEEvNS_4cuda6detail10TensorInfoIKT_T0_EES8_S8_bjS8_NS5_IS6_S8_EES8_NS5_IlS8_EES8_jjPS6_PjSD_j.uses_flat_scratch, 0
	.set _ZN2at6native6mbtopk10gatherTopKIdjLin1EEEvNS_4cuda6detail10TensorInfoIKT_T0_EES8_S8_bjS8_NS5_IS6_S8_EES8_NS5_IlS8_EES8_jjPS6_PjSD_j.has_dyn_sized_stack, 0
	.set _ZN2at6native6mbtopk10gatherTopKIdjLin1EEEvNS_4cuda6detail10TensorInfoIKT_T0_EES8_S8_bjS8_NS5_IS6_S8_EES8_NS5_IlS8_EES8_jjPS6_PjSD_j.has_recursion, 0
	.set _ZN2at6native6mbtopk10gatherTopKIdjLin1EEEvNS_4cuda6detail10TensorInfoIKT_T0_EES8_S8_bjS8_NS5_IS6_S8_EES8_NS5_IlS8_EES8_jjPS6_PjSD_j.has_indirect_call, 0
	.section	.AMDGPU.csdata,"",@progbits
; Kernel info:
; codeLenInByte = 3212
; TotalNumSgprs: 40
; NumVgprs: 26
; ScratchSize: 0
; MemoryBound: 0
; FloatMode: 240
; IeeeMode: 1
; LDSByteSize: 1068 bytes/workgroup (compile time only)
; SGPRBlocks: 0
; VGPRBlocks: 1
; NumSGPRsForWavesPerEU: 40
; NumVGPRsForWavesPerEU: 26
; NamedBarCnt: 0
; Occupancy: 16
; WaveLimiterHint : 1
; COMPUTE_PGM_RSRC2:SCRATCH_EN: 0
; COMPUTE_PGM_RSRC2:USER_SGPR: 2
; COMPUTE_PGM_RSRC2:TRAP_HANDLER: 0
; COMPUTE_PGM_RSRC2:TGID_X_EN: 1
; COMPUTE_PGM_RSRC2:TGID_Y_EN: 1
; COMPUTE_PGM_RSRC2:TGID_Z_EN: 1
; COMPUTE_PGM_RSRC2:TIDIG_COMP_CNT: 0
	.section	.text._ZN2at6native6sbtopk10gatherTopKIdjLin1ELb0EEEvNS_4cuda6detail10TensorInfoIKT_T0_EES8_S8_bS8_S8_NS5_IS6_S8_EES8_NS5_IlS8_EES8_PS6_,"axG",@progbits,_ZN2at6native6sbtopk10gatherTopKIdjLin1ELb0EEEvNS_4cuda6detail10TensorInfoIKT_T0_EES8_S8_bS8_S8_NS5_IS6_S8_EES8_NS5_IlS8_EES8_PS6_,comdat
	.protected	_ZN2at6native6sbtopk10gatherTopKIdjLin1ELb0EEEvNS_4cuda6detail10TensorInfoIKT_T0_EES8_S8_bS8_S8_NS5_IS6_S8_EES8_NS5_IlS8_EES8_PS6_ ; -- Begin function _ZN2at6native6sbtopk10gatherTopKIdjLin1ELb0EEEvNS_4cuda6detail10TensorInfoIKT_T0_EES8_S8_bS8_S8_NS5_IS6_S8_EES8_NS5_IlS8_EES8_PS6_
	.globl	_ZN2at6native6sbtopk10gatherTopKIdjLin1ELb0EEEvNS_4cuda6detail10TensorInfoIKT_T0_EES8_S8_bS8_S8_NS5_IS6_S8_EES8_NS5_IlS8_EES8_PS6_
	.p2align	8
	.type	_ZN2at6native6sbtopk10gatherTopKIdjLin1ELb0EEEvNS_4cuda6detail10TensorInfoIKT_T0_EES8_S8_bS8_S8_NS5_IS6_S8_EES8_NS5_IlS8_EES8_PS6_,@function
_ZN2at6native6sbtopk10gatherTopKIdjLin1ELb0EEEvNS_4cuda6detail10TensorInfoIKT_T0_EES8_S8_bS8_S8_NS5_IS6_S8_EES8_NS5_IlS8_EES8_PS6_: ; @_ZN2at6native6sbtopk10gatherTopKIdjLin1ELb0EEEvNS_4cuda6detail10TensorInfoIKT_T0_EES8_S8_bS8_S8_NS5_IS6_S8_EES8_NS5_IlS8_EES8_PS6_
; %bb.0:
	s_clause 0x1
	s_load_b128 s[36:39], s[0:1], 0xd8
	s_load_b64 s[4:5], s[0:1], 0x2b8
	s_bfe_u32 s2, ttmp6, 0x40010
	s_and_b32 s3, ttmp7, 0xffff
	s_add_co_i32 s2, s2, 1
	s_bfe_u32 s7, ttmp6, 0x4000c
	s_mul_i32 s2, s3, s2
	s_bfe_u32 s6, ttmp6, 0x40004
	s_add_co_i32 s7, s7, 1
	s_bfe_u32 s8, ttmp6, 0x40014
	s_add_co_i32 s6, s6, s2
	s_and_b32 s2, ttmp6, 15
	s_mul_i32 s7, ttmp9, s7
	s_lshr_b32 s9, ttmp7, 16
	s_add_co_i32 s8, s8, 1
	s_add_co_i32 s2, s2, s7
	s_mul_i32 s7, s9, s8
	s_bfe_u32 s8, ttmp6, 0x40008
	s_getreg_b32 s10, hwreg(HW_REG_IB_STS2, 6, 4)
	s_add_co_i32 s8, s8, s7
	s_cmp_eq_u32 s10, 0
	s_cselect_b32 s7, s9, s8
	s_cselect_b32 s3, s3, s6
	s_wait_kmcnt 0x0
	s_mul_i32 s5, s5, s7
	s_cselect_b32 s12, ttmp9, s2
	s_add_co_i32 s2, s5, s3
	s_mov_b32 s3, 0
	s_mul_i32 s2, s2, s4
	s_delay_alu instid0(SALU_CYCLE_1) | instskip(NEXT) | instid1(SALU_CYCLE_1)
	s_add_co_i32 s56, s2, s12
	s_cmp_ge_u32 s56, s39
	s_cbranch_scc1 .LBB78_424
; %bb.1:
	s_clause 0x1
	s_load_b32 s5, s[0:1], 0xd0
	s_load_b32 s33, s[0:1], 0xe8
	s_mov_b32 s2, s56
	s_wait_kmcnt 0x0
	s_cmp_lt_i32 s5, 2
	s_cbranch_scc1 .LBB78_4
; %bb.2:
	s_add_co_i32 s2, s5, -1
	s_add_co_i32 s5, s5, 1
	s_lshl_b64 s[6:7], s[2:3], 2
	s_mov_b32 s2, s56
	s_add_nc_u64 s[6:7], s[0:1], s[6:7]
	s_delay_alu instid0(SALU_CYCLE_1)
	s_add_nc_u64 s[6:7], s[6:7], 8
.LBB78_3:                               ; =>This Inner Loop Header: Depth=1
	s_clause 0x1
	s_load_b32 s8, s[6:7], 0x0
	s_load_b32 s9, s[6:7], 0x64
	s_mov_b32 s13, s2
	s_wait_xcnt 0x0
	s_add_nc_u64 s[6:7], s[6:7], -4
	s_wait_kmcnt 0x0
	s_cvt_f32_u32 s10, s8
	s_sub_co_i32 s11, 0, s8
	s_delay_alu instid0(SALU_CYCLE_2) | instskip(SKIP_1) | instid1(TRANS32_DEP_1)
	v_rcp_iflag_f32_e32 v1, s10
	v_nop
	v_readfirstlane_b32 s10, v1
	s_mul_f32 s10, s10, 0x4f7ffffe
	s_delay_alu instid0(SALU_CYCLE_3) | instskip(NEXT) | instid1(SALU_CYCLE_3)
	s_cvt_u32_f32 s10, s10
	s_mul_i32 s11, s11, s10
	s_delay_alu instid0(SALU_CYCLE_1) | instskip(NEXT) | instid1(SALU_CYCLE_1)
	s_mul_hi_u32 s11, s10, s11
	s_add_co_i32 s10, s10, s11
	s_delay_alu instid0(SALU_CYCLE_1) | instskip(NEXT) | instid1(SALU_CYCLE_1)
	s_mul_hi_u32 s2, s2, s10
	s_mul_i32 s10, s2, s8
	s_add_co_i32 s11, s2, 1
	s_sub_co_i32 s10, s13, s10
	s_delay_alu instid0(SALU_CYCLE_1)
	s_sub_co_i32 s14, s10, s8
	s_cmp_ge_u32 s10, s8
	s_cselect_b32 s2, s11, s2
	s_cselect_b32 s10, s14, s10
	s_add_co_i32 s11, s2, 1
	s_cmp_ge_u32 s10, s8
	s_cselect_b32 s2, s11, s2
	s_add_co_i32 s5, s5, -1
	s_mul_i32 s8, s2, s8
	s_delay_alu instid0(SALU_CYCLE_1) | instskip(NEXT) | instid1(SALU_CYCLE_1)
	s_sub_co_i32 s8, s13, s8
	s_mul_i32 s8, s9, s8
	s_delay_alu instid0(SALU_CYCLE_1)
	s_add_co_i32 s3, s8, s3
	s_cmp_gt_u32 s5, 2
	s_cbranch_scc1 .LBB78_3
.LBB78_4:
	s_load_b32 s5, s[0:1], 0x1c0
	s_add_nc_u64 s[10:11], s[0:1], 0x2b8
	s_add_nc_u64 s[6:7], s[0:1], 0xf0
	s_mov_b32 s35, 0
	s_mov_b32 s57, s56
	s_wait_kmcnt 0x0
	s_cmp_lt_i32 s5, 2
	s_cbranch_scc1 .LBB78_7
; %bb.5:
	s_add_co_i32 s34, s5, -1
	s_add_co_i32 s5, s5, 1
	s_lshl_b64 s[8:9], s[34:35], 2
	s_mov_b32 s57, s56
	s_add_nc_u64 s[8:9], s[6:7], s[8:9]
	s_delay_alu instid0(SALU_CYCLE_1)
	s_add_nc_u64 s[8:9], s[8:9], 8
.LBB78_6:                               ; =>This Inner Loop Header: Depth=1
	s_clause 0x1
	s_load_b32 s13, s[8:9], 0x0
	s_load_b32 s14, s[8:9], 0x64
	s_mov_b32 s17, s57
	s_wait_xcnt 0x0
	s_add_nc_u64 s[8:9], s[8:9], -4
	s_wait_kmcnt 0x0
	s_cvt_f32_u32 s15, s13
	s_sub_co_i32 s16, 0, s13
	s_delay_alu instid0(SALU_CYCLE_2) | instskip(SKIP_1) | instid1(TRANS32_DEP_1)
	v_rcp_iflag_f32_e32 v1, s15
	v_nop
	v_readfirstlane_b32 s15, v1
	s_mul_f32 s15, s15, 0x4f7ffffe
	s_delay_alu instid0(SALU_CYCLE_3) | instskip(NEXT) | instid1(SALU_CYCLE_3)
	s_cvt_u32_f32 s15, s15
	s_mul_i32 s16, s16, s15
	s_delay_alu instid0(SALU_CYCLE_1) | instskip(NEXT) | instid1(SALU_CYCLE_1)
	s_mul_hi_u32 s16, s15, s16
	s_add_co_i32 s15, s15, s16
	s_delay_alu instid0(SALU_CYCLE_1) | instskip(NEXT) | instid1(SALU_CYCLE_1)
	s_mul_hi_u32 s15, s57, s15
	s_mul_i32 s16, s15, s13
	s_add_co_i32 s18, s15, 1
	s_sub_co_i32 s16, s57, s16
	s_delay_alu instid0(SALU_CYCLE_1)
	s_sub_co_i32 s19, s16, s13
	s_cmp_ge_u32 s16, s13
	s_cselect_b32 s15, s18, s15
	s_cselect_b32 s16, s19, s16
	s_add_co_i32 s18, s15, 1
	s_cmp_ge_u32 s16, s13
	s_cselect_b32 s57, s18, s15
	s_add_co_i32 s5, s5, -1
	s_mul_i32 s13, s57, s13
	s_delay_alu instid0(SALU_CYCLE_1) | instskip(NEXT) | instid1(SALU_CYCLE_1)
	s_sub_co_i32 s13, s17, s13
	s_mul_i32 s13, s14, s13
	s_delay_alu instid0(SALU_CYCLE_1)
	s_add_co_i32 s35, s13, s35
	s_cmp_gt_u32 s5, 2
	s_cbranch_scc1 .LBB78_6
.LBB78_7:
	s_clause 0x1
	s_load_b32 s13, s[0:1], 0x6c
	s_load_b32 s5, s[0:1], 0x2a0
	s_mov_b32 s41, 0
	s_wait_kmcnt 0x0
	s_cmp_lt_i32 s5, 2
	s_cbranch_scc1 .LBB78_10
; %bb.8:
	s_add_co_i32 s40, s5, -1
	s_add_nc_u64 s[8:9], s[0:1], 0x1d0
	s_lshl_b64 s[14:15], s[40:41], 2
	s_add_co_i32 s5, s5, 1
	s_add_nc_u64 s[8:9], s[8:9], s[14:15]
	s_delay_alu instid0(SALU_CYCLE_1)
	s_add_nc_u64 s[8:9], s[8:9], 8
.LBB78_9:                               ; =>This Inner Loop Header: Depth=1
	s_clause 0x1
	s_load_b32 s14, s[8:9], 0x0
	s_load_b32 s15, s[8:9], 0x64
	s_mov_b32 s18, s56
	s_wait_xcnt 0x0
	s_add_nc_u64 s[8:9], s[8:9], -4
	s_wait_kmcnt 0x0
	s_cvt_f32_u32 s16, s14
	s_sub_co_i32 s17, 0, s14
	s_delay_alu instid0(SALU_CYCLE_2) | instskip(SKIP_1) | instid1(TRANS32_DEP_1)
	v_rcp_iflag_f32_e32 v1, s16
	v_nop
	v_readfirstlane_b32 s16, v1
	s_mul_f32 s16, s16, 0x4f7ffffe
	s_delay_alu instid0(SALU_CYCLE_3) | instskip(NEXT) | instid1(SALU_CYCLE_3)
	s_cvt_u32_f32 s16, s16
	s_mul_i32 s17, s17, s16
	s_delay_alu instid0(SALU_CYCLE_1) | instskip(NEXT) | instid1(SALU_CYCLE_1)
	s_mul_hi_u32 s17, s16, s17
	s_add_co_i32 s16, s16, s17
	s_delay_alu instid0(SALU_CYCLE_1) | instskip(NEXT) | instid1(SALU_CYCLE_1)
	s_mul_hi_u32 s16, s56, s16
	s_mul_i32 s17, s16, s14
	s_add_co_i32 s19, s16, 1
	s_sub_co_i32 s17, s56, s17
	s_delay_alu instid0(SALU_CYCLE_1)
	s_sub_co_i32 s20, s17, s14
	s_cmp_ge_u32 s17, s14
	s_cselect_b32 s16, s19, s16
	s_cselect_b32 s17, s20, s17
	s_add_co_i32 s19, s16, 1
	s_cmp_ge_u32 s17, s14
	s_cselect_b32 s56, s19, s16
	s_add_co_i32 s5, s5, -1
	s_mul_i32 s14, s56, s14
	s_delay_alu instid0(SALU_CYCLE_1) | instskip(NEXT) | instid1(SALU_CYCLE_1)
	s_sub_co_i32 s14, s18, s14
	s_mul_i32 s14, s15, s14
	s_delay_alu instid0(SALU_CYCLE_1)
	s_add_co_i32 s41, s14, s41
	s_cmp_gt_u32 s5, 2
	s_cbranch_scc1 .LBB78_9
.LBB78_10:
	s_load_b32 s58, s[6:7], 0x6c
	s_wait_xcnt 0x0
	s_load_b64 s[6:7], s[0:1], 0x0
	v_cmp_eq_u32_e64 s5, 0, v0
	s_mov_b32 s45, 0
	s_and_saveexec_b32 s8, s5
; %bb.11:
	v_dual_mov_b32 v2, 0 :: v_dual_mov_b32 v3, s36
	s_delay_alu instid0(VALU_DEP_1)
	v_mov_b32_e32 v4, v2
	ds_store_b96 v2, v[2:4] offset:4096
; %bb.12:
	s_or_b32 exec_lo, exec_lo, s8
	s_wait_dscnt 0x0
	s_barrier_signal -1
	s_barrier_wait -1
	s_load_b32 s14, s[10:11], 0xc
	v_mbcnt_lo_u32_b32 v1, -1, 0
	s_mul_i32 s2, s13, s2
	v_cmp_gt_u32_e32 vcc_lo, 32, v0
	s_add_co_i32 s44, s2, s3
	v_mul_lo_u32 v20, s33, v0
	s_lshl_b64 s[8:9], s[44:45], 3
	v_cmp_gt_i32_e64 s2, 4, v1
	s_bitcmp1_b32 s38, 0
	s_wait_kmcnt 0x0
	s_add_nc_u64 s[30:31], s[6:7], s[8:9]
	s_cselect_b32 s3, -1, 0
	v_dual_lshlrev_b32 v17, 2, v0 :: v_dual_mov_b32 v23, 0
	s_xor_b32 s60, s3, -1
	s_and_b32 s61, vcc_lo, s2
	s_clause 0x2
	s_load_b32 s59, s[0:1], 0x23c
	s_load_b64 s[38:39], s[0:1], 0xf0
	s_load_b64 s[42:43], s[0:1], 0x1d0
	v_dual_lshlrev_b32 v40, 5, v0 :: v_dual_bitop2_b32 v4, 3, v17 bitop3:0x54
	v_mad_u32 v35, s33, v17, s33
	v_mov_b64_e32 v[28:29], 0
	s_and_b32 s34, s14, 0xffff
	s_delay_alu instid0(VALU_DEP_3)
	v_mul_lo_u32 v37, s33, v4
	s_lshl_b32 s62, s34, 2
	s_cmp_gt_u32 s36, 0x180
	s_cvt_f32_u32 s2, s62
	s_cselect_b32 s63, -1, 0
	s_cmp_gt_u32 s34, 31
	s_cvt_f32_u32 s7, s34
	s_cselect_b32 s64, -1, 0
	s_add_co_i32 s65, s34, -1
	v_rcp_iflag_f32_e32 v2, s2
	s_add_co_i32 s13, s65, s36
	s_cmp_lt_u32 s12, s4
	v_mov_b64_e32 v[6:7], 0
	s_cselect_b32 s44, 12, 18
	s_bfe_u32 s66, s14, 0xb0005
	v_mov_b64_e32 v[26:27], 0
	s_add_co_i32 s4, s66, -2
	v_readfirstlane_b32 s14, v2
	s_lshr_b32 s12, s4, 1
	v_rcp_iflag_f32_e32 v2, s7
	s_add_co_i32 s12, s12, 1
	s_cmp_gt_u32 s34, 63
	v_mov_b64_e32 v[30:31], 0
	s_cselect_b32 s67, -1, 0
	s_and_b32 s68, s66, 0x7fe
	s_and_b32 s69, s12, 7
	s_cmp_gt_u32 s4, 13
	s_mul_f32 s4, s14, 0x4f7ffffe
	s_cselect_b32 s70, -1, 0
	s_and_b32 s71, s12, -8
	s_cmp_lg_u32 s69, 0
	s_cvt_u32_f32 s6, s4
	s_cselect_b32 s72, -1, 0
	s_cmp_lg_u32 s68, s66
	v_lshlrev_b32_e32 v38, 2, v20
	s_cselect_b32 s73, -1, 0
	s_sub_co_i32 s4, 0, s62
	v_cmp_eq_u32_e64 s2, 0, v1
	s_mul_i32 s4, s4, s6
	v_lshl_or_b32 v41, v1, 2, 0xc00
	s_mul_hi_u32 s8, s6, s4
	v_cmp_gt_u32_e64 s4, s36, v0
	s_add_co_i32 s46, s6, s8
	v_readfirstlane_b32 s8, v2
	s_mul_hi_u32 s7, s36, s46
	v_lshlrev_b64_e64 v[2:3], v1, -1
	s_mul_i32 s7, s7, s62
	v_or_b32_e32 v3, 2, v17
	s_sub_co_i32 s7, s36, s7
	s_mul_f32 s8, s8, 0x4f7ffffe
	s_sub_co_i32 s9, s7, s62
	s_cmp_ge_u32 s7, s62
	v_not_b32_e32 v16, v2
	s_cselect_b32 s7, s9, s7
	s_cvt_u32_f32 s8, s8
	s_sub_co_i32 s9, s7, s62
	s_cmp_ge_u32 s7, s62
	v_lshrrev_b32_e32 v2, 1, v0
	s_cselect_b32 s12, s9, s7
	s_sub_co_i32 s7, 0, s34
	s_sub_co_i32 s74, s36, s12
	s_delay_alu instid0(SALU_CYCLE_1) | instskip(SKIP_3) | instid1(VALU_DEP_2)
	v_dual_mov_b32 v21, v23 :: v_dual_add_nc_u32 v33, s74, v0
	s_mul_i32 s7, s7, s8
	v_mul_lo_u32 v36, s33, v3
	s_mul_hi_u32 s7, s8, s7
	v_lshl_add_u64 v[18:19], v[20:21], 3, s[30:31]
	v_lshlrev_b32_e32 v21, 3, v0
	s_add_co_i32 s48, s8, s7
	s_movk_i32 s8, 0x1f0
	s_mul_hi_u32 s7, s13, s48
	v_and_or_b32 v34, v2, s8, 0xc00
	s_mul_i32 s7, s7, s34
	v_add3_u32 v2, s34, s36, v0
	s_sub_co_i32 s7, s13, s7
	v_mul_lo_u32 v22, v33, s33
	s_sub_co_i32 s8, s7, s34
	s_cmp_ge_u32 s7, s34
	v_subrev_nc_u32_e32 v2, s12, v2
	s_cselect_b32 s9, s8, s7
	v_cmp_gt_u32_e64 s6, 2, v0
	s_sub_co_i32 s14, s9, s34
	s_cmp_ge_u32 s9, s34
	v_mul_lo_u32 v39, s33, v2
	s_cselect_b32 s9, s14, s9
	v_add_nc_u32_e32 v32, 0xc00, v21
	s_sub_co_i32 s75, s13, s9
	v_cmp_gt_u32_e64 s7, s74, v17
	v_cmp_gt_u32_e64 s8, s36, v33
	v_lshl_add_u64 v[24:25], v[22:23], 3, s[30:31]
	v_cmp_gt_u32_e64 s9, s75, v0
	v_dual_mov_b32 v42, s37 :: v_dual_mov_b32 v3, 0x3ff00000
	s_mul_i32 s40, s33, s34
	s_mov_b32 s47, s45
	s_mov_b32 s49, s45
	s_lshl_b32 s76, s40, 2
	s_lshl_b32 s77, s34, 5
	;; [unrolled: 1-line block ×3, first 2 shown]
	s_mov_b32 s79, 62
	s_add_nc_u64 s[50:51], s[10:11], s[44:45]
	s_mov_b32 s80, 0
	s_mov_b32 s82, 0
                                        ; implicit-def: $sgpr81
                                        ; implicit-def: $sgpr85
                                        ; implicit-def: $sgpr84
                                        ; implicit-def: $sgpr86
                                        ; implicit-def: $sgpr83
                                        ; implicit-def: $sgpr90
                                        ; implicit-def: $sgpr91
                                        ; implicit-def: $sgpr87
                                        ; implicit-def: $sgpr89
                                        ; implicit-def: $sgpr88
	s_branch .LBB78_15
.LBB78_13:                              ;   in Loop: Header=BB78_15 Depth=1
	s_or_b32 exec_lo, exec_lo, s13
	v_mov_b32_e32 v42, v43
	s_and_not1_b32 s13, s88, exec_lo
	s_and_b32 s12, s12, exec_lo
	s_and_not1_b32 s89, s89, exec_lo
	s_or_b32 s88, s13, s12
	s_and_not1_b32 s87, s87, exec_lo
	s_and_not1_b32 s91, s91, exec_lo
	;; [unrolled: 1-line block ×3, first 2 shown]
	s_or_not1_b32 s12, s11, exec_lo
.LBB78_14:                              ;   in Loop: Header=BB78_15 Depth=1
	s_or_b32 exec_lo, exec_lo, s10
	s_delay_alu instid0(SALU_CYCLE_1) | instskip(NEXT) | instid1(SALU_CYCLE_1)
	s_and_b32 s10, exec_lo, s12
	s_or_b32 s80, s10, s80
	s_and_not1_b32 s10, s83, exec_lo
	s_and_b32 s11, s88, exec_lo
	s_and_not1_b32 s12, s86, exec_lo
	s_or_b32 s83, s10, s11
	s_and_b32 s10, s89, exec_lo
	s_and_not1_b32 s11, s84, exec_lo
	s_and_b32 s13, s87, exec_lo
	s_or_b32 s86, s12, s10
	s_or_b32 s84, s11, s13
	s_and_not1_b32 s10, s85, exec_lo
	s_and_b32 s11, s91, exec_lo
	s_and_not1_b32 s12, s81, exec_lo
	s_and_b32 s13, s90, exec_lo
	s_or_b32 s85, s10, s11
	s_or_b32 s81, s12, s13
	s_and_not1_b32 exec_lo, exec_lo, s80
	s_cbranch_execz .LBB78_420
.LBB78_15:                              ; =>This Loop Header: Depth=1
                                        ;     Child Loop BB78_21 Depth 2
                                        ;     Child Loop BB78_34 Depth 2
	;; [unrolled: 1-line block ×25, first 2 shown]
	ds_load_b64 v[4:5], v23 offset:4096
	s_wait_dscnt 0x0
	v_readfirstlane_b32 s44, v4
	s_cmp_lg_u32 s44, 0
	s_cbranch_scc1 .LBB78_42
; %bb.16:                               ;   in Loop: Header=BB78_15 Depth=1
	s_and_b32 vcc_lo, exec_lo, s63
	s_cbranch_vccz .LBB78_29
; %bb.17:                               ;   in Loop: Header=BB78_15 Depth=1
	v_cmp_gt_u32_e32 vcc_lo, 0x181, v5
	s_mov_b32 s12, 0
	s_mov_b32 s10, 0
	s_cbranch_vccz .LBB78_30
; %bb.18:                               ;   in Loop: Header=BB78_15 Depth=1
	s_and_saveexec_b32 s13, s4
	s_cbranch_execz .LBB78_93
; %bb.19:                               ;   in Loop: Header=BB78_15 Depth=1
	global_load_b64 v[4:5], v[18:19], off
	s_load_u16 s14, s[50:51], 0x0
	s_mov_b32 s16, 0
	s_wait_kmcnt 0x0
	v_dual_mov_b32 v10, v0 :: v_dual_add_nc_u32 v2, s14, v0
	s_mul_i32 s15, s33, s14
	s_delay_alu instid0(VALU_DEP_1)
	v_mul_lo_u32 v2, s33, v2
	s_branch .LBB78_21
.LBB78_20:                              ;   in Loop: Header=BB78_21 Depth=2
	s_or_b32 exec_lo, exec_lo, s11
	v_mov_b64_e32 v[4:5], v[8:9]
	v_add_nc_u32_e32 v2, s15, v2
	s_and_not1_b32 exec_lo, exec_lo, s16
	s_cbranch_execz .LBB78_93
.LBB78_21:                              ;   Parent Loop BB78_15 Depth=1
                                        ; =>  This Inner Loop Header: Depth=2
	v_mov_b64_e32 v[8:9], 0
	v_add_nc_u32_e32 v10, s14, v10
	s_mov_b32 s11, exec_lo
	s_delay_alu instid0(VALU_DEP_1)
	v_cmp_le_u32_e32 vcc_lo, s36, v10
	v_cmpx_gt_u32_e64 s36, v10
	s_cbranch_execz .LBB78_23
; %bb.22:                               ;   in Loop: Header=BB78_21 Depth=2
	global_load_b64 v[8:9], v2, s[30:31] scale_offset
.LBB78_23:                              ;   in Loop: Header=BB78_21 Depth=2
	s_wait_xcnt 0x0
	s_or_b32 exec_lo, exec_lo, s11
	s_wait_loadcnt 0x0
	v_cmp_o_f64_e64 s10, v[4:5], v[4:5]
	s_wait_dscnt 0x0
	v_ashrrev_i32_e32 v11, 31, v5
	s_delay_alu instid0(VALU_DEP_1) | instskip(NEXT) | instid1(VALU_DEP_1)
	v_or_b32_e32 v12, 0x80000000, v11
	v_xor_b32_e32 v12, v12, v5
	v_xor_b32_e32 v11, v11, v4
	s_delay_alu instid0(VALU_DEP_1) | instskip(NEXT) | instid1(VALU_DEP_1)
	v_dual_cndmask_b32 v12, -1, v12, s10 :: v_dual_cndmask_b32 v11, -1, v11, s10
	v_and_b32_e32 v13, v12, v31
	s_delay_alu instid0(VALU_DEP_2) | instskip(NEXT) | instid1(VALU_DEP_1)
	v_dual_mov_b32 v11, 0 :: v_dual_bitop2_b32 v12, v11, v30 bitop3:0x40
	v_cmp_eq_u64_e64 s10, v[12:13], v[26:27]
	s_cmp_lg_u32 s10, 0
	s_cselect_b32 s11, -1, 0
	s_delay_alu instid0(SALU_CYCLE_1) | instskip(NEXT) | instid1(SALU_CYCLE_1)
	s_and_b32 s11, s2, s11
	s_and_saveexec_b32 s17, s11
	s_cbranch_execz .LBB78_27
; %bb.24:                               ;   in Loop: Header=BB78_21 Depth=2
	s_mov_b32 s20, exec_lo
	s_bcnt1_i32_b32 s18, s10
	v_mbcnt_lo_u32_b32 v11, s20, 0
	s_mov_b32 s19, exec_lo
                                        ; implicit-def: $vgpr12
	s_delay_alu instid0(VALU_DEP_1)
	v_cmpx_eq_u32_e32 0, v11
; %bb.25:                               ;   in Loop: Header=BB78_21 Depth=2
	s_bcnt1_i32_b32 s11, s20
	s_delay_alu instid0(SALU_CYCLE_1) | instskip(NEXT) | instid1(SALU_CYCLE_1)
	s_mul_i32 s11, s18, s11
	v_mov_b32_e32 v12, s11
	ds_add_rtn_u32 v12, v23, v12 offset:4104
; %bb.26:                               ;   in Loop: Header=BB78_21 Depth=2
	s_or_b32 exec_lo, exec_lo, s19
	s_wait_dscnt 0x0
	v_readfirstlane_b32 s11, v12
	s_delay_alu instid0(VALU_DEP_1)
	v_mad_u32_u24 v11, s18, v11, s11
.LBB78_27:                              ;   in Loop: Header=BB78_21 Depth=2
	s_or_b32 exec_lo, exec_lo, s17
	ds_bpermute_b32 v11, v23, v11
	s_and_b32 s11, exec_lo, vcc_lo
	s_delay_alu instid0(SALU_CYCLE_1)
	s_or_b32 s16, s11, s16
	s_and_saveexec_b32 s11, s10
	s_cbranch_execz .LBB78_20
; %bb.28:                               ;   in Loop: Header=BB78_21 Depth=2
	v_and_b32_e32 v12, s10, v16
	s_delay_alu instid0(VALU_DEP_1) | instskip(NEXT) | instid1(VALU_DEP_1)
	v_bcnt_u32_b32 v12, v12, 0
	v_lshlrev_b32_e32 v12, 3, v12
	s_wait_dscnt 0x0
	s_delay_alu instid0(VALU_DEP_1)
	v_lshl_add_u32 v11, v11, 3, v12
	ds_store_b64 v11, v[4:5]
	s_branch .LBB78_20
.LBB78_29:                              ;   in Loop: Header=BB78_15 Depth=1
	s_mov_b32 s12, -1
	s_mov_b32 s10, 0
.LBB78_30:                              ;   in Loop: Header=BB78_15 Depth=1
	s_and_b32 vcc_lo, exec_lo, s12
	s_cbranch_vccz .LBB78_40
.LBB78_31:                              ;   in Loop: Header=BB78_15 Depth=1
	s_and_saveexec_b32 s10, s4
	s_cbranch_execz .LBB78_37
; %bb.32:                               ;   in Loop: Header=BB78_15 Depth=1
	global_load_b64 v[4:5], v[18:19], off
	s_load_u16 s12, s[50:51], 0x0
	s_mov_b32 s11, exec_lo
	s_wait_kmcnt 0x0
	v_dual_mov_b32 v2, v0 :: v_dual_add_nc_u32 v8, s12, v0
	s_delay_alu instid0(VALU_DEP_1)
	v_cmpx_gt_u32_e64 s36, v8
	s_cbranch_execz .LBB78_36
; %bb.33:                               ;   in Loop: Header=BB78_15 Depth=1
	v_mul_lo_u32 v10, s33, v8
	v_dual_mov_b32 v11, v21 :: v_dual_mov_b32 v2, v0
	s_lshl_b32 s13, s12, 3
	s_mul_i32 s15, s33, s12
	s_mov_b32 s14, 0
.LBB78_34:                              ;   Parent Loop BB78_15 Depth=1
                                        ; =>  This Inner Loop Header: Depth=2
	global_load_b64 v[8:9], v10, s[30:31] scale_offset
	v_add_nc_u32_e32 v2, s12, v2
	s_wait_loadcnt 0x1
	ds_store_b64 v11, v[4:5]
	s_wait_xcnt 0x0
	v_dual_add_nc_u32 v11, s13, v11 :: v_dual_add_nc_u32 v10, s15, v10
	v_add_nc_u32_e32 v12, s12, v2
	s_delay_alu instid0(VALU_DEP_1)
	v_cmp_le_u32_e32 vcc_lo, s36, v12
	s_or_b32 s14, vcc_lo, s14
	s_wait_loadcnt 0x0
	v_mov_b64_e32 v[4:5], v[8:9]
	s_and_not1_b32 exec_lo, exec_lo, s14
	s_cbranch_execnz .LBB78_34
; %bb.35:                               ;   in Loop: Header=BB78_15 Depth=1
	s_or_b32 exec_lo, exec_lo, s14
	v_mov_b64_e32 v[4:5], v[8:9]
.LBB78_36:                              ;   in Loop: Header=BB78_15 Depth=1
	s_or_b32 exec_lo, exec_lo, s11
	s_delay_alu instid0(VALU_DEP_2)
	v_lshlrev_b32_e32 v2, 3, v2
	s_wait_loadcnt 0x0
	ds_store_b64 v2, v[4:5]
.LBB78_37:                              ;   in Loop: Header=BB78_15 Depth=1
	s_or_b32 exec_lo, exec_lo, s10
	s_wait_dscnt 0x0
	s_barrier_signal -1
	s_barrier_wait -1
	s_and_saveexec_b32 s10, s5
; %bb.38:                               ;   in Loop: Header=BB78_15 Depth=1
	v_mov_b32_e32 v2, s36
	ds_store_b32 v23, v2 offset:4096
; %bb.39:                               ;   in Loop: Header=BB78_15 Depth=1
	s_or_b32 exec_lo, exec_lo, s10
	s_mov_b32 s10, -1
	s_wait_dscnt 0x0
	s_barrier_signal -1
	s_barrier_wait -1
.LBB78_40:                              ;   in Loop: Header=BB78_15 Depth=1
	s_and_b32 vcc_lo, exec_lo, s10
	s_mov_b32 s44, 0
	s_cbranch_vccz .LBB78_42
; %bb.41:                               ;   in Loop: Header=BB78_15 Depth=1
	ds_load_b32 v2, v23 offset:4096
	s_wait_dscnt 0x0
	v_readfirstlane_b32 s44, v2
.LBB78_42:                              ;   in Loop: Header=BB78_15 Depth=1
	s_delay_alu instid0(VALU_DEP_1)
	s_cmp_lt_i32 s44, 1
	s_mov_b32 s10, -1
                                        ; implicit-def: $vgpr10_vgpr11
	s_cbranch_scc1 .LBB78_55
; %bb.43:                               ;   in Loop: Header=BB78_15 Depth=1
	s_and_b32 vcc_lo, exec_lo, s10
	s_cbranch_vccnz .LBB78_66
.LBB78_44:                              ;   in Loop: Header=BB78_15 Depth=1
	s_lshl_b32 s12, s82, 7
	s_and_saveexec_b32 s10, s2
.LBB78_45:                              ;   in Loop: Header=BB78_15 Depth=1
	v_lshl_add_u32 v2, s12, 2, v34
	ds_store_b128 v2, v[8:11]
.LBB78_46:                              ;   in Loop: Header=BB78_15 Depth=1
	s_or_b32 exec_lo, exec_lo, s10
	s_wait_dscnt 0x0
	s_barrier_signal -1
	s_barrier_wait -1
	s_and_saveexec_b32 s13, s61
	s_cbranch_execz .LBB78_79
; %bb.47:                               ;   in Loop: Header=BB78_15 Depth=1
	v_dual_add_nc_u32 v2, s12, v1 :: v_dual_mov_b32 v4, 0
	s_and_not1_b32 vcc_lo, exec_lo, s64
	s_cbranch_vccnz .LBB78_78
; %bb.48:                               ;   in Loop: Header=BB78_15 Depth=1
	s_and_not1_b32 vcc_lo, exec_lo, s67
	s_cbranch_vccnz .LBB78_75
; %bb.49:                               ;   in Loop: Header=BB78_15 Depth=1
	v_lshl_add_u32 v8, v2, 2, 0xc00
	s_and_not1_b32 vcc_lo, exec_lo, s70
	s_cbranch_vccnz .LBB78_108
; %bb.50:                               ;   in Loop: Header=BB78_15 Depth=1
	v_dual_mov_b32 v4, 0 :: v_dual_mov_b32 v5, 0
	s_mov_b32 s11, 1
	s_mov_b32 s10, 0
	;; [unrolled: 1-line block ×3, first 2 shown]
.LBB78_51:                              ;   Parent Loop BB78_15 Depth=1
                                        ; =>  This Inner Loop Header: Depth=2
	v_lshl_add_u32 v9, s11, 4, v8
	v_lshl_add_u32 v22, s10, 4, v8
	s_add_co_i32 s14, s14, -8
	s_add_co_i32 s11, s11, 16
	s_add_co_i32 s10, s10, 16
	ds_load_2addr_b32 v[10:11], v9 offset1:8
	ds_load_2addr_b32 v[12:13], v22 offset1:8
	ds_load_2addr_b32 v[14:15], v9 offset0:16 offset1:24
	ds_load_2addr_b32 v[44:45], v22 offset0:16 offset1:24
	;; [unrolled: 1-line block ×6, first 2 shown]
	s_cmp_lg_u32 s14, 0
	s_wait_dscnt 0x7
	v_add3_u32 v5, v10, v5, v11
	s_wait_dscnt 0x6
	v_add3_u32 v4, v12, v4, v13
	s_wait_dscnt 0x5
	s_delay_alu instid0(VALU_DEP_2) | instskip(SKIP_1) | instid1(VALU_DEP_2)
	v_add3_u32 v5, v14, v5, v15
	s_wait_dscnt 0x4
	v_add3_u32 v4, v44, v4, v45
	s_wait_dscnt 0x3
	s_delay_alu instid0(VALU_DEP_2) | instskip(SKIP_1) | instid1(VALU_DEP_2)
	;; [unrolled: 5-line block ×3, first 2 shown]
	v_add3_u32 v5, v50, v5, v51
	s_wait_dscnt 0x0
	v_add3_u32 v4, v52, v4, v53
	s_cbranch_scc1 .LBB78_51
; %bb.52:                               ;   in Loop: Header=BB78_15 Depth=1
	s_and_not1_b32 vcc_lo, exec_lo, s72
	s_mov_b32 s14, s69
	s_cbranch_vccnz .LBB78_54
.LBB78_53:                              ;   Parent Loop BB78_15 Depth=1
                                        ; =>  This Inner Loop Header: Depth=2
	v_lshl_add_u32 v9, s11, 4, v8
	v_lshl_add_u32 v10, s10, 4, v8
	s_add_co_i32 s14, s14, -1
	s_add_co_i32 s11, s11, 2
	s_add_co_i32 s10, s10, 2
	ds_load_b32 v9, v9
	ds_load_b32 v10, v10
	s_cmp_lg_u32 s14, 0
	s_wait_dscnt 0x0
	v_dual_add_nc_u32 v5, v9, v5 :: v_dual_add_nc_u32 v4, v10, v4
	s_cbranch_scc1 .LBB78_53
.LBB78_54:                              ;   in Loop: Header=BB78_15 Depth=1
	s_delay_alu instid0(VALU_DEP_1) | instskip(SKIP_2) | instid1(SALU_CYCLE_1)
	v_add_nc_u32_e32 v4, v4, v5
	s_mov_b32 s10, s68
	s_mov_b32 s11, s73
	s_and_b32 vcc_lo, exec_lo, s11
	s_cbranch_vccnz .LBB78_76
	s_branch .LBB78_78
.LBB78_55:                              ;   in Loop: Header=BB78_15 Depth=1
	v_mov_b64_e32 v[10:11], 0
	v_mov_b64_e32 v[8:9], 0
	s_and_saveexec_b32 s92, s7
	s_cbranch_execz .LBB78_59
; %bb.56:                               ;   in Loop: Header=BB78_15 Depth=1
	v_mov_b32_e32 v2, v17
	s_mov_b32 s93, 0
	s_mov_b32 s94, 0
	;; [unrolled: 1-line block ×6, first 2 shown]
.LBB78_57:                              ;   Parent Loop BB78_15 Depth=1
                                        ; =>  This Inner Loop Header: Depth=2
	v_dual_add_nc_u32 v4, s94, v38 :: v_dual_add_nc_u32 v5, s94, v35
	v_dual_add_nc_u32 v8, s94, v36 :: v_dual_add_nc_u32 v14, s94, v37
	v_dual_mov_b32 v15, v23 :: v_dual_add_nc_u32 v2, s62, v2
	s_clause 0x3
	global_load_b64 v[12:13], v4, s[30:31] scale_offset
	global_load_b64 v[10:11], v5, s[30:31] scale_offset
	;; [unrolled: 1-line block ×4, first 2 shown]
	v_dual_mov_b32 v45, v23 :: v_dual_mov_b32 v47, v23
	v_cmp_le_u32_e32 vcc_lo, s74, v2
	s_add_co_i32 s94, s94, s76
	s_wait_loadcnt 0x3
	v_cmp_o_f64_e64 s10, v[12:13], v[12:13]
	s_wait_loadcnt 0x2
	v_cmp_o_f64_e64 s11, v[10:11], v[10:11]
	;; [unrolled: 2-line block ×4, first 2 shown]
	v_dual_ashrrev_i32 v14, 31, v13 :: v_dual_ashrrev_i32 v22, 31, v11
	v_ashrrev_i32_e32 v43, 31, v9
	v_ashrrev_i32_e32 v44, 31, v5
	s_delay_alu instid0(VALU_DEP_3) | instskip(NEXT) | instid1(VALU_DEP_4)
	v_or_b32_e32 v46, 0x80000000, v14
	v_or_b32_e32 v48, 0x80000000, v22
	v_xor_b32_e32 v14, v14, v12
	v_xor_b32_e32 v22, v22, v10
	v_or_b32_e32 v49, 0x80000000, v43
	v_or_b32_e32 v50, 0x80000000, v44
	v_xor_b32_e32 v12, v48, v11
	v_xor_b32_e32 v46, v46, v13
	s_delay_alu instid0(VALU_DEP_4) | instskip(SKIP_1) | instid1(VALU_DEP_4)
	v_xor_b32_e32 v10, v49, v9
	v_dual_cndmask_b32 v4, -1, v14, s10 :: v_dual_bitop2_b32 v44, v44, v4 bitop3:0x14
	v_cndmask_b32_e64 v9, -1, v12, s11
	v_xor_b32_e32 v43, v43, v8
	v_dual_cndmask_b32 v5, -1, v46, s10 :: v_dual_bitop2_b32 v8, v50, v5 bitop3:0x14
	v_cndmask_b32_e64 v11, -1, v10, s12
	s_delay_alu instid0(VALU_DEP_3) | instskip(NEXT) | instid1(VALU_DEP_3)
	v_dual_cndmask_b32 v10, -1, v43, s12 :: v_dual_bitop2_b32 v48, v4, v30 bitop3:0x40
	v_dual_cndmask_b32 v13, -1, v8, s13 :: v_dual_bitop2_b32 v49, v5, v31 bitop3:0x40
	v_cndmask_b32_e64 v8, -1, v22, s11
	v_lshrrev_b64 v[4:5], s79, v[4:5]
	v_dual_cndmask_b32 v12, -1, v44, s13 :: v_dual_bitop2_b32 v51, v9, v31 bitop3:0x40
	v_and_b32_e32 v53, v11, v31
	s_delay_alu instid0(VALU_DEP_4)
	v_and_b32_e32 v50, v8, v30
	v_lshrrev_b64 v[8:9], s79, v[8:9]
	v_and_b32_e32 v52, v10, v30
	v_lshrrev_b64 v[10:11], s79, v[10:11]
	v_and_b32_e32 v55, v13, v31
	v_and_b32_e32 v54, v12, v30
	v_lshrrev_b64 v[12:13], s79, v[12:13]
	v_and_b32_e32 v22, 3, v4
	v_and_b32_e32 v14, 3, v8
	v_cmp_eq_u64_e64 s10, v[48:49], v[26:27]
	v_and_b32_e32 v44, 3, v10
	v_cmp_eq_u64_e64 s11, v[50:51], v[26:27]
	v_cmp_eq_u64_e64 s14, 0, v[22:23]
	v_and_b32_e32 v46, 3, v12
	v_cmp_eq_u64_e64 s15, 0, v[14:15]
	v_cmp_eq_u64_e64 s12, v[52:53], v[26:27]
	;; [unrolled: 1-line block ×5, first 2 shown]
	s_and_b32 s14, s10, s14
	v_cmp_eq_u64_e64 s18, 1, v[22:23]
	v_cndmask_b32_e64 v4, 0, 1, s14
	s_and_b32 s14, s11, s15
	v_cmp_eq_u64_e64 s19, 1, v[14:15]
	v_cndmask_b32_e64 v5, 0, 1, s14
	;; [unrolled: 3-line block ×4, first 2 shown]
	s_and_b32 s14, s10, s18
	v_cmp_eq_u64_e64 s22, 2, v[22:23]
	v_cmp_eq_u64_e64 s26, 3, v[22:23]
	v_cndmask_b32_e64 v10, 0, 1, s14
	s_and_b32 s14, s11, s19
	v_cmp_eq_u64_e64 s23, 2, v[14:15]
	v_cmp_eq_u64_e64 s27, 3, v[14:15]
	v_cndmask_b32_e64 v11, 0, 1, s14
	;; [unrolled: 4-line block ×4, first 2 shown]
	s_and_b32 s14, s10, s22
	s_and_b32 s10, s10, s26
	v_cndmask_b32_e64 v14, 0, 1, s14
	s_and_b32 s14, s11, s23
	v_cndmask_b32_e64 v44, 0, 1, s10
	;; [unrolled: 2-line block ×7, first 2 shown]
	v_cndmask_b32_e64 v47, 0, 1, s10
	v_cmp_ne_u32_e64 s10, 0, v4
	v_cmp_ne_u32_e64 s14, 0, v10
	;; [unrolled: 1-line block ×12, first 2 shown]
	s_bcnt1_i32_b32 s10, s10
	s_bcnt1_i32_b32 s14, s14
	s_bcnt1_i32_b32 s18, s18
	s_bcnt1_i32_b32 s22, s22
	v_cmp_ne_u32_e64 s13, 0, v9
	v_cmp_ne_u32_e64 s17, 0, v13
	;; [unrolled: 1-line block ×4, first 2 shown]
	s_bcnt1_i32_b32 s11, s11
	s_bcnt1_i32_b32 s15, s15
	s_bcnt1_i32_b32 s19, s19
	s_bcnt1_i32_b32 s23, s23
	s_add_co_i32 s10, s10, s52
	s_add_co_i32 s14, s14, s53
	s_add_co_i32 s18, s18, s54
	s_add_co_i32 s22, s22, s55
	s_bcnt1_i32_b32 s12, s12
	s_bcnt1_i32_b32 s16, s16
	s_bcnt1_i32_b32 s20, s20
	s_bcnt1_i32_b32 s24, s24
	s_add_co_i32 s14, s14, s15
	s_add_co_i32 s10, s10, s11
	s_add_co_i32 s11, s22, s23
	s_add_co_i32 s15, s18, s19
	;; [unrolled: 8-line block ×3, first 2 shown]
	s_add_co_i32 s53, s12, s17
	s_add_co_i32 s52, s10, s13
	;; [unrolled: 1-line block ×4, first 2 shown]
	v_mov_b64_e32 v[8:9], s[52:53]
	v_mov_b64_e32 v[10:11], s[54:55]
	s_or_b32 s93, vcc_lo, s93
	s_delay_alu instid0(SALU_CYCLE_1)
	s_and_not1_b32 exec_lo, exec_lo, s93
	s_cbranch_execnz .LBB78_57
; %bb.58:                               ;   in Loop: Header=BB78_15 Depth=1
	s_or_b32 exec_lo, exec_lo, s93
.LBB78_59:                              ;   in Loop: Header=BB78_15 Depth=1
	s_delay_alu instid0(SALU_CYCLE_1)
	s_or_b32 exec_lo, exec_lo, s92
	s_and_saveexec_b32 s14, s8
	s_cbranch_execz .LBB78_65
; %bb.60:                               ;   in Loop: Header=BB78_15 Depth=1
	global_load_b64 v[12:13], v[24:25], off
	v_dual_mov_b32 v2, v39 :: v_dual_mov_b32 v14, v33
	s_mov_b32 s15, 0
	s_branch .LBB78_62
.LBB78_61:                              ;   in Loop: Header=BB78_62 Depth=2
	s_wait_xcnt 0x0
	s_or_b32 exec_lo, exec_lo, s11
	s_wait_loadcnt 0x0
	v_cmp_o_f64_e64 s10, v[12:13], v[12:13]
	v_ashrrev_i32_e32 v15, 31, v13
	s_and_b32 s13, exec_lo, vcc_lo
	v_add_nc_u32_e32 v2, s40, v2
	s_or_b32 s15, s13, s15
	s_delay_alu instid0(VALU_DEP_2) | instskip(NEXT) | instid1(VALU_DEP_1)
	v_or_b32_e32 v22, 0x80000000, v15
	v_xor_b32_e32 v22, v22, v13
	s_delay_alu instid0(VALU_DEP_1) | instskip(NEXT) | instid1(VALU_DEP_1)
	v_dual_cndmask_b32 v13, -1, v22, s10 :: v_dual_bitop2_b32 v12, v15, v12 bitop3:0x14
	v_cndmask_b32_e64 v12, -1, v12, s10
	s_delay_alu instid0(VALU_DEP_1) | instskip(SKIP_2) | instid1(VALU_DEP_3)
	v_lshrrev_b64 v[44:45], s79, v[12:13]
	v_and_b32_e32 v13, v13, v31
	v_and_b32_e32 v12, v12, v30
	v_and_b32_e32 v22, 3, v44
	s_delay_alu instid0(VALU_DEP_2) | instskip(NEXT) | instid1(VALU_DEP_2)
	v_cmp_eq_u64_e64 s10, v[12:13], v[26:27]
	v_cmp_eq_u64_e64 s11, 0, v[22:23]
	;; [unrolled: 1-line block ×3, first 2 shown]
	v_cmp_eq_u64_e32 vcc_lo, 2, v[22:23]
	v_cmp_eq_u64_e64 s13, 3, v[22:23]
	s_and_b32 s11, s10, s11
	s_delay_alu instid0(SALU_CYCLE_1) | instskip(SKIP_1) | instid1(SALU_CYCLE_1)
	v_cndmask_b32_e64 v12, 0, 1, s11
	s_and_b32 s11, s10, s12
	v_cndmask_b32_e64 v13, 0, 1, s11
	s_and_b32 s11, s10, vcc_lo
	s_and_b32 s10, s10, s13
	v_cndmask_b32_e64 v15, 0, 1, s11
	v_cndmask_b32_e64 v22, 0, 1, s10
	v_cmp_ne_u32_e32 vcc_lo, 0, v12
	v_cmp_ne_u32_e64 s10, 0, v13
	v_mov_b64_e32 v[12:13], v[4:5]
	v_cmp_ne_u32_e64 s11, 0, v15
	v_cmp_ne_u32_e64 s12, 0, v22
	s_bcnt1_i32_b32 s13, vcc_lo
	s_bcnt1_i32_b32 s10, s10
	s_bcnt1_i32_b32 s11, s11
	;; [unrolled: 1-line block ×3, first 2 shown]
	v_dual_add_nc_u32 v9, s10, v9 :: v_dual_add_nc_u32 v8, s13, v8
	v_dual_add_nc_u32 v11, s12, v11 :: v_dual_add_nc_u32 v10, s11, v10
	s_and_not1_b32 exec_lo, exec_lo, s15
	s_cbranch_execz .LBB78_64
.LBB78_62:                              ;   Parent Loop BB78_15 Depth=1
                                        ; =>  This Inner Loop Header: Depth=2
	v_mov_b64_e32 v[4:5], 0
	s_delay_alu instid0(VALU_DEP_2) | instskip(SKIP_1) | instid1(VALU_DEP_1)
	v_add_nc_u32_e32 v14, s34, v14
	s_mov_b32 s11, exec_lo
	v_cmp_le_u32_e32 vcc_lo, s36, v14
	s_wait_xcnt 0x0
	v_cmpx_gt_u32_e64 s36, v14
	s_cbranch_execz .LBB78_61
; %bb.63:                               ;   in Loop: Header=BB78_62 Depth=2
	global_load_b64 v[4:5], v2, s[30:31] scale_offset
	s_branch .LBB78_61
.LBB78_64:                              ;   in Loop: Header=BB78_15 Depth=1
	s_or_b32 exec_lo, exec_lo, s15
.LBB78_65:                              ;   in Loop: Header=BB78_15 Depth=1
	s_delay_alu instid0(SALU_CYCLE_1)
	s_or_b32 exec_lo, exec_lo, s14
	s_branch .LBB78_44
.LBB78_66:                              ;   in Loop: Header=BB78_15 Depth=1
	s_mul_u64 s[10:11], s[44:45], s[46:47]
	v_mov_b64_e32 v[10:11], 0
	s_mul_i32 s10, s11, s62
	v_mov_b64_e32 v[8:9], 0
	s_sub_co_i32 s10, s44, s10
	s_mov_b32 s93, exec_lo
	s_sub_co_i32 s11, s10, s62
	s_cmp_ge_u32 s10, s62
	s_cselect_b32 s10, s11, s10
	s_delay_alu instid0(SALU_CYCLE_1) | instskip(SKIP_2) | instid1(SALU_CYCLE_1)
	s_sub_co_i32 s11, s10, s62
	s_cmp_ge_u32 s10, s62
	s_cselect_b32 s10, s11, s10
	s_sub_co_i32 s92, s44, s10
	s_delay_alu instid0(SALU_CYCLE_1)
	v_cmpx_gt_u32_e64 s92, v17
	s_cbranch_execz .LBB78_70
; %bb.67:                               ;   in Loop: Header=BB78_15 Depth=1
	v_dual_mov_b32 v2, v40 :: v_dual_mov_b32 v4, v17
	s_mov_b32 s94, 0
	s_mov_b32 s52, 0
	s_mov_b32 s53, s94
	s_mov_b32 s54, 0
	s_mov_b32 s55, s94
.LBB78_68:                              ;   Parent Loop BB78_15 Depth=1
                                        ; =>  This Inner Loop Header: Depth=2
	ds_load_b128 v[12:15], v2
	ds_load_b128 v[8:11], v2 offset:16
	v_dual_add_nc_u32 v2, s77, v2 :: v_dual_add_nc_u32 v4, s62, v4
	v_dual_mov_b32 v45, v23 :: v_dual_mov_b32 v47, v23
	v_mov_b32_e32 v49, v23
	s_delay_alu instid0(VALU_DEP_3)
	v_cmp_le_u32_e32 vcc_lo, s92, v4
	s_wait_dscnt 0x1
	v_cmp_o_f64_e64 s10, v[12:13], v[12:13]
	s_wait_dscnt 0x0
	v_cmp_o_f64_e64 s13, v[10:11], v[10:11]
	v_cmp_o_f64_e64 s11, v[14:15], v[14:15]
	;; [unrolled: 1-line block ×3, first 2 shown]
	v_dual_ashrrev_i32 v5, 31, v13 :: v_dual_ashrrev_i32 v44, 31, v11
	v_dual_ashrrev_i32 v22, 31, v15 :: v_dual_ashrrev_i32 v43, 31, v9
	s_delay_alu instid0(VALU_DEP_2) | instskip(SKIP_1) | instid1(VALU_DEP_4)
	v_or_b32_e32 v46, 0x80000000, v5
	v_xor_b32_e32 v5, v5, v12
	v_or_b32_e32 v51, 0x80000000, v44
	s_delay_alu instid0(VALU_DEP_4) | instskip(SKIP_4) | instid1(VALU_DEP_1)
	v_or_b32_e32 v48, 0x80000000, v22
	v_or_b32_e32 v50, 0x80000000, v43
	v_xor_b32_e32 v46, v46, v13
	v_xor_b32_e32 v43, v43, v8
	;; [unrolled: 1-line block ×3, first 2 shown]
	v_dual_cndmask_b32 v15, -1, v8, s13 :: v_dual_bitop2_b32 v12, v48, v15 bitop3:0x14
	v_dual_cndmask_b32 v8, -1, v5, s10 :: v_dual_bitop2_b32 v22, v22, v14 bitop3:0x14
	s_delay_alu instid0(VALU_DEP_2) | instskip(SKIP_2) | instid1(VALU_DEP_4)
	v_dual_cndmask_b32 v11, -1, v12, s11 :: v_dual_bitop2_b32 v13, v50, v9 bitop3:0x14
	v_cndmask_b32_e64 v9, -1, v46, s10
	v_xor_b32_e32 v44, v44, v10
	v_dual_cndmask_b32 v10, -1, v22, s11 :: v_dual_cndmask_b32 v12, -1, v43, s12
	s_delay_alu instid0(VALU_DEP_4) | instskip(NEXT) | instid1(VALU_DEP_4)
	v_dual_cndmask_b32 v13, -1, v13, s12 :: v_dual_bitop2_b32 v50, v8, v30 bitop3:0x40
	v_and_b32_e32 v51, v9, v31
	v_lshrrev_b64 v[8:9], s79, v[8:9]
	v_dual_cndmask_b32 v14, -1, v44, s13 :: v_dual_bitop2_b32 v53, v11, v31 bitop3:0x40
	v_and_b32_e32 v52, v10, v30
	v_lshrrev_b64 v[10:11], s79, v[10:11]
	v_and_b32_e32 v55, v13, v31
	v_and_b32_e32 v54, v12, v30
	v_lshrrev_b64 v[12:13], s79, v[12:13]
	v_and_b32_e32 v57, v15, v31
	;; [unrolled: 3-line block ×3, first 2 shown]
	v_and_b32_e32 v44, 3, v10
	v_cmp_eq_u64_e64 s10, v[50:51], v[26:27]
	v_and_b32_e32 v46, 3, v12
	v_cmp_eq_u64_e64 s11, v[52:53], v[26:27]
	v_cmp_eq_u64_e64 s14, 0, v[22:23]
	v_and_b32_e32 v48, 3, v14
	v_cmp_eq_u64_e64 s15, 0, v[44:45]
	v_cmp_eq_u64_e64 s12, v[54:55], v[26:27]
	;; [unrolled: 1-line block ×5, first 2 shown]
	s_and_b32 s14, s10, s14
	v_cmp_eq_u64_e64 s18, 1, v[22:23]
	v_cndmask_b32_e64 v5, 0, 1, s14
	s_and_b32 s14, s11, s15
	v_cmp_eq_u64_e64 s19, 1, v[44:45]
	v_cndmask_b32_e64 v8, 0, 1, s14
	;; [unrolled: 3-line block ×4, first 2 shown]
	s_and_b32 s14, s10, s18
	v_cmp_eq_u64_e64 s22, 2, v[22:23]
	v_cmp_eq_u64_e64 s26, 3, v[22:23]
	v_cndmask_b32_e64 v11, 0, 1, s14
	s_and_b32 s14, s11, s19
	v_cmp_eq_u64_e64 s23, 2, v[44:45]
	v_cmp_eq_u64_e64 s27, 3, v[44:45]
	v_cndmask_b32_e64 v12, 0, 1, s14
	;; [unrolled: 4-line block ×4, first 2 shown]
	s_and_b32 s14, s10, s22
	s_and_b32 s10, s10, s26
	v_cndmask_b32_e64 v15, 0, 1, s14
	s_and_b32 s14, s11, s23
	v_cndmask_b32_e64 v45, 0, 1, s10
	;; [unrolled: 2-line block ×7, first 2 shown]
	v_cndmask_b32_e64 v48, 0, 1, s10
	v_cmp_ne_u32_e64 s10, 0, v5
	v_cmp_ne_u32_e64 s14, 0, v11
	;; [unrolled: 1-line block ×12, first 2 shown]
	s_bcnt1_i32_b32 s10, s10
	s_bcnt1_i32_b32 s14, s14
	;; [unrolled: 1-line block ×4, first 2 shown]
	v_cmp_ne_u32_e64 s13, 0, v10
	v_cmp_ne_u32_e64 s17, 0, v14
	;; [unrolled: 1-line block ×4, first 2 shown]
	s_bcnt1_i32_b32 s11, s11
	s_bcnt1_i32_b32 s15, s15
	s_bcnt1_i32_b32 s19, s19
	s_bcnt1_i32_b32 s23, s23
	s_add_co_i32 s10, s10, s52
	s_add_co_i32 s14, s14, s53
	s_add_co_i32 s18, s18, s54
	s_add_co_i32 s22, s22, s55
	s_bcnt1_i32_b32 s12, s12
	s_bcnt1_i32_b32 s16, s16
	s_bcnt1_i32_b32 s20, s20
	s_bcnt1_i32_b32 s24, s24
	s_add_co_i32 s14, s14, s15
	s_add_co_i32 s10, s10, s11
	s_add_co_i32 s11, s22, s23
	s_add_co_i32 s15, s18, s19
	;; [unrolled: 8-line block ×3, first 2 shown]
	s_add_co_i32 s53, s12, s17
	s_add_co_i32 s52, s10, s13
	;; [unrolled: 1-line block ×4, first 2 shown]
	v_mov_b64_e32 v[8:9], s[52:53]
	v_mov_b64_e32 v[10:11], s[54:55]
	s_or_b32 s94, vcc_lo, s94
	s_delay_alu instid0(SALU_CYCLE_1)
	s_and_not1_b32 exec_lo, exec_lo, s94
	s_cbranch_execnz .LBB78_68
; %bb.69:                               ;   in Loop: Header=BB78_15 Depth=1
	s_or_b32 exec_lo, exec_lo, s94
.LBB78_70:                              ;   in Loop: Header=BB78_15 Depth=1
	s_delay_alu instid0(SALU_CYCLE_1) | instskip(SKIP_2) | instid1(VALU_DEP_1)
	s_or_b32 exec_lo, exec_lo, s93
	v_add_nc_u32_e32 v2, s92, v0
	s_mov_b32 s15, exec_lo
	v_cmpx_gt_u32_e64 s44, v2
	s_cbranch_execz .LBB78_74
; %bb.71:                               ;   in Loop: Header=BB78_15 Depth=1
	v_lshlrev_b32_e32 v4, 3, v2
	s_mov_b32 s16, 0
.LBB78_72:                              ;   Parent Loop BB78_15 Depth=1
                                        ; =>  This Inner Loop Header: Depth=2
	ds_load_b64 v[12:13], v4
	v_dual_add_nc_u32 v2, s34, v2 :: v_dual_add_nc_u32 v4, s78, v4
	s_delay_alu instid0(VALU_DEP_1) | instskip(SKIP_3) | instid1(VALU_DEP_1)
	v_cmp_le_u32_e64 s10, s44, v2
	s_wait_dscnt 0x0
	v_cmp_o_f64_e32 vcc_lo, v[12:13], v[12:13]
	v_ashrrev_i32_e32 v5, 31, v13
	v_or_b32_e32 v14, 0x80000000, v5
	s_delay_alu instid0(VALU_DEP_1) | instskip(NEXT) | instid1(VALU_DEP_1)
	v_xor_b32_e32 v14, v14, v13
	v_dual_cndmask_b32 v13, -1, v14, vcc_lo :: v_dual_bitop2_b32 v5, v5, v12 bitop3:0x14
	s_delay_alu instid0(VALU_DEP_1) | instskip(NEXT) | instid1(VALU_DEP_1)
	v_dual_cndmask_b32 v12, -1, v5, vcc_lo :: v_dual_bitop2_b32 v15, v13, v31 bitop3:0x40
	v_lshrrev_b64 v[44:45], s79, v[12:13]
	v_and_b32_e32 v14, v12, v30
	s_delay_alu instid0(VALU_DEP_1) | instskip(NEXT) | instid1(VALU_DEP_3)
	v_cmp_eq_u64_e32 vcc_lo, v[14:15], v[26:27]
	v_and_b32_e32 v22, 3, v44
	s_delay_alu instid0(VALU_DEP_1) | instskip(SKIP_4) | instid1(SALU_CYCLE_1)
	v_cmp_eq_u64_e64 s11, 0, v[22:23]
	v_cmp_eq_u64_e64 s12, 1, v[22:23]
	;; [unrolled: 1-line block ×4, first 2 shown]
	s_and_b32 s11, vcc_lo, s11
	v_cndmask_b32_e64 v5, 0, 1, s11
	s_and_b32 s11, vcc_lo, s12
	s_delay_alu instid0(SALU_CYCLE_1) | instskip(SKIP_1) | instid1(SALU_CYCLE_1)
	v_cndmask_b32_e64 v12, 0, 1, s11
	s_and_b32 s11, vcc_lo, s13
	v_cndmask_b32_e64 v13, 0, 1, s11
	s_and_b32 s11, vcc_lo, s14
	v_cmp_ne_u32_e32 vcc_lo, 0, v5
	v_cndmask_b32_e64 v14, 0, 1, s11
	v_cmp_ne_u32_e64 s11, 0, v12
	v_cmp_ne_u32_e64 s12, 0, v13
	s_bcnt1_i32_b32 s14, vcc_lo
	v_cmp_ne_u32_e64 s13, 0, v14
	s_bcnt1_i32_b32 s11, s11
	s_bcnt1_i32_b32 s12, s12
	v_dual_add_nc_u32 v9, s11, v9 :: v_dual_add_nc_u32 v8, s14, v8
	v_add_nc_u32_e32 v10, s12, v10
	s_bcnt1_i32_b32 s13, s13
	s_or_b32 s16, s10, s16
	v_add_nc_u32_e32 v11, s13, v11
	s_and_not1_b32 exec_lo, exec_lo, s16
	s_cbranch_execnz .LBB78_72
; %bb.73:                               ;   in Loop: Header=BB78_15 Depth=1
	s_or_b32 exec_lo, exec_lo, s16
.LBB78_74:                              ;   in Loop: Header=BB78_15 Depth=1
	s_delay_alu instid0(SALU_CYCLE_1)
	s_or_b32 exec_lo, exec_lo, s15
	s_lshl_b32 s12, s82, 7
	s_and_saveexec_b32 s10, s2
	s_cbranch_execnz .LBB78_45
	s_branch .LBB78_46
.LBB78_75:                              ;   in Loop: Header=BB78_15 Depth=1
	v_mov_b32_e32 v4, 0
	s_mov_b32 s10, 0
	s_cbranch_execz .LBB78_78
.LBB78_76:                              ;   in Loop: Header=BB78_15 Depth=1
	s_lshl_b32 s11, s82, 9
	s_lshl_b32 s14, s10, 4
	s_sub_co_i32 s10, s66, s10
	v_add3_u32 v5, s11, s14, v41
.LBB78_77:                              ;   Parent Loop BB78_15 Depth=1
                                        ; =>  This Inner Loop Header: Depth=2
	ds_load_b32 v8, v5
	v_add_nc_u32_e32 v5, 16, v5
	s_add_co_i32 s10, s10, -1
	s_delay_alu instid0(SALU_CYCLE_1)
	s_cmp_eq_u32 s10, 0
	s_wait_dscnt 0x0
	v_add_nc_u32_e32 v4, v8, v4
	s_cbranch_scc0 .LBB78_77
.LBB78_78:                              ;   in Loop: Header=BB78_15 Depth=1
	s_delay_alu instid0(VALU_DEP_1)
	v_lshlrev_b32_e32 v2, 2, v2
	ds_store_b32 v2, v4 offset:3072
.LBB78_79:                              ;   in Loop: Header=BB78_15 Depth=1
	s_or_b32 exec_lo, exec_lo, s13
	s_lshl_b32 s10, s12, 2
	s_wait_dscnt 0x0
	v_mov_b32_e32 v2, s10
	s_barrier_signal -1
	s_barrier_wait -1
	v_cmp_eq_u32_e64 s10, 1, v42
	ds_load_b128 v[8:11], v2 offset:3072
	s_lshl_b64 s[12:13], 3, s79
	s_mov_b32 s24, -1
	s_not_b64 s[14:15], s[12:13]
	s_mov_b32 s16, 0
	s_and_not1_b32 vcc_lo, exec_lo, s60
	s_mov_b32 s21, 0
	s_mov_b32 s11, 0
                                        ; implicit-def: $sgpr22
                                        ; implicit-def: $sgpr23
                                        ; implicit-def: $vgpr43
                                        ; implicit-def: $vgpr22
                                        ; implicit-def: $vgpr14_vgpr15
                                        ; implicit-def: $vgpr12_vgpr13
	s_wait_dscnt 0x0
	v_readfirstlane_b32 s17, v8
	v_readfirstlane_b32 s18, v9
	;; [unrolled: 1-line block ×4, first 2 shown]
                                        ; implicit-def: $vgpr10_vgpr11
	s_cbranch_vccnz .LBB78_249
; %bb.80:                               ;   in Loop: Header=BB78_15 Depth=1
	v_mov_b64_e32 v[14:15], v[26:27]
	v_mov_b64_e32 v[12:13], v[30:31]
	;; [unrolled: 1-line block ×3, first 2 shown]
	s_cmp_eq_u32 s17, 1
	s_mov_b32 s27, -1
	s_cselect_b32 s11, -1, 0
                                        ; implicit-def: $sgpr23
                                        ; implicit-def: $sgpr22
	s_delay_alu instid0(SALU_CYCLE_1) | instskip(NEXT) | instid1(SALU_CYCLE_1)
	s_and_b32 s26, s11, s10
	s_and_saveexec_b32 s11, s26
	s_cbranch_execz .LBB78_112
; %bb.81:                               ;   in Loop: Header=BB78_15 Depth=1
	ds_load_b32 v2, v23 offset:4096
	s_wait_dscnt 0x0
	s_barrier_signal -1
	s_barrier_wait -1
	v_readfirstlane_b32 s24, v2
	s_and_saveexec_b32 s21, s6
; %bb.82:                               ;   in Loop: Header=BB78_15 Depth=1
	ds_store_b64 v32, v[28:29]
; %bb.83:                               ;   in Loop: Header=BB78_15 Depth=1
	s_or_b32 exec_lo, exec_lo, s21
	v_and_b32_e32 v15, s15, v27
	v_and_b32_e32 v14, s14, v26
	v_or_b32_e32 v13, s13, v31
	v_or_b32_e32 v12, s12, v30
	s_mov_b32 s22, -1
	s_mov_b32 s23, 0
	s_cmp_eq_u32 s24, 0
	s_mov_b32 s21, 0
	s_mov_b32 s25, -1
	s_wait_dscnt 0x0
	s_barrier_signal -1
	s_barrier_wait -1
                                        ; implicit-def: $vgpr10_vgpr11
	s_cbranch_scc1 .LBB78_98
; %bb.84:                               ;   in Loop: Header=BB78_15 Depth=1
	s_add_co_i32 s44, s24, s65
	s_mov_b32 s27, exec_lo
	s_mul_u64 s[28:29], s[44:45], s[48:49]
                                        ; implicit-def: $vgpr10_vgpr11
	s_delay_alu instid0(SALU_CYCLE_1) | instskip(NEXT) | instid1(SALU_CYCLE_1)
	s_mul_i32 s21, s29, s34
	s_sub_co_i32 s21, s44, s21
	s_delay_alu instid0(SALU_CYCLE_1) | instskip(SKIP_2) | instid1(SALU_CYCLE_1)
	s_sub_co_i32 s25, s21, s34
	s_cmp_ge_u32 s21, s34
	s_cselect_b32 s21, s25, s21
	s_sub_co_i32 s25, s21, s34
	s_cmp_ge_u32 s21, s34
	s_cselect_b32 s21, s25, s21
	s_mov_b32 s25, 0
	s_sub_co_i32 s28, s44, s21
	s_mov_b32 s21, 0
	v_cmpx_gt_u32_e64 s28, v0
	s_cbranch_execz .LBB78_97
; %bb.85:                               ;   in Loop: Header=BB78_15 Depth=1
	v_dual_mov_b32 v22, v21 :: v_dual_mov_b32 v43, v0
                                        ; implicit-def: $sgpr29
	s_branch .LBB78_89
.LBB78_86:                              ;   in Loop: Header=BB78_89 Depth=2
	s_or_b32 exec_lo, exec_lo, s44
	s_wait_dscnt 0x0
	s_barrier_signal -1
	s_barrier_wait -1
	ds_load_b128 v[8:11], v23 offset:3072
	s_wait_dscnt 0x0
	s_barrier_signal -1
	s_barrier_wait -1
	v_cmp_neq_f64_e32 vcc_lo, 0, v[8:9]
	s_cbranch_vccnz .LBB78_92
; %bb.87:                               ;   in Loop: Header=BB78_89 Depth=2
	v_dual_add_nc_u32 v43, s34, v43 :: v_dual_add_nc_u32 v22, s78, v22
	s_mov_b32 s44, 0
	s_delay_alu instid0(VALU_DEP_1)
	v_cmp_le_u32_e32 vcc_lo, s28, v43
	s_or_not1_b32 s52, vcc_lo, exec_lo
.LBB78_88:                              ;   in Loop: Header=BB78_89 Depth=2
	s_delay_alu instid0(SALU_CYCLE_1) | instskip(NEXT) | instid1(SALU_CYCLE_1)
	s_and_b32 s52, exec_lo, s52
	s_or_b32 s21, s52, s21
	s_and_not1_b32 s29, s29, exec_lo
	s_and_b32 s44, s44, exec_lo
	s_delay_alu instid0(SALU_CYCLE_1)
	s_or_b32 s29, s29, s44
	s_and_not1_b32 exec_lo, exec_lo, s21
	s_cbranch_execz .LBB78_96
.LBB78_89:                              ;   Parent Loop BB78_15 Depth=1
                                        ; =>  This Inner Loop Header: Depth=2
	s_mov_b32 s44, exec_lo
	s_delay_alu instid0(VALU_DEP_1)
	v_cmpx_gt_u32_e64 s24, v43
	s_cbranch_execz .LBB78_86
; %bb.90:                               ;   in Loop: Header=BB78_89 Depth=2
	ds_load_b64 v[4:5], v22
	s_wait_dscnt 0x0
	v_cmp_o_f64_e32 vcc_lo, v[4:5], v[4:5]
	v_ashrrev_i32_e32 v2, 31, v5
	s_delay_alu instid0(VALU_DEP_1) | instskip(NEXT) | instid1(VALU_DEP_1)
	v_or_b32_e32 v8, 0x80000000, v2
	v_xor_b32_e32 v8, v8, v5
	v_xor_b32_e32 v2, v2, v4
	s_delay_alu instid0(VALU_DEP_1) | instskip(NEXT) | instid1(VALU_DEP_1)
	v_dual_cndmask_b32 v8, -1, v8, vcc_lo :: v_dual_cndmask_b32 v2, -1, v2, vcc_lo
	v_and_b32_e32 v9, v8, v13
	s_delay_alu instid0(VALU_DEP_2) | instskip(NEXT) | instid1(VALU_DEP_1)
	v_and_b32_e32 v8, v2, v12
	v_cmp_eq_u64_e32 vcc_lo, v[8:9], v[14:15]
	s_and_b32 exec_lo, exec_lo, vcc_lo
	s_cbranch_execz .LBB78_86
; %bb.91:                               ;   in Loop: Header=BB78_89 Depth=2
	v_mov_b32_e32 v2, v23
	ds_store_b128 v23, v[2:5] offset:3072
	s_branch .LBB78_86
.LBB78_92:                              ;   in Loop: Header=BB78_89 Depth=2
	s_mov_b32 s52, -1
	s_mov_b32 s44, -1
                                        ; implicit-def: $vgpr43
                                        ; implicit-def: $vgpr22
	s_branch .LBB78_88
.LBB78_93:                              ;   in Loop: Header=BB78_15 Depth=1
	s_or_b32 exec_lo, exec_lo, s13
	s_wait_dscnt 0x0
	s_barrier_signal -1
	s_barrier_wait -1
	s_and_saveexec_b32 s10, s5
	s_cbranch_execz .LBB78_95
; %bb.94:                               ;   in Loop: Header=BB78_15 Depth=1
	ds_load_b32 v2, v23 offset:4104
	s_wait_dscnt 0x0
	ds_store_b32 v23, v2 offset:4096
.LBB78_95:                              ;   in Loop: Header=BB78_15 Depth=1
	s_or_b32 exec_lo, exec_lo, s10
	s_wait_dscnt 0x0
	s_barrier_signal -1
	s_mov_b32 s10, -1
	s_barrier_wait -1
	s_and_b32 vcc_lo, exec_lo, s12
	s_cbranch_vccnz .LBB78_31
	s_branch .LBB78_40
.LBB78_96:                              ;   in Loop: Header=BB78_15 Depth=1
	s_or_b32 exec_lo, exec_lo, s21
	s_delay_alu instid0(SALU_CYCLE_1)
	s_and_b32 s21, s29, exec_lo
.LBB78_97:                              ;   in Loop: Header=BB78_15 Depth=1
	s_or_b32 exec_lo, exec_lo, s27
.LBB78_98:                              ;   in Loop: Header=BB78_15 Depth=1
	s_delay_alu instid0(SALU_CYCLE_1)
	s_and_b32 vcc_lo, exec_lo, s25
	s_cbranch_vccz .LBB78_111
; %bb.99:                               ;   in Loop: Header=BB78_15 Depth=1
                                        ; implicit-def: $vgpr10_vgpr11
	s_and_saveexec_b32 s22, s9
	s_cbranch_execz .LBB78_110
; %bb.100:                              ;   in Loop: Header=BB78_15 Depth=1
	v_dual_mov_b32 v22, v20 :: v_dual_mov_b32 v43, v0
	s_mov_b32 s24, 0
                                        ; implicit-def: $sgpr23
	s_branch .LBB78_104
.LBB78_101:                             ;   in Loop: Header=BB78_104 Depth=2
	s_or_b32 exec_lo, exec_lo, s25
	s_wait_dscnt 0x0
	s_barrier_signal -1
	s_barrier_wait -1
	ds_load_b128 v[8:11], v23 offset:3072
	s_wait_dscnt 0x0
	s_barrier_signal -1
	s_barrier_wait -1
	v_cmp_neq_f64_e32 vcc_lo, 0, v[8:9]
	s_cbranch_vccnz .LBB78_107
; %bb.102:                              ;   in Loop: Header=BB78_104 Depth=2
	v_dual_add_nc_u32 v43, s34, v43 :: v_dual_add_nc_u32 v22, s40, v22
	s_mov_b32 s25, 0
	s_delay_alu instid0(VALU_DEP_1)
	v_cmp_le_u32_e32 vcc_lo, s75, v43
	s_or_not1_b32 s27, vcc_lo, exec_lo
.LBB78_103:                             ;   in Loop: Header=BB78_104 Depth=2
	s_delay_alu instid0(SALU_CYCLE_1) | instskip(NEXT) | instid1(SALU_CYCLE_1)
	s_and_b32 s27, exec_lo, s27
	s_or_b32 s24, s27, s24
	s_and_not1_b32 s23, s23, exec_lo
	s_and_b32 s25, s25, exec_lo
	s_delay_alu instid0(SALU_CYCLE_1)
	s_or_b32 s23, s23, s25
	s_and_not1_b32 exec_lo, exec_lo, s24
	s_cbranch_execz .LBB78_109
.LBB78_104:                             ;   Parent Loop BB78_15 Depth=1
                                        ; =>  This Inner Loop Header: Depth=2
	s_mov_b32 s25, exec_lo
	s_delay_alu instid0(VALU_DEP_1)
	v_cmpx_gt_u32_e64 s36, v43
	s_cbranch_execz .LBB78_101
; %bb.105:                              ;   in Loop: Header=BB78_104 Depth=2
	global_load_b64 v[4:5], v22, s[30:31] scale_offset
	s_wait_loadcnt 0x0
	v_cmp_o_f64_e32 vcc_lo, v[4:5], v[4:5]
	v_ashrrev_i32_e32 v2, 31, v5
	s_delay_alu instid0(VALU_DEP_1) | instskip(NEXT) | instid1(VALU_DEP_1)
	v_or_b32_e32 v8, 0x80000000, v2
	v_xor_b32_e32 v8, v8, v5
	v_xor_b32_e32 v2, v2, v4
	s_delay_alu instid0(VALU_DEP_1) | instskip(NEXT) | instid1(VALU_DEP_1)
	v_dual_cndmask_b32 v8, -1, v8, vcc_lo :: v_dual_cndmask_b32 v2, -1, v2, vcc_lo
	v_and_b32_e32 v9, v8, v13
	s_delay_alu instid0(VALU_DEP_2) | instskip(NEXT) | instid1(VALU_DEP_1)
	v_and_b32_e32 v8, v2, v12
	v_cmp_eq_u64_e32 vcc_lo, v[8:9], v[14:15]
	s_and_b32 exec_lo, exec_lo, vcc_lo
	s_cbranch_execz .LBB78_101
; %bb.106:                              ;   in Loop: Header=BB78_104 Depth=2
	v_mov_b32_e32 v2, v23
	ds_store_b128 v23, v[2:5] offset:3072
	s_branch .LBB78_101
.LBB78_107:                             ;   in Loop: Header=BB78_104 Depth=2
	s_mov_b32 s27, -1
	s_mov_b32 s25, -1
                                        ; implicit-def: $vgpr43
                                        ; implicit-def: $vgpr22
	s_branch .LBB78_103
.LBB78_108:                             ;   in Loop: Header=BB78_15 Depth=1
	s_mov_b64 s[10:11], 0x100000000
	v_mov_b64_e32 v[4:5], 0
	s_and_not1_b32 vcc_lo, exec_lo, s72
	s_mov_b32 s14, s69
	s_cbranch_vccz .LBB78_53
	s_branch .LBB78_54
.LBB78_109:                             ;   in Loop: Header=BB78_15 Depth=1
	s_or_b32 exec_lo, exec_lo, s24
	s_delay_alu instid0(SALU_CYCLE_1) | instskip(SKIP_1) | instid1(SALU_CYCLE_1)
	s_and_not1_b32 s21, s21, exec_lo
	s_and_b32 s23, s23, exec_lo
	s_or_b32 s21, s21, s23
.LBB78_110:                             ;   in Loop: Header=BB78_15 Depth=1
	s_or_b32 exec_lo, exec_lo, s22
	s_mov_b32 s22, 0
	s_mov_b32 s23, -1
.LBB78_111:                             ;   in Loop: Header=BB78_15 Depth=1
	s_or_not1_b32 s27, s21, exec_lo
.LBB78_112:                             ;   in Loop: Header=BB78_15 Depth=1
	s_or_b32 exec_lo, exec_lo, s11
	s_mov_b32 s24, 0
	s_mov_b32 s21, 0
	;; [unrolled: 1-line block ×3, first 2 shown]
                                        ; implicit-def: $vgpr43
                                        ; implicit-def: $vgpr22
	s_and_saveexec_b32 s25, s27
	s_cbranch_execz .LBB78_248
; %bb.113:                              ;   in Loop: Header=BB78_15 Depth=1
	v_dual_mov_b32 v43, 1 :: v_dual_mov_b32 v22, 1
	s_xor_b32 s21, s26, -1
	s_mov_b32 s28, 0
	s_and_saveexec_b32 s11, s21
	s_cbranch_execz .LBB78_122
; %bb.114:                              ;   in Loop: Header=BB78_15 Depth=1
	s_mov_b32 s21, exec_lo
	v_cmpx_ge_u32_e64 s17, v42
	s_xor_b32 s21, exec_lo, s21
	s_cbranch_execz .LBB78_119
; %bb.115:                              ;   in Loop: Header=BB78_15 Depth=1
	ds_load_b32 v2, v23 offset:4096
	v_and_b32_e32 v15, s15, v15
	v_and_b32_e32 v14, s14, v14
	v_or_b32_e32 v13, s13, v13
	v_or_b32_e32 v12, s12, v12
	s_wait_dscnt 0x0
	v_cmp_ne_u32_e32 vcc_lo, 0, v2
	s_cbranch_vccnz .LBB78_119
; %bb.116:                              ;   in Loop: Header=BB78_15 Depth=1
	s_and_saveexec_b32 s26, s5
; %bb.117:                              ;   in Loop: Header=BB78_15 Depth=1
	v_mov_b32_e32 v2, s17
	ds_store_b32 v23, v2 offset:4100
; %bb.118:                              ;   in Loop: Header=BB78_15 Depth=1
	s_or_b32 exec_lo, exec_lo, s26
	s_wait_dscnt 0x0
	s_barrier_signal -1
	s_barrier_wait -1
.LBB78_119:                             ;   in Loop: Header=BB78_15 Depth=1
	s_or_saveexec_b32 s21, s21
	v_dual_mov_b32 v22, 8 :: v_dual_mov_b32 v43, v42
	s_mov_b32 s26, 0
	s_xor_b32 exec_lo, exec_lo, s21
; %bb.120:                              ;   in Loop: Header=BB78_15 Depth=1
	v_subrev_nc_u32_e32 v43, s17, v42
	v_mov_b32_e32 v22, 0
	s_mov_b32 s26, exec_lo
; %bb.121:                              ;   in Loop: Header=BB78_15 Depth=1
	s_or_b32 exec_lo, exec_lo, s21
	s_delay_alu instid0(SALU_CYCLE_1)
	s_and_b32 s28, s26, exec_lo
.LBB78_122:                             ;   in Loop: Header=BB78_15 Depth=1
	s_or_b32 exec_lo, exec_lo, s11
	s_mov_b32 s27, -1
                                        ; implicit-def: $sgpr21
                                        ; implicit-def: $sgpr26
	s_and_saveexec_b32 s11, s28
	s_delay_alu instid0(SALU_CYCLE_1)
	s_xor_b32 s11, exec_lo, s11
	s_cbranch_execz .LBB78_245
; %bb.123:                              ;   in Loop: Header=BB78_15 Depth=1
	v_cmp_eq_u32_e32 vcc_lo, 1, v43
	s_cmp_eq_u32 s18, 1
	s_mov_b32 s29, -1
	s_cselect_b32 s21, -1, 0
                                        ; implicit-def: $sgpr26
	s_delay_alu instid0(SALU_CYCLE_1) | instskip(NEXT) | instid1(SALU_CYCLE_1)
	s_and_b32 s28, s21, vcc_lo
                                        ; implicit-def: $sgpr21
	s_and_saveexec_b32 s27, s28
	s_cbranch_execz .LBB78_151
; %bb.124:                              ;   in Loop: Header=BB78_15 Depth=1
	ds_load_b32 v2, v23 offset:4096
	s_wait_dscnt 0x0
	s_barrier_signal -1
	s_barrier_wait -1
	v_readfirstlane_b32 s52, v2
	s_and_saveexec_b32 s21, s6
; %bb.125:                              ;   in Loop: Header=BB78_15 Depth=1
	ds_store_b64 v32, v[28:29]
; %bb.126:                              ;   in Loop: Header=BB78_15 Depth=1
	s_or_b32 exec_lo, exec_lo, s21
	v_and_b32_e32 v2, s15, v15
	v_and_b32_e32 v4, s14, v14
	s_lshl_b64 s[54:55], 1, s79
	v_or_b32_e32 v13, s13, v13
	v_or_b32_e32 v12, s12, v12
	;; [unrolled: 1-line block ×4, first 2 shown]
	s_mov_b32 s21, -1
	s_mov_b32 s26, 0
	s_cmp_eq_u32 s52, 0
	s_mov_b32 s29, 0
	s_mov_b32 s44, -1
	s_wait_dscnt 0x0
	s_barrier_signal -1
	s_barrier_wait -1
                                        ; implicit-def: $vgpr10_vgpr11
	s_cbranch_scc1 .LBB78_138
; %bb.127:                              ;   in Loop: Header=BB78_15 Depth=1
	s_add_co_i32 s44, s52, s65
                                        ; implicit-def: $vgpr10_vgpr11
	s_delay_alu instid0(SALU_CYCLE_1) | instskip(NEXT) | instid1(SALU_CYCLE_1)
	s_mul_u64 s[54:55], s[44:45], s[48:49]
	s_mul_i32 s29, s55, s34
	s_delay_alu instid0(SALU_CYCLE_1) | instskip(NEXT) | instid1(SALU_CYCLE_1)
	s_sub_co_i32 s29, s44, s29
	s_sub_co_i32 s53, s29, s34
	s_cmp_ge_u32 s29, s34
	s_cselect_b32 s29, s53, s29
	s_delay_alu instid0(SALU_CYCLE_1)
	s_sub_co_i32 s53, s29, s34
	s_cmp_ge_u32 s29, s34
	s_cselect_b32 s29, s53, s29
	s_mov_b32 s53, exec_lo
	s_sub_co_i32 s54, s44, s29
	s_mov_b32 s44, 0
	s_mov_b32 s29, 0
	v_cmpx_gt_u32_e64 s54, v0
	s_cbranch_execz .LBB78_137
; %bb.128:                              ;   in Loop: Header=BB78_15 Depth=1
	v_dual_mov_b32 v44, v21 :: v_dual_mov_b32 v45, v0
                                        ; implicit-def: $sgpr55
	s_branch .LBB78_132
.LBB78_129:                             ;   in Loop: Header=BB78_132 Depth=2
	s_or_b32 exec_lo, exec_lo, s92
	s_wait_dscnt 0x0
	s_barrier_signal -1
	s_barrier_wait -1
	ds_load_b128 v[8:11], v23 offset:3072
	s_wait_dscnt 0x0
	s_barrier_signal -1
	s_barrier_wait -1
	v_cmp_neq_f64_e32 vcc_lo, 0, v[8:9]
	s_cbranch_vccnz .LBB78_135
; %bb.130:                              ;   in Loop: Header=BB78_132 Depth=2
	v_dual_add_nc_u32 v45, s34, v45 :: v_dual_add_nc_u32 v44, s78, v44
	s_mov_b32 s92, 0
	s_delay_alu instid0(VALU_DEP_1)
	v_cmp_le_u32_e32 vcc_lo, s54, v45
	s_or_not1_b32 s93, vcc_lo, exec_lo
.LBB78_131:                             ;   in Loop: Header=BB78_132 Depth=2
	s_delay_alu instid0(SALU_CYCLE_1) | instskip(NEXT) | instid1(SALU_CYCLE_1)
	s_and_b32 s93, exec_lo, s93
	s_or_b32 s29, s93, s29
	s_and_not1_b32 s55, s55, exec_lo
	s_and_b32 s92, s92, exec_lo
	s_delay_alu instid0(SALU_CYCLE_1)
	s_or_b32 s55, s55, s92
	s_and_not1_b32 exec_lo, exec_lo, s29
	s_cbranch_execz .LBB78_136
.LBB78_132:                             ;   Parent Loop BB78_15 Depth=1
                                        ; =>  This Inner Loop Header: Depth=2
	s_mov_b32 s92, exec_lo
	s_delay_alu instid0(VALU_DEP_1)
	v_cmpx_gt_u32_e64 s52, v45
	s_cbranch_execz .LBB78_129
; %bb.133:                              ;   in Loop: Header=BB78_132 Depth=2
	ds_load_b64 v[4:5], v44
	s_wait_dscnt 0x0
	v_cmp_o_f64_e32 vcc_lo, v[4:5], v[4:5]
	v_ashrrev_i32_e32 v2, 31, v5
	s_delay_alu instid0(VALU_DEP_1) | instskip(NEXT) | instid1(VALU_DEP_1)
	v_or_b32_e32 v8, 0x80000000, v2
	v_xor_b32_e32 v8, v8, v5
	v_xor_b32_e32 v2, v2, v4
	s_delay_alu instid0(VALU_DEP_1) | instskip(NEXT) | instid1(VALU_DEP_1)
	v_dual_cndmask_b32 v8, -1, v8, vcc_lo :: v_dual_cndmask_b32 v2, -1, v2, vcc_lo
	v_and_b32_e32 v9, v8, v13
	s_delay_alu instid0(VALU_DEP_2) | instskip(NEXT) | instid1(VALU_DEP_1)
	v_and_b32_e32 v8, v2, v12
	v_cmp_eq_u64_e32 vcc_lo, v[8:9], v[14:15]
	s_and_b32 exec_lo, exec_lo, vcc_lo
	s_cbranch_execz .LBB78_129
; %bb.134:                              ;   in Loop: Header=BB78_132 Depth=2
	v_mov_b32_e32 v2, v23
	ds_store_b128 v23, v[2:5] offset:3072
	s_branch .LBB78_129
.LBB78_135:                             ;   in Loop: Header=BB78_132 Depth=2
	s_mov_b32 s93, -1
	s_mov_b32 s92, -1
                                        ; implicit-def: $vgpr45
                                        ; implicit-def: $vgpr44
	s_branch .LBB78_131
.LBB78_136:                             ;   in Loop: Header=BB78_15 Depth=1
	s_or_b32 exec_lo, exec_lo, s29
	s_delay_alu instid0(SALU_CYCLE_1)
	s_and_b32 s29, s55, exec_lo
.LBB78_137:                             ;   in Loop: Header=BB78_15 Depth=1
	s_or_b32 exec_lo, exec_lo, s53
.LBB78_138:                             ;   in Loop: Header=BB78_15 Depth=1
	s_delay_alu instid0(SALU_CYCLE_1)
	s_and_b32 vcc_lo, exec_lo, s44
	s_cbranch_vccz .LBB78_150
; %bb.139:                              ;   in Loop: Header=BB78_15 Depth=1
                                        ; implicit-def: $vgpr10_vgpr11
	s_and_saveexec_b32 s21, s9
	s_cbranch_execz .LBB78_149
; %bb.140:                              ;   in Loop: Header=BB78_15 Depth=1
	v_dual_mov_b32 v44, v20 :: v_dual_mov_b32 v45, v0
	s_mov_b32 s26, 0
                                        ; implicit-def: $sgpr44
	s_branch .LBB78_144
.LBB78_141:                             ;   in Loop: Header=BB78_144 Depth=2
	s_or_b32 exec_lo, exec_lo, s52
	s_wait_dscnt 0x0
	s_barrier_signal -1
	s_barrier_wait -1
	ds_load_b128 v[8:11], v23 offset:3072
	s_wait_dscnt 0x0
	s_barrier_signal -1
	s_barrier_wait -1
	v_cmp_eq_f64_e32 vcc_lo, 0, v[8:9]
	s_cbranch_vccz .LBB78_147
; %bb.142:                              ;   in Loop: Header=BB78_144 Depth=2
	v_dual_add_nc_u32 v45, s34, v45 :: v_dual_add_nc_u32 v44, s40, v44
	s_mov_b32 s52, 0
	s_delay_alu instid0(VALU_DEP_1)
	v_cmp_le_u32_e32 vcc_lo, s75, v45
	s_or_not1_b32 s53, vcc_lo, exec_lo
.LBB78_143:                             ;   in Loop: Header=BB78_144 Depth=2
	s_delay_alu instid0(SALU_CYCLE_1) | instskip(NEXT) | instid1(SALU_CYCLE_1)
	s_and_b32 s53, exec_lo, s53
	s_or_b32 s26, s53, s26
	s_and_not1_b32 s44, s44, exec_lo
	s_and_b32 s52, s52, exec_lo
	s_delay_alu instid0(SALU_CYCLE_1)
	s_or_b32 s44, s44, s52
	s_and_not1_b32 exec_lo, exec_lo, s26
	s_cbranch_execz .LBB78_148
.LBB78_144:                             ;   Parent Loop BB78_15 Depth=1
                                        ; =>  This Inner Loop Header: Depth=2
	s_mov_b32 s52, exec_lo
	s_delay_alu instid0(VALU_DEP_1)
	v_cmpx_gt_u32_e64 s36, v45
	s_cbranch_execz .LBB78_141
; %bb.145:                              ;   in Loop: Header=BB78_144 Depth=2
	global_load_b64 v[4:5], v44, s[30:31] scale_offset
	s_wait_loadcnt 0x0
	v_cmp_o_f64_e32 vcc_lo, v[4:5], v[4:5]
	v_ashrrev_i32_e32 v2, 31, v5
	s_delay_alu instid0(VALU_DEP_1) | instskip(NEXT) | instid1(VALU_DEP_1)
	v_or_b32_e32 v8, 0x80000000, v2
	v_xor_b32_e32 v8, v8, v5
	v_xor_b32_e32 v2, v2, v4
	s_delay_alu instid0(VALU_DEP_1) | instskip(NEXT) | instid1(VALU_DEP_1)
	v_dual_cndmask_b32 v8, -1, v8, vcc_lo :: v_dual_cndmask_b32 v2, -1, v2, vcc_lo
	v_and_b32_e32 v9, v8, v13
	s_delay_alu instid0(VALU_DEP_2) | instskip(NEXT) | instid1(VALU_DEP_1)
	v_and_b32_e32 v8, v2, v12
	v_cmp_eq_u64_e32 vcc_lo, v[8:9], v[14:15]
	s_and_b32 exec_lo, exec_lo, vcc_lo
	s_cbranch_execz .LBB78_141
; %bb.146:                              ;   in Loop: Header=BB78_144 Depth=2
	v_mov_b32_e32 v2, v23
	ds_store_b128 v23, v[2:5] offset:3072
	s_branch .LBB78_141
.LBB78_147:                             ;   in Loop: Header=BB78_144 Depth=2
	s_mov_b32 s53, -1
	s_mov_b32 s52, -1
                                        ; implicit-def: $vgpr45
                                        ; implicit-def: $vgpr44
	s_branch .LBB78_143
.LBB78_148:                             ;   in Loop: Header=BB78_15 Depth=1
	s_or_b32 exec_lo, exec_lo, s26
	s_delay_alu instid0(SALU_CYCLE_1) | instskip(SKIP_1) | instid1(SALU_CYCLE_1)
	s_and_not1_b32 s26, s29, exec_lo
	s_and_b32 s29, s44, exec_lo
	s_or_b32 s29, s26, s29
.LBB78_149:                             ;   in Loop: Header=BB78_15 Depth=1
	s_or_b32 exec_lo, exec_lo, s21
	s_mov_b32 s21, 0
	s_mov_b32 s26, -1
.LBB78_150:                             ;   in Loop: Header=BB78_15 Depth=1
	s_or_not1_b32 s29, s29, exec_lo
.LBB78_151:                             ;   in Loop: Header=BB78_15 Depth=1
	s_or_b32 exec_lo, exec_lo, s27
	s_mov_b32 s44, 0
	s_and_saveexec_b32 s27, s29
	s_cbranch_execz .LBB78_244
; %bb.152:                              ;   in Loop: Header=BB78_15 Depth=1
	v_dual_mov_b32 v44, 1 :: v_dual_mov_b32 v22, 1
	s_xor_b32 s29, s28, -1
	s_mov_b32 s53, 0
	s_and_saveexec_b32 s28, s29
	s_cbranch_execz .LBB78_161
; %bb.153:                              ;   in Loop: Header=BB78_15 Depth=1
	s_mov_b32 s29, exec_lo
	v_cmpx_ge_u32_e64 s18, v43
	s_xor_b32 s29, exec_lo, s29
	s_cbranch_execz .LBB78_158
; %bb.154:                              ;   in Loop: Header=BB78_15 Depth=1
	ds_load_b32 v2, v23 offset:4096
	v_and_b32_e32 v4, s15, v15
	v_and_b32_e32 v5, s14, v14
	s_lshl_b64 s[52:53], 1, s79
	v_or_b32_e32 v13, s13, v13
	v_or_b32_e32 v12, s12, v12
	;; [unrolled: 1-line block ×4, first 2 shown]
	s_wait_dscnt 0x0
	v_cmp_ne_u32_e32 vcc_lo, 0, v2
	s_cbranch_vccnz .LBB78_158
; %bb.155:                              ;   in Loop: Header=BB78_15 Depth=1
	s_and_saveexec_b32 s44, s5
; %bb.156:                              ;   in Loop: Header=BB78_15 Depth=1
	v_mov_b32_e32 v2, s18
	ds_store_b32 v23, v2 offset:4100
; %bb.157:                              ;   in Loop: Header=BB78_15 Depth=1
	s_or_b32 exec_lo, exec_lo, s44
	s_wait_dscnt 0x0
	s_barrier_signal -1
	s_barrier_wait -1
.LBB78_158:                             ;   in Loop: Header=BB78_15 Depth=1
	s_or_saveexec_b32 s29, s29
	v_mov_b32_e32 v22, 8
	s_mov_b32 s44, 0
	s_xor_b32 exec_lo, exec_lo, s29
; %bb.159:                              ;   in Loop: Header=BB78_15 Depth=1
	v_subrev_nc_u32_e32 v43, s18, v43
	v_mov_b32_e32 v22, 0
	s_mov_b32 s44, exec_lo
; %bb.160:                              ;   in Loop: Header=BB78_15 Depth=1
	s_or_b32 exec_lo, exec_lo, s29
	s_delay_alu instid0(VALU_DEP_2)
	v_mov_b32_e32 v44, v43
	s_and_b32 s53, s44, exec_lo
.LBB78_161:                             ;   in Loop: Header=BB78_15 Depth=1
	s_or_b32 exec_lo, exec_lo, s28
	s_mov_b32 s44, -1
                                        ; implicit-def: $sgpr29
                                        ; implicit-def: $sgpr52
	s_and_saveexec_b32 s28, s53
	s_cbranch_execz .LBB78_243
; %bb.162:                              ;   in Loop: Header=BB78_15 Depth=1
	v_cmp_eq_u32_e32 vcc_lo, 1, v44
	s_cmp_eq_u32 s19, 1
                                        ; implicit-def: $sgpr52
	s_cselect_b32 s29, -1, 0
	s_delay_alu instid0(SALU_CYCLE_1) | instskip(NEXT) | instid1(SALU_CYCLE_1)
	s_and_b32 s54, s29, vcc_lo
                                        ; implicit-def: $sgpr29
	s_and_saveexec_b32 s53, s54
	s_cbranch_execz .LBB78_190
; %bb.163:                              ;   in Loop: Header=BB78_15 Depth=1
	ds_load_b32 v2, v23 offset:4096
	s_wait_dscnt 0x0
	s_barrier_signal -1
	s_barrier_wait -1
	v_readfirstlane_b32 s55, v2
	s_and_saveexec_b32 s29, s6
; %bb.164:                              ;   in Loop: Header=BB78_15 Depth=1
	ds_store_b64 v32, v[28:29]
; %bb.165:                              ;   in Loop: Header=BB78_15 Depth=1
	s_or_b32 exec_lo, exec_lo, s29
	v_and_b32_e32 v2, s15, v15
	v_and_b32_e32 v4, s14, v14
	s_lshl_b64 s[92:93], 2, s79
	v_or_b32_e32 v13, s13, v13
	v_or_b32_e32 v12, s12, v12
	;; [unrolled: 1-line block ×4, first 2 shown]
	s_mov_b32 s29, -1
	s_mov_b32 s52, 0
	s_cmp_eq_u32 s55, 0
	s_mov_b32 s44, 0
	s_mov_b32 s92, -1
	s_wait_dscnt 0x0
	s_barrier_signal -1
	s_barrier_wait -1
                                        ; implicit-def: $vgpr10_vgpr11
	s_cbranch_scc1 .LBB78_177
; %bb.166:                              ;   in Loop: Header=BB78_15 Depth=1
	s_add_co_i32 s44, s55, s65
                                        ; implicit-def: $vgpr10_vgpr11
	s_delay_alu instid0(SALU_CYCLE_1) | instskip(NEXT) | instid1(SALU_CYCLE_1)
	s_mul_u64 s[92:93], s[44:45], s[48:49]
	s_mul_i32 s92, s93, s34
	s_delay_alu instid0(SALU_CYCLE_1) | instskip(NEXT) | instid1(SALU_CYCLE_1)
	s_sub_co_i32 s92, s44, s92
	s_sub_co_i32 s93, s92, s34
	s_cmp_ge_u32 s92, s34
	s_cselect_b32 s92, s93, s92
	s_delay_alu instid0(SALU_CYCLE_1)
	s_sub_co_i32 s93, s92, s34
	s_cmp_ge_u32 s92, s34
	s_cselect_b32 s92, s93, s92
	s_mov_b32 s93, exec_lo
	s_sub_co_i32 s94, s44, s92
	s_mov_b32 s92, 0
	s_mov_b32 s44, 0
	v_cmpx_gt_u32_e64 s94, v0
	s_cbranch_execz .LBB78_176
; %bb.167:                              ;   in Loop: Header=BB78_15 Depth=1
	v_dual_mov_b32 v43, v21 :: v_dual_mov_b32 v45, v0
                                        ; implicit-def: $sgpr95
	s_branch .LBB78_171
.LBB78_168:                             ;   in Loop: Header=BB78_171 Depth=2
	s_or_b32 exec_lo, exec_lo, s96
	s_wait_dscnt 0x0
	s_barrier_signal -1
	s_barrier_wait -1
	ds_load_b128 v[8:11], v23 offset:3072
	s_wait_dscnt 0x0
	s_barrier_signal -1
	s_barrier_wait -1
	v_cmp_neq_f64_e32 vcc_lo, 0, v[8:9]
	s_cbranch_vccnz .LBB78_174
; %bb.169:                              ;   in Loop: Header=BB78_171 Depth=2
	v_dual_add_nc_u32 v45, s34, v45 :: v_dual_add_nc_u32 v43, s78, v43
	s_mov_b32 s96, 0
	s_delay_alu instid0(VALU_DEP_1)
	v_cmp_le_u32_e32 vcc_lo, s94, v45
	s_or_not1_b32 s97, vcc_lo, exec_lo
.LBB78_170:                             ;   in Loop: Header=BB78_171 Depth=2
	s_delay_alu instid0(SALU_CYCLE_1) | instskip(NEXT) | instid1(SALU_CYCLE_1)
	s_and_b32 s97, exec_lo, s97
	s_or_b32 s44, s97, s44
	s_and_not1_b32 s95, s95, exec_lo
	s_and_b32 s96, s96, exec_lo
	s_delay_alu instid0(SALU_CYCLE_1)
	s_or_b32 s95, s95, s96
	s_and_not1_b32 exec_lo, exec_lo, s44
	s_cbranch_execz .LBB78_175
.LBB78_171:                             ;   Parent Loop BB78_15 Depth=1
                                        ; =>  This Inner Loop Header: Depth=2
	s_mov_b32 s96, exec_lo
	s_delay_alu instid0(VALU_DEP_1)
	v_cmpx_gt_u32_e64 s55, v45
	s_cbranch_execz .LBB78_168
; %bb.172:                              ;   in Loop: Header=BB78_171 Depth=2
	ds_load_b64 v[4:5], v43
	s_wait_dscnt 0x0
	v_cmp_o_f64_e32 vcc_lo, v[4:5], v[4:5]
	v_ashrrev_i32_e32 v2, 31, v5
	s_delay_alu instid0(VALU_DEP_1) | instskip(NEXT) | instid1(VALU_DEP_1)
	v_or_b32_e32 v8, 0x80000000, v2
	v_xor_b32_e32 v8, v8, v5
	v_xor_b32_e32 v2, v2, v4
	s_delay_alu instid0(VALU_DEP_1) | instskip(NEXT) | instid1(VALU_DEP_1)
	v_dual_cndmask_b32 v8, -1, v8, vcc_lo :: v_dual_cndmask_b32 v2, -1, v2, vcc_lo
	v_and_b32_e32 v9, v8, v13
	s_delay_alu instid0(VALU_DEP_2) | instskip(NEXT) | instid1(VALU_DEP_1)
	v_and_b32_e32 v8, v2, v12
	v_cmp_eq_u64_e32 vcc_lo, v[8:9], v[14:15]
	s_and_b32 exec_lo, exec_lo, vcc_lo
	s_cbranch_execz .LBB78_168
; %bb.173:                              ;   in Loop: Header=BB78_171 Depth=2
	v_mov_b32_e32 v2, v23
	ds_store_b128 v23, v[2:5] offset:3072
	s_branch .LBB78_168
.LBB78_174:                             ;   in Loop: Header=BB78_171 Depth=2
	s_mov_b32 s97, -1
	s_mov_b32 s96, -1
                                        ; implicit-def: $vgpr45
                                        ; implicit-def: $vgpr43
	s_branch .LBB78_170
.LBB78_175:                             ;   in Loop: Header=BB78_15 Depth=1
	s_or_b32 exec_lo, exec_lo, s44
	s_delay_alu instid0(SALU_CYCLE_1)
	s_and_b32 s44, s95, exec_lo
.LBB78_176:                             ;   in Loop: Header=BB78_15 Depth=1
	s_or_b32 exec_lo, exec_lo, s93
.LBB78_177:                             ;   in Loop: Header=BB78_15 Depth=1
	s_delay_alu instid0(SALU_CYCLE_1)
	s_and_b32 vcc_lo, exec_lo, s92
	s_cbranch_vccz .LBB78_189
; %bb.178:                              ;   in Loop: Header=BB78_15 Depth=1
                                        ; implicit-def: $vgpr10_vgpr11
	s_and_saveexec_b32 s29, s9
	s_cbranch_execz .LBB78_188
; %bb.179:                              ;   in Loop: Header=BB78_15 Depth=1
	v_dual_mov_b32 v43, v20 :: v_dual_mov_b32 v45, v0
	s_mov_b32 s52, 0
                                        ; implicit-def: $sgpr55
	s_branch .LBB78_183
.LBB78_180:                             ;   in Loop: Header=BB78_183 Depth=2
	s_or_b32 exec_lo, exec_lo, s92
	s_wait_dscnt 0x0
	s_barrier_signal -1
	s_barrier_wait -1
	ds_load_b128 v[8:11], v23 offset:3072
	s_wait_dscnt 0x0
	s_barrier_signal -1
	s_barrier_wait -1
	v_cmp_eq_f64_e32 vcc_lo, 0, v[8:9]
	s_cbranch_vccz .LBB78_186
; %bb.181:                              ;   in Loop: Header=BB78_183 Depth=2
	v_dual_add_nc_u32 v45, s34, v45 :: v_dual_add_nc_u32 v43, s40, v43
	s_mov_b32 s92, 0
	s_delay_alu instid0(VALU_DEP_1)
	v_cmp_le_u32_e32 vcc_lo, s75, v45
	s_or_not1_b32 s93, vcc_lo, exec_lo
.LBB78_182:                             ;   in Loop: Header=BB78_183 Depth=2
	s_delay_alu instid0(SALU_CYCLE_1) | instskip(NEXT) | instid1(SALU_CYCLE_1)
	s_and_b32 s93, exec_lo, s93
	s_or_b32 s52, s93, s52
	s_and_not1_b32 s55, s55, exec_lo
	s_and_b32 s92, s92, exec_lo
	s_delay_alu instid0(SALU_CYCLE_1)
	s_or_b32 s55, s55, s92
	s_and_not1_b32 exec_lo, exec_lo, s52
	s_cbranch_execz .LBB78_187
.LBB78_183:                             ;   Parent Loop BB78_15 Depth=1
                                        ; =>  This Inner Loop Header: Depth=2
	s_mov_b32 s92, exec_lo
	s_delay_alu instid0(VALU_DEP_1)
	v_cmpx_gt_u32_e64 s36, v45
	s_cbranch_execz .LBB78_180
; %bb.184:                              ;   in Loop: Header=BB78_183 Depth=2
	global_load_b64 v[4:5], v43, s[30:31] scale_offset
	s_wait_loadcnt 0x0
	v_cmp_o_f64_e32 vcc_lo, v[4:5], v[4:5]
	v_ashrrev_i32_e32 v2, 31, v5
	s_delay_alu instid0(VALU_DEP_1) | instskip(NEXT) | instid1(VALU_DEP_1)
	v_or_b32_e32 v8, 0x80000000, v2
	v_xor_b32_e32 v8, v8, v5
	v_xor_b32_e32 v2, v2, v4
	s_delay_alu instid0(VALU_DEP_1) | instskip(NEXT) | instid1(VALU_DEP_1)
	v_dual_cndmask_b32 v8, -1, v8, vcc_lo :: v_dual_cndmask_b32 v2, -1, v2, vcc_lo
	v_and_b32_e32 v9, v8, v13
	s_delay_alu instid0(VALU_DEP_2) | instskip(NEXT) | instid1(VALU_DEP_1)
	v_and_b32_e32 v8, v2, v12
	v_cmp_eq_u64_e32 vcc_lo, v[8:9], v[14:15]
	s_and_b32 exec_lo, exec_lo, vcc_lo
	s_cbranch_execz .LBB78_180
; %bb.185:                              ;   in Loop: Header=BB78_183 Depth=2
	v_mov_b32_e32 v2, v23
	ds_store_b128 v23, v[2:5] offset:3072
	s_branch .LBB78_180
.LBB78_186:                             ;   in Loop: Header=BB78_183 Depth=2
	s_mov_b32 s93, -1
	s_mov_b32 s92, -1
                                        ; implicit-def: $vgpr45
                                        ; implicit-def: $vgpr43
	s_branch .LBB78_182
.LBB78_187:                             ;   in Loop: Header=BB78_15 Depth=1
	s_or_b32 exec_lo, exec_lo, s52
	s_delay_alu instid0(SALU_CYCLE_1) | instskip(SKIP_1) | instid1(SALU_CYCLE_1)
	s_and_not1_b32 s44, s44, exec_lo
	s_and_b32 s52, s55, exec_lo
	s_or_b32 s44, s44, s52
.LBB78_188:                             ;   in Loop: Header=BB78_15 Depth=1
	s_or_b32 exec_lo, exec_lo, s29
	s_mov_b32 s29, 0
	s_mov_b32 s52, -1
.LBB78_189:                             ;   in Loop: Header=BB78_15 Depth=1
	s_or_not1_b32 s44, s44, exec_lo
.LBB78_190:                             ;   in Loop: Header=BB78_15 Depth=1
	s_or_b32 exec_lo, exec_lo, s53
	s_mov_b32 s55, 0
	s_and_saveexec_b32 s53, s44
	s_cbranch_execz .LBB78_242
; %bb.191:                              ;   in Loop: Header=BB78_15 Depth=1
	v_dual_mov_b32 v43, 1 :: v_dual_mov_b32 v22, 1
	s_xor_b32 s54, s54, -1
	s_delay_alu instid0(SALU_CYCLE_1)
	s_and_saveexec_b32 s44, s54
	s_cbranch_execz .LBB78_200
; %bb.192:                              ;   in Loop: Header=BB78_15 Depth=1
	s_mov_b32 s54, exec_lo
	v_cmpx_ge_u32_e64 s19, v44
	s_xor_b32 s54, exec_lo, s54
	s_cbranch_execz .LBB78_197
; %bb.193:                              ;   in Loop: Header=BB78_15 Depth=1
	ds_load_b32 v2, v23 offset:4096
	v_and_b32_e32 v4, s15, v15
	v_and_b32_e32 v5, s14, v14
	s_lshl_b64 s[92:93], 2, s79
	v_or_b32_e32 v13, s13, v13
	v_or_b32_e32 v12, s12, v12
	;; [unrolled: 1-line block ×4, first 2 shown]
	s_wait_dscnt 0x0
	v_cmp_ne_u32_e32 vcc_lo, 0, v2
	s_cbranch_vccnz .LBB78_197
; %bb.194:                              ;   in Loop: Header=BB78_15 Depth=1
	s_and_saveexec_b32 s55, s5
; %bb.195:                              ;   in Loop: Header=BB78_15 Depth=1
	v_mov_b32_e32 v2, s19
	ds_store_b32 v23, v2 offset:4100
; %bb.196:                              ;   in Loop: Header=BB78_15 Depth=1
	s_or_b32 exec_lo, exec_lo, s55
	s_wait_dscnt 0x0
	s_barrier_signal -1
	s_barrier_wait -1
.LBB78_197:                             ;   in Loop: Header=BB78_15 Depth=1
	s_or_saveexec_b32 s54, s54
	v_mov_b32_e32 v22, 8
	s_mov_b32 s55, 0
	s_xor_b32 exec_lo, exec_lo, s54
; %bb.198:                              ;   in Loop: Header=BB78_15 Depth=1
	v_subrev_nc_u32_e32 v44, s19, v44
	v_mov_b32_e32 v22, 0
	s_mov_b32 s55, exec_lo
; %bb.199:                              ;   in Loop: Header=BB78_15 Depth=1
	s_or_b32 exec_lo, exec_lo, s54
	s_delay_alu instid0(VALU_DEP_2)
	v_mov_b32_e32 v43, v44
	s_and_b32 s55, s55, exec_lo
.LBB78_200:                             ;   in Loop: Header=BB78_15 Depth=1
	s_or_b32 exec_lo, exec_lo, s44
	s_mov_b32 s44, -1
                                        ; implicit-def: $sgpr93
                                        ; implicit-def: $sgpr92
	s_and_saveexec_b32 s54, s55
	s_cbranch_execz .LBB78_241
; %bb.201:                              ;   in Loop: Header=BB78_15 Depth=1
	v_cmp_eq_u32_e32 vcc_lo, 1, v43
	s_cmp_eq_u32 s20, 1
	s_mov_b32 s95, -1
	s_cselect_b32 s44, -1, 0
                                        ; implicit-def: $sgpr93
                                        ; implicit-def: $sgpr92
	s_delay_alu instid0(SALU_CYCLE_1) | instskip(NEXT) | instid1(SALU_CYCLE_1)
	s_and_b32 s55, s44, vcc_lo
	s_and_saveexec_b32 s94, s55
	s_cbranch_execz .LBB78_229
; %bb.202:                              ;   in Loop: Header=BB78_15 Depth=1
	ds_load_b32 v2, v23 offset:4096
	s_wait_dscnt 0x0
	s_barrier_signal -1
	s_barrier_wait -1
	v_readfirstlane_b32 s95, v2
	s_and_saveexec_b32 s44, s6
; %bb.203:                              ;   in Loop: Header=BB78_15 Depth=1
	ds_store_b64 v32, v[28:29]
; %bb.204:                              ;   in Loop: Header=BB78_15 Depth=1
	s_or_b32 exec_lo, exec_lo, s44
	v_or_b32_e32 v15, s13, v15
	v_or_b32_e32 v14, s12, v14
	;; [unrolled: 1-line block ×4, first 2 shown]
	s_mov_b32 s92, -1
	s_mov_b32 s93, 0
	s_cmp_eq_u32 s95, 0
	s_mov_b32 s44, 0
	s_mov_b32 s96, -1
	s_wait_dscnt 0x0
	s_barrier_signal -1
	s_barrier_wait -1
                                        ; implicit-def: $vgpr10_vgpr11
	s_cbranch_scc1 .LBB78_216
; %bb.205:                              ;   in Loop: Header=BB78_15 Depth=1
	s_add_co_i32 s44, s95, s65
                                        ; implicit-def: $vgpr10_vgpr11
	s_delay_alu instid0(SALU_CYCLE_1) | instskip(NEXT) | instid1(SALU_CYCLE_1)
	s_mul_u64 s[96:97], s[44:45], s[48:49]
	s_mul_i32 s96, s97, s34
	s_delay_alu instid0(SALU_CYCLE_1) | instskip(NEXT) | instid1(SALU_CYCLE_1)
	s_sub_co_i32 s96, s44, s96
	s_sub_co_i32 s97, s96, s34
	s_cmp_ge_u32 s96, s34
	s_cselect_b32 s96, s97, s96
	s_delay_alu instid0(SALU_CYCLE_1)
	s_sub_co_i32 s97, s96, s34
	s_cmp_ge_u32 s96, s34
	s_cselect_b32 s96, s97, s96
	s_mov_b32 s97, exec_lo
	s_sub_co_i32 s98, s44, s96
	s_mov_b32 s96, 0
	s_mov_b32 s44, 0
	v_cmpx_gt_u32_e64 s98, v0
	s_cbranch_execz .LBB78_215
; %bb.206:                              ;   in Loop: Header=BB78_15 Depth=1
	v_dual_mov_b32 v44, v21 :: v_dual_mov_b32 v45, v0
                                        ; implicit-def: $sgpr99
	s_branch .LBB78_210
.LBB78_207:                             ;   in Loop: Header=BB78_210 Depth=2
	s_or_b32 exec_lo, exec_lo, s100
	s_wait_dscnt 0x0
	s_barrier_signal -1
	s_barrier_wait -1
	ds_load_b128 v[8:11], v23 offset:3072
	s_wait_dscnt 0x0
	s_barrier_signal -1
	s_barrier_wait -1
	v_cmp_neq_f64_e32 vcc_lo, 0, v[8:9]
	s_cbranch_vccnz .LBB78_213
; %bb.208:                              ;   in Loop: Header=BB78_210 Depth=2
	v_dual_add_nc_u32 v45, s34, v45 :: v_dual_add_nc_u32 v44, s78, v44
	s_mov_b32 s100, 0
	s_delay_alu instid0(VALU_DEP_1)
	v_cmp_le_u32_e32 vcc_lo, s98, v45
	s_or_not1_b32 s101, vcc_lo, exec_lo
.LBB78_209:                             ;   in Loop: Header=BB78_210 Depth=2
	s_delay_alu instid0(SALU_CYCLE_1) | instskip(NEXT) | instid1(SALU_CYCLE_1)
	s_and_b32 s101, exec_lo, s101
	s_or_b32 s44, s101, s44
	s_and_not1_b32 s99, s99, exec_lo
	s_and_b32 s100, s100, exec_lo
	s_delay_alu instid0(SALU_CYCLE_1)
	s_or_b32 s99, s99, s100
	s_and_not1_b32 exec_lo, exec_lo, s44
	s_cbranch_execz .LBB78_214
.LBB78_210:                             ;   Parent Loop BB78_15 Depth=1
                                        ; =>  This Inner Loop Header: Depth=2
	s_mov_b32 s100, exec_lo
	s_delay_alu instid0(VALU_DEP_1)
	v_cmpx_gt_u32_e64 s95, v45
	s_cbranch_execz .LBB78_207
; %bb.211:                              ;   in Loop: Header=BB78_210 Depth=2
	ds_load_b64 v[4:5], v44
	s_wait_dscnt 0x0
	v_cmp_o_f64_e32 vcc_lo, v[4:5], v[4:5]
	v_ashrrev_i32_e32 v2, 31, v5
	s_delay_alu instid0(VALU_DEP_1) | instskip(NEXT) | instid1(VALU_DEP_1)
	v_or_b32_e32 v8, 0x80000000, v2
	v_xor_b32_e32 v8, v8, v5
	v_xor_b32_e32 v2, v2, v4
	s_delay_alu instid0(VALU_DEP_1) | instskip(NEXT) | instid1(VALU_DEP_1)
	v_dual_cndmask_b32 v8, -1, v8, vcc_lo :: v_dual_cndmask_b32 v2, -1, v2, vcc_lo
	v_and_b32_e32 v9, v8, v13
	s_delay_alu instid0(VALU_DEP_2) | instskip(NEXT) | instid1(VALU_DEP_1)
	v_and_b32_e32 v8, v2, v12
	v_cmp_eq_u64_e32 vcc_lo, v[8:9], v[14:15]
	s_and_b32 exec_lo, exec_lo, vcc_lo
	s_cbranch_execz .LBB78_207
; %bb.212:                              ;   in Loop: Header=BB78_210 Depth=2
	v_mov_b32_e32 v2, v23
	ds_store_b128 v23, v[2:5] offset:3072
	s_branch .LBB78_207
.LBB78_213:                             ;   in Loop: Header=BB78_210 Depth=2
	s_mov_b32 s101, -1
	s_mov_b32 s100, -1
                                        ; implicit-def: $vgpr45
                                        ; implicit-def: $vgpr44
	s_branch .LBB78_209
.LBB78_214:                             ;   in Loop: Header=BB78_15 Depth=1
	s_or_b32 exec_lo, exec_lo, s44
	s_delay_alu instid0(SALU_CYCLE_1)
	s_and_b32 s44, s99, exec_lo
.LBB78_215:                             ;   in Loop: Header=BB78_15 Depth=1
	s_or_b32 exec_lo, exec_lo, s97
.LBB78_216:                             ;   in Loop: Header=BB78_15 Depth=1
	s_delay_alu instid0(SALU_CYCLE_1)
	s_and_b32 vcc_lo, exec_lo, s96
	s_cbranch_vccz .LBB78_228
; %bb.217:                              ;   in Loop: Header=BB78_15 Depth=1
                                        ; implicit-def: $vgpr10_vgpr11
	s_and_saveexec_b32 s92, s9
	s_cbranch_execz .LBB78_227
; %bb.218:                              ;   in Loop: Header=BB78_15 Depth=1
	v_dual_mov_b32 v44, v20 :: v_dual_mov_b32 v45, v0
	s_mov_b32 s93, 0
                                        ; implicit-def: $sgpr95
	s_branch .LBB78_222
.LBB78_219:                             ;   in Loop: Header=BB78_222 Depth=2
	s_or_b32 exec_lo, exec_lo, s96
	s_wait_dscnt 0x0
	s_barrier_signal -1
	s_barrier_wait -1
	ds_load_b128 v[8:11], v23 offset:3072
	s_wait_dscnt 0x0
	s_barrier_signal -1
	s_barrier_wait -1
	v_cmp_eq_f64_e32 vcc_lo, 0, v[8:9]
	s_cbranch_vccz .LBB78_225
; %bb.220:                              ;   in Loop: Header=BB78_222 Depth=2
	v_dual_add_nc_u32 v45, s34, v45 :: v_dual_add_nc_u32 v44, s40, v44
	s_mov_b32 s96, 0
	s_delay_alu instid0(VALU_DEP_1)
	v_cmp_le_u32_e32 vcc_lo, s75, v45
	s_or_not1_b32 s97, vcc_lo, exec_lo
.LBB78_221:                             ;   in Loop: Header=BB78_222 Depth=2
	s_delay_alu instid0(SALU_CYCLE_1) | instskip(NEXT) | instid1(SALU_CYCLE_1)
	s_and_b32 s97, exec_lo, s97
	s_or_b32 s93, s97, s93
	s_and_not1_b32 s95, s95, exec_lo
	s_and_b32 s96, s96, exec_lo
	s_delay_alu instid0(SALU_CYCLE_1)
	s_or_b32 s95, s95, s96
	s_and_not1_b32 exec_lo, exec_lo, s93
	s_cbranch_execz .LBB78_226
.LBB78_222:                             ;   Parent Loop BB78_15 Depth=1
                                        ; =>  This Inner Loop Header: Depth=2
	s_mov_b32 s96, exec_lo
	s_delay_alu instid0(VALU_DEP_1)
	v_cmpx_gt_u32_e64 s36, v45
	s_cbranch_execz .LBB78_219
; %bb.223:                              ;   in Loop: Header=BB78_222 Depth=2
	global_load_b64 v[4:5], v44, s[30:31] scale_offset
	s_wait_loadcnt 0x0
	v_cmp_o_f64_e32 vcc_lo, v[4:5], v[4:5]
	v_ashrrev_i32_e32 v2, 31, v5
	s_delay_alu instid0(VALU_DEP_1) | instskip(NEXT) | instid1(VALU_DEP_1)
	v_or_b32_e32 v8, 0x80000000, v2
	v_xor_b32_e32 v8, v8, v5
	v_xor_b32_e32 v2, v2, v4
	s_delay_alu instid0(VALU_DEP_1) | instskip(NEXT) | instid1(VALU_DEP_1)
	v_dual_cndmask_b32 v8, -1, v8, vcc_lo :: v_dual_cndmask_b32 v2, -1, v2, vcc_lo
	v_and_b32_e32 v9, v8, v13
	s_delay_alu instid0(VALU_DEP_2) | instskip(NEXT) | instid1(VALU_DEP_1)
	v_and_b32_e32 v8, v2, v12
	v_cmp_eq_u64_e32 vcc_lo, v[8:9], v[14:15]
	s_and_b32 exec_lo, exec_lo, vcc_lo
	s_cbranch_execz .LBB78_219
; %bb.224:                              ;   in Loop: Header=BB78_222 Depth=2
	v_mov_b32_e32 v2, v23
	ds_store_b128 v23, v[2:5] offset:3072
	s_branch .LBB78_219
.LBB78_225:                             ;   in Loop: Header=BB78_222 Depth=2
	s_mov_b32 s97, -1
	s_mov_b32 s96, -1
                                        ; implicit-def: $vgpr45
                                        ; implicit-def: $vgpr44
	s_branch .LBB78_221
.LBB78_226:                             ;   in Loop: Header=BB78_15 Depth=1
	s_or_b32 exec_lo, exec_lo, s93
	s_delay_alu instid0(SALU_CYCLE_1) | instskip(SKIP_1) | instid1(SALU_CYCLE_1)
	s_and_not1_b32 s44, s44, exec_lo
	s_and_b32 s93, s95, exec_lo
	s_or_b32 s44, s44, s93
.LBB78_227:                             ;   in Loop: Header=BB78_15 Depth=1
	s_or_b32 exec_lo, exec_lo, s92
	s_mov_b32 s92, 0
	s_mov_b32 s93, -1
.LBB78_228:                             ;   in Loop: Header=BB78_15 Depth=1
	s_or_not1_b32 s95, s44, exec_lo
.LBB78_229:                             ;   in Loop: Header=BB78_15 Depth=1
	s_or_b32 exec_lo, exec_lo, s94
	s_mov_b32 s94, 0
	s_and_saveexec_b32 s44, s95
	s_cbranch_execz .LBB78_240
; %bb.230:                              ;   in Loop: Header=BB78_15 Depth=1
	v_dual_mov_b32 v22, 1 :: v_dual_mov_b32 v2, 1
	s_xor_b32 s94, s55, -1
	s_delay_alu instid0(SALU_CYCLE_1)
	s_and_saveexec_b32 s55, s94
	s_cbranch_execz .LBB78_239
; %bb.231:                              ;   in Loop: Header=BB78_15 Depth=1
	s_mov_b32 s94, exec_lo
	v_cmpx_ge_u32_e64 s20, v43
	s_xor_b32 s94, exec_lo, s94
	s_cbranch_execz .LBB78_236
; %bb.232:                              ;   in Loop: Header=BB78_15 Depth=1
	ds_load_b32 v2, v23 offset:4096
	v_or_b32_e32 v15, s13, v15
	v_or_b32_e32 v14, s12, v14
	;; [unrolled: 1-line block ×4, first 2 shown]
	s_wait_dscnt 0x0
	v_cmp_ne_u32_e32 vcc_lo, 0, v2
	s_cbranch_vccnz .LBB78_236
; %bb.233:                              ;   in Loop: Header=BB78_15 Depth=1
	s_and_saveexec_b32 s95, s5
; %bb.234:                              ;   in Loop: Header=BB78_15 Depth=1
	v_mov_b32_e32 v2, s20
	ds_store_b32 v23, v2 offset:4100
; %bb.235:                              ;   in Loop: Header=BB78_15 Depth=1
	s_or_b32 exec_lo, exec_lo, s95
	s_wait_dscnt 0x0
	s_barrier_signal -1
	s_barrier_wait -1
.LBB78_236:                             ;   in Loop: Header=BB78_15 Depth=1
	s_and_not1_saveexec_b32 s94, s94
; %bb.237:                              ;   in Loop: Header=BB78_15 Depth=1
	v_subrev_nc_u32_e32 v43, s20, v43
; %bb.238:                              ;   in Loop: Header=BB78_15 Depth=1
	s_or_b32 exec_lo, exec_lo, s94
	s_delay_alu instid0(VALU_DEP_1)
	v_dual_mov_b32 v22, 8 :: v_dual_mov_b32 v2, v43
.LBB78_239:                             ;   in Loop: Header=BB78_15 Depth=1
	s_or_b32 exec_lo, exec_lo, s55
	s_delay_alu instid0(VALU_DEP_1)
	v_mov_b32_e32 v43, v2
	s_mov_b32 s94, exec_lo
.LBB78_240:                             ;   in Loop: Header=BB78_15 Depth=1
	s_or_b32 exec_lo, exec_lo, s44
	s_delay_alu instid0(SALU_CYCLE_1)
	s_or_not1_b32 s44, s94, exec_lo
.LBB78_241:                             ;   in Loop: Header=BB78_15 Depth=1
	s_or_b32 exec_lo, exec_lo, s54
	v_mov_b32_e32 v44, v43
	s_and_not1_b32 s52, s52, exec_lo
	s_and_b32 s54, s93, exec_lo
	s_and_not1_b32 s29, s29, exec_lo
	s_and_b32 s55, s92, exec_lo
	s_or_b32 s52, s52, s54
	s_or_b32 s29, s29, s55
	s_and_b32 s55, s44, exec_lo
.LBB78_242:                             ;   in Loop: Header=BB78_15 Depth=1
	s_or_b32 exec_lo, exec_lo, s53
	s_delay_alu instid0(SALU_CYCLE_1)
	s_or_not1_b32 s44, s55, exec_lo
.LBB78_243:                             ;   in Loop: Header=BB78_15 Depth=1
	s_or_b32 exec_lo, exec_lo, s28
	v_mov_b32_e32 v43, v44
	s_and_not1_b32 s26, s26, exec_lo
	s_and_b32 s28, s52, exec_lo
	s_and_not1_b32 s21, s21, exec_lo
	s_and_b32 s29, s29, exec_lo
	s_or_b32 s26, s26, s28
	s_or_b32 s21, s21, s29
	s_and_b32 s44, s44, exec_lo
.LBB78_244:                             ;   in Loop: Header=BB78_15 Depth=1
	s_or_b32 exec_lo, exec_lo, s27
	s_delay_alu instid0(SALU_CYCLE_1)
	s_or_not1_b32 s27, s44, exec_lo
.LBB78_245:                             ;   in Loop: Header=BB78_15 Depth=1
	s_or_b32 exec_lo, exec_lo, s11
	s_mov_b32 s28, 0
	s_mov_b32 s29, 0
	s_and_saveexec_b32 s11, s27
	s_delay_alu instid0(SALU_CYCLE_1)
	s_xor_b32 s27, exec_lo, s11
; %bb.246:                              ;   in Loop: Header=BB78_15 Depth=1
	v_cmp_ne_u32_e32 vcc_lo, 8, v22
	v_cmp_eq_u32_e64 s11, 8, v22
	s_and_b32 s29, vcc_lo, exec_lo
	s_and_b32 s28, s11, exec_lo
; %bb.247:                              ;   in Loop: Header=BB78_15 Depth=1
	s_or_b32 exec_lo, exec_lo, s27
	s_delay_alu instid0(SALU_CYCLE_1)
	s_and_not1_b32 s11, s23, exec_lo
	s_and_b32 s23, s26, exec_lo
	s_and_not1_b32 s22, s22, exec_lo
	s_and_b32 s21, s21, exec_lo
	s_or_b32 s23, s11, s23
	s_or_b32 s22, s22, s21
	s_and_b32 s11, s29, exec_lo
	s_and_b32 s21, s28, exec_lo
.LBB78_248:                             ;   in Loop: Header=BB78_15 Depth=1
	s_or_b32 exec_lo, exec_lo, s25
.LBB78_249:                             ;   in Loop: Header=BB78_15 Depth=1
	s_delay_alu instid0(SALU_CYCLE_1)
	s_and_b32 vcc_lo, exec_lo, s24
	s_cbranch_vccz .LBB78_263
; %bb.250:                              ;   in Loop: Header=BB78_15 Depth=1
	s_cmp_eq_u32 s20, 1
	s_mov_b32 s23, -1
	s_cselect_b32 s16, -1, 0
                                        ; implicit-def: $sgpr24
	s_delay_alu instid0(SALU_CYCLE_1) | instskip(NEXT) | instid1(SALU_CYCLE_1)
	s_and_b32 s10, s16, s10
                                        ; implicit-def: $sgpr16
	s_and_saveexec_b32 s22, s10
	s_cbranch_execz .LBB78_279
; %bb.251:                              ;   in Loop: Header=BB78_15 Depth=1
	ds_load_b32 v2, v23 offset:4096
	s_wait_dscnt 0x0
	s_barrier_signal -1
	s_barrier_wait -1
	v_readfirstlane_b32 s25, v2
	s_and_saveexec_b32 s16, s6
; %bb.252:                              ;   in Loop: Header=BB78_15 Depth=1
	ds_store_b64 v32, v[28:29]
; %bb.253:                              ;   in Loop: Header=BB78_15 Depth=1
	s_or_b32 exec_lo, exec_lo, s16
	v_or_b32_e32 v27, s13, v27
	v_or_b32_e32 v26, s12, v26
	;; [unrolled: 1-line block ×4, first 2 shown]
	s_mov_b32 s16, -1
	s_mov_b32 s24, 0
	s_cmp_eq_u32 s25, 0
	s_mov_b32 s23, 0
	s_mov_b32 s26, -1
	s_wait_dscnt 0x0
	s_barrier_signal -1
	s_barrier_wait -1
                                        ; implicit-def: $vgpr6_vgpr7
	s_cbranch_scc1 .LBB78_266
; %bb.254:                              ;   in Loop: Header=BB78_15 Depth=1
	s_add_co_i32 s44, s25, s65
                                        ; implicit-def: $vgpr6_vgpr7
	s_delay_alu instid0(SALU_CYCLE_1) | instskip(NEXT) | instid1(SALU_CYCLE_1)
	s_mul_u64 s[26:27], s[44:45], s[48:49]
	s_mul_i32 s23, s27, s34
	s_mov_b32 s27, exec_lo
	s_sub_co_i32 s23, s44, s23
	s_delay_alu instid0(SALU_CYCLE_1) | instskip(SKIP_2) | instid1(SALU_CYCLE_1)
	s_sub_co_i32 s26, s23, s34
	s_cmp_ge_u32 s23, s34
	s_cselect_b32 s23, s26, s23
	s_sub_co_i32 s26, s23, s34
	s_cmp_ge_u32 s23, s34
	s_cselect_b32 s23, s26, s23
	s_mov_b32 s26, 0
	s_sub_co_i32 s28, s44, s23
	s_mov_b32 s23, 0
	v_cmpx_gt_u32_e64 s28, v0
	s_cbranch_execz .LBB78_265
; %bb.255:                              ;   in Loop: Header=BB78_15 Depth=1
	v_dual_mov_b32 v8, v21 :: v_dual_mov_b32 v9, v0
                                        ; implicit-def: $sgpr29
	s_branch .LBB78_259
.LBB78_256:                             ;   in Loop: Header=BB78_259 Depth=2
	s_or_b32 exec_lo, exec_lo, s44
	s_wait_dscnt 0x0
	s_barrier_signal -1
	s_barrier_wait -1
	ds_load_b128 v[4:7], v23 offset:3072
	s_wait_dscnt 0x0
	s_barrier_signal -1
	s_barrier_wait -1
	v_cmp_neq_f64_e32 vcc_lo, 0, v[4:5]
	s_cbranch_vccnz .LBB78_262
; %bb.257:                              ;   in Loop: Header=BB78_259 Depth=2
	v_dual_add_nc_u32 v9, s34, v9 :: v_dual_add_nc_u32 v8, s78, v8
	s_mov_b32 s44, 0
	s_delay_alu instid0(VALU_DEP_1)
	v_cmp_le_u32_e32 vcc_lo, s28, v9
	s_or_not1_b32 s52, vcc_lo, exec_lo
.LBB78_258:                             ;   in Loop: Header=BB78_259 Depth=2
	s_delay_alu instid0(SALU_CYCLE_1) | instskip(NEXT) | instid1(SALU_CYCLE_1)
	s_and_b32 s52, exec_lo, s52
	s_or_b32 s23, s52, s23
	s_and_not1_b32 s29, s29, exec_lo
	s_and_b32 s44, s44, exec_lo
	s_delay_alu instid0(SALU_CYCLE_1)
	s_or_b32 s29, s29, s44
	s_and_not1_b32 exec_lo, exec_lo, s23
	s_cbranch_execz .LBB78_264
.LBB78_259:                             ;   Parent Loop BB78_15 Depth=1
                                        ; =>  This Inner Loop Header: Depth=2
	s_mov_b32 s44, exec_lo
	s_delay_alu instid0(VALU_DEP_1)
	v_cmpx_gt_u32_e64 s25, v9
	s_cbranch_execz .LBB78_256
; %bb.260:                              ;   in Loop: Header=BB78_259 Depth=2
	ds_load_b64 v[4:5], v8
	s_wait_dscnt 0x0
	v_cmp_o_f64_e32 vcc_lo, v[4:5], v[4:5]
	v_ashrrev_i32_e32 v2, 31, v5
	s_delay_alu instid0(VALU_DEP_1) | instskip(NEXT) | instid1(VALU_DEP_1)
	v_or_b32_e32 v6, 0x80000000, v2
	v_xor_b32_e32 v6, v6, v5
	s_delay_alu instid0(VALU_DEP_1) | instskip(NEXT) | instid1(VALU_DEP_1)
	v_dual_cndmask_b32 v6, -1, v6, vcc_lo :: v_dual_bitop2_b32 v2, v2, v4 bitop3:0x14
	v_dual_cndmask_b32 v2, -1, v2, vcc_lo :: v_dual_bitop2_b32 v7, v6, v31 bitop3:0x40
	s_delay_alu instid0(VALU_DEP_1) | instskip(NEXT) | instid1(VALU_DEP_1)
	v_and_b32_e32 v6, v2, v30
	v_cmp_eq_u64_e32 vcc_lo, v[6:7], v[26:27]
	s_and_b32 exec_lo, exec_lo, vcc_lo
	s_cbranch_execz .LBB78_256
; %bb.261:                              ;   in Loop: Header=BB78_259 Depth=2
	v_mov_b32_e32 v2, v23
	ds_store_b128 v23, v[2:5] offset:3072
	s_branch .LBB78_256
.LBB78_262:                             ;   in Loop: Header=BB78_259 Depth=2
	s_mov_b32 s52, -1
	s_mov_b32 s44, -1
                                        ; implicit-def: $vgpr9
                                        ; implicit-def: $vgpr8
	s_branch .LBB78_258
.LBB78_263:                             ;   in Loop: Header=BB78_15 Depth=1
	v_mov_b64_e32 v[26:27], v[14:15]
	v_mov_b64_e32 v[30:31], v[12:13]
	;; [unrolled: 1-line block ×3, first 2 shown]
	s_mov_b32 s24, 0
	s_and_saveexec_b32 s10, s21
	s_cbranch_execnz .LBB78_416
	s_branch .LBB78_417
.LBB78_264:                             ;   in Loop: Header=BB78_15 Depth=1
	s_or_b32 exec_lo, exec_lo, s23
	s_delay_alu instid0(SALU_CYCLE_1)
	s_and_b32 s23, s29, exec_lo
.LBB78_265:                             ;   in Loop: Header=BB78_15 Depth=1
	s_or_b32 exec_lo, exec_lo, s27
.LBB78_266:                             ;   in Loop: Header=BB78_15 Depth=1
	s_delay_alu instid0(SALU_CYCLE_1)
	s_and_b32 vcc_lo, exec_lo, s26
	s_cbranch_vccz .LBB78_278
; %bb.267:                              ;   in Loop: Header=BB78_15 Depth=1
                                        ; implicit-def: $vgpr6_vgpr7
	s_and_saveexec_b32 s16, s9
	s_cbranch_execz .LBB78_277
; %bb.268:                              ;   in Loop: Header=BB78_15 Depth=1
	v_dual_mov_b32 v8, v20 :: v_dual_mov_b32 v9, v0
	s_mov_b32 s25, 0
                                        ; implicit-def: $sgpr24
	s_branch .LBB78_272
.LBB78_269:                             ;   in Loop: Header=BB78_272 Depth=2
	s_or_b32 exec_lo, exec_lo, s26
	s_wait_dscnt 0x0
	s_barrier_signal -1
	s_barrier_wait -1
	ds_load_b128 v[4:7], v23 offset:3072
	s_wait_dscnt 0x0
	s_barrier_signal -1
	s_barrier_wait -1
	v_cmp_neq_f64_e32 vcc_lo, 0, v[4:5]
	s_cbranch_vccnz .LBB78_275
; %bb.270:                              ;   in Loop: Header=BB78_272 Depth=2
	v_dual_add_nc_u32 v9, s34, v9 :: v_dual_add_nc_u32 v8, s40, v8
	s_mov_b32 s26, 0
	s_delay_alu instid0(VALU_DEP_1)
	v_cmp_le_u32_e32 vcc_lo, s75, v9
	s_or_not1_b32 s27, vcc_lo, exec_lo
.LBB78_271:                             ;   in Loop: Header=BB78_272 Depth=2
	s_delay_alu instid0(SALU_CYCLE_1) | instskip(NEXT) | instid1(SALU_CYCLE_1)
	s_and_b32 s27, exec_lo, s27
	s_or_b32 s25, s27, s25
	s_and_not1_b32 s24, s24, exec_lo
	s_and_b32 s26, s26, exec_lo
	s_delay_alu instid0(SALU_CYCLE_1)
	s_or_b32 s24, s24, s26
	s_and_not1_b32 exec_lo, exec_lo, s25
	s_cbranch_execz .LBB78_276
.LBB78_272:                             ;   Parent Loop BB78_15 Depth=1
                                        ; =>  This Inner Loop Header: Depth=2
	s_mov_b32 s26, exec_lo
	s_delay_alu instid0(VALU_DEP_1)
	v_cmpx_gt_u32_e64 s36, v9
	s_cbranch_execz .LBB78_269
; %bb.273:                              ;   in Loop: Header=BB78_272 Depth=2
	global_load_b64 v[4:5], v8, s[30:31] scale_offset
	s_wait_loadcnt 0x0
	v_cmp_o_f64_e32 vcc_lo, v[4:5], v[4:5]
	v_ashrrev_i32_e32 v2, 31, v5
	s_delay_alu instid0(VALU_DEP_1) | instskip(NEXT) | instid1(VALU_DEP_1)
	v_or_b32_e32 v6, 0x80000000, v2
	v_xor_b32_e32 v6, v6, v5
	s_delay_alu instid0(VALU_DEP_1) | instskip(NEXT) | instid1(VALU_DEP_1)
	v_dual_cndmask_b32 v6, -1, v6, vcc_lo :: v_dual_bitop2_b32 v2, v2, v4 bitop3:0x14
	v_dual_cndmask_b32 v2, -1, v2, vcc_lo :: v_dual_bitop2_b32 v7, v6, v31 bitop3:0x40
	s_delay_alu instid0(VALU_DEP_1) | instskip(NEXT) | instid1(VALU_DEP_1)
	v_and_b32_e32 v6, v2, v30
	v_cmp_eq_u64_e32 vcc_lo, v[6:7], v[26:27]
	s_and_b32 exec_lo, exec_lo, vcc_lo
	s_cbranch_execz .LBB78_269
; %bb.274:                              ;   in Loop: Header=BB78_272 Depth=2
	v_mov_b32_e32 v2, v23
	ds_store_b128 v23, v[2:5] offset:3072
	s_branch .LBB78_269
.LBB78_275:                             ;   in Loop: Header=BB78_272 Depth=2
	s_mov_b32 s27, -1
	s_mov_b32 s26, -1
                                        ; implicit-def: $vgpr9
                                        ; implicit-def: $vgpr8
	s_branch .LBB78_271
.LBB78_276:                             ;   in Loop: Header=BB78_15 Depth=1
	s_or_b32 exec_lo, exec_lo, s25
	s_delay_alu instid0(SALU_CYCLE_1) | instskip(SKIP_1) | instid1(SALU_CYCLE_1)
	s_and_not1_b32 s23, s23, exec_lo
	s_and_b32 s24, s24, exec_lo
	s_or_b32 s23, s23, s24
.LBB78_277:                             ;   in Loop: Header=BB78_15 Depth=1
	s_or_b32 exec_lo, exec_lo, s16
	s_mov_b32 s16, 0
	s_mov_b32 s24, -1
.LBB78_278:                             ;   in Loop: Header=BB78_15 Depth=1
	s_or_not1_b32 s23, s23, exec_lo
.LBB78_279:                             ;   in Loop: Header=BB78_15 Depth=1
	s_or_b32 exec_lo, exec_lo, s22
                                        ; implicit-def: $vgpr43
                                        ; implicit-def: $vgpr22
	s_and_saveexec_b32 s22, s23
	s_cbranch_execz .LBB78_415
; %bb.280:                              ;   in Loop: Header=BB78_15 Depth=1
	v_dual_mov_b32 v43, 1 :: v_dual_mov_b32 v22, 1
	s_xor_b32 s23, s10, -1
	s_mov_b32 s26, 0
	s_and_saveexec_b32 s10, s23
	s_cbranch_execz .LBB78_289
; %bb.281:                              ;   in Loop: Header=BB78_15 Depth=1
	s_mov_b32 s23, exec_lo
	v_cmpx_ge_u32_e64 s20, v42
	s_xor_b32 s23, exec_lo, s23
	s_cbranch_execz .LBB78_286
; %bb.282:                              ;   in Loop: Header=BB78_15 Depth=1
	ds_load_b32 v2, v23 offset:4096
	v_or_b32_e32 v27, s13, v27
	v_or_b32_e32 v26, s12, v26
	;; [unrolled: 1-line block ×4, first 2 shown]
	s_wait_dscnt 0x0
	v_cmp_ne_u32_e32 vcc_lo, 0, v2
	s_cbranch_vccnz .LBB78_286
; %bb.283:                              ;   in Loop: Header=BB78_15 Depth=1
	s_and_saveexec_b32 s25, s5
; %bb.284:                              ;   in Loop: Header=BB78_15 Depth=1
	v_mov_b32_e32 v2, s20
	ds_store_b32 v23, v2 offset:4100
; %bb.285:                              ;   in Loop: Header=BB78_15 Depth=1
	s_or_b32 exec_lo, exec_lo, s25
	s_wait_dscnt 0x0
	s_barrier_signal -1
	s_barrier_wait -1
.LBB78_286:                             ;   in Loop: Header=BB78_15 Depth=1
	s_or_saveexec_b32 s23, s23
	v_mov_b32_e32 v22, 5
	s_mov_b32 s25, 0
	s_xor_b32 exec_lo, exec_lo, s23
; %bb.287:                              ;   in Loop: Header=BB78_15 Depth=1
	v_subrev_nc_u32_e32 v42, s20, v42
	v_mov_b32_e32 v22, 0
	s_mov_b32 s25, exec_lo
; %bb.288:                              ;   in Loop: Header=BB78_15 Depth=1
	s_or_b32 exec_lo, exec_lo, s23
	s_delay_alu instid0(VALU_DEP_2)
	v_mov_b32_e32 v43, v42
	s_and_b32 s26, s25, exec_lo
.LBB78_289:                             ;   in Loop: Header=BB78_15 Depth=1
	s_or_b32 exec_lo, exec_lo, s10
	s_mov_b32 s25, -1
                                        ; implicit-def: $sgpr20
                                        ; implicit-def: $sgpr23
	s_and_saveexec_b32 s10, s26
	s_delay_alu instid0(SALU_CYCLE_1)
	s_xor_b32 s10, exec_lo, s10
	s_cbranch_execz .LBB78_412
; %bb.290:                              ;   in Loop: Header=BB78_15 Depth=1
	v_cmp_eq_u32_e32 vcc_lo, 1, v43
	s_cmp_eq_u32 s19, 1
	s_mov_b32 s27, -1
	s_cselect_b32 s20, -1, 0
                                        ; implicit-def: $sgpr23
	s_delay_alu instid0(SALU_CYCLE_1) | instskip(NEXT) | instid1(SALU_CYCLE_1)
	s_and_b32 s26, s20, vcc_lo
                                        ; implicit-def: $sgpr20
	s_and_saveexec_b32 s25, s26
	s_cbranch_execz .LBB78_318
; %bb.291:                              ;   in Loop: Header=BB78_15 Depth=1
	ds_load_b32 v2, v23 offset:4096
	s_wait_dscnt 0x0
	s_barrier_signal -1
	s_barrier_wait -1
	v_readfirstlane_b32 s28, v2
	s_and_saveexec_b32 s20, s6
; %bb.292:                              ;   in Loop: Header=BB78_15 Depth=1
	ds_store_b64 v32, v[28:29]
; %bb.293:                              ;   in Loop: Header=BB78_15 Depth=1
	s_or_b32 exec_lo, exec_lo, s20
	v_and_b32_e32 v2, s15, v27
	v_and_b32_e32 v4, s14, v26
	s_lshl_b64 s[52:53], 2, s79
	v_or_b32_e32 v31, s13, v31
	v_or_b32_e32 v30, s12, v30
	;; [unrolled: 1-line block ×4, first 2 shown]
	s_mov_b32 s20, -1
	s_mov_b32 s23, 0
	s_cmp_eq_u32 s28, 0
	s_mov_b32 s27, 0
	s_mov_b32 s29, -1
	s_wait_dscnt 0x0
	s_barrier_signal -1
	s_barrier_wait -1
                                        ; implicit-def: $vgpr6_vgpr7
	s_cbranch_scc1 .LBB78_305
; %bb.294:                              ;   in Loop: Header=BB78_15 Depth=1
	s_add_co_i32 s44, s28, s65
                                        ; implicit-def: $vgpr6_vgpr7
	s_delay_alu instid0(SALU_CYCLE_1) | instskip(NEXT) | instid1(SALU_CYCLE_1)
	s_mul_u64 s[52:53], s[44:45], s[48:49]
	s_mul_i32 s27, s53, s34
	s_delay_alu instid0(SALU_CYCLE_1) | instskip(NEXT) | instid1(SALU_CYCLE_1)
	s_sub_co_i32 s27, s44, s27
	s_sub_co_i32 s29, s27, s34
	s_cmp_ge_u32 s27, s34
	s_cselect_b32 s27, s29, s27
	s_delay_alu instid0(SALU_CYCLE_1)
	s_sub_co_i32 s29, s27, s34
	s_cmp_ge_u32 s27, s34
	s_cselect_b32 s27, s29, s27
	s_mov_b32 s29, 0
	s_sub_co_i32 s52, s44, s27
	s_mov_b32 s27, 0
	s_mov_b32 s44, exec_lo
	v_cmpx_gt_u32_e64 s52, v0
	s_cbranch_execz .LBB78_304
; %bb.295:                              ;   in Loop: Header=BB78_15 Depth=1
	v_dual_mov_b32 v8, v21 :: v_dual_mov_b32 v9, v0
                                        ; implicit-def: $sgpr53
	s_branch .LBB78_299
.LBB78_296:                             ;   in Loop: Header=BB78_299 Depth=2
	s_or_b32 exec_lo, exec_lo, s54
	s_wait_dscnt 0x0
	s_barrier_signal -1
	s_barrier_wait -1
	ds_load_b128 v[4:7], v23 offset:3072
	s_wait_dscnt 0x0
	s_barrier_signal -1
	s_barrier_wait -1
	v_cmp_neq_f64_e32 vcc_lo, 0, v[4:5]
	s_cbranch_vccnz .LBB78_302
; %bb.297:                              ;   in Loop: Header=BB78_299 Depth=2
	v_dual_add_nc_u32 v9, s34, v9 :: v_dual_add_nc_u32 v8, s78, v8
	s_mov_b32 s54, 0
	s_delay_alu instid0(VALU_DEP_1)
	v_cmp_le_u32_e32 vcc_lo, s52, v9
	s_or_not1_b32 s55, vcc_lo, exec_lo
.LBB78_298:                             ;   in Loop: Header=BB78_299 Depth=2
	s_delay_alu instid0(SALU_CYCLE_1) | instskip(NEXT) | instid1(SALU_CYCLE_1)
	s_and_b32 s55, exec_lo, s55
	s_or_b32 s27, s55, s27
	s_and_not1_b32 s53, s53, exec_lo
	s_and_b32 s54, s54, exec_lo
	s_delay_alu instid0(SALU_CYCLE_1)
	s_or_b32 s53, s53, s54
	s_and_not1_b32 exec_lo, exec_lo, s27
	s_cbranch_execz .LBB78_303
.LBB78_299:                             ;   Parent Loop BB78_15 Depth=1
                                        ; =>  This Inner Loop Header: Depth=2
	s_mov_b32 s54, exec_lo
	s_delay_alu instid0(VALU_DEP_1)
	v_cmpx_gt_u32_e64 s28, v9
	s_cbranch_execz .LBB78_296
; %bb.300:                              ;   in Loop: Header=BB78_299 Depth=2
	ds_load_b64 v[4:5], v8
	s_wait_dscnt 0x0
	v_cmp_o_f64_e32 vcc_lo, v[4:5], v[4:5]
	v_ashrrev_i32_e32 v2, 31, v5
	s_delay_alu instid0(VALU_DEP_1) | instskip(NEXT) | instid1(VALU_DEP_1)
	v_or_b32_e32 v6, 0x80000000, v2
	v_xor_b32_e32 v6, v6, v5
	s_delay_alu instid0(VALU_DEP_1) | instskip(NEXT) | instid1(VALU_DEP_1)
	v_dual_cndmask_b32 v6, -1, v6, vcc_lo :: v_dual_bitop2_b32 v2, v2, v4 bitop3:0x14
	v_dual_cndmask_b32 v2, -1, v2, vcc_lo :: v_dual_bitop2_b32 v7, v6, v31 bitop3:0x40
	s_delay_alu instid0(VALU_DEP_1) | instskip(NEXT) | instid1(VALU_DEP_1)
	v_and_b32_e32 v6, v2, v30
	v_cmp_eq_u64_e32 vcc_lo, v[6:7], v[26:27]
	s_and_b32 exec_lo, exec_lo, vcc_lo
	s_cbranch_execz .LBB78_296
; %bb.301:                              ;   in Loop: Header=BB78_299 Depth=2
	v_mov_b32_e32 v2, v23
	ds_store_b128 v23, v[2:5] offset:3072
	s_branch .LBB78_296
.LBB78_302:                             ;   in Loop: Header=BB78_299 Depth=2
	s_mov_b32 s55, -1
	s_mov_b32 s54, -1
                                        ; implicit-def: $vgpr9
                                        ; implicit-def: $vgpr8
	s_branch .LBB78_298
.LBB78_303:                             ;   in Loop: Header=BB78_15 Depth=1
	s_or_b32 exec_lo, exec_lo, s27
	s_delay_alu instid0(SALU_CYCLE_1)
	s_and_b32 s27, s53, exec_lo
.LBB78_304:                             ;   in Loop: Header=BB78_15 Depth=1
	s_or_b32 exec_lo, exec_lo, s44
.LBB78_305:                             ;   in Loop: Header=BB78_15 Depth=1
	s_delay_alu instid0(SALU_CYCLE_1)
	s_and_b32 vcc_lo, exec_lo, s29
	s_cbranch_vccz .LBB78_317
; %bb.306:                              ;   in Loop: Header=BB78_15 Depth=1
                                        ; implicit-def: $vgpr6_vgpr7
	s_and_saveexec_b32 s20, s9
	s_cbranch_execz .LBB78_316
; %bb.307:                              ;   in Loop: Header=BB78_15 Depth=1
	v_dual_mov_b32 v8, v20 :: v_dual_mov_b32 v9, v0
	s_mov_b32 s23, 0
                                        ; implicit-def: $sgpr28
	s_branch .LBB78_311
.LBB78_308:                             ;   in Loop: Header=BB78_311 Depth=2
	s_or_b32 exec_lo, exec_lo, s29
	s_wait_dscnt 0x0
	s_barrier_signal -1
	s_barrier_wait -1
	ds_load_b128 v[4:7], v23 offset:3072
	s_wait_dscnt 0x0
	s_barrier_signal -1
	s_barrier_wait -1
	v_cmp_eq_f64_e32 vcc_lo, 0, v[4:5]
	s_cbranch_vccz .LBB78_314
; %bb.309:                              ;   in Loop: Header=BB78_311 Depth=2
	v_dual_add_nc_u32 v9, s34, v9 :: v_dual_add_nc_u32 v8, s40, v8
	s_mov_b32 s29, 0
	s_delay_alu instid0(VALU_DEP_1)
	v_cmp_le_u32_e32 vcc_lo, s75, v9
	s_or_not1_b32 s44, vcc_lo, exec_lo
.LBB78_310:                             ;   in Loop: Header=BB78_311 Depth=2
	s_delay_alu instid0(SALU_CYCLE_1) | instskip(NEXT) | instid1(SALU_CYCLE_1)
	s_and_b32 s44, exec_lo, s44
	s_or_b32 s23, s44, s23
	s_and_not1_b32 s28, s28, exec_lo
	s_and_b32 s29, s29, exec_lo
	s_delay_alu instid0(SALU_CYCLE_1)
	s_or_b32 s28, s28, s29
	s_and_not1_b32 exec_lo, exec_lo, s23
	s_cbranch_execz .LBB78_315
.LBB78_311:                             ;   Parent Loop BB78_15 Depth=1
                                        ; =>  This Inner Loop Header: Depth=2
	s_mov_b32 s29, exec_lo
	s_delay_alu instid0(VALU_DEP_1)
	v_cmpx_gt_u32_e64 s36, v9
	s_cbranch_execz .LBB78_308
; %bb.312:                              ;   in Loop: Header=BB78_311 Depth=2
	global_load_b64 v[4:5], v8, s[30:31] scale_offset
	s_wait_loadcnt 0x0
	v_cmp_o_f64_e32 vcc_lo, v[4:5], v[4:5]
	v_ashrrev_i32_e32 v2, 31, v5
	s_delay_alu instid0(VALU_DEP_1) | instskip(NEXT) | instid1(VALU_DEP_1)
	v_or_b32_e32 v6, 0x80000000, v2
	v_xor_b32_e32 v6, v6, v5
	s_delay_alu instid0(VALU_DEP_1) | instskip(NEXT) | instid1(VALU_DEP_1)
	v_dual_cndmask_b32 v6, -1, v6, vcc_lo :: v_dual_bitop2_b32 v2, v2, v4 bitop3:0x14
	v_dual_cndmask_b32 v2, -1, v2, vcc_lo :: v_dual_bitop2_b32 v7, v6, v31 bitop3:0x40
	s_delay_alu instid0(VALU_DEP_1) | instskip(NEXT) | instid1(VALU_DEP_1)
	v_and_b32_e32 v6, v2, v30
	v_cmp_eq_u64_e32 vcc_lo, v[6:7], v[26:27]
	s_and_b32 exec_lo, exec_lo, vcc_lo
	s_cbranch_execz .LBB78_308
; %bb.313:                              ;   in Loop: Header=BB78_311 Depth=2
	v_mov_b32_e32 v2, v23
	ds_store_b128 v23, v[2:5] offset:3072
	s_branch .LBB78_308
.LBB78_314:                             ;   in Loop: Header=BB78_311 Depth=2
	s_mov_b32 s44, -1
	s_mov_b32 s29, -1
                                        ; implicit-def: $vgpr9
                                        ; implicit-def: $vgpr8
	s_branch .LBB78_310
.LBB78_315:                             ;   in Loop: Header=BB78_15 Depth=1
	s_or_b32 exec_lo, exec_lo, s23
	s_delay_alu instid0(SALU_CYCLE_1) | instskip(SKIP_1) | instid1(SALU_CYCLE_1)
	s_and_not1_b32 s23, s27, exec_lo
	s_and_b32 s27, s28, exec_lo
	s_or_b32 s27, s23, s27
.LBB78_316:                             ;   in Loop: Header=BB78_15 Depth=1
	s_or_b32 exec_lo, exec_lo, s20
	s_mov_b32 s20, 0
	s_mov_b32 s23, -1
.LBB78_317:                             ;   in Loop: Header=BB78_15 Depth=1
	s_or_not1_b32 s27, s27, exec_lo
.LBB78_318:                             ;   in Loop: Header=BB78_15 Depth=1
	s_or_b32 exec_lo, exec_lo, s25
	s_mov_b32 s28, 0
	s_and_saveexec_b32 s25, s27
	s_cbranch_execz .LBB78_411
; %bb.319:                              ;   in Loop: Header=BB78_15 Depth=1
	v_dual_mov_b32 v8, 1 :: v_dual_mov_b32 v22, 1
	s_xor_b32 s27, s26, -1
	s_mov_b32 s29, 0
	s_and_saveexec_b32 s26, s27
	s_cbranch_execz .LBB78_328
; %bb.320:                              ;   in Loop: Header=BB78_15 Depth=1
	s_mov_b32 s27, exec_lo
	v_cmpx_ge_u32_e64 s19, v43
	s_xor_b32 s27, exec_lo, s27
	s_cbranch_execz .LBB78_325
; %bb.321:                              ;   in Loop: Header=BB78_15 Depth=1
	ds_load_b32 v2, v23 offset:4096
	v_and_b32_e32 v4, s15, v27
	v_and_b32_e32 v5, s14, v26
	s_lshl_b64 s[28:29], 2, s79
	v_or_b32_e32 v31, s13, v31
	v_or_b32_e32 v30, s12, v30
	;; [unrolled: 1-line block ×4, first 2 shown]
	s_wait_dscnt 0x0
	v_cmp_ne_u32_e32 vcc_lo, 0, v2
	s_cbranch_vccnz .LBB78_325
; %bb.322:                              ;   in Loop: Header=BB78_15 Depth=1
	s_and_saveexec_b32 s28, s5
; %bb.323:                              ;   in Loop: Header=BB78_15 Depth=1
	v_mov_b32_e32 v2, s19
	ds_store_b32 v23, v2 offset:4100
; %bb.324:                              ;   in Loop: Header=BB78_15 Depth=1
	s_or_b32 exec_lo, exec_lo, s28
	s_wait_dscnt 0x0
	s_barrier_signal -1
	s_barrier_wait -1
.LBB78_325:                             ;   in Loop: Header=BB78_15 Depth=1
	s_or_saveexec_b32 s27, s27
	v_mov_b32_e32 v22, 5
	s_mov_b32 s28, 0
	s_xor_b32 exec_lo, exec_lo, s27
; %bb.326:                              ;   in Loop: Header=BB78_15 Depth=1
	v_subrev_nc_u32_e32 v43, s19, v43
	v_mov_b32_e32 v22, 0
	s_mov_b32 s28, exec_lo
; %bb.327:                              ;   in Loop: Header=BB78_15 Depth=1
	s_or_b32 exec_lo, exec_lo, s27
	s_delay_alu instid0(VALU_DEP_2)
	v_mov_b32_e32 v8, v43
	s_and_b32 s29, s28, exec_lo
.LBB78_328:                             ;   in Loop: Header=BB78_15 Depth=1
	s_or_b32 exec_lo, exec_lo, s26
	s_mov_b32 s28, -1
                                        ; implicit-def: $sgpr26
                                        ; implicit-def: $sgpr27
	s_and_saveexec_b32 s19, s29
	s_cbranch_execz .LBB78_410
; %bb.329:                              ;   in Loop: Header=BB78_15 Depth=1
	v_cmp_eq_u32_e32 vcc_lo, 1, v8
	s_cmp_eq_u32 s18, 1
	s_mov_b32 s44, -1
	s_cselect_b32 s26, -1, 0
                                        ; implicit-def: $sgpr27
	s_delay_alu instid0(SALU_CYCLE_1) | instskip(NEXT) | instid1(SALU_CYCLE_1)
	s_and_b32 s29, s26, vcc_lo
                                        ; implicit-def: $sgpr26
	s_and_saveexec_b32 s28, s29
	s_cbranch_execz .LBB78_357
; %bb.330:                              ;   in Loop: Header=BB78_15 Depth=1
	ds_load_b32 v2, v23 offset:4096
	s_wait_dscnt 0x0
	s_barrier_signal -1
	s_barrier_wait -1
	v_readfirstlane_b32 s52, v2
	s_and_saveexec_b32 s26, s6
; %bb.331:                              ;   in Loop: Header=BB78_15 Depth=1
	ds_store_b64 v32, v[28:29]
; %bb.332:                              ;   in Loop: Header=BB78_15 Depth=1
	s_or_b32 exec_lo, exec_lo, s26
	v_and_b32_e32 v2, s15, v27
	v_and_b32_e32 v4, s14, v26
	s_lshl_b64 s[26:27], 1, s79
	v_or_b32_e32 v31, s13, v31
	v_or_b32_e32 v30, s12, v30
	;; [unrolled: 1-line block ×4, first 2 shown]
	s_mov_b32 s26, -1
	s_mov_b32 s27, 0
	s_cmp_eq_u32 s52, 0
	s_mov_b32 s44, 0
	s_mov_b32 s53, -1
	s_wait_dscnt 0x0
	s_barrier_signal -1
	s_barrier_wait -1
                                        ; implicit-def: $vgpr6_vgpr7
	s_cbranch_scc1 .LBB78_344
; %bb.333:                              ;   in Loop: Header=BB78_15 Depth=1
	s_add_co_i32 s44, s52, s65
                                        ; implicit-def: $vgpr6_vgpr7
	s_delay_alu instid0(SALU_CYCLE_1) | instskip(NEXT) | instid1(SALU_CYCLE_1)
	s_mul_u64 s[54:55], s[44:45], s[48:49]
	s_mul_i32 s53, s55, s34
	s_delay_alu instid0(SALU_CYCLE_1) | instskip(NEXT) | instid1(SALU_CYCLE_1)
	s_sub_co_i32 s53, s44, s53
	s_sub_co_i32 s54, s53, s34
	s_cmp_ge_u32 s53, s34
	s_cselect_b32 s53, s54, s53
	s_delay_alu instid0(SALU_CYCLE_1)
	s_sub_co_i32 s54, s53, s34
	s_cmp_ge_u32 s53, s34
	s_cselect_b32 s53, s54, s53
	s_mov_b32 s54, exec_lo
	s_sub_co_i32 s55, s44, s53
	s_mov_b32 s53, 0
	s_mov_b32 s44, 0
	v_cmpx_gt_u32_e64 s55, v0
	s_cbranch_execz .LBB78_343
; %bb.334:                              ;   in Loop: Header=BB78_15 Depth=1
	v_dual_mov_b32 v9, v21 :: v_dual_mov_b32 v10, v0
                                        ; implicit-def: $sgpr92
	s_branch .LBB78_338
.LBB78_335:                             ;   in Loop: Header=BB78_338 Depth=2
	s_or_b32 exec_lo, exec_lo, s93
	s_wait_dscnt 0x0
	s_barrier_signal -1
	s_barrier_wait -1
	ds_load_b128 v[4:7], v23 offset:3072
	s_wait_dscnt 0x0
	s_barrier_signal -1
	s_barrier_wait -1
	v_cmp_neq_f64_e32 vcc_lo, 0, v[4:5]
	s_cbranch_vccnz .LBB78_341
; %bb.336:                              ;   in Loop: Header=BB78_338 Depth=2
	v_dual_add_nc_u32 v10, s34, v10 :: v_dual_add_nc_u32 v9, s78, v9
	s_mov_b32 s93, 0
	s_delay_alu instid0(VALU_DEP_1)
	v_cmp_le_u32_e32 vcc_lo, s55, v10
	s_or_not1_b32 s94, vcc_lo, exec_lo
.LBB78_337:                             ;   in Loop: Header=BB78_338 Depth=2
	s_delay_alu instid0(SALU_CYCLE_1) | instskip(NEXT) | instid1(SALU_CYCLE_1)
	s_and_b32 s94, exec_lo, s94
	s_or_b32 s44, s94, s44
	s_and_not1_b32 s92, s92, exec_lo
	s_and_b32 s93, s93, exec_lo
	s_delay_alu instid0(SALU_CYCLE_1)
	s_or_b32 s92, s92, s93
	s_and_not1_b32 exec_lo, exec_lo, s44
	s_cbranch_execz .LBB78_342
.LBB78_338:                             ;   Parent Loop BB78_15 Depth=1
                                        ; =>  This Inner Loop Header: Depth=2
	s_mov_b32 s93, exec_lo
	s_delay_alu instid0(VALU_DEP_1)
	v_cmpx_gt_u32_e64 s52, v10
	s_cbranch_execz .LBB78_335
; %bb.339:                              ;   in Loop: Header=BB78_338 Depth=2
	ds_load_b64 v[4:5], v9
	s_wait_dscnt 0x0
	v_cmp_o_f64_e32 vcc_lo, v[4:5], v[4:5]
	v_ashrrev_i32_e32 v2, 31, v5
	s_delay_alu instid0(VALU_DEP_1) | instskip(NEXT) | instid1(VALU_DEP_1)
	v_or_b32_e32 v6, 0x80000000, v2
	v_xor_b32_e32 v6, v6, v5
	s_delay_alu instid0(VALU_DEP_1) | instskip(NEXT) | instid1(VALU_DEP_1)
	v_dual_cndmask_b32 v6, -1, v6, vcc_lo :: v_dual_bitop2_b32 v2, v2, v4 bitop3:0x14
	v_dual_cndmask_b32 v2, -1, v2, vcc_lo :: v_dual_bitop2_b32 v7, v6, v31 bitop3:0x40
	s_delay_alu instid0(VALU_DEP_1) | instskip(NEXT) | instid1(VALU_DEP_1)
	v_and_b32_e32 v6, v2, v30
	v_cmp_eq_u64_e32 vcc_lo, v[6:7], v[26:27]
	s_and_b32 exec_lo, exec_lo, vcc_lo
	s_cbranch_execz .LBB78_335
; %bb.340:                              ;   in Loop: Header=BB78_338 Depth=2
	v_mov_b32_e32 v2, v23
	ds_store_b128 v23, v[2:5] offset:3072
	s_branch .LBB78_335
.LBB78_341:                             ;   in Loop: Header=BB78_338 Depth=2
	s_mov_b32 s94, -1
	s_mov_b32 s93, -1
                                        ; implicit-def: $vgpr10
                                        ; implicit-def: $vgpr9
	s_branch .LBB78_337
.LBB78_342:                             ;   in Loop: Header=BB78_15 Depth=1
	s_or_b32 exec_lo, exec_lo, s44
	s_delay_alu instid0(SALU_CYCLE_1)
	s_and_b32 s44, s92, exec_lo
.LBB78_343:                             ;   in Loop: Header=BB78_15 Depth=1
	s_or_b32 exec_lo, exec_lo, s54
.LBB78_344:                             ;   in Loop: Header=BB78_15 Depth=1
	s_delay_alu instid0(SALU_CYCLE_1)
	s_and_b32 vcc_lo, exec_lo, s53
	s_cbranch_vccz .LBB78_356
; %bb.345:                              ;   in Loop: Header=BB78_15 Depth=1
                                        ; implicit-def: $vgpr6_vgpr7
	s_and_saveexec_b32 s26, s9
	s_cbranch_execz .LBB78_355
; %bb.346:                              ;   in Loop: Header=BB78_15 Depth=1
	v_dual_mov_b32 v9, v20 :: v_dual_mov_b32 v10, v0
	s_mov_b32 s27, 0
                                        ; implicit-def: $sgpr52
	s_branch .LBB78_350
.LBB78_347:                             ;   in Loop: Header=BB78_350 Depth=2
	s_or_b32 exec_lo, exec_lo, s53
	s_wait_dscnt 0x0
	s_barrier_signal -1
	s_barrier_wait -1
	ds_load_b128 v[4:7], v23 offset:3072
	s_wait_dscnt 0x0
	s_barrier_signal -1
	s_barrier_wait -1
	v_cmp_eq_f64_e32 vcc_lo, 0, v[4:5]
	s_cbranch_vccz .LBB78_353
; %bb.348:                              ;   in Loop: Header=BB78_350 Depth=2
	v_dual_add_nc_u32 v10, s34, v10 :: v_dual_add_nc_u32 v9, s40, v9
	s_mov_b32 s53, 0
	s_delay_alu instid0(VALU_DEP_1)
	v_cmp_le_u32_e32 vcc_lo, s75, v10
	s_or_not1_b32 s54, vcc_lo, exec_lo
.LBB78_349:                             ;   in Loop: Header=BB78_350 Depth=2
	s_delay_alu instid0(SALU_CYCLE_1) | instskip(NEXT) | instid1(SALU_CYCLE_1)
	s_and_b32 s54, exec_lo, s54
	s_or_b32 s27, s54, s27
	s_and_not1_b32 s52, s52, exec_lo
	s_and_b32 s53, s53, exec_lo
	s_delay_alu instid0(SALU_CYCLE_1)
	s_or_b32 s52, s52, s53
	s_and_not1_b32 exec_lo, exec_lo, s27
	s_cbranch_execz .LBB78_354
.LBB78_350:                             ;   Parent Loop BB78_15 Depth=1
                                        ; =>  This Inner Loop Header: Depth=2
	s_mov_b32 s53, exec_lo
	s_delay_alu instid0(VALU_DEP_1)
	v_cmpx_gt_u32_e64 s36, v10
	s_cbranch_execz .LBB78_347
; %bb.351:                              ;   in Loop: Header=BB78_350 Depth=2
	global_load_b64 v[4:5], v9, s[30:31] scale_offset
	s_wait_loadcnt 0x0
	v_cmp_o_f64_e32 vcc_lo, v[4:5], v[4:5]
	v_ashrrev_i32_e32 v2, 31, v5
	s_delay_alu instid0(VALU_DEP_1) | instskip(NEXT) | instid1(VALU_DEP_1)
	v_or_b32_e32 v6, 0x80000000, v2
	v_xor_b32_e32 v6, v6, v5
	s_delay_alu instid0(VALU_DEP_1) | instskip(NEXT) | instid1(VALU_DEP_1)
	v_dual_cndmask_b32 v6, -1, v6, vcc_lo :: v_dual_bitop2_b32 v2, v2, v4 bitop3:0x14
	v_dual_cndmask_b32 v2, -1, v2, vcc_lo :: v_dual_bitop2_b32 v7, v6, v31 bitop3:0x40
	s_delay_alu instid0(VALU_DEP_1) | instskip(NEXT) | instid1(VALU_DEP_1)
	v_and_b32_e32 v6, v2, v30
	v_cmp_eq_u64_e32 vcc_lo, v[6:7], v[26:27]
	s_and_b32 exec_lo, exec_lo, vcc_lo
	s_cbranch_execz .LBB78_347
; %bb.352:                              ;   in Loop: Header=BB78_350 Depth=2
	v_mov_b32_e32 v2, v23
	ds_store_b128 v23, v[2:5] offset:3072
	s_branch .LBB78_347
.LBB78_353:                             ;   in Loop: Header=BB78_350 Depth=2
	s_mov_b32 s54, -1
	s_mov_b32 s53, -1
                                        ; implicit-def: $vgpr10
                                        ; implicit-def: $vgpr9
	s_branch .LBB78_349
.LBB78_354:                             ;   in Loop: Header=BB78_15 Depth=1
	s_or_b32 exec_lo, exec_lo, s27
	s_delay_alu instid0(SALU_CYCLE_1) | instskip(SKIP_1) | instid1(SALU_CYCLE_1)
	s_and_not1_b32 s27, s44, exec_lo
	s_and_b32 s44, s52, exec_lo
	s_or_b32 s44, s27, s44
.LBB78_355:                             ;   in Loop: Header=BB78_15 Depth=1
	s_or_b32 exec_lo, exec_lo, s26
	s_mov_b32 s26, 0
	s_mov_b32 s27, -1
.LBB78_356:                             ;   in Loop: Header=BB78_15 Depth=1
	s_or_not1_b32 s44, s44, exec_lo
.LBB78_357:                             ;   in Loop: Header=BB78_15 Depth=1
	s_or_b32 exec_lo, exec_lo, s28
	s_mov_b32 s52, 0
	s_and_saveexec_b32 s28, s44
	s_cbranch_execz .LBB78_409
; %bb.358:                              ;   in Loop: Header=BB78_15 Depth=1
	v_dual_mov_b32 v9, 1 :: v_dual_mov_b32 v22, 1
	s_xor_b32 s52, s29, -1
	s_mov_b32 s44, 0
	s_and_saveexec_b32 s29, s52
	s_cbranch_execz .LBB78_367
; %bb.359:                              ;   in Loop: Header=BB78_15 Depth=1
	s_mov_b32 s44, exec_lo
	v_cmpx_ge_u32_e64 s18, v8
	s_xor_b32 s44, exec_lo, s44
	s_cbranch_execz .LBB78_364
; %bb.360:                              ;   in Loop: Header=BB78_15 Depth=1
	ds_load_b32 v2, v23 offset:4096
	v_and_b32_e32 v4, s15, v27
	v_and_b32_e32 v5, s14, v26
	s_lshl_b64 s[52:53], 1, s79
	v_or_b32_e32 v31, s13, v31
	v_or_b32_e32 v30, s12, v30
	;; [unrolled: 1-line block ×4, first 2 shown]
	s_wait_dscnt 0x0
	v_cmp_ne_u32_e32 vcc_lo, 0, v2
	s_cbranch_vccnz .LBB78_364
; %bb.361:                              ;   in Loop: Header=BB78_15 Depth=1
	s_and_saveexec_b32 s52, s5
; %bb.362:                              ;   in Loop: Header=BB78_15 Depth=1
	v_mov_b32_e32 v2, s18
	ds_store_b32 v23, v2 offset:4100
; %bb.363:                              ;   in Loop: Header=BB78_15 Depth=1
	s_or_b32 exec_lo, exec_lo, s52
	s_wait_dscnt 0x0
	s_barrier_signal -1
	s_barrier_wait -1
.LBB78_364:                             ;   in Loop: Header=BB78_15 Depth=1
	s_or_saveexec_b32 s44, s44
	v_mov_b32_e32 v22, 5
	s_mov_b32 s52, 0
	s_xor_b32 exec_lo, exec_lo, s44
; %bb.365:                              ;   in Loop: Header=BB78_15 Depth=1
	v_subrev_nc_u32_e32 v8, s18, v8
	v_mov_b32_e32 v22, 0
	s_mov_b32 s52, exec_lo
; %bb.366:                              ;   in Loop: Header=BB78_15 Depth=1
	s_or_b32 exec_lo, exec_lo, s44
	s_delay_alu instid0(VALU_DEP_2)
	v_mov_b32_e32 v9, v8
	s_and_b32 s44, s52, exec_lo
.LBB78_367:                             ;   in Loop: Header=BB78_15 Depth=1
	s_or_b32 exec_lo, exec_lo, s29
	s_mov_b32 s29, -1
                                        ; implicit-def: $sgpr53
                                        ; implicit-def: $sgpr52
	s_and_saveexec_b32 s18, s44
	s_cbranch_execz .LBB78_408
; %bb.368:                              ;   in Loop: Header=BB78_15 Depth=1
	v_cmp_eq_u32_e32 vcc_lo, 1, v9
	s_cmp_eq_u32 s17, 1
	s_mov_b32 s55, -1
	s_cselect_b32 s29, -1, 0
                                        ; implicit-def: $sgpr53
                                        ; implicit-def: $sgpr52
	s_delay_alu instid0(SALU_CYCLE_1) | instskip(NEXT) | instid1(SALU_CYCLE_1)
	s_and_b32 s29, s29, vcc_lo
	s_and_saveexec_b32 s54, s29
	s_cbranch_execz .LBB78_396
; %bb.369:                              ;   in Loop: Header=BB78_15 Depth=1
	ds_load_b32 v2, v23 offset:4096
	s_wait_dscnt 0x0
	s_barrier_signal -1
	s_barrier_wait -1
	v_readfirstlane_b32 s55, v2
	s_and_saveexec_b32 s44, s6
; %bb.370:                              ;   in Loop: Header=BB78_15 Depth=1
	ds_store_b64 v32, v[28:29]
; %bb.371:                              ;   in Loop: Header=BB78_15 Depth=1
	s_or_b32 exec_lo, exec_lo, s44
	v_and_b32_e32 v27, s15, v27
	v_and_b32_e32 v26, s14, v26
	v_or_b32_e32 v31, s13, v31
	v_or_b32_e32 v30, s12, v30
	s_mov_b32 s52, -1
	s_mov_b32 s53, 0
	s_cmp_eq_u32 s55, 0
	s_mov_b32 s44, 0
	s_mov_b32 s92, -1
	s_wait_dscnt 0x0
	s_barrier_signal -1
	s_barrier_wait -1
                                        ; implicit-def: $vgpr6_vgpr7
	s_cbranch_scc1 .LBB78_383
; %bb.372:                              ;   in Loop: Header=BB78_15 Depth=1
	s_add_co_i32 s44, s55, s65
                                        ; implicit-def: $vgpr6_vgpr7
	s_delay_alu instid0(SALU_CYCLE_1) | instskip(NEXT) | instid1(SALU_CYCLE_1)
	s_mul_u64 s[92:93], s[44:45], s[48:49]
	s_mul_i32 s92, s93, s34
	s_delay_alu instid0(SALU_CYCLE_1) | instskip(NEXT) | instid1(SALU_CYCLE_1)
	s_sub_co_i32 s92, s44, s92
	s_sub_co_i32 s93, s92, s34
	s_cmp_ge_u32 s92, s34
	s_cselect_b32 s92, s93, s92
	s_delay_alu instid0(SALU_CYCLE_1)
	s_sub_co_i32 s93, s92, s34
	s_cmp_ge_u32 s92, s34
	s_cselect_b32 s92, s93, s92
	s_mov_b32 s93, exec_lo
	s_sub_co_i32 s94, s44, s92
	s_mov_b32 s92, 0
	s_mov_b32 s44, 0
	v_cmpx_gt_u32_e64 s94, v0
	s_cbranch_execz .LBB78_382
; %bb.373:                              ;   in Loop: Header=BB78_15 Depth=1
	v_dual_mov_b32 v8, v21 :: v_dual_mov_b32 v10, v0
                                        ; implicit-def: $sgpr95
	s_branch .LBB78_377
.LBB78_374:                             ;   in Loop: Header=BB78_377 Depth=2
	s_or_b32 exec_lo, exec_lo, s96
	s_wait_dscnt 0x0
	s_barrier_signal -1
	s_barrier_wait -1
	ds_load_b128 v[4:7], v23 offset:3072
	s_wait_dscnt 0x0
	s_barrier_signal -1
	s_barrier_wait -1
	v_cmp_neq_f64_e32 vcc_lo, 0, v[4:5]
	s_cbranch_vccnz .LBB78_380
; %bb.375:                              ;   in Loop: Header=BB78_377 Depth=2
	v_dual_add_nc_u32 v10, s34, v10 :: v_dual_add_nc_u32 v8, s78, v8
	s_mov_b32 s96, 0
	s_delay_alu instid0(VALU_DEP_1)
	v_cmp_le_u32_e32 vcc_lo, s94, v10
	s_or_not1_b32 s97, vcc_lo, exec_lo
.LBB78_376:                             ;   in Loop: Header=BB78_377 Depth=2
	s_delay_alu instid0(SALU_CYCLE_1) | instskip(NEXT) | instid1(SALU_CYCLE_1)
	s_and_b32 s97, exec_lo, s97
	s_or_b32 s44, s97, s44
	s_and_not1_b32 s95, s95, exec_lo
	s_and_b32 s96, s96, exec_lo
	s_delay_alu instid0(SALU_CYCLE_1)
	s_or_b32 s95, s95, s96
	s_and_not1_b32 exec_lo, exec_lo, s44
	s_cbranch_execz .LBB78_381
.LBB78_377:                             ;   Parent Loop BB78_15 Depth=1
                                        ; =>  This Inner Loop Header: Depth=2
	s_mov_b32 s96, exec_lo
	s_delay_alu instid0(VALU_DEP_1)
	v_cmpx_gt_u32_e64 s55, v10
	s_cbranch_execz .LBB78_374
; %bb.378:                              ;   in Loop: Header=BB78_377 Depth=2
	ds_load_b64 v[4:5], v8
	s_wait_dscnt 0x0
	v_cmp_o_f64_e32 vcc_lo, v[4:5], v[4:5]
	v_ashrrev_i32_e32 v2, 31, v5
	s_delay_alu instid0(VALU_DEP_1) | instskip(NEXT) | instid1(VALU_DEP_1)
	v_or_b32_e32 v6, 0x80000000, v2
	v_xor_b32_e32 v6, v6, v5
	s_delay_alu instid0(VALU_DEP_1) | instskip(NEXT) | instid1(VALU_DEP_1)
	v_dual_cndmask_b32 v6, -1, v6, vcc_lo :: v_dual_bitop2_b32 v2, v2, v4 bitop3:0x14
	v_dual_cndmask_b32 v2, -1, v2, vcc_lo :: v_dual_bitop2_b32 v7, v6, v31 bitop3:0x40
	s_delay_alu instid0(VALU_DEP_1) | instskip(NEXT) | instid1(VALU_DEP_1)
	v_and_b32_e32 v6, v2, v30
	v_cmp_eq_u64_e32 vcc_lo, v[6:7], v[26:27]
	s_and_b32 exec_lo, exec_lo, vcc_lo
	s_cbranch_execz .LBB78_374
; %bb.379:                              ;   in Loop: Header=BB78_377 Depth=2
	v_mov_b32_e32 v2, v23
	ds_store_b128 v23, v[2:5] offset:3072
	s_branch .LBB78_374
.LBB78_380:                             ;   in Loop: Header=BB78_377 Depth=2
	s_mov_b32 s97, -1
	s_mov_b32 s96, -1
                                        ; implicit-def: $vgpr10
                                        ; implicit-def: $vgpr8
	s_branch .LBB78_376
.LBB78_381:                             ;   in Loop: Header=BB78_15 Depth=1
	s_or_b32 exec_lo, exec_lo, s44
	s_delay_alu instid0(SALU_CYCLE_1)
	s_and_b32 s44, s95, exec_lo
.LBB78_382:                             ;   in Loop: Header=BB78_15 Depth=1
	s_or_b32 exec_lo, exec_lo, s93
.LBB78_383:                             ;   in Loop: Header=BB78_15 Depth=1
	s_delay_alu instid0(SALU_CYCLE_1)
	s_and_b32 vcc_lo, exec_lo, s92
	s_cbranch_vccz .LBB78_395
; %bb.384:                              ;   in Loop: Header=BB78_15 Depth=1
                                        ; implicit-def: $vgpr6_vgpr7
	s_and_saveexec_b32 s52, s9
	s_cbranch_execz .LBB78_394
; %bb.385:                              ;   in Loop: Header=BB78_15 Depth=1
	v_dual_mov_b32 v8, v20 :: v_dual_mov_b32 v10, v0
	s_mov_b32 s53, 0
                                        ; implicit-def: $sgpr55
	s_branch .LBB78_389
.LBB78_386:                             ;   in Loop: Header=BB78_389 Depth=2
	s_or_b32 exec_lo, exec_lo, s92
	s_wait_dscnt 0x0
	s_barrier_signal -1
	s_barrier_wait -1
	ds_load_b128 v[4:7], v23 offset:3072
	s_wait_dscnt 0x0
	s_barrier_signal -1
	s_barrier_wait -1
	v_cmp_eq_f64_e32 vcc_lo, 0, v[4:5]
	s_cbranch_vccz .LBB78_392
; %bb.387:                              ;   in Loop: Header=BB78_389 Depth=2
	v_dual_add_nc_u32 v10, s34, v10 :: v_dual_add_nc_u32 v8, s40, v8
	s_mov_b32 s92, 0
	s_delay_alu instid0(VALU_DEP_1)
	v_cmp_le_u32_e32 vcc_lo, s75, v10
	s_or_not1_b32 s93, vcc_lo, exec_lo
.LBB78_388:                             ;   in Loop: Header=BB78_389 Depth=2
	s_delay_alu instid0(SALU_CYCLE_1) | instskip(NEXT) | instid1(SALU_CYCLE_1)
	s_and_b32 s93, exec_lo, s93
	s_or_b32 s53, s93, s53
	s_and_not1_b32 s55, s55, exec_lo
	s_and_b32 s92, s92, exec_lo
	s_delay_alu instid0(SALU_CYCLE_1)
	s_or_b32 s55, s55, s92
	s_and_not1_b32 exec_lo, exec_lo, s53
	s_cbranch_execz .LBB78_393
.LBB78_389:                             ;   Parent Loop BB78_15 Depth=1
                                        ; =>  This Inner Loop Header: Depth=2
	s_mov_b32 s92, exec_lo
	s_delay_alu instid0(VALU_DEP_1)
	v_cmpx_gt_u32_e64 s36, v10
	s_cbranch_execz .LBB78_386
; %bb.390:                              ;   in Loop: Header=BB78_389 Depth=2
	global_load_b64 v[4:5], v8, s[30:31] scale_offset
	s_wait_loadcnt 0x0
	v_cmp_o_f64_e32 vcc_lo, v[4:5], v[4:5]
	v_ashrrev_i32_e32 v2, 31, v5
	s_delay_alu instid0(VALU_DEP_1) | instskip(NEXT) | instid1(VALU_DEP_1)
	v_or_b32_e32 v6, 0x80000000, v2
	v_xor_b32_e32 v6, v6, v5
	s_delay_alu instid0(VALU_DEP_1) | instskip(NEXT) | instid1(VALU_DEP_1)
	v_dual_cndmask_b32 v6, -1, v6, vcc_lo :: v_dual_bitop2_b32 v2, v2, v4 bitop3:0x14
	v_dual_cndmask_b32 v2, -1, v2, vcc_lo :: v_dual_bitop2_b32 v7, v6, v31 bitop3:0x40
	s_delay_alu instid0(VALU_DEP_1) | instskip(NEXT) | instid1(VALU_DEP_1)
	v_and_b32_e32 v6, v2, v30
	v_cmp_eq_u64_e32 vcc_lo, v[6:7], v[26:27]
	s_and_b32 exec_lo, exec_lo, vcc_lo
	s_cbranch_execz .LBB78_386
; %bb.391:                              ;   in Loop: Header=BB78_389 Depth=2
	v_mov_b32_e32 v2, v23
	ds_store_b128 v23, v[2:5] offset:3072
	s_branch .LBB78_386
.LBB78_392:                             ;   in Loop: Header=BB78_389 Depth=2
	s_mov_b32 s93, -1
	s_mov_b32 s92, -1
                                        ; implicit-def: $vgpr10
                                        ; implicit-def: $vgpr8
	s_branch .LBB78_388
.LBB78_393:                             ;   in Loop: Header=BB78_15 Depth=1
	s_or_b32 exec_lo, exec_lo, s53
	s_delay_alu instid0(SALU_CYCLE_1) | instskip(SKIP_1) | instid1(SALU_CYCLE_1)
	s_and_not1_b32 s44, s44, exec_lo
	s_and_b32 s53, s55, exec_lo
	s_or_b32 s44, s44, s53
.LBB78_394:                             ;   in Loop: Header=BB78_15 Depth=1
	s_or_b32 exec_lo, exec_lo, s52
	s_mov_b32 s52, 0
	s_mov_b32 s53, -1
.LBB78_395:                             ;   in Loop: Header=BB78_15 Depth=1
	s_or_not1_b32 s55, s44, exec_lo
.LBB78_396:                             ;   in Loop: Header=BB78_15 Depth=1
	s_or_b32 exec_lo, exec_lo, s54
	s_mov_b32 s54, 0
	s_and_saveexec_b32 s44, s55
	s_cbranch_execz .LBB78_407
; %bb.397:                              ;   in Loop: Header=BB78_15 Depth=1
	v_dual_mov_b32 v22, 1 :: v_dual_mov_b32 v2, 1
	s_xor_b32 s54, s29, -1
	s_delay_alu instid0(SALU_CYCLE_1)
	s_and_saveexec_b32 s29, s54
	s_cbranch_execz .LBB78_406
; %bb.398:                              ;   in Loop: Header=BB78_15 Depth=1
	s_mov_b32 s54, exec_lo
	v_cmpx_ge_u32_e64 s17, v9
	s_xor_b32 s54, exec_lo, s54
	s_cbranch_execz .LBB78_403
; %bb.399:                              ;   in Loop: Header=BB78_15 Depth=1
	ds_load_b32 v2, v23 offset:4096
	v_and_b32_e32 v27, s15, v27
	v_and_b32_e32 v26, s14, v26
	v_or_b32_e32 v31, s13, v31
	v_or_b32_e32 v30, s12, v30
	s_wait_dscnt 0x0
	v_cmp_ne_u32_e32 vcc_lo, 0, v2
	s_cbranch_vccnz .LBB78_403
; %bb.400:                              ;   in Loop: Header=BB78_15 Depth=1
	s_and_saveexec_b32 s12, s5
; %bb.401:                              ;   in Loop: Header=BB78_15 Depth=1
	v_mov_b32_e32 v2, s17
	ds_store_b32 v23, v2 offset:4100
; %bb.402:                              ;   in Loop: Header=BB78_15 Depth=1
	s_or_b32 exec_lo, exec_lo, s12
	s_wait_dscnt 0x0
	s_barrier_signal -1
	s_barrier_wait -1
.LBB78_403:                             ;   in Loop: Header=BB78_15 Depth=1
	s_and_not1_saveexec_b32 s12, s54
; %bb.404:                              ;   in Loop: Header=BB78_15 Depth=1
	v_subrev_nc_u32_e32 v9, s17, v9
; %bb.405:                              ;   in Loop: Header=BB78_15 Depth=1
	s_or_b32 exec_lo, exec_lo, s12
	s_delay_alu instid0(VALU_DEP_1)
	v_dual_mov_b32 v22, 5 :: v_dual_mov_b32 v2, v9
.LBB78_406:                             ;   in Loop: Header=BB78_15 Depth=1
	s_or_b32 exec_lo, exec_lo, s29
	s_delay_alu instid0(VALU_DEP_1)
	v_mov_b32_e32 v9, v2
	s_mov_b32 s54, exec_lo
.LBB78_407:                             ;   in Loop: Header=BB78_15 Depth=1
	s_or_b32 exec_lo, exec_lo, s44
	s_delay_alu instid0(SALU_CYCLE_1)
	s_or_not1_b32 s29, s54, exec_lo
.LBB78_408:                             ;   in Loop: Header=BB78_15 Depth=1
	s_or_b32 exec_lo, exec_lo, s18
	s_delay_alu instid0(SALU_CYCLE_1)
	s_and_not1_b32 s12, s27, exec_lo
	s_and_b32 s13, s53, exec_lo
	s_and_not1_b32 s14, s26, exec_lo
	s_and_b32 s15, s52, exec_lo
	v_mov_b32_e32 v8, v9
	s_or_b32 s27, s12, s13
	s_or_b32 s26, s14, s15
	s_and_b32 s52, s29, exec_lo
.LBB78_409:                             ;   in Loop: Header=BB78_15 Depth=1
	s_or_b32 exec_lo, exec_lo, s28
	s_delay_alu instid0(SALU_CYCLE_1)
	s_or_not1_b32 s28, s52, exec_lo
.LBB78_410:                             ;   in Loop: Header=BB78_15 Depth=1
	s_or_b32 exec_lo, exec_lo, s19
	s_delay_alu instid0(SALU_CYCLE_1)
	s_and_not1_b32 s12, s23, exec_lo
	s_and_b32 s13, s27, exec_lo
	s_and_not1_b32 s14, s20, exec_lo
	s_and_b32 s15, s26, exec_lo
	v_mov_b32_e32 v43, v8
	s_or_b32 s23, s12, s13
	s_or_b32 s20, s14, s15
	s_and_b32 s28, s28, exec_lo
.LBB78_411:                             ;   in Loop: Header=BB78_15 Depth=1
	s_or_b32 exec_lo, exec_lo, s25
	s_delay_alu instid0(SALU_CYCLE_1)
	s_or_not1_b32 s25, s28, exec_lo
.LBB78_412:                             ;   in Loop: Header=BB78_15 Depth=1
	s_or_b32 exec_lo, exec_lo, s10
	s_mov_b32 s10, s21
	s_mov_b32 s12, s11
	s_and_saveexec_b32 s13, s25
; %bb.413:                              ;   in Loop: Header=BB78_15 Depth=1
	v_cmp_ne_u32_e32 vcc_lo, 5, v22
	v_cmp_eq_u32_e64 s10, 5, v22
	s_and_not1_b32 s12, s11, exec_lo
	s_and_not1_b32 s14, s21, exec_lo
	s_and_b32 s15, vcc_lo, exec_lo
	s_and_b32 s10, s10, exec_lo
	s_or_b32 s12, s12, s15
	s_or_b32 s10, s14, s10
; %bb.414:                              ;   in Loop: Header=BB78_15 Depth=1
	s_or_b32 exec_lo, exec_lo, s13
	s_delay_alu instid0(SALU_CYCLE_1)
	s_and_not1_b32 s13, s24, exec_lo
	s_and_b32 s14, s23, exec_lo
	s_and_not1_b32 s15, s16, exec_lo
	s_and_b32 s16, s20, exec_lo
	s_or_b32 s24, s13, s14
	s_and_not1_b32 s11, s11, exec_lo
	s_and_b32 s12, s12, exec_lo
	s_and_not1_b32 s13, s21, exec_lo
	s_and_b32 s10, s10, exec_lo
	s_or_b32 s16, s15, s16
	s_or_b32 s11, s11, s12
	;; [unrolled: 1-line block ×3, first 2 shown]
.LBB78_415:                             ;   in Loop: Header=BB78_15 Depth=1
	s_or_b32 exec_lo, exec_lo, s22
	s_mov_b32 s22, 0
	s_mov_b32 s23, 0
	s_and_saveexec_b32 s10, s21
.LBB78_416:                             ;   in Loop: Header=BB78_15 Depth=1
	v_mov_b32_e32 v22, 0
	s_or_b32 s11, s11, exec_lo
.LBB78_417:                             ;   in Loop: Header=BB78_15 Depth=1
	s_or_b32 exec_lo, exec_lo, s10
	s_delay_alu instid0(SALU_CYCLE_1)
	s_and_not1_b32 s10, s89, exec_lo
	s_and_b32 s13, s24, exec_lo
	s_and_not1_b32 s14, s87, exec_lo
	s_and_b32 s15, s16, exec_lo
	v_mov_b32_e32 v42, v43
	s_or_b32 s89, s10, s13
	s_or_b32 s87, s14, s15
	s_and_not1_b32 s10, s91, exec_lo
	s_and_b32 s13, s23, exec_lo
	s_and_not1_b32 s14, s90, exec_lo
	s_and_b32 s15, s22, exec_lo
	s_mov_b32 s12, -1
	s_and_not1_b32 s88, s88, exec_lo
	s_or_b32 s91, s10, s13
	s_or_b32 s90, s14, s15
	s_and_saveexec_b32 s10, s11
	s_delay_alu instid0(SALU_CYCLE_1)
	s_xor_b32 s10, exec_lo, s10
	s_cbranch_execz .LBB78_14
; %bb.418:                              ;   in Loop: Header=BB78_15 Depth=1
	s_mov_b32 s11, -1
	s_mov_b32 s13, exec_lo
	v_cmpx_eq_u32_e32 0, v22
	s_cbranch_execz .LBB78_13
; %bb.419:                              ;   in Loop: Header=BB78_15 Depth=1
	s_xor_b32 s82, s82, 1
	s_add_co_i32 s14, s79, -2
	s_cmp_eq_u32 s79, 0
	s_mov_b32 s79, s14
	s_cselect_b32 s11, -1, 0
	s_xor_b32 s12, exec_lo, -1
	s_or_not1_b32 s11, s11, exec_lo
	s_branch .LBB78_13
.LBB78_420:
	s_or_b32 exec_lo, exec_lo, s80
	s_xor_b32 s7, s86, -1
	s_xor_b32 s9, s84, -1
	;; [unrolled: 1-line block ×5, first 2 shown]
	s_mov_b32 s8, 0
	s_and_saveexec_b32 s12, s11
	s_delay_alu instid0(SALU_CYCLE_1)
	s_xor_b32 s12, exec_lo, s12
	s_cbranch_execnz .LBB78_425
; %bb.421:
	s_wait_xcnt 0x0
	s_and_not1_saveexec_b32 s0, s12
	s_cbranch_execnz .LBB78_444
.LBB78_422:
	s_or_b32 exec_lo, exec_lo, s0
	s_and_saveexec_b32 s0, s8
.LBB78_423:
	; divergent unreachable
.LBB78_424:
	s_endpgm
.LBB78_425:
	s_and_saveexec_b32 s11, s10
	s_delay_alu instid0(SALU_CYCLE_1)
	s_xor_b32 s13, exec_lo, s11
	s_cbranch_execz .LBB78_442
; %bb.426:
	s_and_saveexec_b32 s10, s9
	s_delay_alu instid0(SALU_CYCLE_1)
	s_xor_b32 s14, exec_lo, s10
	s_cbranch_execz .LBB78_440
; %bb.427:
	;; [unrolled: 5-line block ×3, first 2 shown]
	s_and_saveexec_b32 s7, s6
	s_delay_alu instid0(SALU_CYCLE_1)
	s_xor_b32 s6, exec_lo, s7
; %bb.429:
	v_dual_mov_b32 v3, 0 :: v_dual_lshrrev_b32 v2, 31, v27
	s_delay_alu instid0(VALU_DEP_1) | instskip(NEXT) | instid1(VALU_DEP_1)
	v_add_nc_u64_e32 v[2:3], -1, v[2:3]
	v_or_b32_e32 v1, 0x80000000, v3
	s_delay_alu instid0(VALU_DEP_2) | instskip(NEXT) | instid1(VALU_DEP_2)
	v_xor_b32_e32 v6, v2, v26
	v_xor_b32_e32 v7, v1, v27
; %bb.430:
	s_or_b32 exec_lo, exec_lo, s6
	s_and_saveexec_b32 s6, s5
; %bb.431:
	v_mov_b32_e32 v1, 0
	ds_store_b32 v1, v1 offset:4108
; %bb.432:
	s_or_b32 exec_lo, exec_lo, s6
	v_mov_b64_e32 v[4:5], 0
	s_wait_dscnt 0x0
	s_barrier_signal -1
	s_barrier_wait -1
	s_and_saveexec_b32 s5, s4
	s_cbranch_execz .LBB78_434
; %bb.433:
	global_load_b64 v[4:5], v[18:19], off
.LBB78_434:
	s_wait_xcnt 0x0
	s_or_b32 exec_lo, exec_lo, s5
	v_cmp_o_f64_e32 vcc_lo, v[6:7], v[6:7]
	v_ashrrev_i32_e32 v1, 31, v7
	s_clause 0x1
	s_load_b32 s5, s[0:1], 0x1c8
	s_load_b32 s16, s[0:1], 0x2a8
	s_add_co_i32 s17, s36, 31
	s_wait_xcnt 0x0
	s_mul_i32 s1, s58, s57
	s_wait_kmcnt 0x0
	s_mul_i32 s6, s59, s56
	v_or_b32_e32 v2, 0x80000000, v1
	s_mov_b32 s11, 0
	s_and_not1_b32 s17, s17, 31
	s_add_co_i32 s10, s1, s35
	s_add_co_i32 s6, s6, s41
	v_xor_b32_e32 v2, v2, v7
	v_xor_b32_e32 v1, v1, v6
	s_mov_b32 s7, s11
	s_lshl_b64 s[8:9], s[10:11], 3
	s_lshl_b64 s[18:19], s[6:7], 3
	s_mov_b32 s0, -1
	s_add_nc_u64 s[6:7], s[38:39], s[8:9]
	s_add_nc_u64 s[8:9], s[42:43], s[18:19]
	s_mov_b32 s1, 0
	v_dual_cndmask_b32 v3, -1, v2 :: v_dual_cndmask_b32 v2, -1, v1
	v_cmp_gt_u32_e32 vcc_lo, s17, v0
	s_and_saveexec_b32 s10, vcc_lo
	s_cbranch_execnz .LBB78_445
; %bb.435:
	s_or_b32 exec_lo, exec_lo, s10
	s_and_saveexec_b32 s3, s0
	s_cbranch_execnz .LBB78_462
.LBB78_436:
	s_or_b32 exec_lo, exec_lo, s3
	s_and_saveexec_b32 s0, s1
	s_delay_alu instid0(SALU_CYCLE_1)
	s_xor_b32 s0, exec_lo, s0
	s_cbranch_execnz .LBB78_487
.LBB78_437:
	s_or_b32 exec_lo, exec_lo, s0
	s_delay_alu instid0(SALU_CYCLE_1)
	s_and_b32 s8, s11, exec_lo
.LBB78_438:
	s_wait_xcnt 0x0
	s_and_not1_saveexec_b32 s0, s15
	s_cbranch_execnz .LBB78_489
.LBB78_439:
	s_or_b32 exec_lo, exec_lo, s0
	s_delay_alu instid0(SALU_CYCLE_1)
	s_and_b32 s8, s8, exec_lo
.LBB78_440:
	s_wait_xcnt 0x0
	s_and_not1_saveexec_b32 s0, s14
	s_cbranch_execnz .LBB78_488
.LBB78_441:
	s_or_b32 exec_lo, exec_lo, s0
	s_delay_alu instid0(SALU_CYCLE_1)
	s_and_b32 s8, s8, exec_lo
.LBB78_442:
	s_wait_xcnt 0x0
	s_and_not1_saveexec_b32 s0, s13
	s_cbranch_execnz .LBB78_483
.LBB78_443:
	s_or_b32 exec_lo, exec_lo, s0
	s_delay_alu instid0(SALU_CYCLE_1)
	s_and_b32 s8, s8, exec_lo
	s_and_not1_saveexec_b32 s0, s12
	s_cbranch_execz .LBB78_422
.LBB78_444:
	s_or_b32 s8, s8, exec_lo
	s_trap 2
	s_or_b32 exec_lo, exec_lo, s0
	s_and_saveexec_b32 s0, s8
	s_cbranch_execnz .LBB78_423
	s_branch .LBB78_424
.LBB78_445:
	v_dual_add_nc_u32 v1, s34, v0 :: v_dual_mov_b32 v7, 0
	v_mov_b32_e32 v6, v0
	s_mov_b32 s18, 0
                                        ; implicit-def: $sgpr19
                                        ; implicit-def: $vgpr11
	s_delay_alu instid0(VALU_DEP_2)
	v_mul_lo_u32 v1, s33, v1
	s_branch .LBB78_447
.LBB78_446:                             ;   in Loop: Header=BB78_447 Depth=1
	s_or_b32 exec_lo, exec_lo, s21
	s_xor_b32 s0, s20, -1
	s_and_b32 s1, exec_lo, s1
	s_wait_loadcnt 0x0
	v_mov_b64_e32 v[4:5], v[8:9]
	s_or_b32 s18, s1, s18
	v_mov_b32_e32 v6, v10
	s_and_not1_b32 s1, s19, exec_lo
	s_and_b32 s0, s0, exec_lo
	s_delay_alu instid0(SALU_CYCLE_1)
	s_or_b32 s19, s1, s0
	s_and_not1_b32 exec_lo, exec_lo, s18
	s_cbranch_execz .LBB78_461
.LBB78_447:                             ; =>This Inner Loop Header: Depth=1
	v_mov_b64_e32 v[8:9], 0
	v_add_nc_u32_e32 v10, s34, v6
	s_mov_b32 s1, exec_lo
	s_delay_alu instid0(VALU_DEP_1)
	v_cmpx_gt_u32_e64 s36, v10
	s_cbranch_execz .LBB78_449
; %bb.448:                              ;   in Loop: Header=BB78_447 Depth=1
	global_load_b64 v[8:9], v1, s[30:31] scale_offset
.LBB78_449:                             ;   in Loop: Header=BB78_447 Depth=1
	s_wait_xcnt 0x0
	s_or_b32 exec_lo, exec_lo, s1
	s_mov_b32 s20, 0
	s_mov_b32 s1, exec_lo
	v_cmpx_gt_u32_e64 s36, v6
	s_cbranch_execz .LBB78_451
; %bb.450:                              ;   in Loop: Header=BB78_447 Depth=1
	s_wait_loadcnt 0x0
	v_cmp_o_f64_e64 s0, v[4:5], v[4:5]
	v_ashrrev_i32_e32 v12, 31, v5
	s_delay_alu instid0(VALU_DEP_1) | instskip(NEXT) | instid1(VALU_DEP_1)
	v_or_b32_e32 v13, 0x80000000, v12
	v_xor_b32_e32 v13, v13, v5
	s_delay_alu instid0(VALU_DEP_1) | instskip(NEXT) | instid1(VALU_DEP_1)
	v_dual_cndmask_b32 v13, -1, v13, s0 :: v_dual_bitop2_b32 v12, v12, v4 bitop3:0x14
	v_cndmask_b32_e64 v12, -1, v12, s0
	s_delay_alu instid0(VALU_DEP_1) | instskip(NEXT) | instid1(VALU_DEP_1)
	v_cmp_gt_u64_e64 s0, v[12:13], v[2:3]
	v_cndmask_b32_e64 v14, 0, 1, s0
	v_cmp_lt_u64_e64 s0, v[12:13], v[2:3]
	s_delay_alu instid0(VALU_DEP_1) | instskip(NEXT) | instid1(VALU_DEP_1)
	v_cndmask_b32_e64 v12, 0, 1, s0
	v_cndmask_b32_e64 v12, v12, v14, s3
	s_delay_alu instid0(VALU_DEP_1) | instskip(NEXT) | instid1(VALU_DEP_1)
	v_and_b32_e32 v12, 1, v12
	v_cmp_eq_u32_e64 s0, 1, v12
	s_and_b32 s20, s0, exec_lo
.LBB78_451:                             ;   in Loop: Header=BB78_447 Depth=1
	s_or_b32 exec_lo, exec_lo, s1
	v_cndmask_b32_e64 v12, 0, 1, s20
	s_delay_alu instid0(VALU_DEP_1) | instskip(SKIP_2) | instid1(SALU_CYCLE_1)
	v_cmp_ne_u32_e64 s0, 0, v12
	s_cmp_lg_u32 s0, 0
	s_cselect_b32 s1, -1, 0
	s_and_b32 s1, s2, s1
	s_delay_alu instid0(SALU_CYCLE_1)
	s_and_saveexec_b32 s21, s1
	s_cbranch_execz .LBB78_455
; %bb.452:                              ;   in Loop: Header=BB78_447 Depth=1
	s_mov_b32 s24, exec_lo
	s_bcnt1_i32_b32 s22, s0
	s_wait_dscnt 0x0
	v_mbcnt_lo_u32_b32 v11, s24, 0
	s_mov_b32 s23, exec_lo
                                        ; implicit-def: $vgpr12
	s_delay_alu instid0(VALU_DEP_1)
	v_cmpx_eq_u32_e32 0, v11
; %bb.453:                              ;   in Loop: Header=BB78_447 Depth=1
	s_bcnt1_i32_b32 s1, s24
	s_delay_alu instid0(SALU_CYCLE_1) | instskip(NEXT) | instid1(SALU_CYCLE_1)
	s_mul_i32 s1, s22, s1
	v_mov_b32_e32 v12, s1
	ds_add_rtn_u32 v12, v7, v12 offset:4108
; %bb.454:                              ;   in Loop: Header=BB78_447 Depth=1
	s_or_b32 exec_lo, exec_lo, s23
	s_wait_dscnt 0x0
	v_readfirstlane_b32 s1, v12
	s_delay_alu instid0(VALU_DEP_1)
	v_mad_u32_u24 v11, s22, v11, s1
.LBB78_455:                             ;   in Loop: Header=BB78_447 Depth=1
	s_or_b32 exec_lo, exec_lo, s21
	s_wait_dscnt 0x0
	ds_bpermute_b32 v11, v7, v11
	s_mov_b32 s1, -1
	s_mov_b32 s22, -1
	s_and_saveexec_b32 s21, s20
	s_cbranch_execz .LBB78_459
; %bb.456:                              ;   in Loop: Header=BB78_447 Depth=1
	v_and_b32_e32 v12, s0, v16
	s_mov_b32 s20, 0
	s_mov_b32 s22, exec_lo
	s_wait_dscnt 0x0
	s_delay_alu instid0(VALU_DEP_1) | instskip(NEXT) | instid1(VALU_DEP_1)
	v_bcnt_u32_b32 v12, v12, v11
	v_cmpx_gt_u32_e64 s37, v12
	s_cbranch_execz .LBB78_458
; %bb.457:                              ;   in Loop: Header=BB78_447 Depth=1
	v_mul_lo_u32 v13, v12, s5
	v_mul_lo_u32 v12, v12, s16
	s_mov_b32 s20, exec_lo
	s_wait_loadcnt 0x0
	global_store_b64 v13, v[4:5], s[6:7] scale_offset
	global_store_b64 v12, v[6:7], s[8:9] scale_offset
.LBB78_458:                             ;   in Loop: Header=BB78_447 Depth=1
	s_wait_xcnt 0x0
	s_or_b32 exec_lo, exec_lo, s22
	s_delay_alu instid0(SALU_CYCLE_1)
	s_or_not1_b32 s22, s20, exec_lo
.LBB78_459:                             ;   in Loop: Header=BB78_447 Depth=1
	s_or_b32 exec_lo, exec_lo, s21
	s_mov_b32 s20, -1
	s_and_saveexec_b32 s21, s22
	s_cbranch_execz .LBB78_446
; %bb.460:                              ;   in Loop: Header=BB78_447 Depth=1
	v_cmp_le_u32_e64 s0, s17, v10
	v_add_nc_u32_e32 v1, s40, v1
	s_xor_b32 s20, exec_lo, -1
	s_or_not1_b32 s1, s0, exec_lo
	s_branch .LBB78_446
.LBB78_461:
	s_or_b32 exec_lo, exec_lo, s18
	s_delay_alu instid0(SALU_CYCLE_1)
	s_mov_b32 s1, exec_lo
	s_or_not1_b32 s0, s19, exec_lo
	s_or_b32 exec_lo, exec_lo, s10
	s_and_saveexec_b32 s3, s0
	s_cbranch_execz .LBB78_436
.LBB78_462:
	v_mov_b64_e32 v[6:7], 0
	s_wait_storecnt 0x0
	s_wait_loadcnt_dscnt 0x0
	s_barrier_signal -1
	s_barrier_wait -1
	s_and_saveexec_b32 s0, s4
	s_cbranch_execz .LBB78_464
; %bb.463:
	global_load_b64 v[6:7], v[18:19], off
.LBB78_464:
	s_wait_xcnt 0x0
	s_or_b32 exec_lo, exec_lo, s0
	s_mov_b32 s0, 0
	s_and_saveexec_b32 s4, vcc_lo
	s_cbranch_execz .LBB78_486
; %bb.465:
	v_add_nc_u32_e32 v1, s34, v0
	s_mov_b32 s10, 0
                                        ; implicit-def: $sgpr11
                                        ; implicit-def: $vgpr10
	s_delay_alu instid0(VALU_DEP_1)
	v_mul_lo_u32 v8, s33, v1
	v_mov_b32_e32 v1, 0
	s_branch .LBB78_468
.LBB78_466:                             ;   in Loop: Header=BB78_468 Depth=1
	s_or_b32 exec_lo, exec_lo, s20
	s_delay_alu instid0(SALU_CYCLE_1)
	s_or_not1_b32 s20, s18, exec_lo
	s_or_not1_b32 s19, s19, exec_lo
.LBB78_467:                             ;   in Loop: Header=BB78_468 Depth=1
	s_or_b32 exec_lo, exec_lo, s0
	s_xor_b32 s0, s20, -1
	s_and_b32 s18, exec_lo, s19
	s_wait_loadcnt 0x0
	v_mov_b64_e32 v[6:7], v[4:5]
	v_mov_b32_e32 v0, v9
	s_or_b32 s10, s18, s10
	s_and_not1_b32 s11, s11, exec_lo
	s_and_b32 s0, s0, exec_lo
	s_delay_alu instid0(SALU_CYCLE_1)
	s_or_b32 s11, s11, s0
	s_and_not1_b32 exec_lo, exec_lo, s10
	s_cbranch_execz .LBB78_484
.LBB78_468:                             ; =>This Inner Loop Header: Depth=1
	v_mov_b64_e32 v[4:5], 0
	v_add_nc_u32_e32 v9, s34, v0
	s_mov_b32 s0, exec_lo
	s_delay_alu instid0(VALU_DEP_1)
	v_cmpx_gt_u32_e64 s36, v9
	s_cbranch_execz .LBB78_470
; %bb.469:                              ;   in Loop: Header=BB78_468 Depth=1
	global_load_b64 v[4:5], v8, s[30:31] scale_offset
.LBB78_470:                             ;   in Loop: Header=BB78_468 Depth=1
	s_wait_xcnt 0x0
	s_or_b32 exec_lo, exec_lo, s0
	s_mov_b32 s18, 0
	s_mov_b32 s0, exec_lo
	v_cmpx_gt_u32_e64 s36, v0
	s_cbranch_execz .LBB78_472
; %bb.471:                              ;   in Loop: Header=BB78_468 Depth=1
	s_wait_loadcnt 0x0
	v_cmp_o_f64_e32 vcc_lo, v[6:7], v[6:7]
	v_ashrrev_i32_e32 v11, 31, v7
	s_delay_alu instid0(VALU_DEP_1) | instskip(NEXT) | instid1(VALU_DEP_1)
	v_or_b32_e32 v12, 0x80000000, v11
	v_xor_b32_e32 v12, v12, v7
	s_delay_alu instid0(VALU_DEP_1) | instskip(NEXT) | instid1(VALU_DEP_1)
	v_dual_cndmask_b32 v13, -1, v12, vcc_lo :: v_dual_bitop2_b32 v11, v11, v6 bitop3:0x14
	v_cndmask_b32_e32 v12, -1, v11, vcc_lo
	s_delay_alu instid0(VALU_DEP_1)
	v_cmp_eq_u64_e32 vcc_lo, v[12:13], v[2:3]
	s_and_b32 s18, vcc_lo, exec_lo
.LBB78_472:                             ;   in Loop: Header=BB78_468 Depth=1
	s_or_b32 exec_lo, exec_lo, s0
	v_cndmask_b32_e64 v11, 0, 1, s18
	s_delay_alu instid0(VALU_DEP_1) | instskip(SKIP_2) | instid1(SALU_CYCLE_1)
	v_cmp_ne_u32_e32 vcc_lo, 0, v11
	s_cmp_lg_u32 vcc_lo, 0
	s_cselect_b32 s0, -1, 0
	s_and_b32 s0, s2, s0
	s_delay_alu instid0(SALU_CYCLE_1)
	s_and_saveexec_b32 s19, s0
	s_cbranch_execz .LBB78_476
; %bb.473:                              ;   in Loop: Header=BB78_468 Depth=1
	s_mov_b32 s22, exec_lo
	s_bcnt1_i32_b32 s20, vcc_lo
	v_mbcnt_lo_u32_b32 v10, s22, 0
	s_mov_b32 s21, exec_lo
                                        ; implicit-def: $vgpr11
	s_delay_alu instid0(VALU_DEP_1)
	v_cmpx_eq_u32_e32 0, v10
; %bb.474:                              ;   in Loop: Header=BB78_468 Depth=1
	s_bcnt1_i32_b32 s0, s22
	s_delay_alu instid0(SALU_CYCLE_1) | instskip(NEXT) | instid1(SALU_CYCLE_1)
	s_mul_i32 s0, s20, s0
	v_mov_b32_e32 v11, s0
	ds_add_rtn_u32 v11, v1, v11 offset:4108
; %bb.475:                              ;   in Loop: Header=BB78_468 Depth=1
	s_or_b32 exec_lo, exec_lo, s21
	s_wait_dscnt 0x0
	v_readfirstlane_b32 s0, v11
	s_delay_alu instid0(VALU_DEP_1)
	v_mad_u32_u24 v10, s20, v10, s0
.LBB78_476:                             ;   in Loop: Header=BB78_468 Depth=1
	s_or_b32 exec_lo, exec_lo, s19
	ds_bpermute_b32 v10, v1, v10
	s_cmp_eq_u32 vcc_lo, 0
	s_mov_b32 s19, -1
	s_cselect_b32 s20, -1, 0
	s_wait_dscnt 0x0
	v_cmp_gt_u32_e64 s0, s37, v10
	s_or_b32 s21, s20, s0
	s_mov_b32 s20, -1
	s_and_saveexec_b32 s0, s21
	s_cbranch_execz .LBB78_467
; %bb.477:                              ;   in Loop: Header=BB78_468 Depth=1
	v_dual_sub_nc_u32 v12, s37, v10 :: v_dual_bitop2_b32 v11, vcc_lo, v16 bitop3:0x40
	s_mov_b32 s21, -1
	s_delay_alu instid0(VALU_DEP_1) | instskip(NEXT) | instid1(VALU_DEP_1)
	v_bcnt_u32_b32 v11, v11, 0
	v_bcnt_u32_b32 v11, 0, v11
	s_delay_alu instid0(VALU_DEP_1)
	v_cmp_gt_u32_e32 vcc_lo, v12, v11
	s_and_b32 s22, s18, vcc_lo
	s_mov_b32 s18, -1
	s_and_saveexec_b32 s20, s22
	s_cbranch_execz .LBB78_481
; %bb.478:                              ;   in Loop: Header=BB78_468 Depth=1
	v_add_nc_u32_e32 v11, v10, v11
	s_mov_b32 s21, 0
	s_mov_b32 s18, exec_lo
	s_delay_alu instid0(VALU_DEP_1)
	v_cmpx_gt_u32_e64 s37, v11
	s_cbranch_execz .LBB78_480
; %bb.479:                              ;   in Loop: Header=BB78_468 Depth=1
	v_mul_lo_u32 v12, v11, s5
	v_mul_lo_u32 v11, v11, s16
	s_mov_b32 s21, exec_lo
	s_wait_loadcnt 0x0
	global_store_b64 v12, v[6:7], s[6:7] scale_offset
	global_store_b64 v11, v[0:1], s[8:9] scale_offset
.LBB78_480:                             ;   in Loop: Header=BB78_468 Depth=1
	s_wait_xcnt 0x0
	s_or_b32 exec_lo, exec_lo, s18
	s_delay_alu instid0(SALU_CYCLE_1)
	s_xor_b32 s18, exec_lo, -1
	s_or_not1_b32 s21, s21, exec_lo
.LBB78_481:                             ;   in Loop: Header=BB78_468 Depth=1
	s_or_b32 exec_lo, exec_lo, s20
	s_and_saveexec_b32 s20, s21
	s_cbranch_execz .LBB78_466
; %bb.482:                              ;   in Loop: Header=BB78_468 Depth=1
	v_cmp_le_u32_e32 vcc_lo, s17, v9
	v_add_nc_u32_e32 v8, s40, v8
	s_or_b32 s18, s18, exec_lo
	s_or_not1_b32 s19, vcc_lo, exec_lo
	s_branch .LBB78_466
.LBB78_483:
	s_or_b32 s8, s8, exec_lo
	s_trap 2
	s_branch .LBB78_443
.LBB78_484:
	s_or_b32 exec_lo, exec_lo, s10
	s_mov_b32 s0, 0
	s_and_saveexec_b32 s2, s11
	s_delay_alu instid0(SALU_CYCLE_1)
	s_xor_b32 s2, exec_lo, s2
	s_cbranch_execnz .LBB78_490
.LBB78_485:
	s_or_b32 exec_lo, exec_lo, s2
	s_delay_alu instid0(SALU_CYCLE_1)
	s_and_b32 s0, s0, exec_lo
.LBB78_486:
	s_or_b32 exec_lo, exec_lo, s4
	s_delay_alu instid0(SALU_CYCLE_1) | instskip(SKIP_3) | instid1(SALU_CYCLE_1)
	s_and_b32 s11, s0, exec_lo
	s_and_not1_b32 s1, s1, exec_lo
	s_or_b32 exec_lo, exec_lo, s3
	s_and_saveexec_b32 s0, s1
	s_xor_b32 s0, exec_lo, s0
	s_cbranch_execz .LBB78_437
.LBB78_487:
	s_or_b32 s11, s11, exec_lo
	s_trap 2
	s_branch .LBB78_437
.LBB78_488:
	s_or_b32 s8, s8, exec_lo
	s_trap 2
	s_branch .LBB78_441
.LBB78_489:
	s_or_b32 s8, s8, exec_lo
	s_trap 2
	s_branch .LBB78_439
.LBB78_490:
	s_mov_b32 s0, exec_lo
	s_trap 2
	s_branch .LBB78_485
	.section	.rodata,"a",@progbits
	.p2align	6, 0x0
	.amdhsa_kernel _ZN2at6native6sbtopk10gatherTopKIdjLin1ELb0EEEvNS_4cuda6detail10TensorInfoIKT_T0_EES8_S8_bS8_S8_NS5_IS6_S8_EES8_NS5_IlS8_EES8_PS6_
		.amdhsa_group_segment_fixed_size 4112
		.amdhsa_private_segment_fixed_size 0
		.amdhsa_kernarg_size 952
		.amdhsa_user_sgpr_count 2
		.amdhsa_user_sgpr_dispatch_ptr 0
		.amdhsa_user_sgpr_queue_ptr 0
		.amdhsa_user_sgpr_kernarg_segment_ptr 1
		.amdhsa_user_sgpr_dispatch_id 0
		.amdhsa_user_sgpr_kernarg_preload_length 0
		.amdhsa_user_sgpr_kernarg_preload_offset 0
		.amdhsa_user_sgpr_private_segment_size 0
		.amdhsa_wavefront_size32 1
		.amdhsa_uses_dynamic_stack 0
		.amdhsa_enable_private_segment 0
		.amdhsa_system_sgpr_workgroup_id_x 1
		.amdhsa_system_sgpr_workgroup_id_y 1
		.amdhsa_system_sgpr_workgroup_id_z 1
		.amdhsa_system_sgpr_workgroup_info 0
		.amdhsa_system_vgpr_workitem_id 0
		.amdhsa_next_free_vgpr 58
		.amdhsa_next_free_sgpr 102
		.amdhsa_named_barrier_count 0
		.amdhsa_reserve_vcc 1
		.amdhsa_float_round_mode_32 0
		.amdhsa_float_round_mode_16_64 0
		.amdhsa_float_denorm_mode_32 3
		.amdhsa_float_denorm_mode_16_64 3
		.amdhsa_fp16_overflow 0
		.amdhsa_memory_ordered 1
		.amdhsa_forward_progress 1
		.amdhsa_inst_pref_size 130
		.amdhsa_round_robin_scheduling 0
		.amdhsa_exception_fp_ieee_invalid_op 0
		.amdhsa_exception_fp_denorm_src 0
		.amdhsa_exception_fp_ieee_div_zero 0
		.amdhsa_exception_fp_ieee_overflow 0
		.amdhsa_exception_fp_ieee_underflow 0
		.amdhsa_exception_fp_ieee_inexact 0
		.amdhsa_exception_int_div_zero 0
	.end_amdhsa_kernel
	.section	.text._ZN2at6native6sbtopk10gatherTopKIdjLin1ELb0EEEvNS_4cuda6detail10TensorInfoIKT_T0_EES8_S8_bS8_S8_NS5_IS6_S8_EES8_NS5_IlS8_EES8_PS6_,"axG",@progbits,_ZN2at6native6sbtopk10gatherTopKIdjLin1ELb0EEEvNS_4cuda6detail10TensorInfoIKT_T0_EES8_S8_bS8_S8_NS5_IS6_S8_EES8_NS5_IlS8_EES8_PS6_,comdat
.Lfunc_end78:
	.size	_ZN2at6native6sbtopk10gatherTopKIdjLin1ELb0EEEvNS_4cuda6detail10TensorInfoIKT_T0_EES8_S8_bS8_S8_NS5_IS6_S8_EES8_NS5_IlS8_EES8_PS6_, .Lfunc_end78-_ZN2at6native6sbtopk10gatherTopKIdjLin1ELb0EEEvNS_4cuda6detail10TensorInfoIKT_T0_EES8_S8_bS8_S8_NS5_IS6_S8_EES8_NS5_IlS8_EES8_PS6_
                                        ; -- End function
	.set _ZN2at6native6sbtopk10gatherTopKIdjLin1ELb0EEEvNS_4cuda6detail10TensorInfoIKT_T0_EES8_S8_bS8_S8_NS5_IS6_S8_EES8_NS5_IlS8_EES8_PS6_.num_vgpr, 58
	.set _ZN2at6native6sbtopk10gatherTopKIdjLin1ELb0EEEvNS_4cuda6detail10TensorInfoIKT_T0_EES8_S8_bS8_S8_NS5_IS6_S8_EES8_NS5_IlS8_EES8_PS6_.num_agpr, 0
	.set _ZN2at6native6sbtopk10gatherTopKIdjLin1ELb0EEEvNS_4cuda6detail10TensorInfoIKT_T0_EES8_S8_bS8_S8_NS5_IS6_S8_EES8_NS5_IlS8_EES8_PS6_.numbered_sgpr, 102
	.set _ZN2at6native6sbtopk10gatherTopKIdjLin1ELb0EEEvNS_4cuda6detail10TensorInfoIKT_T0_EES8_S8_bS8_S8_NS5_IS6_S8_EES8_NS5_IlS8_EES8_PS6_.num_named_barrier, 0
	.set _ZN2at6native6sbtopk10gatherTopKIdjLin1ELb0EEEvNS_4cuda6detail10TensorInfoIKT_T0_EES8_S8_bS8_S8_NS5_IS6_S8_EES8_NS5_IlS8_EES8_PS6_.private_seg_size, 0
	.set _ZN2at6native6sbtopk10gatherTopKIdjLin1ELb0EEEvNS_4cuda6detail10TensorInfoIKT_T0_EES8_S8_bS8_S8_NS5_IS6_S8_EES8_NS5_IlS8_EES8_PS6_.uses_vcc, 1
	.set _ZN2at6native6sbtopk10gatherTopKIdjLin1ELb0EEEvNS_4cuda6detail10TensorInfoIKT_T0_EES8_S8_bS8_S8_NS5_IS6_S8_EES8_NS5_IlS8_EES8_PS6_.uses_flat_scratch, 0
	.set _ZN2at6native6sbtopk10gatherTopKIdjLin1ELb0EEEvNS_4cuda6detail10TensorInfoIKT_T0_EES8_S8_bS8_S8_NS5_IS6_S8_EES8_NS5_IlS8_EES8_PS6_.has_dyn_sized_stack, 0
	.set _ZN2at6native6sbtopk10gatherTopKIdjLin1ELb0EEEvNS_4cuda6detail10TensorInfoIKT_T0_EES8_S8_bS8_S8_NS5_IS6_S8_EES8_NS5_IlS8_EES8_PS6_.has_recursion, 0
	.set _ZN2at6native6sbtopk10gatherTopKIdjLin1ELb0EEEvNS_4cuda6detail10TensorInfoIKT_T0_EES8_S8_bS8_S8_NS5_IS6_S8_EES8_NS5_IlS8_EES8_PS6_.has_indirect_call, 0
	.section	.AMDGPU.csdata,"",@progbits
; Kernel info:
; codeLenInByte = 16548
; TotalNumSgprs: 104
; NumVgprs: 58
; ScratchSize: 0
; MemoryBound: 0
; FloatMode: 240
; IeeeMode: 1
; LDSByteSize: 4112 bytes/workgroup (compile time only)
; SGPRBlocks: 0
; VGPRBlocks: 3
; NumSGPRsForWavesPerEU: 104
; NumVGPRsForWavesPerEU: 58
; NamedBarCnt: 0
; Occupancy: 16
; WaveLimiterHint : 1
; COMPUTE_PGM_RSRC2:SCRATCH_EN: 0
; COMPUTE_PGM_RSRC2:USER_SGPR: 2
; COMPUTE_PGM_RSRC2:TRAP_HANDLER: 0
; COMPUTE_PGM_RSRC2:TGID_X_EN: 1
; COMPUTE_PGM_RSRC2:TGID_Y_EN: 1
; COMPUTE_PGM_RSRC2:TGID_Z_EN: 1
; COMPUTE_PGM_RSRC2:TIDIG_COMP_CNT: 0
	.section	.text._ZN2at6native6mbtopk23computeBlockDigitCountsIfjjLi1EEEvNS_4cuda6detail10TensorInfoIKT_T0_EEjPjjS8_iijT1_PSB_Ps,"axG",@progbits,_ZN2at6native6mbtopk23computeBlockDigitCountsIfjjLi1EEEvNS_4cuda6detail10TensorInfoIKT_T0_EEjPjjS8_iijT1_PSB_Ps,comdat
	.protected	_ZN2at6native6mbtopk23computeBlockDigitCountsIfjjLi1EEEvNS_4cuda6detail10TensorInfoIKT_T0_EEjPjjS8_iijT1_PSB_Ps ; -- Begin function _ZN2at6native6mbtopk23computeBlockDigitCountsIfjjLi1EEEvNS_4cuda6detail10TensorInfoIKT_T0_EEjPjjS8_iijT1_PSB_Ps
	.globl	_ZN2at6native6mbtopk23computeBlockDigitCountsIfjjLi1EEEvNS_4cuda6detail10TensorInfoIKT_T0_EEjPjjS8_iijT1_PSB_Ps
	.p2align	8
	.type	_ZN2at6native6mbtopk23computeBlockDigitCountsIfjjLi1EEEvNS_4cuda6detail10TensorInfoIKT_T0_EEjPjjS8_iijT1_PSB_Ps,@function
_ZN2at6native6mbtopk23computeBlockDigitCountsIfjjLi1EEEvNS_4cuda6detail10TensorInfoIKT_T0_EEjPjjS8_iijT1_PSB_Ps: ; @_ZN2at6native6mbtopk23computeBlockDigitCountsIfjjLi1EEEvNS_4cuda6detail10TensorInfoIKT_T0_EEjPjjS8_iijT1_PSB_Ps
; %bb.0:
	s_load_b64 s[2:3], s[0:1], 0xf8
	s_bfe_u32 s4, ttmp6, 0x40010
	s_and_b32 s6, ttmp7, 0xffff
	s_add_co_i32 s7, s4, 1
	s_bfe_u32 s8, ttmp6, 0x40004
	s_mul_i32 s7, s6, s7
	s_load_b64 s[4:5], s[0:1], 0x110
	s_add_co_i32 s7, s8, s7
	s_bfe_u32 s9, ttmp6, 0x4000c
	s_bfe_u32 s11, ttmp6, 0x40014
	s_add_co_i32 s9, s9, 1
	s_and_b32 s10, ttmp6, 15
	s_mul_i32 s9, ttmp9, s9
	s_add_co_i32 s11, s11, 1
	s_add_co_i32 s12, s10, s9
	s_bfe_u32 s10, ttmp6, 0x40008
	s_wait_kmcnt 0x0
	s_cvt_f32_u32 s8, s2
	s_delay_alu instid0(SALU_CYCLE_3) | instskip(SKIP_1) | instid1(SALU_CYCLE_1)
	v_rcp_iflag_f32_e32 v1, s8
	s_lshr_b32 s8, ttmp7, 16
	s_mul_i32 s9, s8, s11
	s_getreg_b32 s11, hwreg(HW_REG_IB_STS2, 6, 4)
	s_add_co_i32 s10, s10, s9
	s_cmp_eq_u32 s11, 0
	v_nop
	v_readfirstlane_b32 s13, v1
	s_cselect_b32 s14, s8, s10
	s_load_b128 s[8:11], s[0:1], 0xe8
	s_mul_i32 s5, s5, s14
	s_cselect_b32 s12, ttmp9, s12
	s_mul_f32 s13, s13, 0x4f7ffffe
	s_cselect_b32 s6, s6, s7
	s_sub_co_i32 s7, 0, s2
	s_add_co_i32 s5, s5, s6
	s_cvt_u32_f32 s13, s13
	s_mul_i32 s14, s5, s4
	s_delay_alu instid0(SALU_CYCLE_1) | instskip(NEXT) | instid1(SALU_CYCLE_1)
	s_add_co_i32 s14, s14, s12
	s_mul_i32 s7, s7, s13
	s_delay_alu instid0(SALU_CYCLE_1) | instskip(NEXT) | instid1(SALU_CYCLE_1)
	s_mul_hi_u32 s4, s13, s7
	s_add_co_i32 s13, s13, s4
	s_delay_alu instid0(SALU_CYCLE_1) | instskip(NEXT) | instid1(SALU_CYCLE_1)
	s_mul_hi_u32 s4, s14, s13
	s_mul_i32 s5, s4, s2
	s_add_co_i32 s6, s4, 1
	s_sub_co_i32 s5, s14, s5
	s_delay_alu instid0(SALU_CYCLE_1)
	s_sub_co_i32 s7, s5, s2
	s_cmp_ge_u32 s5, s2
	s_cselect_b32 s4, s6, s4
	s_cselect_b32 s5, s7, s5
	s_add_co_i32 s6, s4, 1
	s_cmp_ge_u32 s5, s2
	s_cselect_b32 s16, s6, s4
	s_wait_kmcnt 0x0
	s_cmp_ge_u32 s16, s8
	s_cbranch_scc1 .LBB79_27
; %bb.1:
	v_cmp_gt_u32_e32 vcc_lo, 0x100, v0
	v_lshlrev_b32_e32 v1, 2, v0
	s_and_saveexec_b32 s4, vcc_lo
; %bb.2:
	v_mov_b32_e32 v2, 0
	ds_store_b32 v1, v2
; %bb.3:
	s_or_b32 exec_lo, exec_lo, s4
	s_clause 0x1
	s_load_b32 s8, s[0:1], 0xd8
	s_load_b128 s[4:7], s[0:1], 0x100
	s_mul_i32 s12, s16, s2
	s_mov_b32 s13, 0
	s_sub_co_i32 s17, s14, s12
	s_wait_dscnt 0x0
	s_mul_i32 s12, s11, s17
	s_add_co_i32 s17, s17, 1
	s_lshl_b32 s15, s12, 8
	s_barrier_signal -1
	s_barrier_wait -1
	s_wait_kmcnt 0x0
	s_sub_co_i32 s12, s8, s15
	s_delay_alu instid0(SALU_CYCLE_1) | instskip(NEXT) | instid1(SALU_CYCLE_1)
	s_add_nc_u64 s[18:19], s[12:13], 0xff
	s_lshr_b64 s[18:19], s[18:19], 8
	s_cmp_lt_u32 s17, s2
	s_cselect_b32 s11, s11, s18
	s_delay_alu instid0(SALU_CYCLE_1)
	s_cmp_lt_i32 s11, 1
	s_cbranch_scc1 .LBB79_25
; %bb.4:
	s_clause 0x1
	s_load_b32 s12, s[0:1], 0x6c
	s_load_b64 s[18:19], s[0:1], 0x0
	s_load_b32 s2, s[4:5], s16 offset:0x0 scale_offset
	s_wait_xcnt 0x0
	s_and_b32 s1, s10, 0xff
	s_wait_kmcnt 0x0
	s_mul_i32 s12, s12, s16
	s_delay_alu instid0(SALU_CYCLE_1)
	s_lshl_b64 s[4:5], s[12:13], 2
	s_cmp_lt_u32 s11, 4
	s_add_nc_u64 s[4:5], s[18:19], s[4:5]
	s_cbranch_scc1 .LBB79_19
; %bb.5:
	v_dual_mov_b32 v7, 1 :: v_dual_add_nc_u32 v6, s15, v0
	s_and_b32 s13, s11, 0x7ffffffc
	s_lshl_b32 s10, s9, 10
	s_mov_b32 s12, 0
	s_delay_alu instid0(VALU_DEP_1)
	v_add_nc_u32_e32 v2, 0x300, v6
	v_add_nc_u32_e32 v4, 0x200, v6
	;; [unrolled: 1-line block ×3, first 2 shown]
	v_mul_lo_u32 v6, s9, v6
	s_mov_b32 s16, 0
	v_mul_lo_u32 v3, s9, v2
	v_mul_lo_u32 v4, s9, v4
	v_mul_lo_u32 v5, s9, v5
	s_branch .LBB79_7
.LBB79_6:                               ;   in Loop: Header=BB79_7 Depth=1
	s_or_b32 exec_lo, exec_lo, s17
	v_add_nc_u32_e32 v2, 0x400, v2
	s_add_co_i32 s16, s16, 4
	s_add_co_i32 s12, s12, s10
	s_cmp_eq_u32 s13, s16
	s_cbranch_scc1 .LBB79_19
.LBB79_7:                               ; =>This Inner Loop Header: Depth=1
	v_add_nc_u32_e32 v8, 0xfffffd00, v2
	s_mov_b32 s17, exec_lo
	s_delay_alu instid0(VALU_DEP_1)
	v_cmpx_gt_u32_e64 s8, v8
	s_cbranch_execz .LBB79_10
; %bb.8:                                ;   in Loop: Header=BB79_7 Depth=1
	v_add_nc_u32_e32 v8, s12, v6
	global_load_b32 v8, v8, s[4:5] scale_offset
	s_wait_loadcnt 0x0
	v_cmp_lt_i32_e64 s0, -1, v8
	s_delay_alu instid0(VALU_DEP_1) | instskip(SKIP_1) | instid1(VALU_DEP_2)
	v_cndmask_b32_e64 v9, -1, 0x80000000, s0
	v_cmp_o_f32_e64 s0, v8, v8
	v_xor_b32_e32 v9, v9, v8
	s_wait_xcnt 0x0
	s_delay_alu instid0(VALU_DEP_1) | instskip(NEXT) | instid1(VALU_DEP_1)
	v_cndmask_b32_e64 v8, -1, v9, s0
	v_bitop3_b32 v9, v8, s3, s2 bitop3:0x48
	s_delay_alu instid0(VALU_DEP_1)
	v_cmp_eq_u32_e64 s0, 0, v9
	s_and_b32 exec_lo, exec_lo, s0
; %bb.9:                                ;   in Loop: Header=BB79_7 Depth=1
	v_bfe_u32 v8, v8, s1, 8
	s_delay_alu instid0(VALU_DEP_1)
	v_lshlrev_b32_e32 v8, 2, v8
	ds_add_u32 v8, v7
.LBB79_10:                              ;   in Loop: Header=BB79_7 Depth=1
	s_or_b32 exec_lo, exec_lo, s17
	v_add_nc_u32_e32 v8, 0xfffffe00, v2
	s_mov_b32 s17, exec_lo
	s_delay_alu instid0(VALU_DEP_1)
	v_cmpx_gt_u32_e64 s8, v8
	s_cbranch_execz .LBB79_13
; %bb.11:                               ;   in Loop: Header=BB79_7 Depth=1
	v_add_nc_u32_e32 v8, s12, v5
	global_load_b32 v8, v8, s[4:5] scale_offset
	s_wait_loadcnt 0x0
	v_cmp_lt_i32_e64 s0, -1, v8
	s_delay_alu instid0(VALU_DEP_1) | instskip(SKIP_1) | instid1(VALU_DEP_2)
	v_cndmask_b32_e64 v9, -1, 0x80000000, s0
	v_cmp_o_f32_e64 s0, v8, v8
	v_xor_b32_e32 v9, v9, v8
	s_delay_alu instid0(VALU_DEP_1) | instskip(NEXT) | instid1(VALU_DEP_1)
	v_cndmask_b32_e64 v8, -1, v9, s0
	v_bitop3_b32 v9, v8, s3, s2 bitop3:0x48
	s_delay_alu instid0(VALU_DEP_1)
	v_cmp_eq_u32_e64 s0, 0, v9
	s_and_b32 exec_lo, exec_lo, s0
; %bb.12:                               ;   in Loop: Header=BB79_7 Depth=1
	v_bfe_u32 v8, v8, s1, 8
	s_delay_alu instid0(VALU_DEP_1)
	v_lshlrev_b32_e32 v8, 2, v8
	ds_add_u32 v8, v7
.LBB79_13:                              ;   in Loop: Header=BB79_7 Depth=1
	s_or_b32 exec_lo, exec_lo, s17
	v_add_nc_u32_e32 v8, 0xffffff00, v2
	s_mov_b32 s17, exec_lo
	s_delay_alu instid0(VALU_DEP_1)
	v_cmpx_gt_u32_e64 s8, v8
	s_cbranch_execz .LBB79_16
; %bb.14:                               ;   in Loop: Header=BB79_7 Depth=1
	v_add_nc_u32_e32 v8, s12, v4
	global_load_b32 v8, v8, s[4:5] scale_offset
	s_wait_loadcnt 0x0
	v_cmp_lt_i32_e64 s0, -1, v8
	s_delay_alu instid0(VALU_DEP_1) | instskip(SKIP_1) | instid1(VALU_DEP_2)
	v_cndmask_b32_e64 v9, -1, 0x80000000, s0
	v_cmp_o_f32_e64 s0, v8, v8
	v_xor_b32_e32 v9, v9, v8
	s_delay_alu instid0(VALU_DEP_1) | instskip(NEXT) | instid1(VALU_DEP_1)
	v_cndmask_b32_e64 v8, -1, v9, s0
	v_bitop3_b32 v9, v8, s3, s2 bitop3:0x48
	s_delay_alu instid0(VALU_DEP_1)
	v_cmp_eq_u32_e64 s0, 0, v9
	s_and_b32 exec_lo, exec_lo, s0
; %bb.15:                               ;   in Loop: Header=BB79_7 Depth=1
	v_bfe_u32 v8, v8, s1, 8
	s_delay_alu instid0(VALU_DEP_1)
	v_lshlrev_b32_e32 v8, 2, v8
	ds_add_u32 v8, v7
.LBB79_16:                              ;   in Loop: Header=BB79_7 Depth=1
	s_or_b32 exec_lo, exec_lo, s17
	s_delay_alu instid0(SALU_CYCLE_1)
	s_mov_b32 s17, exec_lo
	v_cmpx_gt_u32_e64 s8, v2
	s_cbranch_execz .LBB79_6
; %bb.17:                               ;   in Loop: Header=BB79_7 Depth=1
	v_add_nc_u32_e32 v8, s12, v3
	global_load_b32 v8, v8, s[4:5] scale_offset
	s_wait_loadcnt 0x0
	v_cmp_lt_i32_e64 s0, -1, v8
	s_delay_alu instid0(VALU_DEP_1) | instskip(SKIP_1) | instid1(VALU_DEP_2)
	v_cndmask_b32_e64 v9, -1, 0x80000000, s0
	v_cmp_o_f32_e64 s0, v8, v8
	v_xor_b32_e32 v9, v9, v8
	s_delay_alu instid0(VALU_DEP_1) | instskip(NEXT) | instid1(VALU_DEP_1)
	v_cndmask_b32_e64 v8, -1, v9, s0
	v_bitop3_b32 v9, v8, s3, s2 bitop3:0x48
	s_delay_alu instid0(VALU_DEP_1)
	v_cmp_eq_u32_e64 s0, 0, v9
	s_and_b32 exec_lo, exec_lo, s0
	s_cbranch_execz .LBB79_6
; %bb.18:                               ;   in Loop: Header=BB79_7 Depth=1
	v_bfe_u32 v8, v8, s1, 8
	s_delay_alu instid0(VALU_DEP_1)
	v_lshlrev_b32_e32 v8, 2, v8
	ds_add_u32 v8, v7
	s_branch .LBB79_6
.LBB79_19:
	s_and_b32 s10, s11, 3
	s_delay_alu instid0(SALU_CYCLE_1)
	s_cmp_eq_u32 s10, 0
	s_cbranch_scc1 .LBB79_25
; %bb.20:
	s_lshl_b32 s0, s13, 8
	v_mov_b32_e32 v4, 1
	v_add3_u32 v2, s0, s15, v0
	s_delay_alu instid0(VALU_DEP_1)
	v_mul_lo_u32 v3, s9, v2
	s_lshl_b32 s9, s9, 8
	s_branch .LBB79_22
.LBB79_21:                              ;   in Loop: Header=BB79_22 Depth=1
	s_or_b32 exec_lo, exec_lo, s11
	s_delay_alu instid0(VALU_DEP_2) | instskip(SKIP_2) | instid1(SALU_CYCLE_1)
	v_add_nc_u32_e32 v3, s9, v3
	v_add_nc_u32_e32 v2, 0x100, v2
	s_add_co_i32 s10, s10, -1
	s_cmp_lg_u32 s10, 0
	s_cbranch_scc0 .LBB79_25
.LBB79_22:                              ; =>This Inner Loop Header: Depth=1
	s_mov_b32 s11, exec_lo
	v_cmpx_gt_u32_e64 s8, v2
	s_cbranch_execz .LBB79_21
; %bb.23:                               ;   in Loop: Header=BB79_22 Depth=1
	global_load_b32 v5, v3, s[4:5] scale_offset
	s_wait_loadcnt 0x0
	v_cmp_lt_i32_e64 s0, -1, v5
	s_delay_alu instid0(VALU_DEP_1) | instskip(SKIP_1) | instid1(VALU_DEP_2)
	v_cndmask_b32_e64 v6, -1, 0x80000000, s0
	v_cmp_o_f32_e64 s0, v5, v5
	v_xor_b32_e32 v6, v6, v5
	s_delay_alu instid0(VALU_DEP_1) | instskip(NEXT) | instid1(VALU_DEP_1)
	v_cndmask_b32_e64 v5, -1, v6, s0
	v_bitop3_b32 v6, v5, s3, s2 bitop3:0x48
	s_delay_alu instid0(VALU_DEP_1)
	v_cmp_eq_u32_e64 s0, 0, v6
	s_and_b32 exec_lo, exec_lo, s0
	s_cbranch_execz .LBB79_21
; %bb.24:                               ;   in Loop: Header=BB79_22 Depth=1
	v_bfe_u32 v5, v5, s1, 8
	s_delay_alu instid0(VALU_DEP_1)
	v_lshlrev_b32_e32 v5, 2, v5
	ds_add_u32 v5, v4
	s_branch .LBB79_21
.LBB79_25:
	s_wait_dscnt 0x0
	s_barrier_signal -1
	s_barrier_wait -1
	s_and_saveexec_b32 s0, vcc_lo
	s_cbranch_execz .LBB79_27
; %bb.26:
	ds_load_b32 v1, v1
	v_lshl_or_b32 v0, s14, 8, v0
	s_wait_dscnt 0x0
	global_store_b16 v0, v1, s[6:7] scale_offset
.LBB79_27:
	s_endpgm
	.section	.rodata,"a",@progbits
	.p2align	6, 0x0
	.amdhsa_kernel _ZN2at6native6mbtopk23computeBlockDigitCountsIfjjLi1EEEvNS_4cuda6detail10TensorInfoIKT_T0_EEjPjjS8_iijT1_PSB_Ps
		.amdhsa_group_segment_fixed_size 1024
		.amdhsa_private_segment_fixed_size 0
		.amdhsa_kernarg_size 528
		.amdhsa_user_sgpr_count 2
		.amdhsa_user_sgpr_dispatch_ptr 0
		.amdhsa_user_sgpr_queue_ptr 0
		.amdhsa_user_sgpr_kernarg_segment_ptr 1
		.amdhsa_user_sgpr_dispatch_id 0
		.amdhsa_user_sgpr_kernarg_preload_length 0
		.amdhsa_user_sgpr_kernarg_preload_offset 0
		.amdhsa_user_sgpr_private_segment_size 0
		.amdhsa_wavefront_size32 1
		.amdhsa_uses_dynamic_stack 0
		.amdhsa_enable_private_segment 0
		.amdhsa_system_sgpr_workgroup_id_x 1
		.amdhsa_system_sgpr_workgroup_id_y 1
		.amdhsa_system_sgpr_workgroup_id_z 1
		.amdhsa_system_sgpr_workgroup_info 0
		.amdhsa_system_vgpr_workitem_id 0
		.amdhsa_next_free_vgpr 10
		.amdhsa_next_free_sgpr 20
		.amdhsa_named_barrier_count 0
		.amdhsa_reserve_vcc 1
		.amdhsa_float_round_mode_32 0
		.amdhsa_float_round_mode_16_64 0
		.amdhsa_float_denorm_mode_32 3
		.amdhsa_float_denorm_mode_16_64 3
		.amdhsa_fp16_overflow 0
		.amdhsa_memory_ordered 1
		.amdhsa_forward_progress 1
		.amdhsa_inst_pref_size 12
		.amdhsa_round_robin_scheduling 0
		.amdhsa_exception_fp_ieee_invalid_op 0
		.amdhsa_exception_fp_denorm_src 0
		.amdhsa_exception_fp_ieee_div_zero 0
		.amdhsa_exception_fp_ieee_overflow 0
		.amdhsa_exception_fp_ieee_underflow 0
		.amdhsa_exception_fp_ieee_inexact 0
		.amdhsa_exception_int_div_zero 0
	.end_amdhsa_kernel
	.section	.text._ZN2at6native6mbtopk23computeBlockDigitCountsIfjjLi1EEEvNS_4cuda6detail10TensorInfoIKT_T0_EEjPjjS8_iijT1_PSB_Ps,"axG",@progbits,_ZN2at6native6mbtopk23computeBlockDigitCountsIfjjLi1EEEvNS_4cuda6detail10TensorInfoIKT_T0_EEjPjjS8_iijT1_PSB_Ps,comdat
.Lfunc_end79:
	.size	_ZN2at6native6mbtopk23computeBlockDigitCountsIfjjLi1EEEvNS_4cuda6detail10TensorInfoIKT_T0_EEjPjjS8_iijT1_PSB_Ps, .Lfunc_end79-_ZN2at6native6mbtopk23computeBlockDigitCountsIfjjLi1EEEvNS_4cuda6detail10TensorInfoIKT_T0_EEjPjjS8_iijT1_PSB_Ps
                                        ; -- End function
	.set _ZN2at6native6mbtopk23computeBlockDigitCountsIfjjLi1EEEvNS_4cuda6detail10TensorInfoIKT_T0_EEjPjjS8_iijT1_PSB_Ps.num_vgpr, 10
	.set _ZN2at6native6mbtopk23computeBlockDigitCountsIfjjLi1EEEvNS_4cuda6detail10TensorInfoIKT_T0_EEjPjjS8_iijT1_PSB_Ps.num_agpr, 0
	.set _ZN2at6native6mbtopk23computeBlockDigitCountsIfjjLi1EEEvNS_4cuda6detail10TensorInfoIKT_T0_EEjPjjS8_iijT1_PSB_Ps.numbered_sgpr, 20
	.set _ZN2at6native6mbtopk23computeBlockDigitCountsIfjjLi1EEEvNS_4cuda6detail10TensorInfoIKT_T0_EEjPjjS8_iijT1_PSB_Ps.num_named_barrier, 0
	.set _ZN2at6native6mbtopk23computeBlockDigitCountsIfjjLi1EEEvNS_4cuda6detail10TensorInfoIKT_T0_EEjPjjS8_iijT1_PSB_Ps.private_seg_size, 0
	.set _ZN2at6native6mbtopk23computeBlockDigitCountsIfjjLi1EEEvNS_4cuda6detail10TensorInfoIKT_T0_EEjPjjS8_iijT1_PSB_Ps.uses_vcc, 1
	.set _ZN2at6native6mbtopk23computeBlockDigitCountsIfjjLi1EEEvNS_4cuda6detail10TensorInfoIKT_T0_EEjPjjS8_iijT1_PSB_Ps.uses_flat_scratch, 0
	.set _ZN2at6native6mbtopk23computeBlockDigitCountsIfjjLi1EEEvNS_4cuda6detail10TensorInfoIKT_T0_EEjPjjS8_iijT1_PSB_Ps.has_dyn_sized_stack, 0
	.set _ZN2at6native6mbtopk23computeBlockDigitCountsIfjjLi1EEEvNS_4cuda6detail10TensorInfoIKT_T0_EEjPjjS8_iijT1_PSB_Ps.has_recursion, 0
	.set _ZN2at6native6mbtopk23computeBlockDigitCountsIfjjLi1EEEvNS_4cuda6detail10TensorInfoIKT_T0_EEjPjjS8_iijT1_PSB_Ps.has_indirect_call, 0
	.section	.AMDGPU.csdata,"",@progbits
; Kernel info:
; codeLenInByte = 1464
; TotalNumSgprs: 22
; NumVgprs: 10
; ScratchSize: 0
; MemoryBound: 0
; FloatMode: 240
; IeeeMode: 1
; LDSByteSize: 1024 bytes/workgroup (compile time only)
; SGPRBlocks: 0
; VGPRBlocks: 0
; NumSGPRsForWavesPerEU: 22
; NumVGPRsForWavesPerEU: 10
; NamedBarCnt: 0
; Occupancy: 16
; WaveLimiterHint : 1
; COMPUTE_PGM_RSRC2:SCRATCH_EN: 0
; COMPUTE_PGM_RSRC2:USER_SGPR: 2
; COMPUTE_PGM_RSRC2:TRAP_HANDLER: 0
; COMPUTE_PGM_RSRC2:TGID_X_EN: 1
; COMPUTE_PGM_RSRC2:TGID_Y_EN: 1
; COMPUTE_PGM_RSRC2:TGID_Z_EN: 1
; COMPUTE_PGM_RSRC2:TIDIG_COMP_CNT: 0
	.section	.text._ZN2at6native6mbtopk29computeBlockwiseWithinKCountsIjfEEvPT_PsPjjibS6_PT0_S6_S4_S6_j,"axG",@progbits,_ZN2at6native6mbtopk29computeBlockwiseWithinKCountsIjfEEvPT_PsPjjibS6_PT0_S6_S4_S6_j,comdat
	.protected	_ZN2at6native6mbtopk29computeBlockwiseWithinKCountsIjfEEvPT_PsPjjibS6_PT0_S6_S4_S6_j ; -- Begin function _ZN2at6native6mbtopk29computeBlockwiseWithinKCountsIjfEEvPT_PsPjjibS6_PT0_S6_S4_S6_j
	.globl	_ZN2at6native6mbtopk29computeBlockwiseWithinKCountsIjfEEvPT_PsPjjibS6_PT0_S6_S4_S6_j
	.p2align	8
	.type	_ZN2at6native6mbtopk29computeBlockwiseWithinKCountsIjfEEvPT_PsPjjibS6_PT0_S6_S4_S6_j,@function
_ZN2at6native6mbtopk29computeBlockwiseWithinKCountsIjfEEvPT_PsPjjibS6_PT0_S6_S4_S6_j: ; @_ZN2at6native6mbtopk29computeBlockwiseWithinKCountsIjfEEvPT_PsPjjibS6_PT0_S6_S4_S6_j
; %bb.0:
	s_bfe_u32 s2, ttmp6, 0x40010
	s_and_b32 s4, ttmp7, 0xffff
	s_add_co_i32 s5, s2, 1
	s_clause 0x2
	s_load_b96 s[16:18], s[0:1], 0x18
	s_load_b32 s6, s[0:1], 0x50
	s_load_b64 s[2:3], s[0:1], 0x58
	s_bfe_u32 s8, ttmp6, 0x4000c
	s_mul_i32 s5, s4, s5
	s_bfe_u32 s7, ttmp6, 0x40004
	s_add_co_i32 s8, s8, 1
	s_bfe_u32 s9, ttmp6, 0x40014
	s_add_co_i32 s7, s7, s5
	s_and_b32 s5, ttmp6, 15
	s_mul_i32 s8, ttmp9, s8
	s_lshr_b32 s10, ttmp7, 16
	s_add_co_i32 s9, s9, 1
	s_add_co_i32 s5, s5, s8
	s_mul_i32 s8, s10, s9
	s_bfe_u32 s9, ttmp6, 0x40008
	s_getreg_b32 s11, hwreg(HW_REG_IB_STS2, 6, 4)
	s_add_co_i32 s9, s9, s8
	s_cmp_eq_u32 s11, 0
	s_mov_b32 s21, 0
	s_cselect_b32 s8, s10, s9
	s_wait_kmcnt 0x0
	s_cvt_f32_u32 s9, s16
	s_mul_i32 s3, s3, s8
	s_cselect_b32 s4, s4, s7
	s_cselect_b32 s5, ttmp9, s5
	v_rcp_iflag_f32_e32 v1, s9
	s_add_co_i32 s3, s3, s4
	s_delay_alu instid0(SALU_CYCLE_1) | instskip(NEXT) | instid1(SALU_CYCLE_1)
	s_mul_i32 s2, s3, s2
	s_add_co_i32 s20, s2, s5
	v_nop
	s_delay_alu instid0(TRANS32_DEP_1)
	v_readfirstlane_b32 s2, v1
	s_cmp_ge_u32 s20, s6
	s_cbranch_scc1 .LBB80_49
; %bb.1:
	s_mul_f32 s2, s2, 0x4f7ffffe
	s_delay_alu instid0(SALU_CYCLE_3) | instskip(SKIP_1) | instid1(SALU_CYCLE_2)
	s_cvt_u32_f32 s4, s2
	s_sub_co_i32 s2, 0, s16
	s_mul_i32 s2, s2, s4
	s_delay_alu instid0(SALU_CYCLE_1) | instskip(SKIP_3) | instid1(SALU_CYCLE_1)
	s_mul_hi_u32 s5, s4, s2
	s_load_b64 s[2:3], s[0:1], 0x10
	s_add_co_i32 s4, s4, s5
	s_mov_b32 s5, s21
	s_mul_u64 s[4:5], s[20:21], s[4:5]
	s_delay_alu instid0(SALU_CYCLE_1) | instskip(SKIP_2) | instid1(SALU_CYCLE_1)
	s_mul_i32 s4, s5, s16
	s_add_co_i32 s6, s5, 1
	s_sub_co_i32 s4, s20, s4
	s_sub_co_i32 s7, s4, s16
	s_cmp_ge_u32 s4, s16
	s_cselect_b32 s5, s6, s5
	s_cselect_b32 s4, s7, s4
	s_add_co_i32 s6, s5, 1
	s_cmp_ge_u32 s4, s16
	s_cselect_b32 s22, s6, s5
	s_load_b128 s[12:15], s[0:1], 0x0
	s_wait_kmcnt 0x0
	s_load_b32 s19, s[2:3], s22 offset:0x0 scale_offset
	s_wait_xcnt 0x0
	v_cmp_gt_u32_e64 s2, 0x100, v0
	s_and_saveexec_b32 s3, s2
	s_cbranch_execz .LBB80_17
; %bb.2:
	s_mul_i32 s4, s22, s16
	s_mov_b32 s5, 0
	s_lshl_b32 s4, s4, 8
	v_dual_mov_b32 v3, 0 :: v_dual_lshlrev_b32 v2, 1, v0
	s_lshl_b64 s[6:7], s[4:5], 1
	s_cmp_lt_u32 s16, 4
	s_add_nc_u64 s[6:7], s[14:15], s[6:7]
	s_delay_alu instid0(VALU_DEP_1) | instid1(SALU_CYCLE_1)
	v_add_nc_u64_e32 v[4:5], s[6:7], v[2:3]
	s_cbranch_scc1 .LBB80_10
; %bb.3:
	v_readfirstlane_b32 s5, v0
	v_mov_b32_e32 v3, 0
	s_add_co_i32 s4, s16, -4
	s_delay_alu instid0(SALU_CYCLE_1)
	s_cmp_lt_u32 s4, 4
	s_cbranch_scc1 .LBB80_7
; %bb.4:
	s_delay_alu instid0(VALU_DEP_1)
	v_add_nc_u64_e32 v[6:7], s[6:7], v[2:3]
	s_lshr_b32 s4, s4, 2
	s_mov_b32 s7, 0
	s_add_co_i32 s6, s4, 1
	v_mov_b32_e32 v1, v3
	s_and_b64 s[8:9], s[6:7], 0x7ffffffe
	s_delay_alu instid0(SALU_CYCLE_1)
	s_mov_b64 s[4:5], s[8:9]
	v_add_nc_u64_e32 v[6:7], 0x800, v[6:7]
.LBB80_5:                               ; =>This Inner Loop Header: Depth=1
	s_clause 0x7
	global_load_i16 v2, v[6:7], off offset:-2048
	global_load_i16 v8, v[6:7], off
	global_load_i16 v9, v[6:7], off offset:512
	global_load_i16 v10, v[6:7], off offset:-1536
	global_load_i16 v11, v[6:7], off offset:-1024
	global_load_i16 v12, v[6:7], off offset:1024
	global_load_i16 v13, v[6:7], off offset:1536
	global_load_i16 v14, v[6:7], off offset:-512
	s_wait_xcnt 0x0
	v_add_nc_u64_e32 v[6:7], 0x1000, v[6:7]
	s_add_nc_u64 s[4:5], s[4:5], -2
	s_delay_alu instid0(SALU_CYCLE_1)
	s_cmp_lg_u64 s[4:5], 0
	s_wait_loadcnt 0x5
	v_add3_u32 v1, v1, v8, v9
	s_wait_loadcnt 0x4
	v_add3_u32 v2, v3, v2, v10
	s_wait_loadcnt 0x1
	s_delay_alu instid0(VALU_DEP_2) | instskip(SKIP_1) | instid1(VALU_DEP_2)
	v_add3_u32 v1, v1, v12, v13
	s_wait_loadcnt 0x0
	v_add3_u32 v3, v2, v11, v14
	s_cbranch_scc1 .LBB80_5
; %bb.6:
	s_lshl_b64 s[4:5], s[8:9], 11
	s_delay_alu instid0(VALU_DEP_1)
	v_add_nc_u32_e32 v3, v3, v1
	v_add_nc_u64_e32 v[4:5], s[4:5], v[4:5]
	s_lshl_b32 s5, s8, 2
	s_cmp_lg_u64 s[8:9], s[6:7]
	s_mov_b32 s4, s5
	s_cselect_b32 s6, -1, 0
	s_delay_alu instid0(SALU_CYCLE_1)
	s_and_b32 vcc_lo, exec_lo, s6
	s_cbranch_vccnz .LBB80_8
	s_branch .LBB80_10
.LBB80_7:
	s_mov_b32 s4, 0
	s_cbranch_execz .LBB80_10
.LBB80_8:                               ; =>This Inner Loop Header: Depth=1
	s_clause 0x3
	global_load_i16 v1, v[4:5], off
	global_load_i16 v2, v[4:5], off offset:512
	global_load_i16 v6, v[4:5], off offset:1024
	;; [unrolled: 1-line block ×3, first 2 shown]
	s_wait_xcnt 0x0
	v_add_nc_u64_e32 v[4:5], 0x800, v[4:5]
	s_add_co_i32 s5, s4, 7
	s_add_co_i32 s4, s4, 4
	s_cmp_ge_u32 s5, s16
	s_wait_loadcnt 0x2
	v_add3_u32 v1, v3, v1, v2
	s_wait_loadcnt 0x0
	s_delay_alu instid0(VALU_DEP_1)
	v_add3_u32 v3, v1, v6, v7
	s_cbranch_scc0 .LBB80_8
; %bb.9:
	s_mov_b32 s5, s4
.LBB80_10:
	s_delay_alu instid0(SALU_CYCLE_1)
	s_cmp_ge_u32 s5, s16
	s_cbranch_scc1 .LBB80_16
; %bb.11:
	s_not_b32 s4, s5
	s_mov_b32 s7, 0
	s_add_co_i32 s6, s16, s4
	s_delay_alu instid0(SALU_CYCLE_1)
	s_cmp_eq_u32 s6, 0
	s_cbranch_scc1 .LBB80_50
; %bb.12:
	v_add_nc_u64_e32 v[6:7], 0x200, v[4:5]
	s_add_nc_u64 s[6:7], s[6:7], 1
	v_mov_b32_e32 v1, 0
	s_and_b64 s[8:9], s[6:7], 0x1fffffffe
	s_delay_alu instid0(SALU_CYCLE_1)
	s_mov_b64 s[10:11], s[8:9]
.LBB80_13:                              ; =>This Inner Loop Header: Depth=1
	s_clause 0x1
	global_load_i16 v2, v[6:7], off
	global_load_i16 v8, v[6:7], off offset:-512
	s_wait_xcnt 0x0
	v_add_nc_u64_e32 v[6:7], 0x400, v[6:7]
	s_add_nc_u64 s[10:11], s[10:11], -2
	s_delay_alu instid0(SALU_CYCLE_1)
	s_cmp_lg_u64 s[10:11], 0
	s_wait_loadcnt 0x0
	v_dual_add_nc_u32 v1, v1, v2 :: v_dual_add_nc_u32 v3, v3, v8
	s_cbranch_scc1 .LBB80_13
; %bb.14:
	s_lshl_b64 s[10:11], s[8:9], 9
	s_add_co_i32 s5, s5, s8
	v_add_nc_u64_e32 v[4:5], s[10:11], v[4:5]
	v_add_nc_u32_e32 v3, v3, v1
	s_cmp_lg_u64 s[6:7], s[8:9]
	s_cselect_b32 s4, -1, 0
	s_delay_alu instid0(SALU_CYCLE_1)
	s_and_b32 vcc_lo, exec_lo, s4
	s_cbranch_vccz .LBB80_16
.LBB80_15:                              ; =>This Inner Loop Header: Depth=1
	global_load_i16 v1, v[4:5], off
	s_wait_xcnt 0x0
	v_add_nc_u64_e32 v[4:5], 0x200, v[4:5]
	s_add_co_i32 s5, s5, 1
	s_delay_alu instid0(SALU_CYCLE_1)
	s_cmp_lt_u32 s5, s16
	s_wait_loadcnt 0x0
	v_add_nc_u32_e32 v3, v3, v1
	s_cbranch_scc1 .LBB80_15
.LBB80_16:
	v_lshlrev_b32_e32 v1, 2, v0
	ds_store_b32 v1, v3 offset:1056
.LBB80_17:
	s_or_b32 exec_lo, exec_lo, s3
	v_dual_mov_b32 v5, 0 :: v_dual_lshlrev_b32 v1, 2, v0
	s_mov_b32 s23, s21
	s_wait_dscnt 0x0
	s_barrier_signal -1
	s_barrier_wait -1
	s_and_saveexec_b32 s3, s2
; %bb.18:
	ds_load_b32 v5, v1 offset:1056
; %bb.19:
	s_or_b32 exec_lo, exec_lo, s3
	v_lshrrev_b32_e32 v3, 5, v0
	v_cmp_gt_u32_e64 s3, 32, v0
	v_mbcnt_lo_u32_b32 v2, -1, 0
	s_delay_alu instid0(VALU_DEP_3)
	v_lshl_add_u32 v4, v3, 2, v1
	s_wait_dscnt 0x0
	ds_store_b32 v4, v5
	s_wait_dscnt 0x0
	s_barrier_signal -1
	s_barrier_wait -1
	s_and_saveexec_b32 s4, s3
	s_cbranch_execz .LBB80_21
; %bb.20:
	v_and_b32_e32 v6, 0xfc, v0
	s_delay_alu instid0(VALU_DEP_1)
	v_lshl_add_u32 v14, v0, 5, v6
	ds_load_2addr_b32 v[6:7], v14 offset1:1
	ds_load_2addr_b32 v[8:9], v14 offset0:2 offset1:3
	ds_load_2addr_b32 v[10:11], v14 offset0:4 offset1:5
	ds_load_2addr_b32 v[12:13], v14 offset0:6 offset1:7
	; wave barrier
	s_wait_dscnt 0x3
	v_add_nc_u32_e32 v7, v7, v6
	s_wait_dscnt 0x2
	s_delay_alu instid0(VALU_DEP_1) | instskip(SKIP_1) | instid1(VALU_DEP_1)
	v_add3_u32 v7, v7, v8, v9
	s_wait_dscnt 0x1
	v_add3_u32 v7, v7, v10, v11
	v_bfe_i32 v10, v2, 4, 1
	s_wait_dscnt 0x0
	s_delay_alu instid0(VALU_DEP_2) | instskip(SKIP_1) | instid1(VALU_DEP_2)
	v_add3_u32 v7, v7, v12, v13
	v_and_b32_e32 v8, 15, v2
	v_mov_b32_dpp v9, v7 row_shr:1 row_mask:0xf bank_mask:0xf
	s_delay_alu instid0(VALU_DEP_2) | instskip(NEXT) | instid1(VALU_DEP_2)
	v_cmp_ne_u32_e32 vcc_lo, 0, v8
	v_cndmask_b32_e32 v9, 0, v9, vcc_lo
	s_delay_alu instid0(VALU_DEP_1) | instskip(SKIP_1) | instid1(VALU_DEP_2)
	v_add_nc_u32_e32 v7, v9, v7
	v_cmp_lt_u32_e32 vcc_lo, 1, v8
	v_mov_b32_dpp v9, v7 row_shr:2 row_mask:0xf bank_mask:0xf
	s_delay_alu instid0(VALU_DEP_1) | instskip(SKIP_1) | instid1(VALU_DEP_2)
	v_cndmask_b32_e32 v9, 0, v9, vcc_lo
	v_cmp_lt_u32_e32 vcc_lo, 3, v8
	v_add_nc_u32_e32 v7, v7, v9
	s_delay_alu instid0(VALU_DEP_1) | instskip(NEXT) | instid1(VALU_DEP_1)
	v_mov_b32_dpp v9, v7 row_shr:4 row_mask:0xf bank_mask:0xf
	v_cndmask_b32_e32 v9, 0, v9, vcc_lo
	v_cmp_lt_u32_e32 vcc_lo, 7, v8
	s_delay_alu instid0(VALU_DEP_2) | instskip(NEXT) | instid1(VALU_DEP_1)
	v_add_nc_u32_e32 v7, v7, v9
	v_mov_b32_dpp v9, v7 row_shr:8 row_mask:0xf bank_mask:0xf
	s_delay_alu instid0(VALU_DEP_1) | instskip(NEXT) | instid1(VALU_DEP_1)
	v_cndmask_b32_e32 v8, 0, v9, vcc_lo
	v_add_nc_u32_e32 v7, v7, v8
	ds_swizzle_b32 v8, v7 offset:swizzle(BROADCAST,32,15)
	s_wait_dscnt 0x0
	v_dual_add_nc_u32 v9, -1, v2 :: v_dual_bitop2_b32 v8, v10, v8 bitop3:0x40
	s_delay_alu instid0(VALU_DEP_1) | instskip(NEXT) | instid1(VALU_DEP_2)
	v_cmp_gt_i32_e32 vcc_lo, 0, v9
	v_dual_add_nc_u32 v7, v7, v8 :: v_dual_cndmask_b32 v9, v9, v2, vcc_lo
	v_cmp_eq_u32_e32 vcc_lo, 0, v0
	s_delay_alu instid0(VALU_DEP_2) | instskip(SKIP_3) | instid1(VALU_DEP_1)
	v_lshlrev_b32_e32 v9, 2, v9
	ds_bpermute_b32 v7, v9, v7
	s_wait_dscnt 0x0
	v_add_nc_u32_e32 v6, v7, v6
	v_cndmask_b32_e32 v5, v6, v5, vcc_lo
	ds_store_b32 v14, v5
	; wave barrier
	ds_load_2addr_b32 v[6:7], v14 offset0:1 offset1:2
	ds_load_2addr_b32 v[8:9], v14 offset0:3 offset1:4
	;; [unrolled: 1-line block ×3, first 2 shown]
	ds_load_b32 v12, v14 offset:28
	s_wait_dscnt 0x3
	v_add_nc_u32_e32 v5, v6, v5
	s_delay_alu instid0(VALU_DEP_1) | instskip(SKIP_1) | instid1(VALU_DEP_1)
	v_add_nc_u32_e32 v6, v7, v5
	s_wait_dscnt 0x2
	v_add_nc_u32_e32 v7, v8, v6
	s_delay_alu instid0(VALU_DEP_1) | instskip(SKIP_1) | instid1(VALU_DEP_1)
	v_add_nc_u32_e32 v8, v9, v7
	;; [unrolled: 4-line block ×3, first 2 shown]
	s_wait_dscnt 0x0
	v_add_nc_u32_e32 v11, v12, v10
	ds_store_2addr_b32 v14, v5, v6 offset0:1 offset1:2
	ds_store_2addr_b32 v14, v7, v8 offset0:3 offset1:4
	;; [unrolled: 1-line block ×3, first 2 shown]
	ds_store_b32 v14, v11 offset:28
.LBB80_21:
	s_or_b32 exec_lo, exec_lo, s4
	s_wait_dscnt 0x0
	s_barrier_signal -1
	s_barrier_wait -1
	ds_load_b32 v5, v4
	s_wait_dscnt 0x0
	s_barrier_signal -1
	s_barrier_wait -1
	s_and_saveexec_b32 s4, s2
; %bb.22:
	ds_store_b32 v1, v5 offset:1056
; %bb.23:
	s_or_b32 exec_lo, exec_lo, s4
	s_clause 0x1
	s_load_b256 s[4:11], s[0:1], 0x28
	s_load_b64 s[24:25], s[0:1], 0x48
	s_wait_dscnt 0x0
	s_barrier_signal -1
	s_barrier_wait -1
	s_and_saveexec_b32 s26, s2
	s_cbranch_execz .LBB80_32
; %bb.24:
	v_mov_b32_e32 v4, 0
	s_wait_xcnt 0x0
	s_mov_b32 s0, exec_lo
	v_cmpx_ne_u32_e32 0, v0
; %bb.25:
	ds_load_b32 v4, v1 offset:1052
; %bb.26:
	s_or_b32 exec_lo, exec_lo, s0
	s_wait_dscnt 0x0
	s_wait_kmcnt 0x0
	v_cmp_gt_u32_e32 vcc_lo, s19, v4
	v_cmp_le_u32_e64 s0, s19, v5
	s_and_b32 s0, vcc_lo, s0
	s_delay_alu instid0(SALU_CYCLE_1)
	s_and_b32 exec_lo, exec_lo, s0
	s_cbranch_execz .LBB80_32
; %bb.27:
	v_dual_mov_b32 v6, 0 :: v_dual_lshlrev_b32 v7, s17, v0
	s_lshl_b64 s[0:1], s[22:23], 2
	s_lshl_b32 s2, 0xff, s17
	s_add_nc_u64 s[12:13], s[12:13], s[0:1]
	global_load_b32 v5, v6, s[12:13]
	s_wait_loadcnt 0x0
	v_bitop3_b32 v5, v5, v7, s2 bitop3:0xdc
	s_mul_i32 s2, s22, s16
	s_delay_alu instid0(SALU_CYCLE_1)
	s_cmp_lg_u32 s20, s2
	ds_store_b32 v6, v5 offset:2112
	s_cbranch_scc1 .LBB80_32
; %bb.28:
	s_add_nc_u64 s[10:11], s[10:11], s[0:1]
	s_cmp_lt_i32 s17, 1
	s_mov_b32 s2, -1
	global_store_b32 v6, v5, s[10:11]
	s_cbranch_scc0 .LBB80_30
; %bb.29:
	v_cmp_lt_i32_e32 vcc_lo, -1, v5
	s_add_nc_u64 s[6:7], s[6:7], s[0:1]
	s_mov_b32 s2, 0
	s_wait_xcnt 0x0
	v_cndmask_b32_e64 v6, 0x80000000, -1, vcc_lo
	s_delay_alu instid0(VALU_DEP_1)
	v_dual_mov_b32 v6, 0 :: v_dual_bitop2_b32 v5, v6, v5 bitop3:0x14
	global_store_b32 v6, v5, s[6:7]
.LBB80_30:
	s_and_not1_b32 vcc_lo, exec_lo, s2
	s_cbranch_vccnz .LBB80_32
; %bb.31:
	s_wait_xcnt 0x0
	v_dual_mov_b32 v5, 0 :: v_dual_sub_nc_u32 v4, s19, v4
	s_add_nc_u64 s[0:1], s[8:9], s[0:1]
	global_store_b32 v5, v4, s[0:1]
.LBB80_32:
	s_wait_xcnt 0x0
	s_or_b32 exec_lo, exec_lo, s26
	v_mov_b32_e32 v4, 0
	s_wait_storecnt_dscnt 0x0
	s_barrier_signal -1
	s_barrier_wait -1
	ds_load_b32 v4, v4 offset:2112
	s_bitcmp0_b32 s18, 0
	s_mov_b32 s0, 0
	s_wait_dscnt 0x0
	v_lshrrev_b32_e32 v4, s17, v4
	s_delay_alu instid0(VALU_DEP_1)
	v_and_b32_e32 v4, 0xff, v4
	s_cbranch_scc0 .LBB80_34
; %bb.33:
	v_and_b32_e32 v5, 0xe0, v0
	s_delay_alu instid0(VALU_DEP_2) | instskip(NEXT) | instid1(VALU_DEP_2)
	v_cmp_lt_u32_e64 s1, v0, v4
	v_cmp_lt_u32_e64 s2, v5, v4
	s_and_not1_b32 vcc_lo, exec_lo, s0
	s_cbranch_vccz .LBB80_35
	s_branch .LBB80_36
.LBB80_34:
                                        ; implicit-def: $sgpr1
                                        ; implicit-def: $sgpr2
.LBB80_35:
	v_or_b32_e32 v5, 31, v0
	s_delay_alu instid0(VALU_DEP_2) | instskip(SKIP_2) | instid1(VALU_DEP_2)
	v_cmp_gt_u32_e32 vcc_lo, v0, v4
	s_and_not1_b32 s1, s1, exec_lo
	s_and_not1_b32 s2, s2, exec_lo
	v_cmp_gt_u32_e64 s0, v5, v4
	s_wait_kmcnt 0x0
	s_and_b32 s6, vcc_lo, exec_lo
	s_delay_alu instid0(SALU_CYCLE_1) | instskip(SKIP_1) | instid1(SALU_CYCLE_1)
	s_or_b32 s1, s1, s6
	s_and_b32 s0, s0, exec_lo
	s_or_b32 s2, s2, s0
.LBB80_36:
	v_mov_b32_e32 v4, 0
	s_and_saveexec_b32 s0, s2
	s_cbranch_execz .LBB80_40
; %bb.37:
	v_mov_b32_e32 v4, 0
	s_and_saveexec_b32 s2, s1
	s_cbranch_execz .LBB80_39
; %bb.38:
	s_wait_kmcnt 0x0
	s_lshl_b32 s6, s20, 8
	s_mov_b32 s7, 0
	s_delay_alu instid0(SALU_CYCLE_1) | instskip(NEXT) | instid1(SALU_CYCLE_1)
	s_lshl_b64 s[6:7], s[6:7], 1
	s_add_nc_u64 s[6:7], s[14:15], s[6:7]
	global_load_i16 v4, v0, s[6:7] scale_offset
.LBB80_39:
	s_wait_xcnt 0x0
	s_or_b32 exec_lo, exec_lo, s2
	v_lshl_or_b32 v5, v2, 2, 64
	v_cmp_gt_u32_e32 vcc_lo, 24, v2
	s_wait_loadcnt 0x0
	ds_bpermute_b32 v5, v5, v4
	v_cndmask_b32_e64 v6, 0, 8, vcc_lo
	v_cmp_gt_u32_e32 vcc_lo, 28, v2
	s_delay_alu instid0(VALU_DEP_2)
	v_add_lshl_u32 v6, v6, v2, 2
	s_wait_dscnt 0x0
	v_add_nc_u32_e32 v4, v5, v4
	ds_bpermute_b32 v5, v6, v4
	v_cndmask_b32_e64 v6, 0, 4, vcc_lo
	v_cmp_gt_u32_e32 vcc_lo, 30, v2
	s_delay_alu instid0(VALU_DEP_2)
	v_add_lshl_u32 v6, v6, v2, 2
	s_wait_dscnt 0x0
	v_add_nc_u32_e32 v4, v5, v4
	ds_bpermute_b32 v5, v6, v4
	v_cndmask_b32_e64 v6, 0, 2, vcc_lo
	v_cmp_ne_u32_e32 vcc_lo, 31, v2
	s_delay_alu instid0(VALU_DEP_2)
	v_add_lshl_u32 v6, v6, v2, 2
	s_wait_dscnt 0x0
	v_add_nc_u32_e32 v4, v5, v4
	ds_bpermute_b32 v5, v6, v4
	v_add_co_ci_u32_e64 v6, null, 0, v2, vcc_lo
	s_wait_dscnt 0x0
	s_delay_alu instid0(VALU_DEP_1)
	v_dual_add_nc_u32 v4, v5, v4 :: v_dual_lshlrev_b32 v5, 2, v6
	ds_bpermute_b32 v5, v5, v4
	s_wait_dscnt 0x0
	v_add_nc_u32_e32 v4, v5, v4
.LBB80_40:
	s_or_b32 exec_lo, exec_lo, s0
	v_and_b32_e32 v5, 31, v0
	s_mov_b32 s0, exec_lo
	s_delay_alu instid0(VALU_DEP_1)
	v_cmpx_eq_u32_e32 0, v5
; %bb.41:
	v_lshlrev_b32_e32 v3, 2, v3
	ds_store_b32 v3, v4 offset:2080
; %bb.42:
	s_or_b32 exec_lo, exec_lo, s0
	s_wait_dscnt 0x0
	s_barrier_signal -1
	s_barrier_wait -1
	s_and_saveexec_b32 s0, s3
	s_cbranch_execz .LBB80_49
; %bb.43:
	v_mov_b32_e32 v3, 0
	s_mov_b32 s0, exec_lo
	v_cmpx_gt_u32_e32 8, v0
; %bb.44:
	ds_load_b32 v3, v1 offset:2080
; %bb.45:
	s_or_b32 exec_lo, exec_lo, s0
	v_cmp_gt_u32_e32 vcc_lo, 28, v2
	s_mov_b32 s0, exec_lo
	v_cndmask_b32_e64 v1, 0, 4, vcc_lo
	v_cmp_gt_u32_e32 vcc_lo, 30, v2
	s_delay_alu instid0(VALU_DEP_2)
	v_add_lshl_u32 v1, v1, v2, 2
	v_cndmask_b32_e64 v4, 0, 2, vcc_lo
	v_cmp_ne_u32_e32 vcc_lo, 31, v2
	s_wait_dscnt 0x0
	ds_bpermute_b32 v1, v1, v3
	v_add_lshl_u32 v4, v4, v2, 2
	v_add_co_ci_u32_e64 v2, null, 0, v2, vcc_lo
	s_wait_dscnt 0x0
	s_delay_alu instid0(VALU_DEP_1)
	v_dual_lshlrev_b32 v2, 2, v2 :: v_dual_add_nc_u32 v1, v1, v3
	ds_bpermute_b32 v3, v4, v1
	s_wait_dscnt 0x0
	v_add_nc_u32_e32 v1, v3, v1
	ds_bpermute_b32 v2, v2, v1
	v_cmpx_eq_u32_e32 0, v0
	s_cbranch_execz .LBB80_47
; %bb.46:
	v_mov_b32_e32 v3, 0
	s_lshl_b64 s[2:3], s[20:21], 2
	s_wait_kmcnt 0x0
	s_add_nc_u64 s[2:3], s[4:5], s[2:3]
	global_load_b32 v4, v3, s[2:3]
	s_wait_loadcnt_dscnt 0x0
	v_add3_u32 v1, v2, v1, v4
	global_store_b32 v3, v1, s[2:3]
.LBB80_47:
	s_wait_xcnt 0x0
	s_or_b32 exec_lo, exec_lo, s0
	v_or_b32_e32 v0, s17, v0
	s_delay_alu instid0(VALU_DEP_1)
	v_cmp_eq_u32_e32 vcc_lo, 0, v0
	s_and_b32 exec_lo, exec_lo, vcc_lo
	s_cbranch_execz .LBB80_49
; %bb.48:
	v_mov_b32_e32 v0, 0
	s_lshl_b32 s0, s20, 8
	s_mov_b32 s1, 0
	s_delay_alu instid0(SALU_CYCLE_1)
	s_lshl_b64 s[0:1], s[0:1], 1
	ds_load_b32 v1, v0 offset:2112
	s_add_nc_u64 s[0:1], s[14:15], s[0:1]
	s_wait_dscnt 0x0
	v_and_b32_e32 v1, 0xff, v1
	global_load_i16 v1, v1, s[0:1] scale_offset
	s_wait_xcnt 0x0
	s_lshl_b64 s[0:1], s[20:21], 2
	s_wait_kmcnt 0x0
	s_add_nc_u64 s[0:1], s[24:25], s[0:1]
	s_wait_loadcnt 0x0
	global_store_b32 v0, v1, s[0:1]
.LBB80_49:
	s_endpgm
.LBB80_50:
	s_cbranch_execnz .LBB80_15
	s_branch .LBB80_16
	.section	.rodata,"a",@progbits
	.p2align	6, 0x0
	.amdhsa_kernel _ZN2at6native6mbtopk29computeBlockwiseWithinKCountsIjfEEvPT_PsPjjibS6_PT0_S6_S4_S6_j
		.amdhsa_group_segment_fixed_size 2116
		.amdhsa_private_segment_fixed_size 0
		.amdhsa_kernarg_size 344
		.amdhsa_user_sgpr_count 2
		.amdhsa_user_sgpr_dispatch_ptr 0
		.amdhsa_user_sgpr_queue_ptr 0
		.amdhsa_user_sgpr_kernarg_segment_ptr 1
		.amdhsa_user_sgpr_dispatch_id 0
		.amdhsa_user_sgpr_kernarg_preload_length 0
		.amdhsa_user_sgpr_kernarg_preload_offset 0
		.amdhsa_user_sgpr_private_segment_size 0
		.amdhsa_wavefront_size32 1
		.amdhsa_uses_dynamic_stack 0
		.amdhsa_enable_private_segment 0
		.amdhsa_system_sgpr_workgroup_id_x 1
		.amdhsa_system_sgpr_workgroup_id_y 1
		.amdhsa_system_sgpr_workgroup_id_z 1
		.amdhsa_system_sgpr_workgroup_info 0
		.amdhsa_system_vgpr_workitem_id 0
		.amdhsa_next_free_vgpr 15
		.amdhsa_next_free_sgpr 27
		.amdhsa_named_barrier_count 0
		.amdhsa_reserve_vcc 1
		.amdhsa_float_round_mode_32 0
		.amdhsa_float_round_mode_16_64 0
		.amdhsa_float_denorm_mode_32 3
		.amdhsa_float_denorm_mode_16_64 3
		.amdhsa_fp16_overflow 0
		.amdhsa_memory_ordered 1
		.amdhsa_forward_progress 1
		.amdhsa_inst_pref_size 22
		.amdhsa_round_robin_scheduling 0
		.amdhsa_exception_fp_ieee_invalid_op 0
		.amdhsa_exception_fp_denorm_src 0
		.amdhsa_exception_fp_ieee_div_zero 0
		.amdhsa_exception_fp_ieee_overflow 0
		.amdhsa_exception_fp_ieee_underflow 0
		.amdhsa_exception_fp_ieee_inexact 0
		.amdhsa_exception_int_div_zero 0
	.end_amdhsa_kernel
	.section	.text._ZN2at6native6mbtopk29computeBlockwiseWithinKCountsIjfEEvPT_PsPjjibS6_PT0_S6_S4_S6_j,"axG",@progbits,_ZN2at6native6mbtopk29computeBlockwiseWithinKCountsIjfEEvPT_PsPjjibS6_PT0_S6_S4_S6_j,comdat
.Lfunc_end80:
	.size	_ZN2at6native6mbtopk29computeBlockwiseWithinKCountsIjfEEvPT_PsPjjibS6_PT0_S6_S4_S6_j, .Lfunc_end80-_ZN2at6native6mbtopk29computeBlockwiseWithinKCountsIjfEEvPT_PsPjjibS6_PT0_S6_S4_S6_j
                                        ; -- End function
	.set _ZN2at6native6mbtopk29computeBlockwiseWithinKCountsIjfEEvPT_PsPjjibS6_PT0_S6_S4_S6_j.num_vgpr, 15
	.set _ZN2at6native6mbtopk29computeBlockwiseWithinKCountsIjfEEvPT_PsPjjibS6_PT0_S6_S4_S6_j.num_agpr, 0
	.set _ZN2at6native6mbtopk29computeBlockwiseWithinKCountsIjfEEvPT_PsPjjibS6_PT0_S6_S4_S6_j.numbered_sgpr, 27
	.set _ZN2at6native6mbtopk29computeBlockwiseWithinKCountsIjfEEvPT_PsPjjibS6_PT0_S6_S4_S6_j.num_named_barrier, 0
	.set _ZN2at6native6mbtopk29computeBlockwiseWithinKCountsIjfEEvPT_PsPjjibS6_PT0_S6_S4_S6_j.private_seg_size, 0
	.set _ZN2at6native6mbtopk29computeBlockwiseWithinKCountsIjfEEvPT_PsPjjibS6_PT0_S6_S4_S6_j.uses_vcc, 1
	.set _ZN2at6native6mbtopk29computeBlockwiseWithinKCountsIjfEEvPT_PsPjjibS6_PT0_S6_S4_S6_j.uses_flat_scratch, 0
	.set _ZN2at6native6mbtopk29computeBlockwiseWithinKCountsIjfEEvPT_PsPjjibS6_PT0_S6_S4_S6_j.has_dyn_sized_stack, 0
	.set _ZN2at6native6mbtopk29computeBlockwiseWithinKCountsIjfEEvPT_PsPjjibS6_PT0_S6_S4_S6_j.has_recursion, 0
	.set _ZN2at6native6mbtopk29computeBlockwiseWithinKCountsIjfEEvPT_PsPjjibS6_PT0_S6_S4_S6_j.has_indirect_call, 0
	.section	.AMDGPU.csdata,"",@progbits
; Kernel info:
; codeLenInByte = 2720
; TotalNumSgprs: 29
; NumVgprs: 15
; ScratchSize: 0
; MemoryBound: 0
; FloatMode: 240
; IeeeMode: 1
; LDSByteSize: 2116 bytes/workgroup (compile time only)
; SGPRBlocks: 0
; VGPRBlocks: 0
; NumSGPRsForWavesPerEU: 29
; NumVGPRsForWavesPerEU: 15
; NamedBarCnt: 0
; Occupancy: 16
; WaveLimiterHint : 1
; COMPUTE_PGM_RSRC2:SCRATCH_EN: 0
; COMPUTE_PGM_RSRC2:USER_SGPR: 2
; COMPUTE_PGM_RSRC2:TRAP_HANDLER: 0
; COMPUTE_PGM_RSRC2:TGID_X_EN: 1
; COMPUTE_PGM_RSRC2:TGID_Y_EN: 1
; COMPUTE_PGM_RSRC2:TGID_Z_EN: 1
; COMPUTE_PGM_RSRC2:TIDIG_COMP_CNT: 0
	.section	.text._ZN2at6native6mbtopk10gatherTopKIfjLi1EEEvNS_4cuda6detail10TensorInfoIKT_T0_EES8_S8_bjS8_NS5_IS6_S8_EES8_NS5_IlS8_EES8_jjPS6_PjSD_j,"axG",@progbits,_ZN2at6native6mbtopk10gatherTopKIfjLi1EEEvNS_4cuda6detail10TensorInfoIKT_T0_EES8_S8_bjS8_NS5_IS6_S8_EES8_NS5_IlS8_EES8_jjPS6_PjSD_j,comdat
	.protected	_ZN2at6native6mbtopk10gatherTopKIfjLi1EEEvNS_4cuda6detail10TensorInfoIKT_T0_EES8_S8_bjS8_NS5_IS6_S8_EES8_NS5_IlS8_EES8_jjPS6_PjSD_j ; -- Begin function _ZN2at6native6mbtopk10gatherTopKIfjLi1EEEvNS_4cuda6detail10TensorInfoIKT_T0_EES8_S8_bjS8_NS5_IS6_S8_EES8_NS5_IlS8_EES8_jjPS6_PjSD_j
	.globl	_ZN2at6native6mbtopk10gatherTopKIfjLi1EEEvNS_4cuda6detail10TensorInfoIKT_T0_EES8_S8_bjS8_NS5_IS6_S8_EES8_NS5_IlS8_EES8_jjPS6_PjSD_j
	.p2align	8
	.type	_ZN2at6native6mbtopk10gatherTopKIfjLi1EEEvNS_4cuda6detail10TensorInfoIKT_T0_EES8_S8_bjS8_NS5_IS6_S8_EES8_NS5_IlS8_EES8_jjPS6_PjSD_j,@function
_ZN2at6native6mbtopk10gatherTopKIfjLi1EEEvNS_4cuda6detail10TensorInfoIKT_T0_EES8_S8_bjS8_NS5_IS6_S8_EES8_NS5_IlS8_EES8_jjPS6_PjSD_j: ; @_ZN2at6native6mbtopk10gatherTopKIfjLi1EEEvNS_4cuda6detail10TensorInfoIKT_T0_EES8_S8_bjS8_NS5_IS6_S8_EES8_NS5_IlS8_EES8_jjPS6_PjSD_j
; %bb.0:
	s_bfe_u32 s2, ttmp6, 0x40010
	s_and_b32 s4, ttmp7, 0xffff
	s_add_co_i32 s5, s2, 1
	s_clause 0x1
	s_load_b32 s6, s[0:1], 0x2d0
	s_load_b64 s[2:3], s[0:1], 0x2d8
	s_bfe_u32 s8, ttmp6, 0x4000c
	s_mul_i32 s5, s4, s5
	s_bfe_u32 s7, ttmp6, 0x40004
	s_add_co_i32 s8, s8, 1
	s_bfe_u32 s9, ttmp6, 0x40014
	s_add_co_i32 s7, s7, s5
	s_and_b32 s5, ttmp6, 15
	s_mul_i32 s8, ttmp9, s8
	s_lshr_b32 s10, ttmp7, 16
	s_add_co_i32 s9, s9, 1
	s_add_co_i32 s5, s5, s8
	s_mul_i32 s8, s10, s9
	s_bfe_u32 s9, ttmp6, 0x40008
	s_getreg_b32 s11, hwreg(HW_REG_IB_STS2, 6, 4)
	s_add_co_i32 s9, s9, s8
	s_cmp_eq_u32 s11, 0
	s_cselect_b32 s8, s10, s9
	s_cselect_b32 s4, s4, s7
	s_wait_kmcnt 0x0
	s_mul_i32 s3, s3, s8
	s_cselect_b32 s5, ttmp9, s5
	s_add_co_i32 s3, s3, s4
	s_delay_alu instid0(SALU_CYCLE_1) | instskip(NEXT) | instid1(SALU_CYCLE_1)
	s_mul_i32 s8, s3, s2
	s_add_co_i32 s8, s8, s5
	s_delay_alu instid0(SALU_CYCLE_1)
	s_cmp_ge_u32 s8, s6
	s_cbranch_scc1 .LBB81_40
; %bb.1:
	s_clause 0x1
	s_load_b96 s[12:14], s[0:1], 0x2a8
	s_load_b128 s[4:7], s[0:1], 0x2b8
	s_wait_kmcnt 0x0
	s_cvt_f32_u32 s2, s14
	s_sub_co_i32 s3, 0, s14
	s_delay_alu instid0(SALU_CYCLE_2) | instskip(SKIP_1) | instid1(TRANS32_DEP_1)
	v_rcp_iflag_f32_e32 v1, s2
	v_nop
	v_readfirstlane_b32 s2, v1
	s_mul_f32 s2, s2, 0x4f7ffffe
	s_delay_alu instid0(SALU_CYCLE_3) | instskip(NEXT) | instid1(SALU_CYCLE_3)
	s_cvt_u32_f32 s2, s2
	s_mul_i32 s3, s3, s2
	s_delay_alu instid0(SALU_CYCLE_1) | instskip(NEXT) | instid1(SALU_CYCLE_1)
	s_mul_hi_u32 s3, s2, s3
	s_add_co_i32 s2, s2, s3
	s_delay_alu instid0(SALU_CYCLE_1) | instskip(NEXT) | instid1(SALU_CYCLE_1)
	s_mul_hi_u32 s2, s8, s2
	s_mul_i32 s3, s2, s14
	s_add_co_i32 s9, s2, 1
	s_sub_co_i32 s3, s8, s3
	s_delay_alu instid0(SALU_CYCLE_1)
	s_sub_co_i32 s10, s3, s14
	s_cmp_ge_u32 s3, s14
	s_cselect_b32 s2, s9, s2
	s_cselect_b32 s3, s10, s3
	s_add_co_i32 s9, s2, 1
	s_cmp_ge_u32 s3, s14
	v_cmp_eq_u32_e64 s3, 0, v0
	s_cselect_b32 s24, s9, s2
	v_cmp_ne_u32_e64 s2, 0, v0
	s_load_b32 s15, s[4:5], s24 offset:0x0 scale_offset
	s_wait_xcnt 0x0
	s_mul_i32 s4, s24, s14
	s_delay_alu instid0(SALU_CYCLE_1)
	s_sub_co_i32 s25, s8, s4
	s_and_saveexec_b32 s26, s3
	s_cbranch_execz .LBB81_17
; %bb.2:
	s_load_b64 s[18:19], s[0:1], 0x2c8
	s_mov_b32 s5, 0
	s_delay_alu instid0(SALU_CYCLE_1)
	s_lshl_b64 s[20:21], s[4:5], 2
	s_cmp_lt_u32 s14, 4
	s_cbranch_scc1 .LBB81_14
; %bb.3:
	s_mov_b64 s[16:17], 0
	s_mov_b32 s4, 0
.LBB81_4:                               ; =>This Inner Loop Header: Depth=1
	s_add_nc_u64 s[22:23], s[6:7], s[20:21]
	s_cmp_ge_u32 s4, s25
	s_load_b128 s[8:11], s[22:23], 0x0
	s_wait_kmcnt 0x0
	s_add_nc_u64 s[22:23], s[18:19], s[20:21]
	s_cbranch_scc0 .LBB81_11
; %bb.5:                                ;   in Loop: Header=BB81_4 Depth=1
	s_add_co_i32 s27, s4, 1
	s_delay_alu instid0(SALU_CYCLE_1)
	s_cmp_ge_u32 s27, s25
	s_cbranch_scc0 .LBB81_12
.LBB81_6:                               ;   in Loop: Header=BB81_4 Depth=1
	s_add_co_i32 s27, s27, 1
	s_delay_alu instid0(SALU_CYCLE_1)
	s_cmp_ge_u32 s27, s25
	s_cbranch_scc0 .LBB81_13
.LBB81_7:                               ;   in Loop: Header=BB81_4 Depth=1
	s_add_co_i32 s27, s27, 1
	s_delay_alu instid0(SALU_CYCLE_1)
	s_cmp_ge_u32 s27, s25
	s_cbranch_scc1 .LBB81_9
.LBB81_8:                               ;   in Loop: Header=BB81_4 Depth=1
	s_load_b32 s22, s[22:23], 0xc
	s_add_co_i32 s17, s11, s17
	s_wait_kmcnt 0x0
	s_add_co_i32 s16, s22, s16
.LBB81_9:                               ;   in Loop: Header=BB81_4 Depth=1
	s_add_co_i32 s5, s8, s5
	s_add_co_i32 s8, s27, 1
	;; [unrolled: 1-line block ×5, first 2 shown]
	s_add_nc_u64 s[6:7], s[6:7], 16
	s_add_co_i32 s5, s5, s11
	s_cmp_ge_u32 s9, s14
	s_add_nc_u64 s[18:19], s[18:19], 16
	s_cbranch_scc1 .LBB81_15
; %bb.10:                               ;   in Loop: Header=BB81_4 Depth=1
	s_mov_b32 s4, s8
	s_branch .LBB81_4
.LBB81_11:                              ;   in Loop: Header=BB81_4 Depth=1
	s_load_b32 s27, s[22:23], 0x0
	s_add_co_i32 s17, s8, s17
	s_wait_kmcnt 0x0
	s_add_co_i32 s16, s27, s16
	s_add_co_i32 s27, s4, 1
	s_delay_alu instid0(SALU_CYCLE_1)
	s_cmp_ge_u32 s27, s25
	s_cbranch_scc1 .LBB81_6
.LBB81_12:                              ;   in Loop: Header=BB81_4 Depth=1
	s_load_b32 s28, s[22:23], 0x4
	s_add_co_i32 s17, s9, s17
	s_wait_kmcnt 0x0
	s_add_co_i32 s16, s28, s16
	s_add_co_i32 s27, s27, 1
	s_delay_alu instid0(SALU_CYCLE_1)
	s_cmp_ge_u32 s27, s25
	s_cbranch_scc1 .LBB81_7
.LBB81_13:                              ;   in Loop: Header=BB81_4 Depth=1
	s_load_b32 s28, s[22:23], 0x8
	s_add_co_i32 s17, s10, s17
	s_wait_kmcnt 0x0
	s_add_co_i32 s16, s28, s16
	s_add_co_i32 s27, s27, 1
	s_delay_alu instid0(SALU_CYCLE_1)
	s_cmp_ge_u32 s27, s25
	s_cbranch_scc0 .LBB81_8
	s_branch .LBB81_9
.LBB81_14:
	s_mov_b64 s[16:17], 0
	s_add_nc_u64 s[6:7], s[6:7], s[20:21]
	s_wait_kmcnt 0x0
	s_add_nc_u64 s[8:9], s[18:19], s[20:21]
	s_mov_b32 s4, 0
	s_delay_alu instid0(SALU_CYCLE_1)
	s_cmp_ge_u32 s4, s14
	s_cbranch_scc0 .LBB81_38
	s_branch .LBB81_16
.LBB81_15:
	s_add_co_i32 s4, s4, 4
	s_add_nc_u64 s[8:9], s[18:19], s[20:21]
	s_add_nc_u64 s[6:7], s[6:7], s[20:21]
	s_cmp_ge_u32 s4, s14
	s_cbranch_scc0 .LBB81_38
.LBB81_16:
	v_dual_mov_b32 v2, s16 :: v_dual_mov_b32 v3, s5
	v_dual_mov_b32 v4, s17 :: v_dual_mov_b32 v1, 0
	ds_store_b96 v1, v[2:4] offset:1056
.LBB81_17:
	s_or_b32 exec_lo, exec_lo, s26
	s_clause 0x6
	s_load_b32 s20, s[0:1], 0x23c
	s_load_b64 s[16:17], s[0:1], 0x1d0
	s_load_b32 s21, s[0:1], 0x15c
	s_load_b64 s[10:11], s[0:1], 0xf0
	;; [unrolled: 2-line block ×3, first 2 shown]
	s_load_b96 s[4:6], s[0:1], 0xd8
	s_mul_i32 s7, s13, s25
	s_mov_b32 s19, 0
	s_lshl_b32 s7, s7, 8
	s_add_co_i32 s25, s25, 1
	s_wait_dscnt 0x0
	s_barrier_signal -1
	s_barrier_wait -1
	s_wait_kmcnt 0x0
	s_sub_co_i32 s18, s4, s7
	s_delay_alu instid0(SALU_CYCLE_1) | instskip(NEXT) | instid1(SALU_CYCLE_1)
	s_add_nc_u64 s[26:27], s[18:19], 0xff
	s_lshr_b64 s[26:27], s[26:27], 8
	s_cmp_lt_u32 s25, s14
	s_cselect_b32 s13, s13, s26
	s_delay_alu instid0(SALU_CYCLE_1)
	s_cmp_eq_u32 s13, 0
	s_cbranch_scc1 .LBB81_40
; %bb.18:
	v_dual_mov_b32 v7, 0 :: v_dual_lshrrev_b32 v1, 3, v0
	s_mul_i32 s18, s24, s22
	s_mul_i32 s22, s24, s21
	;; [unrolled: 1-line block ×3, first 2 shown]
	ds_load_b96 v[2:4], v7 offset:1056
	s_clause 0x1
	s_load_b32 s24, s[0:1], 0xe8
	s_load_b32 s14, s[0:1], 0x1c8
	v_dual_add_nc_u32 v8, -1, v0 :: v_dual_bitop2_b32 v1, 28, v1 bitop3:0x40
	s_mov_b32 s23, s19
	s_mov_b32 s21, s19
	v_dual_add_nc_u32 v6, s7, v0 :: v_dual_lshlrev_b32 v11, 5, v0
	s_delay_alu instid0(VALU_DEP_2)
	v_lshrrev_b32_e32 v5, 3, v8
	s_wait_xcnt 0x0
	s_lshl_b64 s[0:1], s[18:19], 2
	s_lshl_b64 s[18:19], s[22:23], 2
	;; [unrolled: 1-line block ×3, first 2 shown]
	s_cmp_gt_i32 s15, -1
	s_add_nc_u64 s[8:9], s[8:9], s[0:1]
	s_cselect_b32 s0, 0x80000000, -1
	v_and_b32_e32 v9, 0xfc, v0
	s_xor_b32 s0, s0, s15
	s_cmp_o_f32 s15, s15
	v_lshl_add_u32 v1, v0, 2, v1
	s_add_nc_u64 s[10:11], s[10:11], s[18:19]
	s_wait_dscnt 0x0
	v_add_nc_u32_e32 v2, v2, v3
	v_and_b32_e32 v10, 0x1ffffffc, v5
	s_wait_kmcnt 0x0
	v_mul_lo_u32 v5, s24, v6
	v_mbcnt_lo_u32_b32 v3, -1, 0
	s_cselect_b32 s15, s0, -1
	v_cmp_gt_u32_e64 s0, 32, v0
	v_lshl_add_u32 v0, v8, 2, v10
	v_add_nc_u32_e32 v8, v9, v11
	v_dual_add_nc_u32 v11, -1, v3 :: v_dual_bitop2_b32 v9, 15, v3 bitop3:0x40
	v_bfe_i32 v10, v3, 4, 1
	s_bitcmp1_b32 s6, 0
	s_add_nc_u64 s[6:7], s[16:17], s[20:21]
	s_cselect_b32 s1, -1, 0
	s_lshl_b32 s16, s24, 8
                                        ; implicit-def: $vgpr12
	s_branch .LBB81_21
.LBB81_19:                              ;   in Loop: Header=BB81_21 Depth=1
	s_wait_xcnt 0x0
	s_or_b32 exec_lo, exec_lo, s17
	v_add_nc_u32_e32 v2, v15, v2
.LBB81_20:                              ;   in Loop: Header=BB81_21 Depth=1
	v_dual_add_nc_u32 v4, v14, v4 :: v_dual_add_nc_u32 v5, s16, v5
	v_add_nc_u32_e32 v6, 0x100, v6
	s_add_co_i32 s13, s13, -1
	s_delay_alu instid0(SALU_CYCLE_1)
	s_cmp_lg_u32 s13, 0
	s_cbranch_scc0 .LBB81_40
.LBB81_21:                              ; =>This Inner Loop Header: Depth=1
	v_dual_mov_b32 v15, 0 :: v_dual_mov_b32 v13, 0
	s_mov_b32 s17, exec_lo
	v_cmpx_gt_u32_e64 s4, v6
	s_cbranch_execz .LBB81_23
; %bb.22:                               ;   in Loop: Header=BB81_21 Depth=1
	global_load_b32 v12, v5, s[8:9] scale_offset
	s_wait_loadcnt 0x0
	v_cmp_lt_i32_e32 vcc_lo, -1, v12
	v_cndmask_b32_e64 v13, -1, 0x80000000, vcc_lo
	v_cmp_o_f32_e32 vcc_lo, v12, v12
	s_delay_alu instid0(VALU_DEP_2) | instskip(NEXT) | instid1(VALU_DEP_1)
	v_xor_b32_e32 v13, v13, v12
	v_cndmask_b32_e32 v13, -1, v13, vcc_lo
	s_delay_alu instid0(VALU_DEP_1) | instskip(SKIP_3) | instid1(VALU_DEP_1)
	v_cmp_lt_u32_e32 vcc_lo, s15, v13
	v_cndmask_b32_e64 v14, 0, 1, vcc_lo
	v_cmp_gt_u32_e32 vcc_lo, s15, v13
	v_cndmask_b32_e64 v15, 0, 1, vcc_lo
	v_cndmask_b32_e64 v14, v15, v14, s1
	s_delay_alu instid0(VALU_DEP_1)
	v_and_b32_e32 v15, 1, v14
	v_cmp_eq_u32_e32 vcc_lo, s15, v13
	v_cndmask_b32_e64 v13, 0, 1, vcc_lo
.LBB81_23:                              ;   in Loop: Header=BB81_21 Depth=1
	s_wait_xcnt 0x0
	s_or_b32 exec_lo, exec_lo, s17
	ds_store_b32 v1, v15
	s_wait_dscnt 0x0
	s_barrier_signal -1
	s_barrier_wait -1
	s_and_saveexec_b32 s17, s0
	s_cbranch_execz .LBB81_25
; %bb.24:                               ;   in Loop: Header=BB81_21 Depth=1
	ds_load_2addr_b32 v[16:17], v8 offset1:1
	ds_load_2addr_b32 v[18:19], v8 offset0:2 offset1:3
	ds_load_2addr_b32 v[20:21], v8 offset0:4 offset1:5
	;; [unrolled: 1-line block ×3, first 2 shown]
	v_cmp_ne_u32_e32 vcc_lo, 0, v9
	; wave barrier
	s_wait_dscnt 0x3
	v_add_nc_u32_e32 v14, v17, v16
	s_wait_dscnt 0x2
	s_delay_alu instid0(VALU_DEP_1) | instskip(SKIP_1) | instid1(VALU_DEP_1)
	v_add3_u32 v14, v14, v18, v19
	s_wait_dscnt 0x1
	v_add3_u32 v14, v14, v20, v21
	s_wait_dscnt 0x0
	s_delay_alu instid0(VALU_DEP_1) | instskip(NEXT) | instid1(VALU_DEP_1)
	v_add3_u32 v14, v14, v22, v23
	v_mov_b32_dpp v17, v14 row_shr:1 row_mask:0xf bank_mask:0xf
	s_delay_alu instid0(VALU_DEP_1) | instskip(SKIP_1) | instid1(VALU_DEP_2)
	v_cndmask_b32_e32 v17, 0, v17, vcc_lo
	v_cmp_lt_u32_e32 vcc_lo, 1, v9
	v_add_nc_u32_e32 v14, v17, v14
	s_delay_alu instid0(VALU_DEP_1) | instskip(NEXT) | instid1(VALU_DEP_1)
	v_mov_b32_dpp v17, v14 row_shr:2 row_mask:0xf bank_mask:0xf
	v_cndmask_b32_e32 v17, 0, v17, vcc_lo
	v_cmp_lt_u32_e32 vcc_lo, 3, v9
	s_delay_alu instid0(VALU_DEP_2) | instskip(NEXT) | instid1(VALU_DEP_1)
	v_add_nc_u32_e32 v14, v14, v17
	v_mov_b32_dpp v17, v14 row_shr:4 row_mask:0xf bank_mask:0xf
	s_delay_alu instid0(VALU_DEP_1) | instskip(SKIP_1) | instid1(VALU_DEP_2)
	v_cndmask_b32_e32 v17, 0, v17, vcc_lo
	v_cmp_lt_u32_e32 vcc_lo, 7, v9
	v_add_nc_u32_e32 v14, v14, v17
	s_delay_alu instid0(VALU_DEP_1) | instskip(NEXT) | instid1(VALU_DEP_1)
	v_mov_b32_dpp v17, v14 row_shr:8 row_mask:0xf bank_mask:0xf
	v_cndmask_b32_e32 v17, 0, v17, vcc_lo
	v_cmp_gt_i32_e32 vcc_lo, 0, v11
	s_delay_alu instid0(VALU_DEP_2) | instskip(SKIP_3) | instid1(VALU_DEP_1)
	v_dual_add_nc_u32 v14, v14, v17 :: v_dual_cndmask_b32 v18, v11, v3, vcc_lo
	ds_swizzle_b32 v17, v14 offset:swizzle(BROADCAST,32,15)
	s_wait_dscnt 0x0
	v_dual_lshlrev_b32 v18, 2, v18 :: v_dual_bitop2_b32 v17, v10, v17 bitop3:0x40
	v_add_nc_u32_e32 v14, v14, v17
	ds_bpermute_b32 v14, v18, v14
	s_wait_dscnt 0x0
	v_add_nc_u32_e32 v14, v14, v16
	s_delay_alu instid0(VALU_DEP_1)
	v_cndmask_b32_e64 v14, v14, v15, s3
	ds_store_b32 v8, v14
	; wave barrier
	ds_load_2addr_b32 v[16:17], v8 offset0:1 offset1:2
	ds_load_2addr_b32 v[18:19], v8 offset0:3 offset1:4
	;; [unrolled: 1-line block ×3, first 2 shown]
	ds_load_b32 v22, v8 offset:28
	s_wait_dscnt 0x3
	v_add_nc_u32_e32 v14, v16, v14
	s_delay_alu instid0(VALU_DEP_1) | instskip(SKIP_1) | instid1(VALU_DEP_1)
	v_add_nc_u32_e32 v16, v17, v14
	s_wait_dscnt 0x2
	v_add_nc_u32_e32 v17, v18, v16
	s_delay_alu instid0(VALU_DEP_1) | instskip(SKIP_1) | instid1(VALU_DEP_1)
	v_add_nc_u32_e32 v18, v19, v17
	;; [unrolled: 4-line block ×3, first 2 shown]
	s_wait_dscnt 0x0
	v_add_nc_u32_e32 v21, v22, v20
	ds_store_2addr_b32 v8, v14, v16 offset0:1 offset1:2
	ds_store_2addr_b32 v8, v17, v18 offset0:3 offset1:4
	ds_store_2addr_b32 v8, v19, v20 offset0:5 offset1:6
	ds_store_b32 v8, v21 offset:28
.LBB81_25:                              ;   in Loop: Header=BB81_21 Depth=1
	s_or_b32 exec_lo, exec_lo, s17
	v_mov_b32_e32 v16, 0
	s_wait_dscnt 0x0
	s_barrier_signal -1
	s_barrier_wait -1
	s_and_saveexec_b32 s17, s2
; %bb.26:                               ;   in Loop: Header=BB81_21 Depth=1
	ds_load_b32 v16, v0
; %bb.27:                               ;   in Loop: Header=BB81_21 Depth=1
	s_or_b32 exec_lo, exec_lo, s17
	ds_load_b32 v14, v7 offset:1048
	s_mov_b32 s17, exec_lo
	s_wait_dscnt 0x0
	s_barrier_signal -1
	s_barrier_wait -1
	v_cmpx_ne_u32_e32 0, v15
	s_cbranch_execz .LBB81_29
; %bb.28:                               ;   in Loop: Header=BB81_21 Depth=1
	v_add_nc_u32_e32 v15, v16, v4
	s_delay_alu instid0(VALU_DEP_1)
	v_mul_lo_u32 v16, v15, s14
	v_mul_lo_u32 v15, v15, s12
	global_store_b32 v16, v12, s[10:11] scale_offset
	global_store_b64 v15, v[6:7], s[6:7] scale_offset
.LBB81_29:                              ;   in Loop: Header=BB81_21 Depth=1
	s_wait_xcnt 0x0
	s_or_b32 exec_lo, exec_lo, s17
	v_cmp_le_u32_e32 vcc_lo, s5, v2
	s_cbranch_vccnz .LBB81_20
; %bb.30:                               ;   in Loop: Header=BB81_21 Depth=1
	ds_store_b32 v1, v13
	s_wait_storecnt_dscnt 0x0
	s_barrier_signal -1
	s_barrier_wait -1
	s_and_saveexec_b32 s17, s0
	s_cbranch_execz .LBB81_32
; %bb.31:                               ;   in Loop: Header=BB81_21 Depth=1
	ds_load_2addr_b32 v[16:17], v8 offset1:1
	ds_load_2addr_b32 v[18:19], v8 offset0:2 offset1:3
	ds_load_2addr_b32 v[20:21], v8 offset0:4 offset1:5
	;; [unrolled: 1-line block ×3, first 2 shown]
	v_cmp_ne_u32_e32 vcc_lo, 0, v9
	; wave barrier
	s_wait_dscnt 0x3
	v_add_nc_u32_e32 v15, v17, v16
	s_wait_dscnt 0x2
	s_delay_alu instid0(VALU_DEP_1) | instskip(SKIP_1) | instid1(VALU_DEP_1)
	v_add3_u32 v15, v15, v18, v19
	s_wait_dscnt 0x1
	v_add3_u32 v15, v15, v20, v21
	s_wait_dscnt 0x0
	s_delay_alu instid0(VALU_DEP_1) | instskip(NEXT) | instid1(VALU_DEP_1)
	v_add3_u32 v15, v15, v22, v23
	v_mov_b32_dpp v17, v15 row_shr:1 row_mask:0xf bank_mask:0xf
	s_delay_alu instid0(VALU_DEP_1) | instskip(SKIP_1) | instid1(VALU_DEP_2)
	v_cndmask_b32_e32 v17, 0, v17, vcc_lo
	v_cmp_lt_u32_e32 vcc_lo, 1, v9
	v_add_nc_u32_e32 v15, v17, v15
	s_delay_alu instid0(VALU_DEP_1) | instskip(NEXT) | instid1(VALU_DEP_1)
	v_mov_b32_dpp v17, v15 row_shr:2 row_mask:0xf bank_mask:0xf
	v_cndmask_b32_e32 v17, 0, v17, vcc_lo
	v_cmp_lt_u32_e32 vcc_lo, 3, v9
	s_delay_alu instid0(VALU_DEP_2) | instskip(NEXT) | instid1(VALU_DEP_1)
	v_add_nc_u32_e32 v15, v15, v17
	v_mov_b32_dpp v17, v15 row_shr:4 row_mask:0xf bank_mask:0xf
	s_delay_alu instid0(VALU_DEP_1) | instskip(SKIP_1) | instid1(VALU_DEP_2)
	v_cndmask_b32_e32 v17, 0, v17, vcc_lo
	v_cmp_lt_u32_e32 vcc_lo, 7, v9
	v_add_nc_u32_e32 v15, v15, v17
	s_delay_alu instid0(VALU_DEP_1) | instskip(NEXT) | instid1(VALU_DEP_1)
	v_mov_b32_dpp v17, v15 row_shr:8 row_mask:0xf bank_mask:0xf
	v_cndmask_b32_e32 v17, 0, v17, vcc_lo
	v_cmp_gt_i32_e32 vcc_lo, 0, v11
	s_delay_alu instid0(VALU_DEP_2) | instskip(SKIP_4) | instid1(VALU_DEP_1)
	v_add_nc_u32_e32 v15, v15, v17
	v_cndmask_b32_e32 v18, v11, v3, vcc_lo
	ds_swizzle_b32 v17, v15 offset:swizzle(BROADCAST,32,15)
	s_wait_dscnt 0x0
	v_dual_lshlrev_b32 v18, 2, v18 :: v_dual_bitop2_b32 v17, v10, v17 bitop3:0x40
	v_add_nc_u32_e32 v15, v15, v17
	ds_bpermute_b32 v15, v18, v15
	s_wait_dscnt 0x0
	v_add_nc_u32_e32 v15, v15, v16
	s_delay_alu instid0(VALU_DEP_1)
	v_cndmask_b32_e64 v15, v15, v13, s3
	ds_store_b32 v8, v15
	; wave barrier
	ds_load_2addr_b32 v[16:17], v8 offset0:1 offset1:2
	ds_load_2addr_b32 v[18:19], v8 offset0:3 offset1:4
	;; [unrolled: 1-line block ×3, first 2 shown]
	ds_load_b32 v22, v8 offset:28
	s_wait_dscnt 0x3
	v_add_nc_u32_e32 v15, v16, v15
	s_delay_alu instid0(VALU_DEP_1) | instskip(SKIP_1) | instid1(VALU_DEP_1)
	v_add_nc_u32_e32 v16, v17, v15
	s_wait_dscnt 0x2
	v_add_nc_u32_e32 v17, v18, v16
	s_delay_alu instid0(VALU_DEP_1) | instskip(SKIP_1) | instid1(VALU_DEP_1)
	v_add_nc_u32_e32 v18, v19, v17
	;; [unrolled: 4-line block ×3, first 2 shown]
	s_wait_dscnt 0x0
	v_add_nc_u32_e32 v21, v22, v20
	ds_store_2addr_b32 v8, v15, v16 offset0:1 offset1:2
	ds_store_2addr_b32 v8, v17, v18 offset0:3 offset1:4
	;; [unrolled: 1-line block ×3, first 2 shown]
	ds_store_b32 v8, v21 offset:28
.LBB81_32:                              ;   in Loop: Header=BB81_21 Depth=1
	s_or_b32 exec_lo, exec_lo, s17
	v_mov_b32_e32 v16, 0
	s_wait_dscnt 0x0
	s_barrier_signal -1
	s_barrier_wait -1
	s_and_saveexec_b32 s17, s2
; %bb.33:                               ;   in Loop: Header=BB81_21 Depth=1
	ds_load_b32 v16, v0
; %bb.34:                               ;   in Loop: Header=BB81_21 Depth=1
	s_or_b32 exec_lo, exec_lo, s17
	ds_load_b32 v15, v7 offset:1048
	s_mov_b32 s17, exec_lo
	s_wait_dscnt 0x0
	s_barrier_signal -1
	s_barrier_wait -1
	v_cmpx_ne_u32_e32 0, v13
	s_cbranch_execz .LBB81_19
; %bb.35:                               ;   in Loop: Header=BB81_21 Depth=1
	v_add_nc_u32_e32 v13, v16, v2
	s_delay_alu instid0(VALU_DEP_1)
	v_cmp_gt_u32_e32 vcc_lo, s5, v13
	s_and_b32 exec_lo, exec_lo, vcc_lo
	s_cbranch_execz .LBB81_19
; %bb.36:                               ;   in Loop: Header=BB81_21 Depth=1
	v_mul_lo_u32 v16, v13, s14
	v_mul_lo_u32 v13, v13, s12
	global_store_b32 v16, v12, s[10:11] scale_offset
	global_store_b64 v13, v[6:7], s[6:7] scale_offset
	s_branch .LBB81_19
.LBB81_37:                              ;   in Loop: Header=BB81_38 Depth=1
	s_add_co_i32 s4, s4, 1
	s_wait_kmcnt 0x0
	s_add_co_i32 s5, s10, s5
	s_add_nc_u64 s[6:7], s[6:7], 4
	s_cmp_lt_u32 s4, s14
	s_add_nc_u64 s[8:9], s[8:9], 4
	s_cbranch_scc0 .LBB81_16
.LBB81_38:                              ; =>This Inner Loop Header: Depth=1
	s_load_b32 s10, s[6:7], 0x0
	s_cmp_ge_u32 s4, s25
	s_cbranch_scc1 .LBB81_37
; %bb.39:                               ;   in Loop: Header=BB81_38 Depth=1
	s_load_b32 s11, s[8:9], 0x0
	s_wait_kmcnt 0x0
	s_add_co_i32 s17, s10, s17
	s_add_co_i32 s16, s11, s16
	s_branch .LBB81_37
.LBB81_40:
	s_endpgm
	.section	.rodata,"a",@progbits
	.p2align	6, 0x0
	.amdhsa_kernel _ZN2at6native6mbtopk10gatherTopKIfjLi1EEEvNS_4cuda6detail10TensorInfoIKT_T0_EES8_S8_bjS8_NS5_IS6_S8_EES8_NS5_IlS8_EES8_jjPS6_PjSD_j
		.amdhsa_group_segment_fixed_size 1068
		.amdhsa_private_segment_fixed_size 0
		.amdhsa_kernarg_size 984
		.amdhsa_user_sgpr_count 2
		.amdhsa_user_sgpr_dispatch_ptr 0
		.amdhsa_user_sgpr_queue_ptr 0
		.amdhsa_user_sgpr_kernarg_segment_ptr 1
		.amdhsa_user_sgpr_dispatch_id 0
		.amdhsa_user_sgpr_kernarg_preload_length 0
		.amdhsa_user_sgpr_kernarg_preload_offset 0
		.amdhsa_user_sgpr_private_segment_size 0
		.amdhsa_wavefront_size32 1
		.amdhsa_uses_dynamic_stack 0
		.amdhsa_enable_private_segment 0
		.amdhsa_system_sgpr_workgroup_id_x 1
		.amdhsa_system_sgpr_workgroup_id_y 1
		.amdhsa_system_sgpr_workgroup_id_z 1
		.amdhsa_system_sgpr_workgroup_info 0
		.amdhsa_system_vgpr_workitem_id 0
		.amdhsa_next_free_vgpr 24
		.amdhsa_next_free_sgpr 29
		.amdhsa_named_barrier_count 0
		.amdhsa_reserve_vcc 1
		.amdhsa_float_round_mode_32 0
		.amdhsa_float_round_mode_16_64 0
		.amdhsa_float_denorm_mode_32 3
		.amdhsa_float_denorm_mode_16_64 3
		.amdhsa_fp16_overflow 0
		.amdhsa_memory_ordered 1
		.amdhsa_forward_progress 1
		.amdhsa_inst_pref_size 20
		.amdhsa_round_robin_scheduling 0
		.amdhsa_exception_fp_ieee_invalid_op 0
		.amdhsa_exception_fp_denorm_src 0
		.amdhsa_exception_fp_ieee_div_zero 0
		.amdhsa_exception_fp_ieee_overflow 0
		.amdhsa_exception_fp_ieee_underflow 0
		.amdhsa_exception_fp_ieee_inexact 0
		.amdhsa_exception_int_div_zero 0
	.end_amdhsa_kernel
	.section	.text._ZN2at6native6mbtopk10gatherTopKIfjLi1EEEvNS_4cuda6detail10TensorInfoIKT_T0_EES8_S8_bjS8_NS5_IS6_S8_EES8_NS5_IlS8_EES8_jjPS6_PjSD_j,"axG",@progbits,_ZN2at6native6mbtopk10gatherTopKIfjLi1EEEvNS_4cuda6detail10TensorInfoIKT_T0_EES8_S8_bjS8_NS5_IS6_S8_EES8_NS5_IlS8_EES8_jjPS6_PjSD_j,comdat
.Lfunc_end81:
	.size	_ZN2at6native6mbtopk10gatherTopKIfjLi1EEEvNS_4cuda6detail10TensorInfoIKT_T0_EES8_S8_bjS8_NS5_IS6_S8_EES8_NS5_IlS8_EES8_jjPS6_PjSD_j, .Lfunc_end81-_ZN2at6native6mbtopk10gatherTopKIfjLi1EEEvNS_4cuda6detail10TensorInfoIKT_T0_EES8_S8_bjS8_NS5_IS6_S8_EES8_NS5_IlS8_EES8_jjPS6_PjSD_j
                                        ; -- End function
	.set _ZN2at6native6mbtopk10gatherTopKIfjLi1EEEvNS_4cuda6detail10TensorInfoIKT_T0_EES8_S8_bjS8_NS5_IS6_S8_EES8_NS5_IlS8_EES8_jjPS6_PjSD_j.num_vgpr, 24
	.set _ZN2at6native6mbtopk10gatherTopKIfjLi1EEEvNS_4cuda6detail10TensorInfoIKT_T0_EES8_S8_bjS8_NS5_IS6_S8_EES8_NS5_IlS8_EES8_jjPS6_PjSD_j.num_agpr, 0
	.set _ZN2at6native6mbtopk10gatherTopKIfjLi1EEEvNS_4cuda6detail10TensorInfoIKT_T0_EES8_S8_bjS8_NS5_IS6_S8_EES8_NS5_IlS8_EES8_jjPS6_PjSD_j.numbered_sgpr, 29
	.set _ZN2at6native6mbtopk10gatherTopKIfjLi1EEEvNS_4cuda6detail10TensorInfoIKT_T0_EES8_S8_bjS8_NS5_IS6_S8_EES8_NS5_IlS8_EES8_jjPS6_PjSD_j.num_named_barrier, 0
	.set _ZN2at6native6mbtopk10gatherTopKIfjLi1EEEvNS_4cuda6detail10TensorInfoIKT_T0_EES8_S8_bjS8_NS5_IS6_S8_EES8_NS5_IlS8_EES8_jjPS6_PjSD_j.private_seg_size, 0
	.set _ZN2at6native6mbtopk10gatherTopKIfjLi1EEEvNS_4cuda6detail10TensorInfoIKT_T0_EES8_S8_bjS8_NS5_IS6_S8_EES8_NS5_IlS8_EES8_jjPS6_PjSD_j.uses_vcc, 1
	.set _ZN2at6native6mbtopk10gatherTopKIfjLi1EEEvNS_4cuda6detail10TensorInfoIKT_T0_EES8_S8_bjS8_NS5_IS6_S8_EES8_NS5_IlS8_EES8_jjPS6_PjSD_j.uses_flat_scratch, 0
	.set _ZN2at6native6mbtopk10gatherTopKIfjLi1EEEvNS_4cuda6detail10TensorInfoIKT_T0_EES8_S8_bjS8_NS5_IS6_S8_EES8_NS5_IlS8_EES8_jjPS6_PjSD_j.has_dyn_sized_stack, 0
	.set _ZN2at6native6mbtopk10gatherTopKIfjLi1EEEvNS_4cuda6detail10TensorInfoIKT_T0_EES8_S8_bjS8_NS5_IS6_S8_EES8_NS5_IlS8_EES8_jjPS6_PjSD_j.has_recursion, 0
	.set _ZN2at6native6mbtopk10gatherTopKIfjLi1EEEvNS_4cuda6detail10TensorInfoIKT_T0_EES8_S8_bjS8_NS5_IS6_S8_EES8_NS5_IlS8_EES8_jjPS6_PjSD_j.has_indirect_call, 0
	.section	.AMDGPU.csdata,"",@progbits
; Kernel info:
; codeLenInByte = 2452
; TotalNumSgprs: 31
; NumVgprs: 24
; ScratchSize: 0
; MemoryBound: 0
; FloatMode: 240
; IeeeMode: 1
; LDSByteSize: 1068 bytes/workgroup (compile time only)
; SGPRBlocks: 0
; VGPRBlocks: 1
; NumSGPRsForWavesPerEU: 31
; NumVGPRsForWavesPerEU: 24
; NamedBarCnt: 0
; Occupancy: 16
; WaveLimiterHint : 1
; COMPUTE_PGM_RSRC2:SCRATCH_EN: 0
; COMPUTE_PGM_RSRC2:USER_SGPR: 2
; COMPUTE_PGM_RSRC2:TRAP_HANDLER: 0
; COMPUTE_PGM_RSRC2:TGID_X_EN: 1
; COMPUTE_PGM_RSRC2:TGID_Y_EN: 1
; COMPUTE_PGM_RSRC2:TGID_Z_EN: 1
; COMPUTE_PGM_RSRC2:TIDIG_COMP_CNT: 0
	.section	.text._ZN2at6native6sbtopk10gatherTopKIfjLi1ELb0EEEvNS_4cuda6detail10TensorInfoIKT_T0_EES8_S8_bS8_S8_NS5_IS6_S8_EES8_NS5_IlS8_EES8_PS6_,"axG",@progbits,_ZN2at6native6sbtopk10gatherTopKIfjLi1ELb0EEEvNS_4cuda6detail10TensorInfoIKT_T0_EES8_S8_bS8_S8_NS5_IS6_S8_EES8_NS5_IlS8_EES8_PS6_,comdat
	.protected	_ZN2at6native6sbtopk10gatherTopKIfjLi1ELb0EEEvNS_4cuda6detail10TensorInfoIKT_T0_EES8_S8_bS8_S8_NS5_IS6_S8_EES8_NS5_IlS8_EES8_PS6_ ; -- Begin function _ZN2at6native6sbtopk10gatherTopKIfjLi1ELb0EEEvNS_4cuda6detail10TensorInfoIKT_T0_EES8_S8_bS8_S8_NS5_IS6_S8_EES8_NS5_IlS8_EES8_PS6_
	.globl	_ZN2at6native6sbtopk10gatherTopKIfjLi1ELb0EEEvNS_4cuda6detail10TensorInfoIKT_T0_EES8_S8_bS8_S8_NS5_IS6_S8_EES8_NS5_IlS8_EES8_PS6_
	.p2align	8
	.type	_ZN2at6native6sbtopk10gatherTopKIfjLi1ELb0EEEvNS_4cuda6detail10TensorInfoIKT_T0_EES8_S8_bS8_S8_NS5_IS6_S8_EES8_NS5_IlS8_EES8_PS6_,@function
_ZN2at6native6sbtopk10gatherTopKIfjLi1ELb0EEEvNS_4cuda6detail10TensorInfoIKT_T0_EES8_S8_bS8_S8_NS5_IS6_S8_EES8_NS5_IlS8_EES8_PS6_: ; @_ZN2at6native6sbtopk10gatherTopKIfjLi1ELb0EEEvNS_4cuda6detail10TensorInfoIKT_T0_EES8_S8_bS8_S8_NS5_IS6_S8_EES8_NS5_IlS8_EES8_PS6_
; %bb.0:
	s_clause 0x1
	s_load_b128 s[36:39], s[0:1], 0xd8
	s_load_b64 s[8:9], s[0:1], 0x2b8
	s_bfe_u32 s2, ttmp6, 0x40010
	s_and_b32 s3, ttmp7, 0xffff
	s_add_co_i32 s2, s2, 1
	s_bfe_u32 s5, ttmp6, 0x4000c
	s_mul_i32 s2, s3, s2
	s_bfe_u32 s4, ttmp6, 0x40004
	s_add_co_i32 s5, s5, 1
	s_bfe_u32 s6, ttmp6, 0x40014
	s_add_co_i32 s4, s4, s2
	s_and_b32 s2, ttmp6, 15
	s_mul_i32 s5, ttmp9, s5
	s_lshr_b32 s7, ttmp7, 16
	s_add_co_i32 s6, s6, 1
	s_add_co_i32 s2, s2, s5
	s_mul_i32 s5, s7, s6
	s_bfe_u32 s6, ttmp6, 0x40008
	s_getreg_b32 s10, hwreg(HW_REG_IB_STS2, 6, 4)
	s_add_co_i32 s6, s6, s5
	s_cmp_eq_u32 s10, 0
	s_cselect_b32 s5, s7, s6
	s_cselect_b32 s3, s3, s4
	s_wait_kmcnt 0x0
	s_mul_i32 s5, s9, s5
	s_cselect_b32 s7, ttmp9, s2
	s_add_co_i32 s2, s5, s3
	s_delay_alu instid0(SALU_CYCLE_1) | instskip(NEXT) | instid1(SALU_CYCLE_1)
	s_mul_i32 s58, s2, s8
	s_add_co_i32 s58, s58, s7
	s_delay_alu instid0(SALU_CYCLE_1)
	s_cmp_ge_u32 s58, s39
	s_cbranch_scc1 .LBB82_431
; %bb.1:
	s_clause 0x2
	s_load_b32 s56, s[0:1], 0xe8
	s_load_b32 s4, s[0:1], 0x6c
	s_load_b64 s[2:3], s[0:1], 0x0
	v_cmp_eq_u32_e64 s5, 0, v0
	s_add_nc_u64 s[14:15], s[0:1], 0x2b8
	s_and_saveexec_b32 s6, s5
; %bb.2:
	v_dual_mov_b32 v2, 0 :: v_dual_mov_b32 v3, s36
	s_delay_alu instid0(VALU_DEP_1)
	v_mov_b32_e32 v4, v2
	ds_store_b96 v2, v[2:4] offset:4096
; %bb.3:
	s_or_b32 exec_lo, exec_lo, s6
	s_wait_dscnt 0x0
	s_barrier_signal -1
	s_barrier_wait -1
	s_load_b32 s9, s[14:15], 0xc
	s_clause 0x3
	s_load_b32 s59, s[0:1], 0x23c
	s_load_b64 s[40:41], s[0:1], 0x1d0
	s_load_b32 s60, s[0:1], 0x15c
	s_load_b64 s[42:43], s[0:1], 0xf0
	v_mbcnt_lo_u32_b32 v1, -1, 0
	s_wait_kmcnt 0x0
	s_mul_i32 s44, s4, s58
	s_mov_b32 s45, 0
	v_cmp_gt_u32_e32 vcc_lo, 32, v0
	s_lshl_b64 s[10:11], s[44:45], 2
	s_bitcmp1_b32 s38, 0
	s_add_nc_u64 s[38:39], s[2:3], s[10:11]
	v_cmp_gt_i32_e64 s3, 4, v1
	s_cselect_b32 s4, -1, 0
	v_lshlrev_b64_e64 v[2:3], v1, -1
	s_xor_b32 s61, s4, -1
	v_dual_mov_b32 v13, 0 :: v_dual_lshlrev_b32 v7, 2, v0
	s_and_b32 s63, vcc_lo, s3
	v_add_max_u32_e64 v4, v0, 2, s36
	s_and_b32 s35, s9, 0xffff
	s_delay_alu instid0(VALU_DEP_2)
	v_mov_b32_e32 v11, v13
	s_lshl_b32 s62, s35, 2
	s_cmp_gt_u32 s36, 0x300
	v_not_b32_e32 v6, v2
	s_cselect_b32 s64, -1, 0
	s_cmp_gt_u32 s35, 31
	v_lshrrev_b32_e32 v2, 1, v0
	s_cselect_b32 s65, -1, 0
	s_add_co_i32 s66, s35, -1
	s_movk_i32 s10, 0x1f0
	s_add_co_i32 s13, s66, s36
	s_cmp_lt_u32 s7, s8
	s_cvt_f32_u32 s8, s62
	s_cselect_b32 s44, 12, 18
	s_bfe_u32 s67, s9, 0xb0005
	v_and_or_b32 v20, v2, s10, 0xc00
	s_add_co_i32 s7, s67, -2
	v_rcp_iflag_f32_e32 v3, s8
	s_lshr_b32 s9, s7, 1
	v_mul_lo_u32 v10, s56, v0
	s_add_co_i32 s9, s9, 1
	s_cmp_gt_u32 s35, 63
	v_mad_u32 v26, s56, v7, s56
	s_cselect_b32 s68, -1, 0
	s_and_b32 s69, s67, 0x7fe
	s_and_b32 s70, s9, 7
	s_cmp_gt_u32 s7, 13
	v_readfirstlane_b32 s7, v3
	s_cselect_b32 s71, -1, 0
	s_and_b32 s72, s9, -8
	s_cmp_lg_u32 s70, 0
	s_cvt_f32_u32 s9, s35
	s_mul_f32 s7, s7, 0x4f7ffffe
	s_cselect_b32 s73, -1, 0
	s_cmp_lg_u32 s69, s67
	v_rcp_iflag_f32_e32 v5, s9
	s_cvt_u32_f32 s7, s7
	s_cselect_b32 s74, -1, 0
	s_sub_co_i32 s8, 0, s62
	v_xad_u32 v3, v0, -1, v4
	s_mul_i32 s8, s8, s7
	v_cmp_eq_u32_e64 s2, 0, v1
	s_mul_hi_u32 s8, s7, s8
	v_readfirstlane_b32 s9, v5
	s_add_co_i32 s46, s7, s8
	v_dual_add_nc_u32 v4, -2, v3 :: v_dual_bitop2_b32 v21, -2, v3 bitop3:0x40
	s_mul_hi_u32 s7, s36, s46
	s_mul_f32 s9, s9, 0x4f7ffffe
	s_mul_i32 s8, s7, s62
	s_delay_alu instid0(VALU_DEP_1)
	v_lshrrev_b32_e32 v2, 1, v4
	s_sub_co_i32 s8, s36, s8
	s_cvt_u32_f32 s9, s9
	s_sub_co_i32 s10, s8, s62
	s_cmp_ge_u32 s8, s62
	v_cmp_lt_u32_e64 s7, 31, v3
	s_cselect_b32 s8, s10, s8
	v_mov_b32_e32 v19, 0
	s_sub_co_i32 s10, s8, s62
	s_cmp_ge_u32 s8, s62
	v_cmp_gt_u32_e64 s3, s36, v0
	s_cselect_b32 s16, s10, s8
	s_sub_co_i32 s10, 0, s35
	s_sub_co_i32 s76, s36, s16
	s_mul_i32 s10, s10, s9
	v_dual_add_nc_u32 v2, 1, v2 :: v_dual_add_nc_u32 v22, s76, v0
	s_mul_hi_u32 s10, s9, s10
	v_cmp_lt_u32_e64 s8, 13, v4
	s_add_co_i32 s48, s9, s10
	v_dual_lshlrev_b32 v31, 4, v0 :: v_dual_bitop2_b32 v5, 7, v2 bitop3:0x40
	s_mul_hi_u32 s10, s13, s48
	v_dual_mov_b32 v16, 1.0 :: v_dual_bitop2_b32 v23, -8, v2 bitop3:0x40
	s_mul_i32 s10, s10, s35
	v_add3_u32 v2, s35, s36, v0
	s_sub_co_i32 s11, s13, s10
	v_mul_lo_u32 v12, v22, s56
	s_sub_co_i32 s12, s11, s35
	v_cmp_ne_u32_e64 s10, v3, v21
	s_cmp_ge_u32 s11, s35
	v_dual_lshlrev_b32 v29, 2, v10 :: v_dual_bitop2_b32 v3, 2, v7 bitop3:0x54
	v_or_b32_e32 v4, 3, v7
	v_subrev_nc_u32_e32 v2, s16, v2
	s_cselect_b32 s17, s12, s11
	s_delay_alu instid0(VALU_DEP_3)
	v_mul_lo_u32 v27, s56, v3
	s_sub_co_i32 s18, s17, s35
	s_cmp_ge_u32 s17, s35
	v_mul_lo_u32 v28, s56, v4
	v_mul_lo_u32 v30, s56, v2
	s_cselect_b32 s17, s18, s17
	v_lshl_add_u64 v[8:9], v[10:11], 2, s[38:39]
	s_sub_co_i32 s77, s13, s17
	v_cmp_gt_u32_e64 s6, 2, v0
	v_dual_mov_b32 v34, s37 :: v_dual_add_nc_u32 v11, 0xc00, v7
	v_cmp_ne_u32_e64 s9, 0, v5
	v_cmp_gt_u32_e64 s11, s76, v7
	v_cmp_gt_u32_e64 s12, s36, v22
	v_lshl_add_u64 v[14:15], v[12:13], 2, s[38:39]
	v_cmp_gt_u32_e64 s13, s77, v0
	v_lshlrev_b32_e32 v25, 3, v5
	v_lshl_or_b32 v32, v1, 2, 0xc00
	v_dual_mov_b32 v24, 0 :: v_dual_mov_b32 v33, 0
	s_mul_i32 s57, s56, s35
	s_mov_b32 s75, s56
	s_mov_b32 s47, s45
	;; [unrolled: 1-line block ×3, first 2 shown]
	s_lshl_b32 s78, s57, 2
	s_lshl_b32 s79, s35, 4
	s_mov_b32 s80, 30
	s_add_nc_u64 s[50:51], s[14:15], s[44:45]
	s_mov_b32 s81, 0
	s_mov_b32 s83, 0
                                        ; implicit-def: $sgpr82
                                        ; implicit-def: $sgpr86
                                        ; implicit-def: $sgpr85
                                        ; implicit-def: $sgpr87
                                        ; implicit-def: $sgpr84
                                        ; implicit-def: $sgpr91
                                        ; implicit-def: $sgpr92
                                        ; implicit-def: $sgpr88
                                        ; implicit-def: $sgpr90
                                        ; implicit-def: $sgpr89
	s_branch .LBB82_6
.LBB82_4:                               ;   in Loop: Header=BB82_6 Depth=1
	s_or_b32 exec_lo, exec_lo, s17
	v_mov_b32_e32 v34, v35
	s_and_not1_b32 s17, s89, exec_lo
	s_and_b32 s16, s16, exec_lo
	s_and_not1_b32 s90, s90, exec_lo
	s_or_b32 s89, s17, s16
	s_and_not1_b32 s88, s88, exec_lo
	s_and_not1_b32 s92, s92, exec_lo
	s_and_not1_b32 s91, s91, exec_lo
	s_or_not1_b32 s17, s15, exec_lo
.LBB82_5:                               ;   in Loop: Header=BB82_6 Depth=1
	s_or_b32 exec_lo, exec_lo, s14
	s_delay_alu instid0(SALU_CYCLE_1) | instskip(NEXT) | instid1(SALU_CYCLE_1)
	s_and_b32 s14, exec_lo, s17
	s_or_b32 s81, s14, s81
	s_and_not1_b32 s14, s84, exec_lo
	s_and_b32 s15, s89, exec_lo
	s_and_not1_b32 s16, s87, exec_lo
	s_or_b32 s84, s14, s15
	s_and_b32 s14, s90, exec_lo
	s_and_not1_b32 s15, s85, exec_lo
	s_and_b32 s17, s88, exec_lo
	s_or_b32 s87, s16, s14
	s_or_b32 s85, s15, s17
	s_and_not1_b32 s14, s86, exec_lo
	s_and_b32 s15, s92, exec_lo
	s_and_not1_b32 s16, s82, exec_lo
	s_and_b32 s17, s91, exec_lo
	s_or_b32 s86, s14, s15
	s_or_b32 s82, s16, s17
	s_and_not1_b32 exec_lo, exec_lo, s81
	s_cbranch_execz .LBB82_427
.LBB82_6:                               ; =>This Loop Header: Depth=1
                                        ;     Child Loop BB82_12 Depth 2
                                        ;     Child Loop BB82_33 Depth 2
	;; [unrolled: 1-line block ×27, first 2 shown]
	ds_load_b64 v[2:3], v13 offset:4096
	s_wait_dscnt 0x0
	v_readfirstlane_b32 s44, v2
	s_cmp_lg_u32 s44, 0
	s_cbranch_scc1 .LBB82_52
; %bb.7:                                ;   in Loop: Header=BB82_6 Depth=1
	s_and_b32 vcc_lo, exec_lo, s64
	s_cbranch_vccz .LBB82_20
; %bb.8:                                ;   in Loop: Header=BB82_6 Depth=1
	v_cmp_gt_u32_e32 vcc_lo, 0x301, v3
	s_mov_b32 s16, 0
	s_mov_b32 s14, 0
	s_cbranch_vccz .LBB82_21
; %bb.9:                                ;   in Loop: Header=BB82_6 Depth=1
	s_and_saveexec_b32 s17, s3
	s_cbranch_execz .LBB82_27
; %bb.10:                               ;   in Loop: Header=BB82_6 Depth=1
	global_load_b32 v3, v[8:9], off
	s_load_u16 s18, s[50:51], 0x0
	s_mov_b32 s20, 0
	s_wait_kmcnt 0x0
	v_dual_mov_b32 v4, v0 :: v_dual_add_nc_u32 v2, s18, v0
	s_mul_i32 s19, s56, s18
	s_delay_alu instid0(VALU_DEP_1)
	v_mul_lo_u32 v2, s56, v2
	s_branch .LBB82_12
.LBB82_11:                              ;   in Loop: Header=BB82_12 Depth=2
	s_or_b32 exec_lo, exec_lo, s15
	v_dual_mov_b32 v3, v5 :: v_dual_add_nc_u32 v2, s19, v2
	s_and_not1_b32 exec_lo, exec_lo, s20
	s_cbranch_execz .LBB82_27
.LBB82_12:                              ;   Parent Loop BB82_6 Depth=1
                                        ; =>  This Inner Loop Header: Depth=2
	s_wait_dscnt 0x0
	v_dual_add_nc_u32 v4, s18, v4 :: v_dual_mov_b32 v12, 0
	v_mov_b32_e32 v5, 0
	s_mov_b32 s15, exec_lo
	s_delay_alu instid0(VALU_DEP_2)
	v_cmp_le_u32_e32 vcc_lo, s36, v4
	v_cmpx_gt_u32_e64 s36, v4
	s_cbranch_execz .LBB82_14
; %bb.13:                               ;   in Loop: Header=BB82_12 Depth=2
	global_load_b32 v5, v2, s[38:39] scale_offset
.LBB82_14:                              ;   in Loop: Header=BB82_12 Depth=2
	s_wait_xcnt 0x0
	s_or_b32 exec_lo, exec_lo, s15
	s_wait_loadcnt 0x0
	v_cmp_lt_i32_e64 s14, -1, v3
	s_delay_alu instid0(VALU_DEP_1) | instskip(SKIP_1) | instid1(VALU_DEP_2)
	v_cndmask_b32_e64 v17, -1, 0x80000000, s14
	v_cmp_o_f32_e64 s14, v3, v3
	v_xor_b32_e32 v17, v17, v3
	s_delay_alu instid0(VALU_DEP_1) | instskip(NEXT) | instid1(VALU_DEP_1)
	v_cndmask_b32_e64 v17, -1, v17, s14
	v_and_b32_e32 v17, v17, v33
	s_delay_alu instid0(VALU_DEP_1) | instskip(SKIP_2) | instid1(SALU_CYCLE_1)
	v_cmp_eq_u32_e64 s14, v17, v24
	s_cmp_lg_u32 s14, 0
	s_cselect_b32 s15, -1, 0
	s_and_b32 s15, s2, s15
	s_delay_alu instid0(SALU_CYCLE_1)
	s_and_saveexec_b32 s21, s15
	s_cbranch_execz .LBB82_18
; %bb.15:                               ;   in Loop: Header=BB82_12 Depth=2
	s_mov_b32 s24, exec_lo
	s_bcnt1_i32_b32 s22, s14
	v_mbcnt_lo_u32_b32 v12, s24, 0
	s_mov_b32 s23, exec_lo
                                        ; implicit-def: $vgpr17
	s_delay_alu instid0(VALU_DEP_1)
	v_cmpx_eq_u32_e32 0, v12
; %bb.16:                               ;   in Loop: Header=BB82_12 Depth=2
	s_bcnt1_i32_b32 s15, s24
	s_delay_alu instid0(SALU_CYCLE_1) | instskip(NEXT) | instid1(SALU_CYCLE_1)
	s_mul_i32 s15, s22, s15
	v_mov_b32_e32 v17, s15
	ds_add_rtn_u32 v17, v13, v17 offset:4104
; %bb.17:                               ;   in Loop: Header=BB82_12 Depth=2
	s_or_b32 exec_lo, exec_lo, s23
	s_wait_dscnt 0x0
	v_readfirstlane_b32 s15, v17
	s_delay_alu instid0(VALU_DEP_1)
	v_mad_u32_u24 v12, s22, v12, s15
.LBB82_18:                              ;   in Loop: Header=BB82_12 Depth=2
	s_or_b32 exec_lo, exec_lo, s21
	ds_bpermute_b32 v12, v13, v12
	s_and_b32 s15, exec_lo, vcc_lo
	s_delay_alu instid0(SALU_CYCLE_1)
	s_or_b32 s20, s15, s20
	s_and_saveexec_b32 s15, s14
	s_cbranch_execz .LBB82_11
; %bb.19:                               ;   in Loop: Header=BB82_12 Depth=2
	v_and_b32_e32 v17, s14, v6
	s_delay_alu instid0(VALU_DEP_1) | instskip(NEXT) | instid1(VALU_DEP_1)
	v_bcnt_u32_b32 v17, v17, 0
	v_lshlrev_b32_e32 v17, 2, v17
	s_wait_dscnt 0x0
	s_delay_alu instid0(VALU_DEP_1)
	v_lshl_add_u32 v12, v12, 2, v17
	ds_store_b32 v12, v3
	s_branch .LBB82_11
.LBB82_20:                              ;   in Loop: Header=BB82_6 Depth=1
	s_mov_b32 s16, -1
	s_mov_b32 s14, 0
.LBB82_21:                              ;   in Loop: Header=BB82_6 Depth=1
	s_and_b32 vcc_lo, exec_lo, s16
	s_cbranch_vccz .LBB82_50
.LBB82_22:                              ;   in Loop: Header=BB82_6 Depth=1
	s_and_saveexec_b32 s15, s3
	s_cbranch_execz .LBB82_47
; %bb.23:                               ;   in Loop: Header=BB82_6 Depth=1
	global_load_b32 v17, v[8:9], off
	s_load_u16 s17, s[50:51], 0x0
	s_mov_b32 s16, exec_lo
	s_wait_kmcnt 0x0
	v_dual_mov_b32 v3, v0 :: v_dual_add_nc_u32 v2, s17, v0
	s_delay_alu instid0(VALU_DEP_1)
	v_cmpx_gt_u32_e64 s36, v2
	s_cbranch_execz .LBB82_46
; %bb.24:                               ;   in Loop: Header=BB82_6 Depth=1
	s_mov_b32 s14, 0
	s_mul_i32 s18, s56, s17
                                        ; implicit-def: $vgpr3
                                        ; implicit-def: $vgpr12
                                        ; implicit-def: $vgpr4
                                        ; implicit-def: $vgpr5
	s_and_saveexec_b32 s19, s7
	s_delay_alu instid0(SALU_CYCLE_1)
	s_xor_b32 s19, exec_lo, s19
	s_cbranch_execnz .LBB82_30
; %bb.25:                               ;   in Loop: Header=BB82_6 Depth=1
	s_and_not1_saveexec_b32 s19, s19
	s_cbranch_execnz .LBB82_41
.LBB82_26:                              ;   in Loop: Header=BB82_6 Depth=1
	s_or_b32 exec_lo, exec_lo, s19
	s_and_saveexec_b32 s18, s14
	s_cbranch_execnz .LBB82_42
	s_branch .LBB82_45
.LBB82_27:                              ;   in Loop: Header=BB82_6 Depth=1
	s_or_b32 exec_lo, exec_lo, s17
	s_wait_dscnt 0x0
	s_barrier_signal -1
	s_barrier_wait -1
	s_and_saveexec_b32 s14, s5
	s_cbranch_execz .LBB82_29
; %bb.28:                               ;   in Loop: Header=BB82_6 Depth=1
	ds_load_b32 v2, v13 offset:4104
	s_wait_dscnt 0x0
	ds_store_b32 v13, v2 offset:4096
.LBB82_29:                              ;   in Loop: Header=BB82_6 Depth=1
	s_or_b32 exec_lo, exec_lo, s14
	s_wait_dscnt 0x0
	s_barrier_signal -1
	s_mov_b32 s14, -1
	s_barrier_wait -1
	s_and_b32 vcc_lo, exec_lo, s16
	s_cbranch_vccnz .LBB82_22
	s_branch .LBB82_50
.LBB82_30:                              ;   in Loop: Header=BB82_6 Depth=1
	s_cvt_f32_u32 s14, s17
	v_add_max_u32_e64 v3, v2, s17, s36
	s_delay_alu instid0(SALU_CYCLE_2) | instskip(SKIP_1) | instid1(VALU_DEP_1)
	v_rcp_iflag_f32_e32 v4, s14
	s_lshl_b32 s14, s17, 1
	v_sub_nc_u32_e32 v3, v3, v0
	s_delay_alu instid0(VALU_DEP_1) | instskip(NEXT) | instid1(TRANS32_DEP_1)
	v_cmp_ne_u32_e32 vcc_lo, s14, v3
	v_readfirstlane_b32 s20, v4
	v_cndmask_b32_e64 v4, 0, 1, vcc_lo
	s_mul_f32 s20, s20, 0x4f7ffffe
	s_delay_alu instid0(VALU_DEP_1) | instskip(NEXT) | instid1(SALU_CYCLE_2)
	v_or_b32_e32 v4, s14, v4
	s_cvt_u32_f32 s14, s20
	s_sub_co_i32 s20, 0, s17
	s_delay_alu instid0(SALU_CYCLE_2) | instskip(NEXT) | instid1(VALU_DEP_1)
	s_mul_i32 s20, s20, s14
	v_sub_nc_u32_e32 v3, v3, v4
	s_mul_hi_u32 s20, s14, s20
	s_delay_alu instid0(SALU_CYCLE_1)
	s_add_co_i32 s14, s14, s20
	s_delay_alu instid0(VALU_DEP_1) | instid1(SALU_CYCLE_1)
	v_mul_hi_u32 v4, v3, s14
	s_delay_alu instid0(VALU_DEP_1) | instskip(NEXT) | instid1(VALU_DEP_1)
	v_mul_lo_u32 v5, v4, s17
	v_dual_sub_nc_u32 v3, v3, v5 :: v_dual_add_nc_u32 v5, 1, v4
	s_delay_alu instid0(VALU_DEP_1) | instskip(SKIP_1) | instid1(VALU_DEP_1)
	v_subrev_nc_u32_e32 v12, s17, v3
	v_cmp_le_u32_e64 s14, s17, v3
	v_dual_cndmask_b32 v4, v4, v5, s14 :: v_dual_cndmask_b32 v3, v3, v12, s14
	s_delay_alu instid0(VALU_DEP_1) | instskip(NEXT) | instid1(VALU_DEP_2)
	v_add_nc_u32_e32 v5, 1, v4
	v_cmp_le_u32_e64 s14, s17, v3
	s_delay_alu instid0(VALU_DEP_1) | instskip(SKIP_2) | instid1(VALU_DEP_2)
	v_cndmask_b32_e64 v3, v4, v5, s14
	v_mul_lo_u32 v4, s56, v2
	s_abs_i32 s14, s18
	v_add_co_ci_u32_e64 v3, null, 0, v3, vcc_lo
	s_delay_alu instid0(VALU_DEP_1) | instskip(SKIP_2) | instid1(SALU_CYCLE_1)
	v_mul_hi_u32 v5, s14, v3
	v_mul_lo_u32 v3, s14, v3
	s_not_b32 s14, s18
	s_ashr_i32 s14, s14, 31
	s_cmp_eq_u32 s17, 1
	s_delay_alu instid0(VALU_DEP_4) | instskip(SKIP_1) | instid1(VALU_DEP_3)
	v_xor_b32_e32 v4, s14, v4
	s_cselect_b32 s20, -1, 0
	v_cmp_eq_u32_e32 vcc_lo, 0, v5
	s_delay_alu instid0(VALU_DEP_2) | instskip(SKIP_2) | instid1(SALU_CYCLE_1)
	v_cmp_le_u32_e64 s14, v3, v4
	v_mov_b32_e32 v4, v0
                                        ; implicit-def: $vgpr3
	s_and_b32 s20, vcc_lo, s20
	s_and_b32 s21, s20, s14
	s_mov_b32 s20, -1
	s_and_saveexec_b32 s14, s21
	s_cbranch_execz .LBB82_40
; %bb.31:                               ;   in Loop: Header=BB82_6 Depth=1
	v_dual_mov_b32 v12, 0 :: v_dual_add_nc_u32 v3, 1, v2
	s_delay_alu instid0(VALU_DEP_1)
	v_mov_b64_e32 v[4:5], v[2:3]
	s_and_saveexec_b32 s20, s8
	s_cbranch_execz .LBB82_35
; %bb.32:                               ;   in Loop: Header=BB82_6 Depth=1
	v_mov_b64_e32 v[4:5], v[2:3]
	v_dual_mov_b32 v18, v23 :: v_dual_mov_b32 v35, v7
	s_mov_b32 s21, 0
	s_mov_b32 s22, 0
.LBB82_33:                              ;   Parent Loop BB82_6 Depth=1
                                        ; =>  This Inner Loop Header: Depth=2
	s_delay_alu instid0(VALU_DEP_2) | instskip(NEXT) | instid1(VALU_DEP_3)
	v_mul_lo_u32 v12, v4, s56
	v_dual_add_nc_u32 v40, 4, v4 :: v_dual_add_nc_u32 v44, 4, v5
	v_dual_mov_b32 v41, v13 :: v_dual_add_nc_u32 v48, 6, v4
	v_dual_mov_b32 v49, v13 :: v_dual_add_nc_u32 v38, 2, v5
	;; [unrolled: 1-line block ×4, first 2 shown]
	v_mov_b32_e32 v51, v13
	v_lshl_add_u64 v[36:37], v[12:13], 2, s[38:39]
	v_dual_add_nc_u32 v12, 2, v4 :: v_dual_add_nc_u32 v62, 12, v4
	v_dual_add_nc_u32 v60, 12, v5 :: v_dual_add_nc_u32 v61, 14, v5
	v_mov_b32_e32 v57, v13
	global_load_b32 v3, v[36:37], off
	s_wait_xcnt 0x0
	v_mov_b32_e32 v37, v13
	v_mul_lo_u32 v12, v12, s56
	v_mul_lo_u32 v36, v5, s75
	;; [unrolled: 1-line block ×3, first 2 shown]
	v_dual_mov_b32 v55, v13 :: v_dual_add_nc_u32 v63, 14, v4
	v_add_nc_u32_e32 v18, -8, v18
	s_add_co_i32 s22, s22, 16
	v_dual_add_nc_u32 v54, 8, v5 :: v_dual_add_nc_u32 v5, 16, v5
	s_delay_alu instid0(VALU_DEP_2)
	v_cmp_eq_u32_e32 vcc_lo, 0, v18
	v_lshl_add_u64 v[42:43], v[12:13], 2, s[38:39]
	v_mul_lo_u32 v12, v40, s56
	v_add_nc_u32_e32 v40, 8, v4
	v_lshl_add_u64 v[36:37], v[36:37], 2, s[38:39]
	s_or_b32 s21, vcc_lo, s21
	s_delay_alu instid0(VALU_DEP_3) | instskip(SKIP_2) | instid1(VALU_DEP_2)
	v_lshl_add_u64 v[46:47], v[12:13], 2, s[38:39]
	v_mul_lo_u32 v12, v48, s56
	v_dual_add_nc_u32 v48, 10, v4 :: v_dual_add_nc_u32 v4, 16, v4
	v_lshl_add_u64 v[52:53], v[12:13], 2, s[38:39]
	v_mul_lo_u32 v12, v40, s56
	v_mul_lo_u32 v40, v44, s75
	;; [unrolled: 1-line block ×5, first 2 shown]
	v_lshl_add_u64 v[58:59], v[12:13], 2, s[38:39]
	v_mul_lo_u32 v12, v48, s56
	v_mul_lo_u32 v48, v54, s75
	;; [unrolled: 1-line block ×3, first 2 shown]
	s_delay_alu instid0(VALU_DEP_3)
	v_lshl_add_u64 v[60:61], v[12:13], 2, s[38:39]
	v_mul_lo_u32 v12, v62, s56
	global_load_b32 v62, v[36:37], off
	s_wait_xcnt 0x0
	v_lshl_add_u64 v[36:37], v[38:39], 2, s[38:39]
	v_lshl_add_u64 v[38:39], v[40:41], 2, s[38:39]
	;; [unrolled: 1-line block ×7, first 2 shown]
	s_clause 0x8
	global_load_b32 v42, v[42:43], off
	global_load_b32 v43, v[36:37], off
	;; [unrolled: 1-line block ×9, first 2 shown]
	v_lshl_add_u64 v[56:57], v[12:13], 2, s[38:39]
	v_mul_lo_u32 v12, v63, s56
	s_delay_alu instid0(VALU_DEP_1)
	v_lshl_add_u64 v[36:37], v[12:13], 2, s[38:39]
	s_clause 0x3
	global_load_b32 v47, v[48:49], off
	global_load_b32 v48, v[56:57], off
	global_load_b32 v49, v[50:51], off
	global_load_b32 v36, v[36:37], off
	v_mov_b32_e32 v12, s22
	s_wait_loadcnt 0xe
	ds_store_2addr_b32 v35, v17, v3 offset1:1
	global_load_b32 v17, v[54:55], off
	s_wait_loadcnt 0xd
	ds_store_2addr_b32 v35, v62, v42 offset0:2 offset1:3
	s_wait_loadcnt 0xb
	ds_store_2addr_b32 v35, v43, v46 offset0:4 offset1:5
	;; [unrolled: 2-line block ×7, first 2 shown]
	v_add_nc_u32_e32 v35, 64, v35
	s_wait_xcnt 0x0
	s_and_not1_b32 exec_lo, exec_lo, s21
	s_cbranch_execnz .LBB82_33
; %bb.34:                               ;   in Loop: Header=BB82_6 Depth=1
	s_or_b32 exec_lo, exec_lo, s21
.LBB82_35:                              ;   in Loop: Header=BB82_6 Depth=1
	s_delay_alu instid0(SALU_CYCLE_1)
	s_or_b32 exec_lo, exec_lo, s20
	s_and_saveexec_b32 s20, s9
	s_cbranch_execz .LBB82_39
; %bb.36:                               ;   in Loop: Header=BB82_6 Depth=1
	v_lshl_add_u32 v3, v12, 2, v7
	v_mov_b32_e32 v18, v25
	s_mov_b32 s21, 0
.LBB82_37:                              ;   Parent Loop BB82_6 Depth=1
                                        ; =>  This Inner Loop Header: Depth=2
	v_mul_lo_u32 v12, v4, s56
	v_mul_lo_u32 v36, v5, s75
	s_delay_alu instid0(VALU_DEP_3) | instskip(SKIP_1) | instid1(VALU_DEP_2)
	v_dual_mov_b32 v37, v13 :: v_dual_add_nc_u32 v18, -8, v18
	v_dual_add_nc_u32 v5, 2, v5 :: v_dual_add_nc_u32 v4, 2, v4
	v_cmp_eq_u32_e32 vcc_lo, 0, v18
	v_lshl_add_u64 v[38:39], v[12:13], 2, s[38:39]
	s_delay_alu instid0(VALU_DEP_4)
	v_lshl_add_u64 v[36:37], v[36:37], 2, s[38:39]
	s_or_b32 s21, vcc_lo, s21
	s_clause 0x1
	global_load_b32 v35, v[38:39], off
	global_load_b32 v12, v[36:37], off
	s_wait_loadcnt 0x1
	ds_store_2addr_b32 v3, v17, v35 offset1:1
	s_wait_loadcnt 0x0
	v_dual_add_nc_u32 v3, 8, v3 :: v_dual_mov_b32 v17, v12
	s_and_not1_b32 exec_lo, exec_lo, s21
	s_cbranch_execnz .LBB82_37
; %bb.38:                               ;   in Loop: Header=BB82_6 Depth=1
	s_or_b32 exec_lo, exec_lo, s21
	v_mov_b32_e32 v17, v12
.LBB82_39:                              ;   in Loop: Header=BB82_6 Depth=1
	s_or_b32 exec_lo, exec_lo, s20
	v_dual_add_nc_u32 v2, v2, v21 :: v_dual_add_nc_u32 v4, v0, v21
	s_or_not1_b32 s20, s10, exec_lo
	s_delay_alu instid0(VALU_DEP_1)
	v_add_nc_u32_e32 v3, -1, v2
.LBB82_40:                              ;   in Loop: Header=BB82_6 Depth=1
	s_or_b32 exec_lo, exec_lo, s14
	s_wait_loadcnt 0x0
	v_dual_mov_b32 v5, s18 :: v_dual_mov_b32 v12, v17
	s_and_b32 s14, s20, exec_lo
	s_and_not1_saveexec_b32 s19, s19
	s_cbranch_execz .LBB82_26
.LBB82_41:                              ;   in Loop: Header=BB82_6 Depth=1
	s_wait_loadcnt 0x0
	v_dual_mov_b32 v5, s18 :: v_dual_mov_b32 v12, v17
	v_mov_b32_e32 v4, v0
	s_or_b32 s14, s14, exec_lo
	s_or_b32 exec_lo, exec_lo, s19
	s_and_saveexec_b32 s18, s14
	s_cbranch_execz .LBB82_45
.LBB82_42:                              ;   in Loop: Header=BB82_6 Depth=1
	v_mul_lo_u32 v3, s56, v2
	s_mov_b32 s19, 0
	s_sub_co_i32 s14, 0, s17
.LBB82_43:                              ;   Parent Loop BB82_6 Depth=1
                                        ; =>  This Inner Loop Header: Depth=2
	s_wait_loadcnt 0x0
	global_load_b32 v17, v3, s[38:39] scale_offset
	v_dual_mov_b32 v18, v2 :: v_dual_lshlrev_b32 v4, 2, v4
	s_wait_xcnt 0x0
	s_delay_alu instid0(VALU_DEP_1)
	v_dual_add_nc_u32 v3, v3, v5 :: v_dual_add_nc_u32 v2, s17, v18
	ds_store_b32 v4, v12
	v_mov_b32_e32 v4, v18
	v_cmp_le_u32_e32 vcc_lo, s36, v2
	s_or_b32 s19, vcc_lo, s19
	s_wait_loadcnt 0x0
	v_mov_b32_e32 v12, v17
	s_and_not1_b32 exec_lo, exec_lo, s19
	s_cbranch_execnz .LBB82_43
; %bb.44:                               ;   in Loop: Header=BB82_6 Depth=1
	s_or_b32 exec_lo, exec_lo, s19
	v_add_nc_u32_e32 v3, s14, v2
.LBB82_45:                              ;   in Loop: Header=BB82_6 Depth=1
	s_or_b32 exec_lo, exec_lo, s18
.LBB82_46:                              ;   in Loop: Header=BB82_6 Depth=1
	s_delay_alu instid0(SALU_CYCLE_1) | instskip(NEXT) | instid1(VALU_DEP_1)
	s_or_b32 exec_lo, exec_lo, s16
	v_lshlrev_b32_e32 v2, 2, v3
	s_wait_loadcnt 0x0
	ds_store_b32 v2, v17
.LBB82_47:                              ;   in Loop: Header=BB82_6 Depth=1
	s_or_b32 exec_lo, exec_lo, s15
	s_wait_dscnt 0x0
	s_barrier_signal -1
	s_barrier_wait -1
	s_and_saveexec_b32 s14, s5
; %bb.48:                               ;   in Loop: Header=BB82_6 Depth=1
	v_mov_b32_e32 v2, s36
	ds_store_b32 v13, v2 offset:4096
; %bb.49:                               ;   in Loop: Header=BB82_6 Depth=1
	s_or_b32 exec_lo, exec_lo, s14
	s_mov_b32 s14, -1
	s_wait_dscnt 0x0
	s_barrier_signal -1
	s_barrier_wait -1
.LBB82_50:                              ;   in Loop: Header=BB82_6 Depth=1
	s_and_b32 vcc_lo, exec_lo, s14
	s_mov_b32 s44, 0
	s_cbranch_vccz .LBB82_52
; %bb.51:                               ;   in Loop: Header=BB82_6 Depth=1
	ds_load_b32 v2, v13 offset:4096
	s_wait_dscnt 0x0
	v_readfirstlane_b32 s44, v2
.LBB82_52:                              ;   in Loop: Header=BB82_6 Depth=1
	s_delay_alu instid0(VALU_DEP_1)
	s_cmp_lt_i32 s44, 1
	s_mov_b32 s14, -1
                                        ; implicit-def: $vgpr4_vgpr5
	s_cbranch_scc1 .LBB82_65
; %bb.53:                               ;   in Loop: Header=BB82_6 Depth=1
	s_and_b32 vcc_lo, exec_lo, s14
	s_cbranch_vccnz .LBB82_76
.LBB82_54:                              ;   in Loop: Header=BB82_6 Depth=1
	s_lshl_b32 s16, s83, 7
	s_and_saveexec_b32 s14, s2
.LBB82_55:                              ;   in Loop: Header=BB82_6 Depth=1
	v_lshl_add_u32 v12, s16, 2, v20
	ds_store_b128 v12, v[2:5]
.LBB82_56:                              ;   in Loop: Header=BB82_6 Depth=1
	s_or_b32 exec_lo, exec_lo, s14
	s_wait_dscnt 0x0
	s_barrier_signal -1
	s_barrier_wait -1
	s_and_saveexec_b32 s17, s63
	s_cbranch_execz .LBB82_89
; %bb.57:                               ;   in Loop: Header=BB82_6 Depth=1
	v_dual_add_nc_u32 v4, s16, v1 :: v_dual_mov_b32 v2, 0
	s_and_not1_b32 vcc_lo, exec_lo, s65
	s_cbranch_vccnz .LBB82_88
; %bb.58:                               ;   in Loop: Header=BB82_6 Depth=1
	s_and_not1_b32 vcc_lo, exec_lo, s68
	s_cbranch_vccnz .LBB82_85
; %bb.59:                               ;   in Loop: Header=BB82_6 Depth=1
	v_lshl_add_u32 v5, v4, 2, 0xc00
	s_and_not1_b32 vcc_lo, exec_lo, s71
	s_cbranch_vccnz .LBB82_115
; %bb.60:                               ;   in Loop: Header=BB82_6 Depth=1
	v_dual_mov_b32 v2, 0 :: v_dual_mov_b32 v3, 0
	s_mov_b32 s15, 1
	s_mov_b32 s14, 0
	;; [unrolled: 1-line block ×3, first 2 shown]
.LBB82_61:                              ;   Parent Loop BB82_6 Depth=1
                                        ; =>  This Inner Loop Header: Depth=2
	v_lshl_add_u32 v12, s15, 4, v5
	v_lshl_add_u32 v17, s14, 4, v5
	s_add_co_i32 s18, s18, -8
	s_add_co_i32 s15, s15, 16
	s_add_co_i32 s14, s14, 16
	ds_load_2addr_b32 v[36:37], v12 offset1:8
	ds_load_2addr_b32 v[38:39], v17 offset1:8
	ds_load_2addr_b32 v[40:41], v12 offset0:16 offset1:24
	ds_load_2addr_b32 v[42:43], v17 offset0:16 offset1:24
	;; [unrolled: 1-line block ×6, first 2 shown]
	s_cmp_lg_u32 s18, 0
	s_wait_dscnt 0x7
	v_add3_u32 v3, v36, v3, v37
	s_wait_dscnt 0x6
	v_add3_u32 v2, v38, v2, v39
	s_wait_dscnt 0x5
	s_delay_alu instid0(VALU_DEP_2) | instskip(SKIP_1) | instid1(VALU_DEP_2)
	v_add3_u32 v3, v40, v3, v41
	s_wait_dscnt 0x4
	v_add3_u32 v2, v42, v2, v43
	s_wait_dscnt 0x3
	s_delay_alu instid0(VALU_DEP_2) | instskip(SKIP_1) | instid1(VALU_DEP_2)
	;; [unrolled: 5-line block ×3, first 2 shown]
	v_add3_u32 v3, v48, v3, v49
	s_wait_dscnt 0x0
	v_add3_u32 v2, v50, v2, v51
	s_cbranch_scc1 .LBB82_61
; %bb.62:                               ;   in Loop: Header=BB82_6 Depth=1
	s_and_not1_b32 vcc_lo, exec_lo, s73
	s_mov_b32 s18, s70
	s_cbranch_vccnz .LBB82_64
.LBB82_63:                              ;   Parent Loop BB82_6 Depth=1
                                        ; =>  This Inner Loop Header: Depth=2
	v_lshl_add_u32 v12, s15, 4, v5
	v_lshl_add_u32 v17, s14, 4, v5
	s_add_co_i32 s18, s18, -1
	s_add_co_i32 s15, s15, 2
	s_add_co_i32 s14, s14, 2
	ds_load_b32 v12, v12
	ds_load_b32 v17, v17
	s_cmp_lg_u32 s18, 0
	s_wait_dscnt 0x0
	v_dual_add_nc_u32 v3, v12, v3 :: v_dual_add_nc_u32 v2, v17, v2
	s_cbranch_scc1 .LBB82_63
.LBB82_64:                              ;   in Loop: Header=BB82_6 Depth=1
	s_delay_alu instid0(VALU_DEP_1) | instskip(SKIP_2) | instid1(SALU_CYCLE_1)
	v_add_nc_u32_e32 v2, v2, v3
	s_mov_b32 s14, s69
	s_mov_b32 s15, s74
	s_and_b32 vcc_lo, exec_lo, s15
	s_cbranch_vccnz .LBB82_86
	s_branch .LBB82_88
.LBB82_65:                              ;   in Loop: Header=BB82_6 Depth=1
	v_mov_b64_e32 v[4:5], 0
	v_mov_b64_e32 v[2:3], 0
	s_and_saveexec_b32 s93, s11
	s_cbranch_execz .LBB82_69
; %bb.66:                               ;   in Loop: Header=BB82_6 Depth=1
	v_mov_b32_e32 v12, v7
	s_mov_b32 s94, 0
	s_mov_b32 s95, 0
	;; [unrolled: 1-line block ×6, first 2 shown]
.LBB82_67:                              ;   Parent Loop BB82_6 Depth=1
                                        ; =>  This Inner Loop Header: Depth=2
	v_dual_add_nc_u32 v2, s95, v29 :: v_dual_add_nc_u32 v3, s95, v26
	v_dual_add_nc_u32 v4, s95, v27 :: v_dual_add_nc_u32 v5, s95, v28
	s_add_co_i32 s95, s95, s78
	s_clause 0x3
	global_load_b32 v2, v2, s[38:39] scale_offset
	global_load_b32 v3, v3, s[38:39] scale_offset
	;; [unrolled: 1-line block ×4, first 2 shown]
	s_wait_loadcnt 0x3
	v_cmp_lt_i32_e64 s14, -1, v2
	v_cmp_o_f32_e64 s17, v2, v2
	s_wait_loadcnt 0x1
	v_cmp_o_f32_e64 s15, v4, v4
	s_wait_loadcnt 0x0
	v_cmp_o_f32_e64 s16, v5, v5
	v_cndmask_b32_e64 v17, -1, 0x80000000, s14
	v_cmp_lt_i32_e64 s14, -1, v3
	s_delay_alu instid0(VALU_DEP_2) | instskip(NEXT) | instid1(VALU_DEP_2)
	v_dual_add_nc_u32 v12, s62, v12 :: v_dual_bitop2_b32 v17, v17, v2 bitop3:0x14
	v_cndmask_b32_e64 v18, -1, 0x80000000, s14
	v_cmp_lt_i32_e64 s14, -1, v4
	s_delay_alu instid0(VALU_DEP_3) | instskip(NEXT) | instid1(VALU_DEP_3)
	v_cmp_le_u32_e32 vcc_lo, s76, v12
	v_dual_cndmask_b32 v2, -1, v17, s17 :: v_dual_bitop2_b32 v18, v18, v3 bitop3:0x14
	s_delay_alu instid0(VALU_DEP_3) | instskip(SKIP_1) | instid1(VALU_DEP_3)
	v_cndmask_b32_e64 v35, -1, 0x80000000, s14
	v_cmp_lt_i32_e64 s14, -1, v5
	v_and_b32_e32 v17, v2, v33
	v_bfe_u32 v2, v2, s80, 2
	s_delay_alu instid0(VALU_DEP_3) | instskip(SKIP_2) | instid1(VALU_DEP_4)
	v_cndmask_b32_e64 v36, -1, 0x80000000, s14
	v_cmp_o_f32_e64 s14, v3, v3
	v_xor_b32_e32 v3, v35, v4
	v_cmp_eq_u32_e64 s18, 0, v2
	v_cmp_eq_u32_e64 s22, 1, v2
	s_delay_alu instid0(VALU_DEP_4) | instskip(NEXT) | instid1(VALU_DEP_4)
	v_dual_cndmask_b32 v5, -1, v18, s14 :: v_dual_bitop2_b32 v4, v36, v5 bitop3:0x14
	v_cndmask_b32_e64 v3, -1, v3, s15
	v_cmp_eq_u32_e64 s14, v17, v24
	v_cmp_eq_u32_e64 s26, 2, v2
	s_delay_alu instid0(VALU_DEP_4) | instskip(SKIP_3) | instid1(VALU_DEP_4)
	v_dual_cndmask_b32 v4, -1, v4, s16 :: v_dual_bitop2_b32 v18, v5, v33 bitop3:0x40
	v_bfe_u32 v5, v5, s80, 2
	v_and_b32_e32 v35, v3, v33
	v_bfe_u32 v3, v3, s80, 2
	v_and_b32_e32 v36, v4, v33
	v_bfe_u32 v4, v4, s80, 2
	v_cmp_eq_u32_e64 s15, v18, v24
	v_cmp_eq_u32_e64 s19, 0, v5
	;; [unrolled: 1-line block ×4, first 2 shown]
	s_and_b32 s18, s14, s18
	v_cmp_eq_u32_e64 s17, v36, v24
	v_cmp_eq_u32_e64 s21, 0, v4
	;; [unrolled: 1-line block ×3, first 2 shown]
	v_cndmask_b32_e64 v2, 0, 1, s18
	s_and_b32 s18, s15, s19
	v_cmp_eq_u32_e64 s24, 1, v3
	v_cmp_eq_u32_e64 s28, 2, v3
	v_cmp_eq_u32_e64 s33, 3, v3
	v_cndmask_b32_e64 v3, 0, 1, s18
	s_and_b32 s18, s16, s20
	v_cmp_eq_u32_e64 s23, 1, v5
	v_cmp_eq_u32_e64 s25, 1, v4
	;; [unrolled: 1-line block ×4, first 2 shown]
	v_cndmask_b32_e64 v4, 0, 1, s18
	s_and_b32 s18, s17, s21
	v_cmp_eq_u32_e64 s27, 2, v5
	v_cmp_eq_u32_e64 s31, 3, v5
	v_cndmask_b32_e64 v5, 0, 1, s18
	s_and_b32 s18, s14, s22
	s_delay_alu instid0(SALU_CYCLE_1) | instskip(SKIP_1) | instid1(SALU_CYCLE_1)
	v_cndmask_b32_e64 v17, 0, 1, s18
	s_and_b32 s18, s15, s23
	v_cndmask_b32_e64 v18, 0, 1, s18
	s_and_b32 s18, s16, s24
	s_delay_alu instid0(SALU_CYCLE_1) | instskip(SKIP_1) | instid1(VALU_DEP_2)
	v_cndmask_b32_e64 v35, 0, 1, s18
	s_and_b32 s18, s17, s25
	v_cmp_ne_u32_e64 s19, 0, v18
	v_cndmask_b32_e64 v36, 0, 1, s18
	s_and_b32 s18, s14, s26
	s_and_b32 s14, s14, s30
	v_cndmask_b32_e64 v37, 0, 1, s18
	s_and_b32 s18, s15, s27
	v_cndmask_b32_e64 v41, 0, 1, s14
	;; [unrolled: 2-line block ×7, first 2 shown]
	v_cndmask_b32_e64 v44, 0, 1, s14
	v_cmp_ne_u32_e64 s14, 0, v2
	v_cmp_ne_u32_e64 s18, 0, v17
	v_cmp_ne_u32_e64 s22, 0, v37
	v_cmp_ne_u32_e64 s26, 0, v41
	v_cmp_ne_u32_e64 s15, 0, v3
	v_cmp_ne_u32_e64 s23, 0, v38
	v_cmp_ne_u32_e64 s27, 0, v42
	v_cmp_ne_u32_e64 s16, 0, v4
	v_cmp_ne_u32_e64 s20, 0, v35
	v_cmp_ne_u32_e64 s24, 0, v39
	v_cmp_ne_u32_e64 s28, 0, v43
	s_bcnt1_i32_b32 s14, s14
	s_bcnt1_i32_b32 s18, s18
	;; [unrolled: 1-line block ×4, first 2 shown]
	v_cmp_ne_u32_e64 s17, 0, v5
	v_cmp_ne_u32_e64 s21, 0, v36
	;; [unrolled: 1-line block ×4, first 2 shown]
	s_bcnt1_i32_b32 s15, s15
	s_bcnt1_i32_b32 s19, s19
	s_bcnt1_i32_b32 s23, s23
	s_bcnt1_i32_b32 s27, s27
	s_add_co_i32 s14, s14, s52
	s_add_co_i32 s18, s18, s53
	s_add_co_i32 s22, s22, s54
	s_add_co_i32 s26, s26, s55
	s_bcnt1_i32_b32 s16, s16
	s_bcnt1_i32_b32 s20, s20
	s_bcnt1_i32_b32 s24, s24
	s_bcnt1_i32_b32 s28, s28
	s_add_co_i32 s18, s18, s19
	s_add_co_i32 s14, s14, s15
	s_add_co_i32 s15, s26, s27
	s_add_co_i32 s19, s22, s23
	;; [unrolled: 8-line block ×3, first 2 shown]
	s_add_co_i32 s53, s16, s21
	s_add_co_i32 s52, s14, s17
	;; [unrolled: 1-line block ×4, first 2 shown]
	v_mov_b64_e32 v[2:3], s[52:53]
	v_mov_b64_e32 v[4:5], s[54:55]
	s_or_b32 s94, vcc_lo, s94
	s_delay_alu instid0(SALU_CYCLE_1)
	s_and_not1_b32 exec_lo, exec_lo, s94
	s_cbranch_execnz .LBB82_67
; %bb.68:                               ;   in Loop: Header=BB82_6 Depth=1
	s_or_b32 exec_lo, exec_lo, s94
.LBB82_69:                              ;   in Loop: Header=BB82_6 Depth=1
	s_delay_alu instid0(SALU_CYCLE_1)
	s_or_b32 exec_lo, exec_lo, s93
	s_and_saveexec_b32 s18, s12
	s_cbranch_execz .LBB82_75
; %bb.70:                               ;   in Loop: Header=BB82_6 Depth=1
	global_load_b32 v35, v[14:15], off
	v_dual_mov_b32 v12, v30 :: v_dual_mov_b32 v17, v22
	s_mov_b32 s19, 0
	s_branch .LBB82_72
.LBB82_71:                              ;   in Loop: Header=BB82_72 Depth=2
	s_wait_xcnt 0x0
	s_or_b32 exec_lo, exec_lo, s15
	s_wait_loadcnt 0x0
	v_cmp_lt_i32_e64 s14, -1, v35
	s_and_b32 s15, exec_lo, vcc_lo
	v_add_nc_u32_e32 v12, s57, v12
	s_or_b32 s19, s15, s19
	v_cndmask_b32_e64 v36, -1, 0x80000000, s14
	v_cmp_o_f32_e64 s14, v35, v35
	s_delay_alu instid0(VALU_DEP_2) | instskip(NEXT) | instid1(VALU_DEP_1)
	v_xor_b32_e32 v36, v36, v35
	v_cndmask_b32_e64 v35, -1, v36, s14
	s_delay_alu instid0(VALU_DEP_1) | instskip(SKIP_1) | instid1(VALU_DEP_2)
	v_and_b32_e32 v36, v35, v33
	v_bfe_u32 v35, v35, s80, 2
	v_cmp_eq_u32_e32 vcc_lo, v36, v24
	s_delay_alu instid0(VALU_DEP_2) | instskip(SKIP_4) | instid1(SALU_CYCLE_1)
	v_cmp_eq_u32_e64 s14, 0, v35
	v_cmp_eq_u32_e64 s15, 1, v35
	;; [unrolled: 1-line block ×4, first 2 shown]
	s_and_b32 s14, vcc_lo, s14
	v_cndmask_b32_e64 v35, 0, 1, s14
	s_and_b32 s14, vcc_lo, s15
	s_delay_alu instid0(SALU_CYCLE_1) | instskip(SKIP_1) | instid1(SALU_CYCLE_1)
	v_cndmask_b32_e64 v36, 0, 1, s14
	s_and_b32 s14, vcc_lo, s16
	v_cndmask_b32_e64 v37, 0, 1, s14
	s_and_b32 s14, vcc_lo, s17
	v_cmp_ne_u32_e32 vcc_lo, 0, v35
	v_cndmask_b32_e64 v38, 0, 1, s14
	v_cmp_ne_u32_e64 s14, 0, v36
	v_cmp_ne_u32_e64 s15, 0, v37
	v_mov_b32_e32 v35, v18
	s_bcnt1_i32_b32 s17, vcc_lo
	v_cmp_ne_u32_e64 s16, 0, v38
	s_bcnt1_i32_b32 s14, s14
	s_bcnt1_i32_b32 s15, s15
	v_dual_add_nc_u32 v3, s14, v3 :: v_dual_add_nc_u32 v2, s17, v2
	s_bcnt1_i32_b32 s16, s16
	s_delay_alu instid0(SALU_CYCLE_1)
	v_dual_add_nc_u32 v4, s15, v4 :: v_dual_add_nc_u32 v5, s16, v5
	s_and_not1_b32 exec_lo, exec_lo, s19
	s_cbranch_execz .LBB82_74
.LBB82_72:                              ;   Parent Loop BB82_6 Depth=1
                                        ; =>  This Inner Loop Header: Depth=2
	s_delay_alu instid0(VALU_DEP_1) | instskip(SKIP_1) | instid1(VALU_DEP_1)
	v_dual_mov_b32 v18, 0 :: v_dual_add_nc_u32 v17, s35, v17
	s_mov_b32 s15, exec_lo
	v_cmp_le_u32_e32 vcc_lo, s36, v17
	s_wait_xcnt 0x0
	v_cmpx_gt_u32_e64 s36, v17
	s_cbranch_execz .LBB82_71
; %bb.73:                               ;   in Loop: Header=BB82_72 Depth=2
	global_load_b32 v18, v12, s[38:39] scale_offset
	s_branch .LBB82_71
.LBB82_74:                              ;   in Loop: Header=BB82_6 Depth=1
	s_or_b32 exec_lo, exec_lo, s19
.LBB82_75:                              ;   in Loop: Header=BB82_6 Depth=1
	s_delay_alu instid0(SALU_CYCLE_1)
	s_or_b32 exec_lo, exec_lo, s18
	s_branch .LBB82_54
.LBB82_76:                              ;   in Loop: Header=BB82_6 Depth=1
	s_mul_u64 s[14:15], s[44:45], s[46:47]
	v_mov_b64_e32 v[4:5], 0
	s_mul_i32 s14, s15, s62
	v_mov_b64_e32 v[2:3], 0
	s_sub_co_i32 s14, s44, s14
	s_mov_b32 s94, exec_lo
	s_sub_co_i32 s15, s14, s62
	s_cmp_ge_u32 s14, s62
	s_cselect_b32 s14, s15, s14
	s_delay_alu instid0(SALU_CYCLE_1) | instskip(SKIP_2) | instid1(SALU_CYCLE_1)
	s_sub_co_i32 s15, s14, s62
	s_cmp_ge_u32 s14, s62
	s_cselect_b32 s14, s15, s14
	s_sub_co_i32 s93, s44, s14
	s_delay_alu instid0(SALU_CYCLE_1)
	v_cmpx_gt_u32_e64 s93, v7
	s_cbranch_execz .LBB82_80
; %bb.77:                               ;   in Loop: Header=BB82_6 Depth=1
	v_dual_mov_b32 v12, v31 :: v_dual_mov_b32 v17, v7
	s_mov_b32 s95, 0
	s_mov_b32 s96, s80
	;; [unrolled: 1-line block ×6, first 2 shown]
.LBB82_78:                              ;   Parent Loop BB82_6 Depth=1
                                        ; =>  This Inner Loop Header: Depth=2
	ds_load_b128 v[2:5], v12
	v_dual_add_nc_u32 v17, s62, v17 :: v_dual_add_nc_u32 v12, s79, v12
	s_delay_alu instid0(VALU_DEP_1)
	v_cmp_le_u32_e32 vcc_lo, s93, v17
	s_wait_dscnt 0x0
	v_cmp_lt_i32_e64 s14, -1, v3
	v_cmp_o_f32_e64 s15, v4, v4
	v_cmp_o_f32_e64 s16, v5, v5
	;; [unrolled: 1-line block ×3, first 2 shown]
	s_delay_alu instid0(VALU_DEP_4) | instskip(SKIP_1) | instid1(VALU_DEP_2)
	v_cndmask_b32_e64 v18, -1, 0x80000000, s14
	v_cmp_lt_i32_e64 s14, -1, v2
	v_xor_b32_e32 v18, v18, v3
	s_delay_alu instid0(VALU_DEP_2) | instskip(SKIP_1) | instid1(VALU_DEP_1)
	v_cndmask_b32_e64 v35, -1, 0x80000000, s14
	v_cmp_lt_i32_e64 s14, -1, v4
	v_cndmask_b32_e64 v36, -1, 0x80000000, s14
	v_cmp_lt_i32_e64 s14, -1, v5
	s_delay_alu instid0(VALU_DEP_1) | instskip(SKIP_3) | instid1(VALU_DEP_4)
	v_cndmask_b32_e64 v37, -1, 0x80000000, s14
	v_cmp_o_f32_e64 s14, v3, v3
	v_xor_b32_e32 v3, v35, v2
	v_xor_b32_e32 v35, v36, v4
	;; [unrolled: 1-line block ×3, first 2 shown]
	s_delay_alu instid0(VALU_DEP_1) | instskip(NEXT) | instid1(VALU_DEP_3)
	v_dual_cndmask_b32 v4, -1, v4, s16 :: v_dual_cndmask_b32 v2, -1, v3, s17
	v_dual_cndmask_b32 v3, -1, v18, s14 :: v_dual_cndmask_b32 v5, -1, v35, s15
	s_delay_alu instid0(VALU_DEP_2) | instskip(NEXT) | instid1(VALU_DEP_3)
	v_and_b32_e32 v37, v4, v33
	v_and_b32_e32 v18, v2, v33
	s_delay_alu instid0(VALU_DEP_3) | instskip(NEXT) | instid1(VALU_DEP_4)
	v_dual_lshrrev_b32 v2, s80, v2 :: v_dual_bitop2_b32 v35, v3, v33 bitop3:0x40
	v_dual_lshrrev_b32 v3, s96, v3 :: v_dual_bitop2_b32 v36, v5, v33 bitop3:0x40
	v_dual_lshrrev_b32 v4, s96, v4 :: v_dual_lshrrev_b32 v5, s80, v5
	s_delay_alu instid0(VALU_DEP_3) | instskip(NEXT) | instid1(VALU_DEP_3)
	v_and_b32_e32 v2, 3, v2
	v_and_b32_e32 v3, 3, v3
	v_cmp_eq_u32_e64 s14, v18, v24
	v_cmp_eq_u32_e64 s15, v35, v24
	v_and_b32_e32 v4, 3, v4
	v_cmp_eq_u32_e64 s18, 0, v2
	v_cmp_eq_u32_e64 s19, 0, v3
	;; [unrolled: 1-line block ×4, first 2 shown]
	v_and_b32_e32 v5, 3, v5
	s_and_b32 s18, s14, s18
	v_cmp_eq_u32_e64 s22, 2, v2
	v_cmp_eq_u32_e64 s25, 3, v2
	v_cndmask_b32_e64 v2, 0, 1, s18
	s_and_b32 s18, s15, s19
	v_cmp_eq_u32_e64 s23, 2, v3
	v_cmp_eq_u32_e64 s24, 3, v3
	v_cndmask_b32_e64 v3, 0, 1, s18
	s_and_b32 s18, s14, s20
	v_cmp_eq_u32_e64 s27, 0, v4
	v_cmp_eq_u32_e64 s29, 1, v4
	;; [unrolled: 1-line block ×4, first 2 shown]
	v_cndmask_b32_e64 v4, 0, 1, s18
	s_and_b32 s18, s15, s21
	v_cmp_eq_u32_e64 s16, v36, v24
	v_cmp_eq_u32_e64 s26, 0, v5
	;; [unrolled: 1-line block ×5, first 2 shown]
	v_cndmask_b32_e64 v5, 0, 1, s18
	s_and_b32 s18, s14, s22
	v_cmp_eq_u32_e64 s17, v37, v24
	v_cndmask_b32_e64 v18, 0, 1, s18
	s_and_b32 s18, s15, s23
	s_and_b32 s14, s14, s25
	v_cndmask_b32_e64 v35, 0, 1, s18
	s_and_b32 s18, s16, s26
	v_cndmask_b32_e64 v42, 0, 1, s14
	v_cndmask_b32_e64 v36, 0, 1, s18
	s_and_b32 s18, s17, s27
	s_and_b32 s14, s15, s24
	v_cndmask_b32_e64 v37, 0, 1, s18
	s_and_b32 s18, s16, s28
	v_cndmask_b32_e64 v43, 0, 1, s14
	;; [unrolled: 6-line block ×3, first 2 shown]
	v_cndmask_b32_e64 v40, 0, 1, s18
	s_and_b32 s18, s17, s31
	s_and_b32 s14, s17, s33
	v_cndmask_b32_e64 v41, 0, 1, s18
	v_cndmask_b32_e64 v45, 0, 1, s14
	v_cmp_ne_u32_e64 s14, 0, v2
	v_cmp_ne_u32_e64 s16, 0, v4
	;; [unrolled: 1-line block ×12, first 2 shown]
	s_bcnt1_i32_b32 s14, s14
	s_bcnt1_i32_b32 s16, s16
	;; [unrolled: 1-line block ×4, first 2 shown]
	v_cmp_ne_u32_e64 s21, 0, v37
	v_cmp_ne_u32_e64 s23, 0, v39
	;; [unrolled: 1-line block ×4, first 2 shown]
	s_bcnt1_i32_b32 s15, s15
	s_bcnt1_i32_b32 s17, s17
	s_bcnt1_i32_b32 s19, s19
	s_bcnt1_i32_b32 s27, s27
	s_add_co_i32 s14, s14, s52
	s_add_co_i32 s16, s16, s53
	s_add_co_i32 s18, s18, s54
	s_add_co_i32 s26, s26, s55
	s_bcnt1_i32_b32 s20, s20
	s_bcnt1_i32_b32 s22, s22
	s_bcnt1_i32_b32 s24, s24
	s_bcnt1_i32_b32 s28, s28
	s_add_co_i32 s16, s16, s17
	s_add_co_i32 s14, s14, s15
	s_add_co_i32 s15, s26, s27
	s_add_co_i32 s17, s18, s19
	;; [unrolled: 8-line block ×3, first 2 shown]
	s_add_co_i32 s53, s16, s23
	s_add_co_i32 s52, s14, s21
	;; [unrolled: 1-line block ×4, first 2 shown]
	v_mov_b64_e32 v[2:3], s[52:53]
	v_mov_b64_e32 v[4:5], s[54:55]
	s_or_b32 s95, vcc_lo, s95
	s_delay_alu instid0(SALU_CYCLE_1)
	s_and_not1_b32 exec_lo, exec_lo, s95
	s_cbranch_execnz .LBB82_78
; %bb.79:                               ;   in Loop: Header=BB82_6 Depth=1
	s_or_b32 exec_lo, exec_lo, s95
.LBB82_80:                              ;   in Loop: Header=BB82_6 Depth=1
	s_delay_alu instid0(SALU_CYCLE_1) | instskip(SKIP_2) | instid1(VALU_DEP_1)
	s_or_b32 exec_lo, exec_lo, s94
	v_add_nc_u32_e32 v12, s93, v0
	s_mov_b32 s19, exec_lo
	v_cmpx_gt_u32_e64 s44, v12
	s_cbranch_execz .LBB82_84
; %bb.81:                               ;   in Loop: Header=BB82_6 Depth=1
	v_lshlrev_b32_e32 v17, 2, v12
	s_mov_b32 s20, 0
.LBB82_82:                              ;   Parent Loop BB82_6 Depth=1
                                        ; =>  This Inner Loop Header: Depth=2
	ds_load_b32 v18, v17
	v_dual_add_nc_u32 v12, s35, v12 :: v_dual_add_nc_u32 v17, s62, v17
	s_delay_alu instid0(VALU_DEP_1) | instskip(SKIP_2) | instid1(VALU_DEP_1)
	v_cmp_le_u32_e32 vcc_lo, s44, v12
	s_wait_dscnt 0x0
	v_cmp_lt_i32_e64 s14, -1, v18
	v_cndmask_b32_e64 v35, -1, 0x80000000, s14
	v_cmp_o_f32_e64 s14, v18, v18
	s_delay_alu instid0(VALU_DEP_2) | instskip(NEXT) | instid1(VALU_DEP_1)
	v_xor_b32_e32 v35, v35, v18
	v_cndmask_b32_e64 v18, -1, v35, s14
	s_delay_alu instid0(VALU_DEP_1) | instskip(SKIP_1) | instid1(VALU_DEP_2)
	v_and_b32_e32 v35, v18, v33
	v_bfe_u32 v18, v18, s80, 2
	v_cmp_eq_u32_e64 s14, v35, v24
	s_delay_alu instid0(VALU_DEP_2) | instskip(SKIP_4) | instid1(SALU_CYCLE_1)
	v_cmp_eq_u32_e64 s15, 0, v18
	v_cmp_eq_u32_e64 s16, 1, v18
	v_cmp_eq_u32_e64 s17, 2, v18
	v_cmp_eq_u32_e64 s18, 3, v18
	s_and_b32 s15, s14, s15
	v_cndmask_b32_e64 v18, 0, 1, s15
	s_and_b32 s15, s14, s16
	s_delay_alu instid0(SALU_CYCLE_1)
	v_cndmask_b32_e64 v35, 0, 1, s15
	s_and_b32 s15, s14, s17
	s_and_b32 s14, s14, s18
	v_cndmask_b32_e64 v36, 0, 1, s15
	v_cndmask_b32_e64 v37, 0, 1, s14
	v_cmp_ne_u32_e64 s14, 0, v18
	v_cmp_ne_u32_e64 s15, 0, v35
	s_delay_alu instid0(VALU_DEP_4) | instskip(NEXT) | instid1(VALU_DEP_4)
	v_cmp_ne_u32_e64 s16, 0, v36
	v_cmp_ne_u32_e64 s17, 0, v37
	s_bcnt1_i32_b32 s14, s14
	s_bcnt1_i32_b32 s15, s15
	v_add_nc_u32_e32 v2, s14, v2
	s_bcnt1_i32_b32 s16, s16
	s_bcnt1_i32_b32 s17, s17
	s_delay_alu instid0(SALU_CYCLE_1) | instskip(SKIP_2) | instid1(SALU_CYCLE_1)
	v_dual_add_nc_u32 v3, s15, v3 :: v_dual_add_nc_u32 v5, s17, v5
	v_add_nc_u32_e32 v4, s16, v4
	s_or_b32 s20, vcc_lo, s20
	s_and_not1_b32 exec_lo, exec_lo, s20
	s_cbranch_execnz .LBB82_82
; %bb.83:                               ;   in Loop: Header=BB82_6 Depth=1
	s_or_b32 exec_lo, exec_lo, s20
.LBB82_84:                              ;   in Loop: Header=BB82_6 Depth=1
	s_delay_alu instid0(SALU_CYCLE_1)
	s_or_b32 exec_lo, exec_lo, s19
	s_lshl_b32 s16, s83, 7
	s_and_saveexec_b32 s14, s2
	s_cbranch_execnz .LBB82_55
	s_branch .LBB82_56
.LBB82_85:                              ;   in Loop: Header=BB82_6 Depth=1
	v_mov_b32_e32 v2, 0
	s_mov_b32 s14, 0
	s_cbranch_execz .LBB82_88
.LBB82_86:                              ;   in Loop: Header=BB82_6 Depth=1
	s_lshl_b32 s15, s83, 9
	s_lshl_b32 s18, s14, 4
	s_sub_co_i32 s14, s67, s14
	v_add3_u32 v3, s15, s18, v32
.LBB82_87:                              ;   Parent Loop BB82_6 Depth=1
                                        ; =>  This Inner Loop Header: Depth=2
	ds_load_b32 v5, v3
	v_add_nc_u32_e32 v3, 16, v3
	s_add_co_i32 s14, s14, -1
	s_delay_alu instid0(SALU_CYCLE_1)
	s_cmp_eq_u32 s14, 0
	s_wait_dscnt 0x0
	v_add_nc_u32_e32 v2, v5, v2
	s_cbranch_scc0 .LBB82_87
.LBB82_88:                              ;   in Loop: Header=BB82_6 Depth=1
	s_delay_alu instid0(VALU_DEP_1)
	v_lshlrev_b32_e32 v3, 2, v4
	ds_store_b32 v3, v2 offset:3072
.LBB82_89:                              ;   in Loop: Header=BB82_6 Depth=1
	s_or_b32 exec_lo, exec_lo, s17
	s_lshl_b32 s14, s16, 2
	s_wait_dscnt 0x0
	v_mov_b32_e32 v2, s14
	s_barrier_signal -1
	s_barrier_wait -1
	v_cmp_eq_u32_e64 s14, 1, v34
	ds_load_b128 v[2:5], v2 offset:3072
	s_lshl_b32 s18, 3, s80
	s_mov_b32 s26, -1
	s_not_b32 s19, s18
	s_mov_b32 s16, 0
	s_and_not1_b32 vcc_lo, exec_lo, s61
	s_mov_b32 s23, 0
	s_mov_b32 s15, 0
                                        ; implicit-def: $sgpr24
                                        ; implicit-def: $sgpr25
                                        ; implicit-def: $vgpr35
                                        ; implicit-def: $vgpr12
	s_wait_dscnt 0x0
	v_readfirstlane_b32 s17, v2
	v_readfirstlane_b32 s20, v3
	;; [unrolled: 1-line block ×4, first 2 shown]
                                        ; implicit-def: $vgpr4
                                        ; implicit-def: $vgpr5
                                        ; implicit-def: $vgpr3
	s_cbranch_vccnz .LBB82_256
; %bb.90:                               ;   in Loop: Header=BB82_6 Depth=1
	s_cmp_eq_u32 s17, 1
	v_dual_mov_b32 v5, v24 :: v_dual_mov_b32 v12, v33
	v_mov_b32_e32 v3, v19
	s_cselect_b32 s15, -1, 0
	s_mov_b32 s29, -1
	s_and_b32 s28, s15, s14
                                        ; implicit-def: $sgpr25
                                        ; implicit-def: $sgpr24
	s_delay_alu instid0(SALU_CYCLE_1)
	s_and_saveexec_b32 s15, s28
	s_cbranch_execz .LBB82_119
; %bb.91:                               ;   in Loop: Header=BB82_6 Depth=1
	ds_load_b32 v2, v13 offset:4096
	s_wait_dscnt 0x0
	s_barrier_signal -1
	s_barrier_wait -1
	v_readfirstlane_b32 s26, v2
	s_and_saveexec_b32 s23, s6
; %bb.92:                               ;   in Loop: Header=BB82_6 Depth=1
	ds_store_b32 v11, v13
; %bb.93:                               ;   in Loop: Header=BB82_6 Depth=1
	s_or_b32 exec_lo, exec_lo, s23
	v_and_b32_e32 v5, s19, v24
	v_or_b32_e32 v12, s18, v33
	s_mov_b32 s24, -1
	s_mov_b32 s25, 0
	s_cmp_eq_u32 s26, 0
	s_mov_b32 s23, 0
	s_mov_b32 s27, -1
	s_wait_dscnt 0x0
	s_barrier_signal -1
	s_barrier_wait -1
                                        ; implicit-def: $vgpr3
	s_cbranch_scc1 .LBB82_105
; %bb.94:                               ;   in Loop: Header=BB82_6 Depth=1
	s_add_co_i32 s44, s26, s66
	s_mov_b32 s29, exec_lo
	s_mul_u64 s[30:31], s[44:45], s[48:49]
                                        ; implicit-def: $vgpr3
	s_delay_alu instid0(SALU_CYCLE_1) | instskip(NEXT) | instid1(SALU_CYCLE_1)
	s_mul_i32 s23, s31, s35
	s_sub_co_i32 s23, s44, s23
	s_delay_alu instid0(SALU_CYCLE_1) | instskip(SKIP_2) | instid1(SALU_CYCLE_1)
	s_sub_co_i32 s27, s23, s35
	s_cmp_ge_u32 s23, s35
	s_cselect_b32 s23, s27, s23
	s_sub_co_i32 s27, s23, s35
	s_cmp_ge_u32 s23, s35
	s_cselect_b32 s23, s27, s23
	s_mov_b32 s27, 0
	s_sub_co_i32 s30, s44, s23
	s_mov_b32 s23, 0
	v_cmpx_gt_u32_e64 s30, v0
	s_cbranch_execz .LBB82_104
; %bb.95:                               ;   in Loop: Header=BB82_6 Depth=1
	v_dual_mov_b32 v4, v7 :: v_dual_mov_b32 v18, v0
                                        ; implicit-def: $sgpr31
	s_branch .LBB82_99
.LBB82_96:                              ;   in Loop: Header=BB82_99 Depth=2
	s_or_b32 exec_lo, exec_lo, s33
	s_wait_dscnt 0x0
	s_barrier_signal -1
	s_barrier_wait -1
	ds_load_b64 v[2:3], v13 offset:3072
	s_wait_dscnt 0x0
	s_barrier_signal -1
	s_barrier_wait -1
	v_cmp_neq_f32_e32 vcc_lo, 0, v2
	s_cbranch_vccnz .LBB82_102
; %bb.97:                               ;   in Loop: Header=BB82_99 Depth=2
	v_dual_add_nc_u32 v18, s35, v18 :: v_dual_add_nc_u32 v4, s62, v4
	s_mov_b32 s33, 0
	s_delay_alu instid0(VALU_DEP_1)
	v_cmp_le_u32_e32 vcc_lo, s30, v18
	s_or_not1_b32 s34, vcc_lo, exec_lo
.LBB82_98:                              ;   in Loop: Header=BB82_99 Depth=2
	s_delay_alu instid0(SALU_CYCLE_1) | instskip(NEXT) | instid1(SALU_CYCLE_1)
	s_and_b32 s34, exec_lo, s34
	s_or_b32 s23, s34, s23
	s_and_not1_b32 s31, s31, exec_lo
	s_and_b32 s33, s33, exec_lo
	s_delay_alu instid0(SALU_CYCLE_1)
	s_or_b32 s31, s31, s33
	s_and_not1_b32 exec_lo, exec_lo, s23
	s_cbranch_execz .LBB82_103
.LBB82_99:                              ;   Parent Loop BB82_6 Depth=1
                                        ; =>  This Inner Loop Header: Depth=2
	s_mov_b32 s33, exec_lo
	s_delay_alu instid0(VALU_DEP_1)
	v_cmpx_gt_u32_e64 s26, v18
	s_cbranch_execz .LBB82_96
; %bb.100:                              ;   in Loop: Header=BB82_99 Depth=2
	ds_load_b32 v17, v4
	s_wait_dscnt 0x0
	v_cmp_lt_i32_e32 vcc_lo, -1, v17
	v_cndmask_b32_e64 v2, -1, 0x80000000, vcc_lo
	v_cmp_o_f32_e32 vcc_lo, v17, v17
	s_delay_alu instid0(VALU_DEP_2) | instskip(NEXT) | instid1(VALU_DEP_1)
	v_xor_b32_e32 v2, v2, v17
	v_cndmask_b32_e32 v2, -1, v2, vcc_lo
	s_delay_alu instid0(VALU_DEP_1) | instskip(NEXT) | instid1(VALU_DEP_1)
	v_and_b32_e32 v2, v2, v12
	v_cmp_eq_u32_e32 vcc_lo, v2, v5
	s_and_b32 exec_lo, exec_lo, vcc_lo
	s_cbranch_execz .LBB82_96
; %bb.101:                              ;   in Loop: Header=BB82_99 Depth=2
	ds_store_b64 v13, v[16:17] offset:3072
	s_branch .LBB82_96
.LBB82_102:                             ;   in Loop: Header=BB82_99 Depth=2
	s_mov_b32 s34, -1
	s_mov_b32 s33, -1
                                        ; implicit-def: $vgpr18
                                        ; implicit-def: $vgpr4
	s_branch .LBB82_98
.LBB82_103:                             ;   in Loop: Header=BB82_6 Depth=1
	s_or_b32 exec_lo, exec_lo, s23
	s_delay_alu instid0(SALU_CYCLE_1)
	s_and_b32 s23, s31, exec_lo
.LBB82_104:                             ;   in Loop: Header=BB82_6 Depth=1
	s_or_b32 exec_lo, exec_lo, s29
.LBB82_105:                             ;   in Loop: Header=BB82_6 Depth=1
	s_delay_alu instid0(SALU_CYCLE_1)
	s_and_b32 vcc_lo, exec_lo, s27
	s_cbranch_vccz .LBB82_118
; %bb.106:                              ;   in Loop: Header=BB82_6 Depth=1
                                        ; implicit-def: $vgpr3
	s_and_saveexec_b32 s24, s13
	s_cbranch_execz .LBB82_117
; %bb.107:                              ;   in Loop: Header=BB82_6 Depth=1
	v_dual_mov_b32 v4, v10 :: v_dual_mov_b32 v18, v0
	s_mov_b32 s25, 0
                                        ; implicit-def: $sgpr26
	s_branch .LBB82_111
.LBB82_108:                             ;   in Loop: Header=BB82_111 Depth=2
	s_or_b32 exec_lo, exec_lo, s27
	s_wait_dscnt 0x0
	s_barrier_signal -1
	s_barrier_wait -1
	ds_load_b64 v[2:3], v13 offset:3072
	s_wait_dscnt 0x0
	s_barrier_signal -1
	s_barrier_wait -1
	v_cmp_neq_f32_e32 vcc_lo, 0, v2
	s_cbranch_vccnz .LBB82_114
; %bb.109:                              ;   in Loop: Header=BB82_111 Depth=2
	v_dual_add_nc_u32 v18, s35, v18 :: v_dual_add_nc_u32 v4, s57, v4
	s_mov_b32 s27, 0
	s_delay_alu instid0(VALU_DEP_1)
	v_cmp_le_u32_e32 vcc_lo, s77, v18
	s_or_not1_b32 s29, vcc_lo, exec_lo
.LBB82_110:                             ;   in Loop: Header=BB82_111 Depth=2
	s_delay_alu instid0(SALU_CYCLE_1) | instskip(NEXT) | instid1(SALU_CYCLE_1)
	s_and_b32 s29, exec_lo, s29
	s_or_b32 s25, s29, s25
	s_and_not1_b32 s26, s26, exec_lo
	s_and_b32 s27, s27, exec_lo
	s_delay_alu instid0(SALU_CYCLE_1)
	s_or_b32 s26, s26, s27
	s_and_not1_b32 exec_lo, exec_lo, s25
	s_cbranch_execz .LBB82_116
.LBB82_111:                             ;   Parent Loop BB82_6 Depth=1
                                        ; =>  This Inner Loop Header: Depth=2
	s_mov_b32 s27, exec_lo
	s_delay_alu instid0(VALU_DEP_1)
	v_cmpx_gt_u32_e64 s36, v18
	s_cbranch_execz .LBB82_108
; %bb.112:                              ;   in Loop: Header=BB82_111 Depth=2
	global_load_b32 v17, v4, s[38:39] scale_offset
	s_wait_loadcnt 0x0
	v_cmp_lt_i32_e32 vcc_lo, -1, v17
	v_cndmask_b32_e64 v2, -1, 0x80000000, vcc_lo
	v_cmp_o_f32_e32 vcc_lo, v17, v17
	s_delay_alu instid0(VALU_DEP_2) | instskip(NEXT) | instid1(VALU_DEP_1)
	v_xor_b32_e32 v2, v2, v17
	v_cndmask_b32_e32 v2, -1, v2, vcc_lo
	s_delay_alu instid0(VALU_DEP_1) | instskip(NEXT) | instid1(VALU_DEP_1)
	v_and_b32_e32 v2, v2, v12
	v_cmp_eq_u32_e32 vcc_lo, v2, v5
	s_and_b32 exec_lo, exec_lo, vcc_lo
	s_cbranch_execz .LBB82_108
; %bb.113:                              ;   in Loop: Header=BB82_111 Depth=2
	ds_store_b64 v13, v[16:17] offset:3072
	s_branch .LBB82_108
.LBB82_114:                             ;   in Loop: Header=BB82_111 Depth=2
	s_mov_b32 s29, -1
	s_mov_b32 s27, -1
                                        ; implicit-def: $vgpr18
                                        ; implicit-def: $vgpr4
	s_branch .LBB82_110
.LBB82_115:                             ;   in Loop: Header=BB82_6 Depth=1
	s_mov_b64 s[14:15], 0x100000000
	v_mov_b64_e32 v[2:3], 0
	s_and_not1_b32 vcc_lo, exec_lo, s73
	s_mov_b32 s18, s70
	s_cbranch_vccz .LBB82_63
	s_branch .LBB82_64
.LBB82_116:                             ;   in Loop: Header=BB82_6 Depth=1
	s_or_b32 exec_lo, exec_lo, s25
	s_delay_alu instid0(SALU_CYCLE_1) | instskip(SKIP_1) | instid1(SALU_CYCLE_1)
	s_and_not1_b32 s23, s23, exec_lo
	s_and_b32 s25, s26, exec_lo
	s_or_b32 s23, s23, s25
.LBB82_117:                             ;   in Loop: Header=BB82_6 Depth=1
	s_or_b32 exec_lo, exec_lo, s24
	s_mov_b32 s24, 0
	s_mov_b32 s25, -1
.LBB82_118:                             ;   in Loop: Header=BB82_6 Depth=1
	s_or_not1_b32 s29, s23, exec_lo
.LBB82_119:                             ;   in Loop: Header=BB82_6 Depth=1
	s_or_b32 exec_lo, exec_lo, s15
	s_mov_b32 s26, 0
	s_mov_b32 s23, 0
	;; [unrolled: 1-line block ×3, first 2 shown]
                                        ; implicit-def: $vgpr35
                                        ; implicit-def: $vgpr4
	s_and_saveexec_b32 s27, s29
	s_cbranch_execz .LBB82_255
; %bb.120:                              ;   in Loop: Header=BB82_6 Depth=1
	v_dual_mov_b32 v35, 1 :: v_dual_mov_b32 v4, 1
	s_xor_b32 s23, s28, -1
	s_mov_b32 s30, 0
	s_and_saveexec_b32 s15, s23
	s_cbranch_execz .LBB82_129
; %bb.121:                              ;   in Loop: Header=BB82_6 Depth=1
	s_mov_b32 s23, exec_lo
	v_cmpx_ge_u32_e64 s17, v34
	s_xor_b32 s23, exec_lo, s23
	s_cbranch_execz .LBB82_126
; %bb.122:                              ;   in Loop: Header=BB82_6 Depth=1
	ds_load_b32 v2, v13 offset:4096
	v_and_b32_e32 v5, s19, v5
	v_or_b32_e32 v12, s18, v12
	s_wait_dscnt 0x0
	v_cmp_ne_u32_e32 vcc_lo, 0, v2
	s_cbranch_vccnz .LBB82_126
; %bb.123:                              ;   in Loop: Header=BB82_6 Depth=1
	s_and_saveexec_b32 s28, s5
; %bb.124:                              ;   in Loop: Header=BB82_6 Depth=1
	v_mov_b32_e32 v2, s17
	ds_store_b32 v13, v2 offset:4100
; %bb.125:                              ;   in Loop: Header=BB82_6 Depth=1
	s_or_b32 exec_lo, exec_lo, s28
	s_wait_dscnt 0x0
	s_barrier_signal -1
	s_barrier_wait -1
.LBB82_126:                             ;   in Loop: Header=BB82_6 Depth=1
	s_or_saveexec_b32 s23, s23
	v_dual_mov_b32 v4, 8 :: v_dual_mov_b32 v35, v34
	s_mov_b32 s28, 0
	s_xor_b32 exec_lo, exec_lo, s23
; %bb.127:                              ;   in Loop: Header=BB82_6 Depth=1
	v_subrev_nc_u32_e32 v35, s17, v34
	v_mov_b32_e32 v4, 0
	s_mov_b32 s28, exec_lo
; %bb.128:                              ;   in Loop: Header=BB82_6 Depth=1
	s_or_b32 exec_lo, exec_lo, s23
	s_delay_alu instid0(SALU_CYCLE_1)
	s_and_b32 s30, s28, exec_lo
.LBB82_129:                             ;   in Loop: Header=BB82_6 Depth=1
	s_or_b32 exec_lo, exec_lo, s15
	s_mov_b32 s29, -1
                                        ; implicit-def: $sgpr23
                                        ; implicit-def: $sgpr28
	s_and_saveexec_b32 s15, s30
	s_delay_alu instid0(SALU_CYCLE_1)
	s_xor_b32 s15, exec_lo, s15
	s_cbranch_execz .LBB82_252
; %bb.130:                              ;   in Loop: Header=BB82_6 Depth=1
	v_cmp_eq_u32_e32 vcc_lo, 1, v35
	s_cmp_eq_u32 s20, 1
	s_mov_b32 s31, -1
	s_cselect_b32 s23, -1, 0
                                        ; implicit-def: $sgpr28
	s_delay_alu instid0(SALU_CYCLE_1) | instskip(NEXT) | instid1(SALU_CYCLE_1)
	s_and_b32 s30, s23, vcc_lo
                                        ; implicit-def: $sgpr23
	s_and_saveexec_b32 s29, s30
	s_cbranch_execz .LBB82_158
; %bb.131:                              ;   in Loop: Header=BB82_6 Depth=1
	ds_load_b32 v2, v13 offset:4096
	s_wait_dscnt 0x0
	s_barrier_signal -1
	s_barrier_wait -1
	v_readfirstlane_b32 s33, v2
	s_and_saveexec_b32 s23, s6
; %bb.132:                              ;   in Loop: Header=BB82_6 Depth=1
	ds_store_b32 v11, v13
; %bb.133:                              ;   in Loop: Header=BB82_6 Depth=1
	s_or_b32 exec_lo, exec_lo, s23
	s_lshl_b32 s23, 1, s80
	v_or_b32_e32 v12, s18, v12
	v_and_or_b32 v5, v5, s19, s23
	s_mov_b32 s23, -1
	s_mov_b32 s28, 0
	s_cmp_eq_u32 s33, 0
	s_mov_b32 s31, 0
	s_mov_b32 s34, -1
	s_wait_dscnt 0x0
	s_barrier_signal -1
	s_barrier_wait -1
                                        ; implicit-def: $vgpr3
	s_cbranch_scc1 .LBB82_145
; %bb.134:                              ;   in Loop: Header=BB82_6 Depth=1
	s_add_co_i32 s44, s33, s66
                                        ; implicit-def: $vgpr3
	s_delay_alu instid0(SALU_CYCLE_1) | instskip(NEXT) | instid1(SALU_CYCLE_1)
	s_mul_u64 s[52:53], s[44:45], s[48:49]
	s_mul_i32 s31, s53, s35
	s_delay_alu instid0(SALU_CYCLE_1) | instskip(NEXT) | instid1(SALU_CYCLE_1)
	s_sub_co_i32 s31, s44, s31
	s_sub_co_i32 s34, s31, s35
	s_cmp_ge_u32 s31, s35
	s_cselect_b32 s31, s34, s31
	s_delay_alu instid0(SALU_CYCLE_1)
	s_sub_co_i32 s34, s31, s35
	s_cmp_ge_u32 s31, s35
	s_cselect_b32 s31, s34, s31
	s_mov_b32 s34, 0
	s_sub_co_i32 s52, s44, s31
	s_mov_b32 s31, 0
	s_mov_b32 s44, exec_lo
	v_cmpx_gt_u32_e64 s52, v0
	s_cbranch_execz .LBB82_144
; %bb.135:                              ;   in Loop: Header=BB82_6 Depth=1
	v_dual_mov_b32 v18, v7 :: v_dual_mov_b32 v36, v0
                                        ; implicit-def: $sgpr53
	s_branch .LBB82_139
.LBB82_136:                             ;   in Loop: Header=BB82_139 Depth=2
	s_or_b32 exec_lo, exec_lo, s54
	s_wait_dscnt 0x0
	s_barrier_signal -1
	s_barrier_wait -1
	ds_load_b64 v[2:3], v13 offset:3072
	s_wait_dscnt 0x0
	s_barrier_signal -1
	s_barrier_wait -1
	v_cmp_neq_f32_e32 vcc_lo, 0, v2
	s_cbranch_vccnz .LBB82_142
; %bb.137:                              ;   in Loop: Header=BB82_139 Depth=2
	v_dual_add_nc_u32 v36, s35, v36 :: v_dual_add_nc_u32 v18, s62, v18
	s_mov_b32 s54, 0
	s_delay_alu instid0(VALU_DEP_1)
	v_cmp_le_u32_e32 vcc_lo, s52, v36
	s_or_not1_b32 s55, vcc_lo, exec_lo
.LBB82_138:                             ;   in Loop: Header=BB82_139 Depth=2
	s_delay_alu instid0(SALU_CYCLE_1) | instskip(NEXT) | instid1(SALU_CYCLE_1)
	s_and_b32 s55, exec_lo, s55
	s_or_b32 s31, s55, s31
	s_and_not1_b32 s53, s53, exec_lo
	s_and_b32 s54, s54, exec_lo
	s_delay_alu instid0(SALU_CYCLE_1)
	s_or_b32 s53, s53, s54
	s_and_not1_b32 exec_lo, exec_lo, s31
	s_cbranch_execz .LBB82_143
.LBB82_139:                             ;   Parent Loop BB82_6 Depth=1
                                        ; =>  This Inner Loop Header: Depth=2
	s_mov_b32 s54, exec_lo
	s_delay_alu instid0(VALU_DEP_1)
	v_cmpx_gt_u32_e64 s33, v36
	s_cbranch_execz .LBB82_136
; %bb.140:                              ;   in Loop: Header=BB82_139 Depth=2
	ds_load_b32 v17, v18
	s_wait_dscnt 0x0
	v_cmp_lt_i32_e32 vcc_lo, -1, v17
	v_cndmask_b32_e64 v2, -1, 0x80000000, vcc_lo
	v_cmp_o_f32_e32 vcc_lo, v17, v17
	s_delay_alu instid0(VALU_DEP_2) | instskip(NEXT) | instid1(VALU_DEP_1)
	v_xor_b32_e32 v2, v2, v17
	v_cndmask_b32_e32 v2, -1, v2, vcc_lo
	s_delay_alu instid0(VALU_DEP_1) | instskip(NEXT) | instid1(VALU_DEP_1)
	v_and_b32_e32 v2, v2, v12
	v_cmp_eq_u32_e32 vcc_lo, v2, v5
	s_and_b32 exec_lo, exec_lo, vcc_lo
	s_cbranch_execz .LBB82_136
; %bb.141:                              ;   in Loop: Header=BB82_139 Depth=2
	ds_store_b64 v13, v[16:17] offset:3072
	s_branch .LBB82_136
.LBB82_142:                             ;   in Loop: Header=BB82_139 Depth=2
	s_mov_b32 s55, -1
	s_mov_b32 s54, -1
                                        ; implicit-def: $vgpr36
                                        ; implicit-def: $vgpr18
	s_branch .LBB82_138
.LBB82_143:                             ;   in Loop: Header=BB82_6 Depth=1
	s_or_b32 exec_lo, exec_lo, s31
	s_delay_alu instid0(SALU_CYCLE_1)
	s_and_b32 s31, s53, exec_lo
.LBB82_144:                             ;   in Loop: Header=BB82_6 Depth=1
	s_or_b32 exec_lo, exec_lo, s44
.LBB82_145:                             ;   in Loop: Header=BB82_6 Depth=1
	s_delay_alu instid0(SALU_CYCLE_1)
	s_and_b32 vcc_lo, exec_lo, s34
	s_cbranch_vccz .LBB82_157
; %bb.146:                              ;   in Loop: Header=BB82_6 Depth=1
                                        ; implicit-def: $vgpr3
	s_and_saveexec_b32 s23, s13
	s_cbranch_execz .LBB82_156
; %bb.147:                              ;   in Loop: Header=BB82_6 Depth=1
	v_dual_mov_b32 v18, v10 :: v_dual_mov_b32 v36, v0
	s_mov_b32 s28, 0
                                        ; implicit-def: $sgpr33
	s_branch .LBB82_151
.LBB82_148:                             ;   in Loop: Header=BB82_151 Depth=2
	s_or_b32 exec_lo, exec_lo, s34
	s_wait_dscnt 0x0
	s_barrier_signal -1
	s_barrier_wait -1
	ds_load_b64 v[2:3], v13 offset:3072
	s_wait_dscnt 0x0
	s_barrier_signal -1
	s_barrier_wait -1
	v_cmp_eq_f32_e32 vcc_lo, 0, v2
	s_cbranch_vccz .LBB82_154
; %bb.149:                              ;   in Loop: Header=BB82_151 Depth=2
	v_dual_add_nc_u32 v36, s35, v36 :: v_dual_add_nc_u32 v18, s57, v18
	s_mov_b32 s34, 0
	s_delay_alu instid0(VALU_DEP_1)
	v_cmp_le_u32_e32 vcc_lo, s77, v36
	s_or_not1_b32 s44, vcc_lo, exec_lo
.LBB82_150:                             ;   in Loop: Header=BB82_151 Depth=2
	s_delay_alu instid0(SALU_CYCLE_1) | instskip(NEXT) | instid1(SALU_CYCLE_1)
	s_and_b32 s44, exec_lo, s44
	s_or_b32 s28, s44, s28
	s_and_not1_b32 s33, s33, exec_lo
	s_and_b32 s34, s34, exec_lo
	s_delay_alu instid0(SALU_CYCLE_1)
	s_or_b32 s33, s33, s34
	s_and_not1_b32 exec_lo, exec_lo, s28
	s_cbranch_execz .LBB82_155
.LBB82_151:                             ;   Parent Loop BB82_6 Depth=1
                                        ; =>  This Inner Loop Header: Depth=2
	s_mov_b32 s34, exec_lo
	s_delay_alu instid0(VALU_DEP_1)
	v_cmpx_gt_u32_e64 s36, v36
	s_cbranch_execz .LBB82_148
; %bb.152:                              ;   in Loop: Header=BB82_151 Depth=2
	global_load_b32 v17, v18, s[38:39] scale_offset
	s_wait_loadcnt 0x0
	v_cmp_lt_i32_e32 vcc_lo, -1, v17
	v_cndmask_b32_e64 v2, -1, 0x80000000, vcc_lo
	v_cmp_o_f32_e32 vcc_lo, v17, v17
	s_delay_alu instid0(VALU_DEP_2) | instskip(NEXT) | instid1(VALU_DEP_1)
	v_xor_b32_e32 v2, v2, v17
	v_cndmask_b32_e32 v2, -1, v2, vcc_lo
	s_delay_alu instid0(VALU_DEP_1) | instskip(NEXT) | instid1(VALU_DEP_1)
	v_and_b32_e32 v2, v2, v12
	v_cmp_eq_u32_e32 vcc_lo, v2, v5
	s_and_b32 exec_lo, exec_lo, vcc_lo
	s_cbranch_execz .LBB82_148
; %bb.153:                              ;   in Loop: Header=BB82_151 Depth=2
	ds_store_b64 v13, v[16:17] offset:3072
	s_branch .LBB82_148
.LBB82_154:                             ;   in Loop: Header=BB82_151 Depth=2
	s_mov_b32 s44, -1
	s_mov_b32 s34, -1
                                        ; implicit-def: $vgpr36
                                        ; implicit-def: $vgpr18
	s_branch .LBB82_150
.LBB82_155:                             ;   in Loop: Header=BB82_6 Depth=1
	s_or_b32 exec_lo, exec_lo, s28
	s_delay_alu instid0(SALU_CYCLE_1) | instskip(SKIP_1) | instid1(SALU_CYCLE_1)
	s_and_not1_b32 s28, s31, exec_lo
	s_and_b32 s31, s33, exec_lo
	s_or_b32 s31, s28, s31
.LBB82_156:                             ;   in Loop: Header=BB82_6 Depth=1
	s_or_b32 exec_lo, exec_lo, s23
	s_mov_b32 s23, 0
	s_mov_b32 s28, -1
.LBB82_157:                             ;   in Loop: Header=BB82_6 Depth=1
	s_or_not1_b32 s31, s31, exec_lo
.LBB82_158:                             ;   in Loop: Header=BB82_6 Depth=1
	s_or_b32 exec_lo, exec_lo, s29
	s_mov_b32 s33, 0
	s_and_saveexec_b32 s29, s31
	s_cbranch_execz .LBB82_251
; %bb.159:                              ;   in Loop: Header=BB82_6 Depth=1
	v_dual_mov_b32 v18, 1 :: v_dual_mov_b32 v4, 1
	s_xor_b32 s31, s30, -1
	s_mov_b32 s44, 0
	s_and_saveexec_b32 s30, s31
	s_cbranch_execz .LBB82_168
; %bb.160:                              ;   in Loop: Header=BB82_6 Depth=1
	s_mov_b32 s31, exec_lo
	v_cmpx_ge_u32_e64 s20, v35
	s_xor_b32 s31, exec_lo, s31
	s_cbranch_execz .LBB82_165
; %bb.161:                              ;   in Loop: Header=BB82_6 Depth=1
	ds_load_b32 v2, v13 offset:4096
	s_lshl_b32 s33, 1, s80
	v_or_b32_e32 v12, s18, v12
	v_and_or_b32 v5, v5, s19, s33
	s_wait_dscnt 0x0
	v_cmp_ne_u32_e32 vcc_lo, 0, v2
	s_cbranch_vccnz .LBB82_165
; %bb.162:                              ;   in Loop: Header=BB82_6 Depth=1
	s_and_saveexec_b32 s33, s5
; %bb.163:                              ;   in Loop: Header=BB82_6 Depth=1
	v_mov_b32_e32 v2, s20
	ds_store_b32 v13, v2 offset:4100
; %bb.164:                              ;   in Loop: Header=BB82_6 Depth=1
	s_or_b32 exec_lo, exec_lo, s33
	s_wait_dscnt 0x0
	s_barrier_signal -1
	s_barrier_wait -1
.LBB82_165:                             ;   in Loop: Header=BB82_6 Depth=1
	s_or_saveexec_b32 s31, s31
	v_mov_b32_e32 v4, 8
	s_mov_b32 s33, 0
	s_xor_b32 exec_lo, exec_lo, s31
; %bb.166:                              ;   in Loop: Header=BB82_6 Depth=1
	v_subrev_nc_u32_e32 v35, s20, v35
	v_mov_b32_e32 v4, 0
	s_mov_b32 s33, exec_lo
; %bb.167:                              ;   in Loop: Header=BB82_6 Depth=1
	s_or_b32 exec_lo, exec_lo, s31
	s_delay_alu instid0(VALU_DEP_2)
	v_mov_b32_e32 v18, v35
	s_and_b32 s44, s33, exec_lo
.LBB82_168:                             ;   in Loop: Header=BB82_6 Depth=1
	s_or_b32 exec_lo, exec_lo, s30
	s_mov_b32 s34, -1
                                        ; implicit-def: $sgpr31
                                        ; implicit-def: $sgpr33
	s_and_saveexec_b32 s30, s44
	s_cbranch_execz .LBB82_250
; %bb.169:                              ;   in Loop: Header=BB82_6 Depth=1
	v_cmp_eq_u32_e32 vcc_lo, 1, v18
	s_cmp_eq_u32 s21, 1
	s_mov_b32 s44, -1
	s_cselect_b32 s31, -1, 0
                                        ; implicit-def: $sgpr33
	s_delay_alu instid0(SALU_CYCLE_1) | instskip(NEXT) | instid1(SALU_CYCLE_1)
	s_and_b32 s52, s31, vcc_lo
                                        ; implicit-def: $sgpr31
	s_and_saveexec_b32 s34, s52
	s_cbranch_execz .LBB82_197
; %bb.170:                              ;   in Loop: Header=BB82_6 Depth=1
	ds_load_b32 v2, v13 offset:4096
	s_wait_dscnt 0x0
	s_barrier_signal -1
	s_barrier_wait -1
	v_readfirstlane_b32 s53, v2
	s_and_saveexec_b32 s31, s6
; %bb.171:                              ;   in Loop: Header=BB82_6 Depth=1
	ds_store_b32 v11, v13
; %bb.172:                              ;   in Loop: Header=BB82_6 Depth=1
	s_or_b32 exec_lo, exec_lo, s31
	s_lshl_b32 s31, 2, s80
	v_or_b32_e32 v12, s18, v12
	v_and_or_b32 v5, v5, s19, s31
	s_mov_b32 s31, -1
	s_mov_b32 s33, 0
	s_cmp_eq_u32 s53, 0
	s_mov_b32 s44, 0
	s_mov_b32 s54, -1
	s_wait_dscnt 0x0
	s_barrier_signal -1
	s_barrier_wait -1
                                        ; implicit-def: $vgpr3
	s_cbranch_scc1 .LBB82_184
; %bb.173:                              ;   in Loop: Header=BB82_6 Depth=1
	s_add_co_i32 s44, s53, s66
                                        ; implicit-def: $vgpr3
	s_delay_alu instid0(SALU_CYCLE_1) | instskip(NEXT) | instid1(SALU_CYCLE_1)
	s_mul_u64 s[54:55], s[44:45], s[48:49]
	s_mul_i32 s54, s55, s35
	s_delay_alu instid0(SALU_CYCLE_1) | instskip(NEXT) | instid1(SALU_CYCLE_1)
	s_sub_co_i32 s54, s44, s54
	s_sub_co_i32 s55, s54, s35
	s_cmp_ge_u32 s54, s35
	s_cselect_b32 s54, s55, s54
	s_delay_alu instid0(SALU_CYCLE_1)
	s_sub_co_i32 s55, s54, s35
	s_cmp_ge_u32 s54, s35
	s_cselect_b32 s54, s55, s54
	s_mov_b32 s55, exec_lo
	s_sub_co_i32 s93, s44, s54
	s_mov_b32 s54, 0
	s_mov_b32 s44, 0
	v_cmpx_gt_u32_e64 s93, v0
	s_cbranch_execz .LBB82_183
; %bb.174:                              ;   in Loop: Header=BB82_6 Depth=1
	v_dual_mov_b32 v35, v7 :: v_dual_mov_b32 v36, v0
                                        ; implicit-def: $sgpr94
	s_branch .LBB82_178
.LBB82_175:                             ;   in Loop: Header=BB82_178 Depth=2
	s_or_b32 exec_lo, exec_lo, s95
	s_wait_dscnt 0x0
	s_barrier_signal -1
	s_barrier_wait -1
	ds_load_b64 v[2:3], v13 offset:3072
	s_wait_dscnt 0x0
	s_barrier_signal -1
	s_barrier_wait -1
	v_cmp_neq_f32_e32 vcc_lo, 0, v2
	s_cbranch_vccnz .LBB82_181
; %bb.176:                              ;   in Loop: Header=BB82_178 Depth=2
	v_dual_add_nc_u32 v36, s35, v36 :: v_dual_add_nc_u32 v35, s62, v35
	s_mov_b32 s95, 0
	s_delay_alu instid0(VALU_DEP_1)
	v_cmp_le_u32_e32 vcc_lo, s93, v36
	s_or_not1_b32 s96, vcc_lo, exec_lo
.LBB82_177:                             ;   in Loop: Header=BB82_178 Depth=2
	s_delay_alu instid0(SALU_CYCLE_1) | instskip(NEXT) | instid1(SALU_CYCLE_1)
	s_and_b32 s96, exec_lo, s96
	s_or_b32 s44, s96, s44
	s_and_not1_b32 s94, s94, exec_lo
	s_and_b32 s95, s95, exec_lo
	s_delay_alu instid0(SALU_CYCLE_1)
	s_or_b32 s94, s94, s95
	s_and_not1_b32 exec_lo, exec_lo, s44
	s_cbranch_execz .LBB82_182
.LBB82_178:                             ;   Parent Loop BB82_6 Depth=1
                                        ; =>  This Inner Loop Header: Depth=2
	s_mov_b32 s95, exec_lo
	s_delay_alu instid0(VALU_DEP_1)
	v_cmpx_gt_u32_e64 s53, v36
	s_cbranch_execz .LBB82_175
; %bb.179:                              ;   in Loop: Header=BB82_178 Depth=2
	ds_load_b32 v17, v35
	s_wait_dscnt 0x0
	v_cmp_lt_i32_e32 vcc_lo, -1, v17
	v_cndmask_b32_e64 v2, -1, 0x80000000, vcc_lo
	v_cmp_o_f32_e32 vcc_lo, v17, v17
	s_delay_alu instid0(VALU_DEP_2) | instskip(NEXT) | instid1(VALU_DEP_1)
	v_xor_b32_e32 v2, v2, v17
	v_cndmask_b32_e32 v2, -1, v2, vcc_lo
	s_delay_alu instid0(VALU_DEP_1) | instskip(NEXT) | instid1(VALU_DEP_1)
	v_and_b32_e32 v2, v2, v12
	v_cmp_eq_u32_e32 vcc_lo, v2, v5
	s_and_b32 exec_lo, exec_lo, vcc_lo
	s_cbranch_execz .LBB82_175
; %bb.180:                              ;   in Loop: Header=BB82_178 Depth=2
	ds_store_b64 v13, v[16:17] offset:3072
	s_branch .LBB82_175
.LBB82_181:                             ;   in Loop: Header=BB82_178 Depth=2
	s_mov_b32 s96, -1
	s_mov_b32 s95, -1
                                        ; implicit-def: $vgpr36
                                        ; implicit-def: $vgpr35
	s_branch .LBB82_177
.LBB82_182:                             ;   in Loop: Header=BB82_6 Depth=1
	s_or_b32 exec_lo, exec_lo, s44
	s_delay_alu instid0(SALU_CYCLE_1)
	s_and_b32 s44, s94, exec_lo
.LBB82_183:                             ;   in Loop: Header=BB82_6 Depth=1
	s_or_b32 exec_lo, exec_lo, s55
.LBB82_184:                             ;   in Loop: Header=BB82_6 Depth=1
	s_delay_alu instid0(SALU_CYCLE_1)
	s_and_b32 vcc_lo, exec_lo, s54
	s_cbranch_vccz .LBB82_196
; %bb.185:                              ;   in Loop: Header=BB82_6 Depth=1
                                        ; implicit-def: $vgpr3
	s_and_saveexec_b32 s31, s13
	s_cbranch_execz .LBB82_195
; %bb.186:                              ;   in Loop: Header=BB82_6 Depth=1
	v_dual_mov_b32 v35, v10 :: v_dual_mov_b32 v36, v0
	s_mov_b32 s33, 0
                                        ; implicit-def: $sgpr53
	s_branch .LBB82_190
.LBB82_187:                             ;   in Loop: Header=BB82_190 Depth=2
	s_or_b32 exec_lo, exec_lo, s54
	s_wait_dscnt 0x0
	s_barrier_signal -1
	s_barrier_wait -1
	ds_load_b64 v[2:3], v13 offset:3072
	s_wait_dscnt 0x0
	s_barrier_signal -1
	s_barrier_wait -1
	v_cmp_eq_f32_e32 vcc_lo, 0, v2
	s_cbranch_vccz .LBB82_193
; %bb.188:                              ;   in Loop: Header=BB82_190 Depth=2
	v_dual_add_nc_u32 v36, s35, v36 :: v_dual_add_nc_u32 v35, s57, v35
	s_mov_b32 s54, 0
	s_delay_alu instid0(VALU_DEP_1)
	v_cmp_le_u32_e32 vcc_lo, s77, v36
	s_or_not1_b32 s55, vcc_lo, exec_lo
.LBB82_189:                             ;   in Loop: Header=BB82_190 Depth=2
	s_delay_alu instid0(SALU_CYCLE_1) | instskip(NEXT) | instid1(SALU_CYCLE_1)
	s_and_b32 s55, exec_lo, s55
	s_or_b32 s33, s55, s33
	s_and_not1_b32 s53, s53, exec_lo
	s_and_b32 s54, s54, exec_lo
	s_delay_alu instid0(SALU_CYCLE_1)
	s_or_b32 s53, s53, s54
	s_and_not1_b32 exec_lo, exec_lo, s33
	s_cbranch_execz .LBB82_194
.LBB82_190:                             ;   Parent Loop BB82_6 Depth=1
                                        ; =>  This Inner Loop Header: Depth=2
	s_mov_b32 s54, exec_lo
	s_delay_alu instid0(VALU_DEP_1)
	v_cmpx_gt_u32_e64 s36, v36
	s_cbranch_execz .LBB82_187
; %bb.191:                              ;   in Loop: Header=BB82_190 Depth=2
	global_load_b32 v17, v35, s[38:39] scale_offset
	s_wait_loadcnt 0x0
	v_cmp_lt_i32_e32 vcc_lo, -1, v17
	v_cndmask_b32_e64 v2, -1, 0x80000000, vcc_lo
	v_cmp_o_f32_e32 vcc_lo, v17, v17
	s_delay_alu instid0(VALU_DEP_2) | instskip(NEXT) | instid1(VALU_DEP_1)
	v_xor_b32_e32 v2, v2, v17
	v_cndmask_b32_e32 v2, -1, v2, vcc_lo
	s_delay_alu instid0(VALU_DEP_1) | instskip(NEXT) | instid1(VALU_DEP_1)
	v_and_b32_e32 v2, v2, v12
	v_cmp_eq_u32_e32 vcc_lo, v2, v5
	s_and_b32 exec_lo, exec_lo, vcc_lo
	s_cbranch_execz .LBB82_187
; %bb.192:                              ;   in Loop: Header=BB82_190 Depth=2
	ds_store_b64 v13, v[16:17] offset:3072
	s_branch .LBB82_187
.LBB82_193:                             ;   in Loop: Header=BB82_190 Depth=2
	s_mov_b32 s55, -1
	s_mov_b32 s54, -1
                                        ; implicit-def: $vgpr36
                                        ; implicit-def: $vgpr35
	s_branch .LBB82_189
.LBB82_194:                             ;   in Loop: Header=BB82_6 Depth=1
	s_or_b32 exec_lo, exec_lo, s33
	s_delay_alu instid0(SALU_CYCLE_1) | instskip(SKIP_1) | instid1(SALU_CYCLE_1)
	s_and_not1_b32 s33, s44, exec_lo
	s_and_b32 s44, s53, exec_lo
	s_or_b32 s44, s33, s44
.LBB82_195:                             ;   in Loop: Header=BB82_6 Depth=1
	s_or_b32 exec_lo, exec_lo, s31
	s_mov_b32 s31, 0
	s_mov_b32 s33, -1
.LBB82_196:                             ;   in Loop: Header=BB82_6 Depth=1
	s_or_not1_b32 s44, s44, exec_lo
.LBB82_197:                             ;   in Loop: Header=BB82_6 Depth=1
	s_or_b32 exec_lo, exec_lo, s34
	s_mov_b32 s53, 0
	s_and_saveexec_b32 s34, s44
	s_cbranch_execz .LBB82_249
; %bb.198:                              ;   in Loop: Header=BB82_6 Depth=1
	v_dual_mov_b32 v35, 1 :: v_dual_mov_b32 v4, 1
	s_xor_b32 s52, s52, -1
	s_delay_alu instid0(SALU_CYCLE_1)
	s_and_saveexec_b32 s44, s52
	s_cbranch_execz .LBB82_207
; %bb.199:                              ;   in Loop: Header=BB82_6 Depth=1
	s_mov_b32 s52, exec_lo
	v_cmpx_ge_u32_e64 s21, v18
	s_xor_b32 s52, exec_lo, s52
	s_cbranch_execz .LBB82_204
; %bb.200:                              ;   in Loop: Header=BB82_6 Depth=1
	ds_load_b32 v2, v13 offset:4096
	s_lshl_b32 s53, 2, s80
	v_or_b32_e32 v12, s18, v12
	v_and_or_b32 v5, v5, s19, s53
	s_wait_dscnt 0x0
	v_cmp_ne_u32_e32 vcc_lo, 0, v2
	s_cbranch_vccnz .LBB82_204
; %bb.201:                              ;   in Loop: Header=BB82_6 Depth=1
	s_and_saveexec_b32 s53, s5
; %bb.202:                              ;   in Loop: Header=BB82_6 Depth=1
	v_mov_b32_e32 v2, s21
	ds_store_b32 v13, v2 offset:4100
; %bb.203:                              ;   in Loop: Header=BB82_6 Depth=1
	s_or_b32 exec_lo, exec_lo, s53
	s_wait_dscnt 0x0
	s_barrier_signal -1
	s_barrier_wait -1
.LBB82_204:                             ;   in Loop: Header=BB82_6 Depth=1
	s_or_saveexec_b32 s52, s52
	v_mov_b32_e32 v4, 8
	s_mov_b32 s53, 0
	s_xor_b32 exec_lo, exec_lo, s52
; %bb.205:                              ;   in Loop: Header=BB82_6 Depth=1
	v_subrev_nc_u32_e32 v18, s21, v18
	v_mov_b32_e32 v4, 0
	s_mov_b32 s53, exec_lo
; %bb.206:                              ;   in Loop: Header=BB82_6 Depth=1
	s_or_b32 exec_lo, exec_lo, s52
	s_delay_alu instid0(VALU_DEP_2)
	v_mov_b32_e32 v35, v18
	s_and_b32 s53, s53, exec_lo
.LBB82_207:                             ;   in Loop: Header=BB82_6 Depth=1
	s_or_b32 exec_lo, exec_lo, s44
	s_mov_b32 s44, -1
                                        ; implicit-def: $sgpr55
                                        ; implicit-def: $sgpr54
	s_and_saveexec_b32 s52, s53
	s_cbranch_execz .LBB82_248
; %bb.208:                              ;   in Loop: Header=BB82_6 Depth=1
	v_cmp_eq_u32_e32 vcc_lo, 1, v35
	s_cmp_eq_u32 s22, 1
	s_mov_b32 s94, -1
	s_cselect_b32 s44, -1, 0
                                        ; implicit-def: $sgpr55
                                        ; implicit-def: $sgpr54
	s_delay_alu instid0(SALU_CYCLE_1) | instskip(NEXT) | instid1(SALU_CYCLE_1)
	s_and_b32 s53, s44, vcc_lo
	s_and_saveexec_b32 s93, s53
	s_cbranch_execz .LBB82_236
; %bb.209:                              ;   in Loop: Header=BB82_6 Depth=1
	ds_load_b32 v2, v13 offset:4096
	s_wait_dscnt 0x0
	s_barrier_signal -1
	s_barrier_wait -1
	v_readfirstlane_b32 s94, v2
	s_and_saveexec_b32 s44, s6
; %bb.210:                              ;   in Loop: Header=BB82_6 Depth=1
	ds_store_b32 v11, v13
; %bb.211:                              ;   in Loop: Header=BB82_6 Depth=1
	s_or_b32 exec_lo, exec_lo, s44
	v_or_b32_e32 v5, s18, v5
	v_or_b32_e32 v12, s18, v12
	s_mov_b32 s54, -1
	s_mov_b32 s55, 0
	s_cmp_eq_u32 s94, 0
	s_mov_b32 s44, 0
	s_mov_b32 s95, -1
	s_wait_dscnt 0x0
	s_barrier_signal -1
	s_barrier_wait -1
                                        ; implicit-def: $vgpr3
	s_cbranch_scc1 .LBB82_223
; %bb.212:                              ;   in Loop: Header=BB82_6 Depth=1
	s_add_co_i32 s44, s94, s66
                                        ; implicit-def: $vgpr3
	s_delay_alu instid0(SALU_CYCLE_1) | instskip(NEXT) | instid1(SALU_CYCLE_1)
	s_mul_u64 s[96:97], s[44:45], s[48:49]
	s_mul_i32 s95, s97, s35
	s_delay_alu instid0(SALU_CYCLE_1) | instskip(NEXT) | instid1(SALU_CYCLE_1)
	s_sub_co_i32 s95, s44, s95
	s_sub_co_i32 s96, s95, s35
	s_cmp_ge_u32 s95, s35
	s_cselect_b32 s95, s96, s95
	s_delay_alu instid0(SALU_CYCLE_1)
	s_sub_co_i32 s96, s95, s35
	s_cmp_ge_u32 s95, s35
	s_cselect_b32 s95, s96, s95
	s_mov_b32 s96, exec_lo
	s_sub_co_i32 s97, s44, s95
	s_mov_b32 s95, 0
	s_mov_b32 s44, 0
	v_cmpx_gt_u32_e64 s97, v0
	s_cbranch_execz .LBB82_222
; %bb.213:                              ;   in Loop: Header=BB82_6 Depth=1
	v_dual_mov_b32 v18, v7 :: v_dual_mov_b32 v36, v0
                                        ; implicit-def: $sgpr98
	s_branch .LBB82_217
.LBB82_214:                             ;   in Loop: Header=BB82_217 Depth=2
	s_or_b32 exec_lo, exec_lo, s99
	s_wait_dscnt 0x0
	s_barrier_signal -1
	s_barrier_wait -1
	ds_load_b64 v[2:3], v13 offset:3072
	s_wait_dscnt 0x0
	s_barrier_signal -1
	s_barrier_wait -1
	v_cmp_neq_f32_e32 vcc_lo, 0, v2
	s_cbranch_vccnz .LBB82_220
; %bb.215:                              ;   in Loop: Header=BB82_217 Depth=2
	v_dual_add_nc_u32 v36, s35, v36 :: v_dual_add_nc_u32 v18, s62, v18
	s_mov_b32 s99, 0
	s_delay_alu instid0(VALU_DEP_1)
	v_cmp_le_u32_e32 vcc_lo, s97, v36
	s_or_not1_b32 s100, vcc_lo, exec_lo
.LBB82_216:                             ;   in Loop: Header=BB82_217 Depth=2
	s_delay_alu instid0(SALU_CYCLE_1) | instskip(NEXT) | instid1(SALU_CYCLE_1)
	s_and_b32 s100, exec_lo, s100
	s_or_b32 s44, s100, s44
	s_and_not1_b32 s98, s98, exec_lo
	s_and_b32 s99, s99, exec_lo
	s_delay_alu instid0(SALU_CYCLE_1)
	s_or_b32 s98, s98, s99
	s_and_not1_b32 exec_lo, exec_lo, s44
	s_cbranch_execz .LBB82_221
.LBB82_217:                             ;   Parent Loop BB82_6 Depth=1
                                        ; =>  This Inner Loop Header: Depth=2
	s_mov_b32 s99, exec_lo
	s_delay_alu instid0(VALU_DEP_1)
	v_cmpx_gt_u32_e64 s94, v36
	s_cbranch_execz .LBB82_214
; %bb.218:                              ;   in Loop: Header=BB82_217 Depth=2
	ds_load_b32 v17, v18
	s_wait_dscnt 0x0
	v_cmp_lt_i32_e32 vcc_lo, -1, v17
	v_cndmask_b32_e64 v2, -1, 0x80000000, vcc_lo
	v_cmp_o_f32_e32 vcc_lo, v17, v17
	s_delay_alu instid0(VALU_DEP_2) | instskip(NEXT) | instid1(VALU_DEP_1)
	v_xor_b32_e32 v2, v2, v17
	v_cndmask_b32_e32 v2, -1, v2, vcc_lo
	s_delay_alu instid0(VALU_DEP_1) | instskip(NEXT) | instid1(VALU_DEP_1)
	v_and_b32_e32 v2, v2, v12
	v_cmp_eq_u32_e32 vcc_lo, v2, v5
	s_and_b32 exec_lo, exec_lo, vcc_lo
	s_cbranch_execz .LBB82_214
; %bb.219:                              ;   in Loop: Header=BB82_217 Depth=2
	ds_store_b64 v13, v[16:17] offset:3072
	s_branch .LBB82_214
.LBB82_220:                             ;   in Loop: Header=BB82_217 Depth=2
	s_mov_b32 s100, -1
	s_mov_b32 s99, -1
                                        ; implicit-def: $vgpr36
                                        ; implicit-def: $vgpr18
	s_branch .LBB82_216
.LBB82_221:                             ;   in Loop: Header=BB82_6 Depth=1
	s_or_b32 exec_lo, exec_lo, s44
	s_delay_alu instid0(SALU_CYCLE_1)
	s_and_b32 s44, s98, exec_lo
.LBB82_222:                             ;   in Loop: Header=BB82_6 Depth=1
	s_or_b32 exec_lo, exec_lo, s96
.LBB82_223:                             ;   in Loop: Header=BB82_6 Depth=1
	s_delay_alu instid0(SALU_CYCLE_1)
	s_and_b32 vcc_lo, exec_lo, s95
	s_cbranch_vccz .LBB82_235
; %bb.224:                              ;   in Loop: Header=BB82_6 Depth=1
                                        ; implicit-def: $vgpr3
	s_and_saveexec_b32 s54, s13
	s_cbranch_execz .LBB82_234
; %bb.225:                              ;   in Loop: Header=BB82_6 Depth=1
	v_dual_mov_b32 v18, v10 :: v_dual_mov_b32 v36, v0
	s_mov_b32 s55, 0
                                        ; implicit-def: $sgpr94
	s_branch .LBB82_229
.LBB82_226:                             ;   in Loop: Header=BB82_229 Depth=2
	s_or_b32 exec_lo, exec_lo, s95
	s_wait_dscnt 0x0
	s_barrier_signal -1
	s_barrier_wait -1
	ds_load_b64 v[2:3], v13 offset:3072
	s_wait_dscnt 0x0
	s_barrier_signal -1
	s_barrier_wait -1
	v_cmp_eq_f32_e32 vcc_lo, 0, v2
	s_cbranch_vccz .LBB82_232
; %bb.227:                              ;   in Loop: Header=BB82_229 Depth=2
	v_dual_add_nc_u32 v36, s35, v36 :: v_dual_add_nc_u32 v18, s57, v18
	s_mov_b32 s95, 0
	s_delay_alu instid0(VALU_DEP_1)
	v_cmp_le_u32_e32 vcc_lo, s77, v36
	s_or_not1_b32 s96, vcc_lo, exec_lo
.LBB82_228:                             ;   in Loop: Header=BB82_229 Depth=2
	s_delay_alu instid0(SALU_CYCLE_1) | instskip(NEXT) | instid1(SALU_CYCLE_1)
	s_and_b32 s96, exec_lo, s96
	s_or_b32 s55, s96, s55
	s_and_not1_b32 s94, s94, exec_lo
	s_and_b32 s95, s95, exec_lo
	s_delay_alu instid0(SALU_CYCLE_1)
	s_or_b32 s94, s94, s95
	s_and_not1_b32 exec_lo, exec_lo, s55
	s_cbranch_execz .LBB82_233
.LBB82_229:                             ;   Parent Loop BB82_6 Depth=1
                                        ; =>  This Inner Loop Header: Depth=2
	s_mov_b32 s95, exec_lo
	s_delay_alu instid0(VALU_DEP_1)
	v_cmpx_gt_u32_e64 s36, v36
	s_cbranch_execz .LBB82_226
; %bb.230:                              ;   in Loop: Header=BB82_229 Depth=2
	global_load_b32 v17, v18, s[38:39] scale_offset
	s_wait_loadcnt 0x0
	v_cmp_lt_i32_e32 vcc_lo, -1, v17
	v_cndmask_b32_e64 v2, -1, 0x80000000, vcc_lo
	v_cmp_o_f32_e32 vcc_lo, v17, v17
	s_delay_alu instid0(VALU_DEP_2) | instskip(NEXT) | instid1(VALU_DEP_1)
	v_xor_b32_e32 v2, v2, v17
	v_cndmask_b32_e32 v2, -1, v2, vcc_lo
	s_delay_alu instid0(VALU_DEP_1) | instskip(NEXT) | instid1(VALU_DEP_1)
	v_and_b32_e32 v2, v2, v12
	v_cmp_eq_u32_e32 vcc_lo, v2, v5
	s_and_b32 exec_lo, exec_lo, vcc_lo
	s_cbranch_execz .LBB82_226
; %bb.231:                              ;   in Loop: Header=BB82_229 Depth=2
	ds_store_b64 v13, v[16:17] offset:3072
	s_branch .LBB82_226
.LBB82_232:                             ;   in Loop: Header=BB82_229 Depth=2
	s_mov_b32 s96, -1
	s_mov_b32 s95, -1
                                        ; implicit-def: $vgpr36
                                        ; implicit-def: $vgpr18
	s_branch .LBB82_228
.LBB82_233:                             ;   in Loop: Header=BB82_6 Depth=1
	s_or_b32 exec_lo, exec_lo, s55
	s_delay_alu instid0(SALU_CYCLE_1) | instskip(SKIP_1) | instid1(SALU_CYCLE_1)
	s_and_not1_b32 s44, s44, exec_lo
	s_and_b32 s55, s94, exec_lo
	s_or_b32 s44, s44, s55
.LBB82_234:                             ;   in Loop: Header=BB82_6 Depth=1
	s_or_b32 exec_lo, exec_lo, s54
	s_mov_b32 s54, 0
	s_mov_b32 s55, -1
.LBB82_235:                             ;   in Loop: Header=BB82_6 Depth=1
	s_or_not1_b32 s94, s44, exec_lo
.LBB82_236:                             ;   in Loop: Header=BB82_6 Depth=1
	s_or_b32 exec_lo, exec_lo, s93
	s_mov_b32 s93, 0
	s_and_saveexec_b32 s44, s94
	s_cbranch_execz .LBB82_247
; %bb.237:                              ;   in Loop: Header=BB82_6 Depth=1
	v_dual_mov_b32 v4, 1 :: v_dual_mov_b32 v2, 1
	s_xor_b32 s93, s53, -1
	s_delay_alu instid0(SALU_CYCLE_1)
	s_and_saveexec_b32 s53, s93
	s_cbranch_execz .LBB82_246
; %bb.238:                              ;   in Loop: Header=BB82_6 Depth=1
	s_mov_b32 s93, exec_lo
	v_cmpx_ge_u32_e64 s22, v35
	s_xor_b32 s93, exec_lo, s93
	s_cbranch_execz .LBB82_243
; %bb.239:                              ;   in Loop: Header=BB82_6 Depth=1
	ds_load_b32 v2, v13 offset:4096
	v_or_b32_e32 v5, s18, v5
	v_or_b32_e32 v12, s18, v12
	s_wait_dscnt 0x0
	v_cmp_ne_u32_e32 vcc_lo, 0, v2
	s_cbranch_vccnz .LBB82_243
; %bb.240:                              ;   in Loop: Header=BB82_6 Depth=1
	s_and_saveexec_b32 s94, s5
; %bb.241:                              ;   in Loop: Header=BB82_6 Depth=1
	v_mov_b32_e32 v2, s22
	ds_store_b32 v13, v2 offset:4100
; %bb.242:                              ;   in Loop: Header=BB82_6 Depth=1
	s_or_b32 exec_lo, exec_lo, s94
	s_wait_dscnt 0x0
	s_barrier_signal -1
	s_barrier_wait -1
.LBB82_243:                             ;   in Loop: Header=BB82_6 Depth=1
	s_and_not1_saveexec_b32 s93, s93
; %bb.244:                              ;   in Loop: Header=BB82_6 Depth=1
	v_subrev_nc_u32_e32 v35, s22, v35
; %bb.245:                              ;   in Loop: Header=BB82_6 Depth=1
	s_or_b32 exec_lo, exec_lo, s93
	s_delay_alu instid0(VALU_DEP_1)
	v_dual_mov_b32 v4, 8 :: v_dual_mov_b32 v2, v35
.LBB82_246:                             ;   in Loop: Header=BB82_6 Depth=1
	s_or_b32 exec_lo, exec_lo, s53
	s_delay_alu instid0(VALU_DEP_1)
	v_mov_b32_e32 v35, v2
	s_mov_b32 s93, exec_lo
.LBB82_247:                             ;   in Loop: Header=BB82_6 Depth=1
	s_or_b32 exec_lo, exec_lo, s44
	s_delay_alu instid0(SALU_CYCLE_1)
	s_or_not1_b32 s44, s93, exec_lo
.LBB82_248:                             ;   in Loop: Header=BB82_6 Depth=1
	s_or_b32 exec_lo, exec_lo, s52
	v_mov_b32_e32 v18, v35
	s_and_not1_b32 s33, s33, exec_lo
	s_and_b32 s52, s55, exec_lo
	s_and_not1_b32 s31, s31, exec_lo
	s_and_b32 s53, s54, exec_lo
	s_or_b32 s33, s33, s52
	s_or_b32 s31, s31, s53
	s_and_b32 s53, s44, exec_lo
.LBB82_249:                             ;   in Loop: Header=BB82_6 Depth=1
	s_or_b32 exec_lo, exec_lo, s34
	s_delay_alu instid0(SALU_CYCLE_1)
	s_or_not1_b32 s34, s53, exec_lo
.LBB82_250:                             ;   in Loop: Header=BB82_6 Depth=1
	s_or_b32 exec_lo, exec_lo, s30
	v_mov_b32_e32 v35, v18
	s_and_not1_b32 s28, s28, exec_lo
	s_and_b32 s30, s33, exec_lo
	s_and_not1_b32 s23, s23, exec_lo
	s_and_b32 s31, s31, exec_lo
	s_or_b32 s28, s28, s30
	s_or_b32 s23, s23, s31
	s_and_b32 s33, s34, exec_lo
.LBB82_251:                             ;   in Loop: Header=BB82_6 Depth=1
	s_or_b32 exec_lo, exec_lo, s29
	s_delay_alu instid0(SALU_CYCLE_1)
	s_or_not1_b32 s29, s33, exec_lo
.LBB82_252:                             ;   in Loop: Header=BB82_6 Depth=1
	s_or_b32 exec_lo, exec_lo, s15
	s_mov_b32 s30, 0
	s_mov_b32 s31, 0
	s_and_saveexec_b32 s15, s29
	s_delay_alu instid0(SALU_CYCLE_1)
	s_xor_b32 s29, exec_lo, s15
; %bb.253:                              ;   in Loop: Header=BB82_6 Depth=1
	v_cmp_ne_u32_e32 vcc_lo, 8, v4
	v_cmp_eq_u32_e64 s15, 8, v4
	s_and_b32 s31, vcc_lo, exec_lo
	s_and_b32 s30, s15, exec_lo
; %bb.254:                              ;   in Loop: Header=BB82_6 Depth=1
	s_or_b32 exec_lo, exec_lo, s29
	s_delay_alu instid0(SALU_CYCLE_1)
	s_and_not1_b32 s15, s25, exec_lo
	s_and_b32 s25, s28, exec_lo
	s_and_not1_b32 s24, s24, exec_lo
	s_and_b32 s23, s23, exec_lo
	s_or_b32 s25, s15, s25
	s_or_b32 s24, s24, s23
	s_and_b32 s15, s31, exec_lo
	s_and_b32 s23, s30, exec_lo
.LBB82_255:                             ;   in Loop: Header=BB82_6 Depth=1
	s_or_b32 exec_lo, exec_lo, s27
.LBB82_256:                             ;   in Loop: Header=BB82_6 Depth=1
	s_delay_alu instid0(SALU_CYCLE_1)
	s_and_b32 vcc_lo, exec_lo, s26
	s_cbranch_vccz .LBB82_270
; %bb.257:                              ;   in Loop: Header=BB82_6 Depth=1
	s_cmp_eq_u32 s22, 1
	s_mov_b32 s25, -1
	s_cselect_b32 s16, -1, 0
                                        ; implicit-def: $sgpr26
	s_delay_alu instid0(SALU_CYCLE_1) | instskip(NEXT) | instid1(SALU_CYCLE_1)
	s_and_b32 s14, s16, s14
                                        ; implicit-def: $sgpr16
	s_and_saveexec_b32 s24, s14
	s_cbranch_execz .LBB82_286
; %bb.258:                              ;   in Loop: Header=BB82_6 Depth=1
	ds_load_b32 v2, v13 offset:4096
	s_wait_dscnt 0x0
	s_barrier_signal -1
	s_barrier_wait -1
	v_readfirstlane_b32 s27, v2
	s_and_saveexec_b32 s16, s6
; %bb.259:                              ;   in Loop: Header=BB82_6 Depth=1
	ds_store_b32 v11, v13
; %bb.260:                              ;   in Loop: Header=BB82_6 Depth=1
	s_or_b32 exec_lo, exec_lo, s16
	v_or_b32_e32 v24, s18, v24
	v_or_b32_e32 v33, s18, v33
	s_mov_b32 s16, -1
	s_mov_b32 s26, 0
	s_cmp_eq_u32 s27, 0
	s_mov_b32 s25, 0
	s_mov_b32 s28, -1
	s_wait_dscnt 0x0
	s_barrier_signal -1
	s_barrier_wait -1
                                        ; implicit-def: $vgpr19
	s_cbranch_scc1 .LBB82_273
; %bb.261:                              ;   in Loop: Header=BB82_6 Depth=1
	s_add_co_i32 s44, s27, s66
                                        ; implicit-def: $vgpr19
	s_delay_alu instid0(SALU_CYCLE_1) | instskip(NEXT) | instid1(SALU_CYCLE_1)
	s_mul_u64 s[28:29], s[44:45], s[48:49]
	s_mul_i32 s25, s29, s35
	s_mov_b32 s29, exec_lo
	s_sub_co_i32 s25, s44, s25
	s_delay_alu instid0(SALU_CYCLE_1) | instskip(SKIP_2) | instid1(SALU_CYCLE_1)
	s_sub_co_i32 s28, s25, s35
	s_cmp_ge_u32 s25, s35
	s_cselect_b32 s25, s28, s25
	s_sub_co_i32 s28, s25, s35
	s_cmp_ge_u32 s25, s35
	s_cselect_b32 s25, s28, s25
	s_mov_b32 s28, 0
	s_sub_co_i32 s30, s44, s25
	s_mov_b32 s25, 0
	v_cmpx_gt_u32_e64 s30, v0
	s_cbranch_execz .LBB82_272
; %bb.262:                              ;   in Loop: Header=BB82_6 Depth=1
	v_dual_mov_b32 v2, v7 :: v_dual_mov_b32 v3, v0
                                        ; implicit-def: $sgpr31
	s_branch .LBB82_266
.LBB82_263:                             ;   in Loop: Header=BB82_266 Depth=2
	s_or_b32 exec_lo, exec_lo, s33
	s_wait_dscnt 0x0
	s_barrier_signal -1
	s_barrier_wait -1
	ds_load_b64 v[18:19], v13 offset:3072
	s_wait_dscnt 0x0
	s_barrier_signal -1
	s_barrier_wait -1
	v_cmp_neq_f32_e32 vcc_lo, 0, v18
	s_cbranch_vccnz .LBB82_269
; %bb.264:                              ;   in Loop: Header=BB82_266 Depth=2
	v_dual_add_nc_u32 v3, s35, v3 :: v_dual_add_nc_u32 v2, s62, v2
	s_mov_b32 s33, 0
	s_delay_alu instid0(VALU_DEP_1)
	v_cmp_le_u32_e32 vcc_lo, s30, v3
	s_or_not1_b32 s34, vcc_lo, exec_lo
.LBB82_265:                             ;   in Loop: Header=BB82_266 Depth=2
	s_delay_alu instid0(SALU_CYCLE_1) | instskip(NEXT) | instid1(SALU_CYCLE_1)
	s_and_b32 s34, exec_lo, s34
	s_or_b32 s25, s34, s25
	s_and_not1_b32 s31, s31, exec_lo
	s_and_b32 s33, s33, exec_lo
	s_delay_alu instid0(SALU_CYCLE_1)
	s_or_b32 s31, s31, s33
	s_and_not1_b32 exec_lo, exec_lo, s25
	s_cbranch_execz .LBB82_271
.LBB82_266:                             ;   Parent Loop BB82_6 Depth=1
                                        ; =>  This Inner Loop Header: Depth=2
	s_mov_b32 s33, exec_lo
	s_delay_alu instid0(VALU_DEP_1)
	v_cmpx_gt_u32_e64 s27, v3
	s_cbranch_execz .LBB82_263
; %bb.267:                              ;   in Loop: Header=BB82_266 Depth=2
	ds_load_b32 v17, v2
	s_wait_dscnt 0x0
	v_cmp_lt_i32_e32 vcc_lo, -1, v17
	v_cndmask_b32_e64 v4, -1, 0x80000000, vcc_lo
	v_cmp_o_f32_e32 vcc_lo, v17, v17
	s_delay_alu instid0(VALU_DEP_2) | instskip(NEXT) | instid1(VALU_DEP_1)
	v_xor_b32_e32 v4, v4, v17
	v_cndmask_b32_e32 v4, -1, v4, vcc_lo
	s_delay_alu instid0(VALU_DEP_1) | instskip(NEXT) | instid1(VALU_DEP_1)
	v_and_b32_e32 v4, v4, v33
	v_cmp_eq_u32_e32 vcc_lo, v4, v24
	s_and_b32 exec_lo, exec_lo, vcc_lo
	s_cbranch_execz .LBB82_263
; %bb.268:                              ;   in Loop: Header=BB82_266 Depth=2
	ds_store_b64 v13, v[16:17] offset:3072
	s_branch .LBB82_263
.LBB82_269:                             ;   in Loop: Header=BB82_266 Depth=2
	s_mov_b32 s34, -1
	s_mov_b32 s33, -1
                                        ; implicit-def: $vgpr3
                                        ; implicit-def: $vgpr2
	s_branch .LBB82_265
.LBB82_270:                             ;   in Loop: Header=BB82_6 Depth=1
	v_dual_mov_b32 v24, v5 :: v_dual_mov_b32 v33, v12
	v_mov_b32_e32 v19, v3
	s_mov_b32 s26, 0
	s_and_saveexec_b32 s14, s23
	s_cbranch_execnz .LBB82_423
	s_branch .LBB82_424
.LBB82_271:                             ;   in Loop: Header=BB82_6 Depth=1
	s_or_b32 exec_lo, exec_lo, s25
	s_delay_alu instid0(SALU_CYCLE_1)
	s_and_b32 s25, s31, exec_lo
.LBB82_272:                             ;   in Loop: Header=BB82_6 Depth=1
	s_or_b32 exec_lo, exec_lo, s29
.LBB82_273:                             ;   in Loop: Header=BB82_6 Depth=1
	s_delay_alu instid0(SALU_CYCLE_1)
	s_and_b32 vcc_lo, exec_lo, s28
	s_cbranch_vccz .LBB82_285
; %bb.274:                              ;   in Loop: Header=BB82_6 Depth=1
                                        ; implicit-def: $vgpr19
	s_and_saveexec_b32 s16, s13
	s_cbranch_execz .LBB82_284
; %bb.275:                              ;   in Loop: Header=BB82_6 Depth=1
	v_dual_mov_b32 v2, v10 :: v_dual_mov_b32 v3, v0
	s_mov_b32 s26, 0
                                        ; implicit-def: $sgpr27
	s_branch .LBB82_279
.LBB82_276:                             ;   in Loop: Header=BB82_279 Depth=2
	s_or_b32 exec_lo, exec_lo, s28
	s_wait_dscnt 0x0
	s_barrier_signal -1
	s_barrier_wait -1
	ds_load_b64 v[18:19], v13 offset:3072
	s_wait_dscnt 0x0
	s_barrier_signal -1
	s_barrier_wait -1
	v_cmp_neq_f32_e32 vcc_lo, 0, v18
	s_cbranch_vccnz .LBB82_282
; %bb.277:                              ;   in Loop: Header=BB82_279 Depth=2
	v_dual_add_nc_u32 v3, s35, v3 :: v_dual_add_nc_u32 v2, s57, v2
	s_mov_b32 s28, 0
	s_delay_alu instid0(VALU_DEP_1)
	v_cmp_le_u32_e32 vcc_lo, s77, v3
	s_or_not1_b32 s29, vcc_lo, exec_lo
.LBB82_278:                             ;   in Loop: Header=BB82_279 Depth=2
	s_delay_alu instid0(SALU_CYCLE_1) | instskip(NEXT) | instid1(SALU_CYCLE_1)
	s_and_b32 s29, exec_lo, s29
	s_or_b32 s26, s29, s26
	s_and_not1_b32 s27, s27, exec_lo
	s_and_b32 s28, s28, exec_lo
	s_delay_alu instid0(SALU_CYCLE_1)
	s_or_b32 s27, s27, s28
	s_and_not1_b32 exec_lo, exec_lo, s26
	s_cbranch_execz .LBB82_283
.LBB82_279:                             ;   Parent Loop BB82_6 Depth=1
                                        ; =>  This Inner Loop Header: Depth=2
	s_mov_b32 s28, exec_lo
	s_delay_alu instid0(VALU_DEP_1)
	v_cmpx_gt_u32_e64 s36, v3
	s_cbranch_execz .LBB82_276
; %bb.280:                              ;   in Loop: Header=BB82_279 Depth=2
	global_load_b32 v17, v2, s[38:39] scale_offset
	s_wait_loadcnt 0x0
	v_cmp_lt_i32_e32 vcc_lo, -1, v17
	v_cndmask_b32_e64 v4, -1, 0x80000000, vcc_lo
	v_cmp_o_f32_e32 vcc_lo, v17, v17
	s_delay_alu instid0(VALU_DEP_2) | instskip(NEXT) | instid1(VALU_DEP_1)
	v_xor_b32_e32 v4, v4, v17
	v_cndmask_b32_e32 v4, -1, v4, vcc_lo
	s_delay_alu instid0(VALU_DEP_1) | instskip(NEXT) | instid1(VALU_DEP_1)
	v_and_b32_e32 v4, v4, v33
	v_cmp_eq_u32_e32 vcc_lo, v4, v24
	s_and_b32 exec_lo, exec_lo, vcc_lo
	s_cbranch_execz .LBB82_276
; %bb.281:                              ;   in Loop: Header=BB82_279 Depth=2
	ds_store_b64 v13, v[16:17] offset:3072
	s_branch .LBB82_276
.LBB82_282:                             ;   in Loop: Header=BB82_279 Depth=2
	s_mov_b32 s29, -1
	s_mov_b32 s28, -1
                                        ; implicit-def: $vgpr3
                                        ; implicit-def: $vgpr2
	s_branch .LBB82_278
.LBB82_283:                             ;   in Loop: Header=BB82_6 Depth=1
	s_or_b32 exec_lo, exec_lo, s26
	s_delay_alu instid0(SALU_CYCLE_1) | instskip(SKIP_1) | instid1(SALU_CYCLE_1)
	s_and_not1_b32 s25, s25, exec_lo
	s_and_b32 s26, s27, exec_lo
	s_or_b32 s25, s25, s26
.LBB82_284:                             ;   in Loop: Header=BB82_6 Depth=1
	s_or_b32 exec_lo, exec_lo, s16
	s_mov_b32 s16, 0
	s_mov_b32 s26, -1
.LBB82_285:                             ;   in Loop: Header=BB82_6 Depth=1
	s_or_not1_b32 s25, s25, exec_lo
.LBB82_286:                             ;   in Loop: Header=BB82_6 Depth=1
	s_or_b32 exec_lo, exec_lo, s24
                                        ; implicit-def: $vgpr35
                                        ; implicit-def: $vgpr4
	s_and_saveexec_b32 s24, s25
	s_cbranch_execz .LBB82_422
; %bb.287:                              ;   in Loop: Header=BB82_6 Depth=1
	v_dual_mov_b32 v35, 1 :: v_dual_mov_b32 v4, 1
	s_xor_b32 s25, s14, -1
	s_mov_b32 s28, 0
	s_and_saveexec_b32 s14, s25
	s_cbranch_execz .LBB82_296
; %bb.288:                              ;   in Loop: Header=BB82_6 Depth=1
	s_mov_b32 s25, exec_lo
	v_cmpx_ge_u32_e64 s22, v34
	s_xor_b32 s25, exec_lo, s25
	s_cbranch_execz .LBB82_293
; %bb.289:                              ;   in Loop: Header=BB82_6 Depth=1
	ds_load_b32 v2, v13 offset:4096
	v_or_b32_e32 v24, s18, v24
	v_or_b32_e32 v33, s18, v33
	s_wait_dscnt 0x0
	v_cmp_ne_u32_e32 vcc_lo, 0, v2
	s_cbranch_vccnz .LBB82_293
; %bb.290:                              ;   in Loop: Header=BB82_6 Depth=1
	s_and_saveexec_b32 s27, s5
; %bb.291:                              ;   in Loop: Header=BB82_6 Depth=1
	v_mov_b32_e32 v2, s22
	ds_store_b32 v13, v2 offset:4100
; %bb.292:                              ;   in Loop: Header=BB82_6 Depth=1
	s_or_b32 exec_lo, exec_lo, s27
	s_wait_dscnt 0x0
	s_barrier_signal -1
	s_barrier_wait -1
.LBB82_293:                             ;   in Loop: Header=BB82_6 Depth=1
	s_or_saveexec_b32 s25, s25
	v_mov_b32_e32 v4, 5
	s_mov_b32 s27, 0
	s_xor_b32 exec_lo, exec_lo, s25
; %bb.294:                              ;   in Loop: Header=BB82_6 Depth=1
	v_subrev_nc_u32_e32 v34, s22, v34
	v_mov_b32_e32 v4, 0
	s_mov_b32 s27, exec_lo
; %bb.295:                              ;   in Loop: Header=BB82_6 Depth=1
	s_or_b32 exec_lo, exec_lo, s25
	s_delay_alu instid0(VALU_DEP_2)
	v_mov_b32_e32 v35, v34
	s_and_b32 s28, s27, exec_lo
.LBB82_296:                             ;   in Loop: Header=BB82_6 Depth=1
	s_or_b32 exec_lo, exec_lo, s14
	s_mov_b32 s27, -1
                                        ; implicit-def: $sgpr22
                                        ; implicit-def: $sgpr25
	s_and_saveexec_b32 s14, s28
	s_delay_alu instid0(SALU_CYCLE_1)
	s_xor_b32 s14, exec_lo, s14
	s_cbranch_execz .LBB82_419
; %bb.297:                              ;   in Loop: Header=BB82_6 Depth=1
	v_cmp_eq_u32_e32 vcc_lo, 1, v35
	s_cmp_eq_u32 s21, 1
	s_mov_b32 s29, -1
	s_cselect_b32 s22, -1, 0
                                        ; implicit-def: $sgpr25
	s_delay_alu instid0(SALU_CYCLE_1) | instskip(NEXT) | instid1(SALU_CYCLE_1)
	s_and_b32 s28, s22, vcc_lo
                                        ; implicit-def: $sgpr22
	s_and_saveexec_b32 s27, s28
	s_cbranch_execz .LBB82_325
; %bb.298:                              ;   in Loop: Header=BB82_6 Depth=1
	ds_load_b32 v2, v13 offset:4096
	s_wait_dscnt 0x0
	s_barrier_signal -1
	s_barrier_wait -1
	v_readfirstlane_b32 s30, v2
	s_and_saveexec_b32 s22, s6
; %bb.299:                              ;   in Loop: Header=BB82_6 Depth=1
	ds_store_b32 v11, v13
; %bb.300:                              ;   in Loop: Header=BB82_6 Depth=1
	s_or_b32 exec_lo, exec_lo, s22
	s_lshl_b32 s22, 2, s80
	v_or_b32_e32 v33, s18, v33
	v_and_or_b32 v24, v24, s19, s22
	s_mov_b32 s22, -1
	s_mov_b32 s25, 0
	s_cmp_eq_u32 s30, 0
	s_mov_b32 s29, 0
	s_mov_b32 s31, -1
	s_wait_dscnt 0x0
	s_barrier_signal -1
	s_barrier_wait -1
                                        ; implicit-def: $vgpr19
	s_cbranch_scc1 .LBB82_312
; %bb.301:                              ;   in Loop: Header=BB82_6 Depth=1
	s_add_co_i32 s44, s30, s66
	s_mov_b32 s33, exec_lo
	s_mul_u64 s[52:53], s[44:45], s[48:49]
                                        ; implicit-def: $vgpr19
	s_delay_alu instid0(SALU_CYCLE_1) | instskip(NEXT) | instid1(SALU_CYCLE_1)
	s_mul_i32 s29, s53, s35
	s_sub_co_i32 s29, s44, s29
	s_delay_alu instid0(SALU_CYCLE_1) | instskip(SKIP_2) | instid1(SALU_CYCLE_1)
	s_sub_co_i32 s31, s29, s35
	s_cmp_ge_u32 s29, s35
	s_cselect_b32 s29, s31, s29
	s_sub_co_i32 s31, s29, s35
	s_cmp_ge_u32 s29, s35
	s_cselect_b32 s29, s31, s29
	s_mov_b32 s31, 0
	s_sub_co_i32 s34, s44, s29
	s_mov_b32 s29, 0
	v_cmpx_gt_u32_e64 s34, v0
	s_cbranch_execz .LBB82_311
; %bb.302:                              ;   in Loop: Header=BB82_6 Depth=1
	v_dual_mov_b32 v2, v7 :: v_dual_mov_b32 v3, v0
                                        ; implicit-def: $sgpr44
	s_branch .LBB82_306
.LBB82_303:                             ;   in Loop: Header=BB82_306 Depth=2
	s_or_b32 exec_lo, exec_lo, s52
	s_wait_dscnt 0x0
	s_barrier_signal -1
	s_barrier_wait -1
	ds_load_b64 v[18:19], v13 offset:3072
	s_wait_dscnt 0x0
	s_barrier_signal -1
	s_barrier_wait -1
	v_cmp_neq_f32_e32 vcc_lo, 0, v18
	s_cbranch_vccnz .LBB82_309
; %bb.304:                              ;   in Loop: Header=BB82_306 Depth=2
	v_dual_add_nc_u32 v3, s35, v3 :: v_dual_add_nc_u32 v2, s62, v2
	s_mov_b32 s52, 0
	s_delay_alu instid0(VALU_DEP_1)
	v_cmp_le_u32_e32 vcc_lo, s34, v3
	s_or_not1_b32 s53, vcc_lo, exec_lo
.LBB82_305:                             ;   in Loop: Header=BB82_306 Depth=2
	s_delay_alu instid0(SALU_CYCLE_1) | instskip(NEXT) | instid1(SALU_CYCLE_1)
	s_and_b32 s53, exec_lo, s53
	s_or_b32 s29, s53, s29
	s_and_not1_b32 s44, s44, exec_lo
	s_and_b32 s52, s52, exec_lo
	s_delay_alu instid0(SALU_CYCLE_1)
	s_or_b32 s44, s44, s52
	s_and_not1_b32 exec_lo, exec_lo, s29
	s_cbranch_execz .LBB82_310
.LBB82_306:                             ;   Parent Loop BB82_6 Depth=1
                                        ; =>  This Inner Loop Header: Depth=2
	s_mov_b32 s52, exec_lo
	s_delay_alu instid0(VALU_DEP_1)
	v_cmpx_gt_u32_e64 s30, v3
	s_cbranch_execz .LBB82_303
; %bb.307:                              ;   in Loop: Header=BB82_306 Depth=2
	ds_load_b32 v17, v2
	s_wait_dscnt 0x0
	v_cmp_lt_i32_e32 vcc_lo, -1, v17
	v_cndmask_b32_e64 v5, -1, 0x80000000, vcc_lo
	v_cmp_o_f32_e32 vcc_lo, v17, v17
	s_delay_alu instid0(VALU_DEP_2) | instskip(NEXT) | instid1(VALU_DEP_1)
	v_xor_b32_e32 v5, v5, v17
	v_cndmask_b32_e32 v5, -1, v5, vcc_lo
	s_delay_alu instid0(VALU_DEP_1) | instskip(NEXT) | instid1(VALU_DEP_1)
	v_and_b32_e32 v5, v5, v33
	v_cmp_eq_u32_e32 vcc_lo, v5, v24
	s_and_b32 exec_lo, exec_lo, vcc_lo
	s_cbranch_execz .LBB82_303
; %bb.308:                              ;   in Loop: Header=BB82_306 Depth=2
	ds_store_b64 v13, v[16:17] offset:3072
	s_branch .LBB82_303
.LBB82_309:                             ;   in Loop: Header=BB82_306 Depth=2
	s_mov_b32 s53, -1
	s_mov_b32 s52, -1
                                        ; implicit-def: $vgpr3
                                        ; implicit-def: $vgpr2
	s_branch .LBB82_305
.LBB82_310:                             ;   in Loop: Header=BB82_6 Depth=1
	s_or_b32 exec_lo, exec_lo, s29
	s_delay_alu instid0(SALU_CYCLE_1)
	s_and_b32 s29, s44, exec_lo
.LBB82_311:                             ;   in Loop: Header=BB82_6 Depth=1
	s_or_b32 exec_lo, exec_lo, s33
.LBB82_312:                             ;   in Loop: Header=BB82_6 Depth=1
	s_delay_alu instid0(SALU_CYCLE_1)
	s_and_b32 vcc_lo, exec_lo, s31
	s_cbranch_vccz .LBB82_324
; %bb.313:                              ;   in Loop: Header=BB82_6 Depth=1
                                        ; implicit-def: $vgpr19
	s_and_saveexec_b32 s22, s13
	s_cbranch_execz .LBB82_323
; %bb.314:                              ;   in Loop: Header=BB82_6 Depth=1
	v_dual_mov_b32 v2, v10 :: v_dual_mov_b32 v3, v0
	s_mov_b32 s25, 0
                                        ; implicit-def: $sgpr30
	s_branch .LBB82_318
.LBB82_315:                             ;   in Loop: Header=BB82_318 Depth=2
	s_or_b32 exec_lo, exec_lo, s31
	s_wait_dscnt 0x0
	s_barrier_signal -1
	s_barrier_wait -1
	ds_load_b64 v[18:19], v13 offset:3072
	s_wait_dscnt 0x0
	s_barrier_signal -1
	s_barrier_wait -1
	v_cmp_eq_f32_e32 vcc_lo, 0, v18
	s_cbranch_vccz .LBB82_321
; %bb.316:                              ;   in Loop: Header=BB82_318 Depth=2
	v_dual_add_nc_u32 v3, s35, v3 :: v_dual_add_nc_u32 v2, s57, v2
	s_mov_b32 s31, 0
	s_delay_alu instid0(VALU_DEP_1)
	v_cmp_le_u32_e32 vcc_lo, s77, v3
	s_or_not1_b32 s33, vcc_lo, exec_lo
.LBB82_317:                             ;   in Loop: Header=BB82_318 Depth=2
	s_delay_alu instid0(SALU_CYCLE_1) | instskip(NEXT) | instid1(SALU_CYCLE_1)
	s_and_b32 s33, exec_lo, s33
	s_or_b32 s25, s33, s25
	s_and_not1_b32 s30, s30, exec_lo
	s_and_b32 s31, s31, exec_lo
	s_delay_alu instid0(SALU_CYCLE_1)
	s_or_b32 s30, s30, s31
	s_and_not1_b32 exec_lo, exec_lo, s25
	s_cbranch_execz .LBB82_322
.LBB82_318:                             ;   Parent Loop BB82_6 Depth=1
                                        ; =>  This Inner Loop Header: Depth=2
	s_mov_b32 s31, exec_lo
	s_delay_alu instid0(VALU_DEP_1)
	v_cmpx_gt_u32_e64 s36, v3
	s_cbranch_execz .LBB82_315
; %bb.319:                              ;   in Loop: Header=BB82_318 Depth=2
	global_load_b32 v17, v2, s[38:39] scale_offset
	s_wait_loadcnt 0x0
	v_cmp_lt_i32_e32 vcc_lo, -1, v17
	v_cndmask_b32_e64 v5, -1, 0x80000000, vcc_lo
	v_cmp_o_f32_e32 vcc_lo, v17, v17
	s_delay_alu instid0(VALU_DEP_2) | instskip(NEXT) | instid1(VALU_DEP_1)
	v_xor_b32_e32 v5, v5, v17
	v_cndmask_b32_e32 v5, -1, v5, vcc_lo
	s_delay_alu instid0(VALU_DEP_1) | instskip(NEXT) | instid1(VALU_DEP_1)
	v_and_b32_e32 v5, v5, v33
	v_cmp_eq_u32_e32 vcc_lo, v5, v24
	s_and_b32 exec_lo, exec_lo, vcc_lo
	s_cbranch_execz .LBB82_315
; %bb.320:                              ;   in Loop: Header=BB82_318 Depth=2
	ds_store_b64 v13, v[16:17] offset:3072
	s_branch .LBB82_315
.LBB82_321:                             ;   in Loop: Header=BB82_318 Depth=2
	s_mov_b32 s33, -1
	s_mov_b32 s31, -1
                                        ; implicit-def: $vgpr3
                                        ; implicit-def: $vgpr2
	s_branch .LBB82_317
.LBB82_322:                             ;   in Loop: Header=BB82_6 Depth=1
	s_or_b32 exec_lo, exec_lo, s25
	s_delay_alu instid0(SALU_CYCLE_1) | instskip(SKIP_1) | instid1(SALU_CYCLE_1)
	s_and_not1_b32 s25, s29, exec_lo
	s_and_b32 s29, s30, exec_lo
	s_or_b32 s29, s25, s29
.LBB82_323:                             ;   in Loop: Header=BB82_6 Depth=1
	s_or_b32 exec_lo, exec_lo, s22
	s_mov_b32 s22, 0
	s_mov_b32 s25, -1
.LBB82_324:                             ;   in Loop: Header=BB82_6 Depth=1
	s_or_not1_b32 s29, s29, exec_lo
.LBB82_325:                             ;   in Loop: Header=BB82_6 Depth=1
	s_or_b32 exec_lo, exec_lo, s27
	s_mov_b32 s30, 0
	s_and_saveexec_b32 s27, s29
	s_cbranch_execz .LBB82_418
; %bb.326:                              ;   in Loop: Header=BB82_6 Depth=1
	v_dual_mov_b32 v2, 1 :: v_dual_mov_b32 v4, 1
	s_xor_b32 s29, s28, -1
	s_mov_b32 s31, 0
	s_and_saveexec_b32 s28, s29
	s_cbranch_execz .LBB82_335
; %bb.327:                              ;   in Loop: Header=BB82_6 Depth=1
	s_mov_b32 s29, exec_lo
	v_cmpx_ge_u32_e64 s21, v35
	s_xor_b32 s29, exec_lo, s29
	s_cbranch_execz .LBB82_332
; %bb.328:                              ;   in Loop: Header=BB82_6 Depth=1
	ds_load_b32 v2, v13 offset:4096
	s_lshl_b32 s30, 2, s80
	v_or_b32_e32 v33, s18, v33
	v_and_or_b32 v24, v24, s19, s30
	s_wait_dscnt 0x0
	v_cmp_ne_u32_e32 vcc_lo, 0, v2
	s_cbranch_vccnz .LBB82_332
; %bb.329:                              ;   in Loop: Header=BB82_6 Depth=1
	s_and_saveexec_b32 s30, s5
; %bb.330:                              ;   in Loop: Header=BB82_6 Depth=1
	v_mov_b32_e32 v2, s21
	ds_store_b32 v13, v2 offset:4100
; %bb.331:                              ;   in Loop: Header=BB82_6 Depth=1
	s_or_b32 exec_lo, exec_lo, s30
	s_wait_dscnt 0x0
	s_barrier_signal -1
	s_barrier_wait -1
.LBB82_332:                             ;   in Loop: Header=BB82_6 Depth=1
	s_or_saveexec_b32 s29, s29
	v_mov_b32_e32 v4, 5
	s_mov_b32 s30, 0
	s_xor_b32 exec_lo, exec_lo, s29
; %bb.333:                              ;   in Loop: Header=BB82_6 Depth=1
	v_subrev_nc_u32_e32 v35, s21, v35
	v_mov_b32_e32 v4, 0
	s_mov_b32 s30, exec_lo
; %bb.334:                              ;   in Loop: Header=BB82_6 Depth=1
	s_or_b32 exec_lo, exec_lo, s29
	s_delay_alu instid0(VALU_DEP_2)
	v_mov_b32_e32 v2, v35
	s_and_b32 s31, s30, exec_lo
.LBB82_335:                             ;   in Loop: Header=BB82_6 Depth=1
	s_or_b32 exec_lo, exec_lo, s28
	s_mov_b32 s30, -1
                                        ; implicit-def: $sgpr28
                                        ; implicit-def: $sgpr29
	s_and_saveexec_b32 s21, s31
	s_cbranch_execz .LBB82_417
; %bb.336:                              ;   in Loop: Header=BB82_6 Depth=1
	v_cmp_eq_u32_e32 vcc_lo, 1, v2
	s_cmp_eq_u32 s20, 1
	s_mov_b32 s33, -1
	s_cselect_b32 s28, -1, 0
                                        ; implicit-def: $sgpr29
	s_delay_alu instid0(SALU_CYCLE_1) | instskip(NEXT) | instid1(SALU_CYCLE_1)
	s_and_b32 s31, s28, vcc_lo
                                        ; implicit-def: $sgpr28
	s_and_saveexec_b32 s30, s31
	s_cbranch_execz .LBB82_364
; %bb.337:                              ;   in Loop: Header=BB82_6 Depth=1
	ds_load_b32 v3, v13 offset:4096
	s_wait_dscnt 0x0
	s_barrier_signal -1
	s_barrier_wait -1
	v_readfirstlane_b32 s34, v3
	s_and_saveexec_b32 s28, s6
; %bb.338:                              ;   in Loop: Header=BB82_6 Depth=1
	ds_store_b32 v11, v13
; %bb.339:                              ;   in Loop: Header=BB82_6 Depth=1
	s_or_b32 exec_lo, exec_lo, s28
	s_lshl_b32 s28, 1, s80
	v_or_b32_e32 v33, s18, v33
	v_and_or_b32 v24, v24, s19, s28
	s_mov_b32 s28, -1
	s_mov_b32 s29, 0
	s_cmp_eq_u32 s34, 0
	s_mov_b32 s33, 0
	s_mov_b32 s44, -1
	s_wait_dscnt 0x0
	s_barrier_signal -1
	s_barrier_wait -1
                                        ; implicit-def: $vgpr19
	s_cbranch_scc1 .LBB82_351
; %bb.340:                              ;   in Loop: Header=BB82_6 Depth=1
	s_add_co_i32 s44, s34, s66
                                        ; implicit-def: $vgpr19
	s_delay_alu instid0(SALU_CYCLE_1) | instskip(NEXT) | instid1(SALU_CYCLE_1)
	s_mul_u64 s[52:53], s[44:45], s[48:49]
	s_mul_i32 s33, s53, s35
	s_delay_alu instid0(SALU_CYCLE_1) | instskip(NEXT) | instid1(SALU_CYCLE_1)
	s_sub_co_i32 s33, s44, s33
	s_sub_co_i32 s52, s33, s35
	s_cmp_ge_u32 s33, s35
	s_cselect_b32 s33, s52, s33
	s_delay_alu instid0(SALU_CYCLE_1)
	s_sub_co_i32 s52, s33, s35
	s_cmp_ge_u32 s33, s35
	s_cselect_b32 s33, s52, s33
	s_mov_b32 s52, exec_lo
	s_sub_co_i32 s53, s44, s33
	s_mov_b32 s44, 0
	s_mov_b32 s33, 0
	v_cmpx_gt_u32_e64 s53, v0
	s_cbranch_execz .LBB82_350
; %bb.341:                              ;   in Loop: Header=BB82_6 Depth=1
	v_dual_mov_b32 v3, v7 :: v_dual_mov_b32 v5, v0
                                        ; implicit-def: $sgpr54
	s_branch .LBB82_345
.LBB82_342:                             ;   in Loop: Header=BB82_345 Depth=2
	s_or_b32 exec_lo, exec_lo, s55
	s_wait_dscnt 0x0
	s_barrier_signal -1
	s_barrier_wait -1
	ds_load_b64 v[18:19], v13 offset:3072
	s_wait_dscnt 0x0
	s_barrier_signal -1
	s_barrier_wait -1
	v_cmp_neq_f32_e32 vcc_lo, 0, v18
	s_cbranch_vccnz .LBB82_348
; %bb.343:                              ;   in Loop: Header=BB82_345 Depth=2
	v_dual_add_nc_u32 v5, s35, v5 :: v_dual_add_nc_u32 v3, s62, v3
	s_mov_b32 s55, 0
	s_delay_alu instid0(VALU_DEP_1)
	v_cmp_le_u32_e32 vcc_lo, s53, v5
	s_or_not1_b32 s93, vcc_lo, exec_lo
.LBB82_344:                             ;   in Loop: Header=BB82_345 Depth=2
	s_delay_alu instid0(SALU_CYCLE_1) | instskip(NEXT) | instid1(SALU_CYCLE_1)
	s_and_b32 s93, exec_lo, s93
	s_or_b32 s33, s93, s33
	s_and_not1_b32 s54, s54, exec_lo
	s_and_b32 s55, s55, exec_lo
	s_delay_alu instid0(SALU_CYCLE_1)
	s_or_b32 s54, s54, s55
	s_and_not1_b32 exec_lo, exec_lo, s33
	s_cbranch_execz .LBB82_349
.LBB82_345:                             ;   Parent Loop BB82_6 Depth=1
                                        ; =>  This Inner Loop Header: Depth=2
	s_mov_b32 s55, exec_lo
	s_delay_alu instid0(VALU_DEP_1)
	v_cmpx_gt_u32_e64 s34, v5
	s_cbranch_execz .LBB82_342
; %bb.346:                              ;   in Loop: Header=BB82_345 Depth=2
	ds_load_b32 v17, v3
	s_wait_dscnt 0x0
	v_cmp_lt_i32_e32 vcc_lo, -1, v17
	v_cndmask_b32_e64 v12, -1, 0x80000000, vcc_lo
	v_cmp_o_f32_e32 vcc_lo, v17, v17
	s_delay_alu instid0(VALU_DEP_2) | instskip(NEXT) | instid1(VALU_DEP_1)
	v_xor_b32_e32 v12, v12, v17
	v_cndmask_b32_e32 v12, -1, v12, vcc_lo
	s_delay_alu instid0(VALU_DEP_1) | instskip(NEXT) | instid1(VALU_DEP_1)
	v_and_b32_e32 v12, v12, v33
	v_cmp_eq_u32_e32 vcc_lo, v12, v24
	s_and_b32 exec_lo, exec_lo, vcc_lo
	s_cbranch_execz .LBB82_342
; %bb.347:                              ;   in Loop: Header=BB82_345 Depth=2
	ds_store_b64 v13, v[16:17] offset:3072
	s_branch .LBB82_342
.LBB82_348:                             ;   in Loop: Header=BB82_345 Depth=2
	s_mov_b32 s93, -1
	s_mov_b32 s55, -1
                                        ; implicit-def: $vgpr5
                                        ; implicit-def: $vgpr3
	s_branch .LBB82_344
.LBB82_349:                             ;   in Loop: Header=BB82_6 Depth=1
	s_or_b32 exec_lo, exec_lo, s33
	s_delay_alu instid0(SALU_CYCLE_1)
	s_and_b32 s33, s54, exec_lo
.LBB82_350:                             ;   in Loop: Header=BB82_6 Depth=1
	s_or_b32 exec_lo, exec_lo, s52
.LBB82_351:                             ;   in Loop: Header=BB82_6 Depth=1
	s_delay_alu instid0(SALU_CYCLE_1)
	s_and_b32 vcc_lo, exec_lo, s44
	s_cbranch_vccz .LBB82_363
; %bb.352:                              ;   in Loop: Header=BB82_6 Depth=1
                                        ; implicit-def: $vgpr19
	s_and_saveexec_b32 s28, s13
	s_cbranch_execz .LBB82_362
; %bb.353:                              ;   in Loop: Header=BB82_6 Depth=1
	v_dual_mov_b32 v3, v10 :: v_dual_mov_b32 v5, v0
	s_mov_b32 s29, 0
                                        ; implicit-def: $sgpr34
	s_branch .LBB82_357
.LBB82_354:                             ;   in Loop: Header=BB82_357 Depth=2
	s_or_b32 exec_lo, exec_lo, s44
	s_wait_dscnt 0x0
	s_barrier_signal -1
	s_barrier_wait -1
	ds_load_b64 v[18:19], v13 offset:3072
	s_wait_dscnt 0x0
	s_barrier_signal -1
	s_barrier_wait -1
	v_cmp_eq_f32_e32 vcc_lo, 0, v18
	s_cbranch_vccz .LBB82_360
; %bb.355:                              ;   in Loop: Header=BB82_357 Depth=2
	v_dual_add_nc_u32 v5, s35, v5 :: v_dual_add_nc_u32 v3, s57, v3
	s_mov_b32 s44, 0
	s_delay_alu instid0(VALU_DEP_1)
	v_cmp_le_u32_e32 vcc_lo, s77, v5
	s_or_not1_b32 s52, vcc_lo, exec_lo
.LBB82_356:                             ;   in Loop: Header=BB82_357 Depth=2
	s_delay_alu instid0(SALU_CYCLE_1) | instskip(NEXT) | instid1(SALU_CYCLE_1)
	s_and_b32 s52, exec_lo, s52
	s_or_b32 s29, s52, s29
	s_and_not1_b32 s34, s34, exec_lo
	s_and_b32 s44, s44, exec_lo
	s_delay_alu instid0(SALU_CYCLE_1)
	s_or_b32 s34, s34, s44
	s_and_not1_b32 exec_lo, exec_lo, s29
	s_cbranch_execz .LBB82_361
.LBB82_357:                             ;   Parent Loop BB82_6 Depth=1
                                        ; =>  This Inner Loop Header: Depth=2
	s_mov_b32 s44, exec_lo
	s_delay_alu instid0(VALU_DEP_1)
	v_cmpx_gt_u32_e64 s36, v5
	s_cbranch_execz .LBB82_354
; %bb.358:                              ;   in Loop: Header=BB82_357 Depth=2
	global_load_b32 v17, v3, s[38:39] scale_offset
	s_wait_loadcnt 0x0
	v_cmp_lt_i32_e32 vcc_lo, -1, v17
	v_cndmask_b32_e64 v12, -1, 0x80000000, vcc_lo
	v_cmp_o_f32_e32 vcc_lo, v17, v17
	s_delay_alu instid0(VALU_DEP_2) | instskip(NEXT) | instid1(VALU_DEP_1)
	v_xor_b32_e32 v12, v12, v17
	v_cndmask_b32_e32 v12, -1, v12, vcc_lo
	s_delay_alu instid0(VALU_DEP_1) | instskip(NEXT) | instid1(VALU_DEP_1)
	v_and_b32_e32 v12, v12, v33
	v_cmp_eq_u32_e32 vcc_lo, v12, v24
	s_and_b32 exec_lo, exec_lo, vcc_lo
	s_cbranch_execz .LBB82_354
; %bb.359:                              ;   in Loop: Header=BB82_357 Depth=2
	ds_store_b64 v13, v[16:17] offset:3072
	s_branch .LBB82_354
.LBB82_360:                             ;   in Loop: Header=BB82_357 Depth=2
	s_mov_b32 s52, -1
	s_mov_b32 s44, -1
                                        ; implicit-def: $vgpr5
                                        ; implicit-def: $vgpr3
	s_branch .LBB82_356
.LBB82_361:                             ;   in Loop: Header=BB82_6 Depth=1
	s_or_b32 exec_lo, exec_lo, s29
	s_delay_alu instid0(SALU_CYCLE_1) | instskip(SKIP_1) | instid1(SALU_CYCLE_1)
	s_and_not1_b32 s29, s33, exec_lo
	s_and_b32 s33, s34, exec_lo
	s_or_b32 s33, s29, s33
.LBB82_362:                             ;   in Loop: Header=BB82_6 Depth=1
	s_or_b32 exec_lo, exec_lo, s28
	s_mov_b32 s28, 0
	s_mov_b32 s29, -1
.LBB82_363:                             ;   in Loop: Header=BB82_6 Depth=1
	s_or_not1_b32 s33, s33, exec_lo
.LBB82_364:                             ;   in Loop: Header=BB82_6 Depth=1
	s_or_b32 exec_lo, exec_lo, s30
	s_mov_b32 s34, 0
	s_and_saveexec_b32 s30, s33
	s_cbranch_execz .LBB82_416
; %bb.365:                              ;   in Loop: Header=BB82_6 Depth=1
	v_dual_mov_b32 v3, 1 :: v_dual_mov_b32 v4, 1
	s_xor_b32 s33, s31, -1
	s_mov_b32 s44, 0
	s_and_saveexec_b32 s31, s33
	s_cbranch_execz .LBB82_374
; %bb.366:                              ;   in Loop: Header=BB82_6 Depth=1
	s_mov_b32 s33, exec_lo
	v_cmpx_ge_u32_e64 s20, v2
	s_xor_b32 s33, exec_lo, s33
	s_cbranch_execz .LBB82_371
; %bb.367:                              ;   in Loop: Header=BB82_6 Depth=1
	ds_load_b32 v3, v13 offset:4096
	s_lshl_b32 s34, 1, s80
	v_or_b32_e32 v33, s18, v33
	v_and_or_b32 v24, v24, s19, s34
	s_wait_dscnt 0x0
	v_cmp_ne_u32_e32 vcc_lo, 0, v3
	s_cbranch_vccnz .LBB82_371
; %bb.368:                              ;   in Loop: Header=BB82_6 Depth=1
	s_and_saveexec_b32 s34, s5
; %bb.369:                              ;   in Loop: Header=BB82_6 Depth=1
	v_mov_b32_e32 v3, s20
	ds_store_b32 v13, v3 offset:4100
; %bb.370:                              ;   in Loop: Header=BB82_6 Depth=1
	s_or_b32 exec_lo, exec_lo, s34
	s_wait_dscnt 0x0
	s_barrier_signal -1
	s_barrier_wait -1
.LBB82_371:                             ;   in Loop: Header=BB82_6 Depth=1
	s_or_saveexec_b32 s33, s33
	v_mov_b32_e32 v4, 5
	s_mov_b32 s34, 0
	s_xor_b32 exec_lo, exec_lo, s33
; %bb.372:                              ;   in Loop: Header=BB82_6 Depth=1
	v_subrev_nc_u32_e32 v2, s20, v2
	v_mov_b32_e32 v4, 0
	s_mov_b32 s34, exec_lo
; %bb.373:                              ;   in Loop: Header=BB82_6 Depth=1
	s_or_b32 exec_lo, exec_lo, s33
	s_delay_alu instid0(VALU_DEP_2)
	v_mov_b32_e32 v3, v2
	s_and_b32 s44, s34, exec_lo
.LBB82_374:                             ;   in Loop: Header=BB82_6 Depth=1
	s_or_b32 exec_lo, exec_lo, s31
	s_mov_b32 s31, -1
                                        ; implicit-def: $sgpr34
                                        ; implicit-def: $sgpr33
	s_and_saveexec_b32 s20, s44
	s_cbranch_execz .LBB82_415
; %bb.375:                              ;   in Loop: Header=BB82_6 Depth=1
	v_cmp_eq_u32_e32 vcc_lo, 1, v3
	s_cmp_eq_u32 s17, 1
	s_mov_b32 s53, -1
	s_cselect_b32 s31, -1, 0
                                        ; implicit-def: $sgpr34
                                        ; implicit-def: $sgpr33
	s_delay_alu instid0(SALU_CYCLE_1) | instskip(NEXT) | instid1(SALU_CYCLE_1)
	s_and_b32 s31, s31, vcc_lo
	s_and_saveexec_b32 s52, s31
	s_cbranch_execz .LBB82_403
; %bb.376:                              ;   in Loop: Header=BB82_6 Depth=1
	ds_load_b32 v2, v13 offset:4096
	s_wait_dscnt 0x0
	s_barrier_signal -1
	s_barrier_wait -1
	v_readfirstlane_b32 s53, v2
	s_and_saveexec_b32 s33, s6
; %bb.377:                              ;   in Loop: Header=BB82_6 Depth=1
	ds_store_b32 v11, v13
; %bb.378:                              ;   in Loop: Header=BB82_6 Depth=1
	s_or_b32 exec_lo, exec_lo, s33
	v_and_b32_e32 v24, s19, v24
	v_or_b32_e32 v33, s18, v33
	s_mov_b32 s33, -1
	s_mov_b32 s34, 0
	s_cmp_eq_u32 s53, 0
	s_mov_b32 s44, 0
	s_mov_b32 s54, -1
	s_wait_dscnt 0x0
	s_barrier_signal -1
	s_barrier_wait -1
                                        ; implicit-def: $vgpr19
	s_cbranch_scc1 .LBB82_390
; %bb.379:                              ;   in Loop: Header=BB82_6 Depth=1
	s_add_co_i32 s44, s53, s66
                                        ; implicit-def: $vgpr19
	s_delay_alu instid0(SALU_CYCLE_1) | instskip(NEXT) | instid1(SALU_CYCLE_1)
	s_mul_u64 s[54:55], s[44:45], s[48:49]
	s_mul_i32 s54, s55, s35
	s_delay_alu instid0(SALU_CYCLE_1) | instskip(NEXT) | instid1(SALU_CYCLE_1)
	s_sub_co_i32 s54, s44, s54
	s_sub_co_i32 s55, s54, s35
	s_cmp_ge_u32 s54, s35
	s_cselect_b32 s54, s55, s54
	s_delay_alu instid0(SALU_CYCLE_1)
	s_sub_co_i32 s55, s54, s35
	s_cmp_ge_u32 s54, s35
	s_cselect_b32 s54, s55, s54
	s_mov_b32 s55, exec_lo
	s_sub_co_i32 s93, s44, s54
	s_mov_b32 s54, 0
	s_mov_b32 s44, 0
	v_cmpx_gt_u32_e64 s93, v0
	s_cbranch_execz .LBB82_389
; %bb.380:                              ;   in Loop: Header=BB82_6 Depth=1
	v_dual_mov_b32 v2, v7 :: v_dual_mov_b32 v5, v0
                                        ; implicit-def: $sgpr94
	s_branch .LBB82_384
.LBB82_381:                             ;   in Loop: Header=BB82_384 Depth=2
	s_or_b32 exec_lo, exec_lo, s95
	s_wait_dscnt 0x0
	s_barrier_signal -1
	s_barrier_wait -1
	ds_load_b64 v[18:19], v13 offset:3072
	s_wait_dscnt 0x0
	s_barrier_signal -1
	s_barrier_wait -1
	v_cmp_neq_f32_e32 vcc_lo, 0, v18
	s_cbranch_vccnz .LBB82_387
; %bb.382:                              ;   in Loop: Header=BB82_384 Depth=2
	v_dual_add_nc_u32 v5, s35, v5 :: v_dual_add_nc_u32 v2, s62, v2
	s_mov_b32 s95, 0
	s_delay_alu instid0(VALU_DEP_1)
	v_cmp_le_u32_e32 vcc_lo, s93, v5
	s_or_not1_b32 s96, vcc_lo, exec_lo
.LBB82_383:                             ;   in Loop: Header=BB82_384 Depth=2
	s_delay_alu instid0(SALU_CYCLE_1) | instskip(NEXT) | instid1(SALU_CYCLE_1)
	s_and_b32 s96, exec_lo, s96
	s_or_b32 s44, s96, s44
	s_and_not1_b32 s94, s94, exec_lo
	s_and_b32 s95, s95, exec_lo
	s_delay_alu instid0(SALU_CYCLE_1)
	s_or_b32 s94, s94, s95
	s_and_not1_b32 exec_lo, exec_lo, s44
	s_cbranch_execz .LBB82_388
.LBB82_384:                             ;   Parent Loop BB82_6 Depth=1
                                        ; =>  This Inner Loop Header: Depth=2
	s_mov_b32 s95, exec_lo
	s_delay_alu instid0(VALU_DEP_1)
	v_cmpx_gt_u32_e64 s53, v5
	s_cbranch_execz .LBB82_381
; %bb.385:                              ;   in Loop: Header=BB82_384 Depth=2
	ds_load_b32 v17, v2
	s_wait_dscnt 0x0
	v_cmp_lt_i32_e32 vcc_lo, -1, v17
	v_cndmask_b32_e64 v12, -1, 0x80000000, vcc_lo
	v_cmp_o_f32_e32 vcc_lo, v17, v17
	s_delay_alu instid0(VALU_DEP_2) | instskip(NEXT) | instid1(VALU_DEP_1)
	v_xor_b32_e32 v12, v12, v17
	v_cndmask_b32_e32 v12, -1, v12, vcc_lo
	s_delay_alu instid0(VALU_DEP_1) | instskip(NEXT) | instid1(VALU_DEP_1)
	v_and_b32_e32 v12, v12, v33
	v_cmp_eq_u32_e32 vcc_lo, v12, v24
	s_and_b32 exec_lo, exec_lo, vcc_lo
	s_cbranch_execz .LBB82_381
; %bb.386:                              ;   in Loop: Header=BB82_384 Depth=2
	ds_store_b64 v13, v[16:17] offset:3072
	s_branch .LBB82_381
.LBB82_387:                             ;   in Loop: Header=BB82_384 Depth=2
	s_mov_b32 s96, -1
	s_mov_b32 s95, -1
                                        ; implicit-def: $vgpr5
                                        ; implicit-def: $vgpr2
	s_branch .LBB82_383
.LBB82_388:                             ;   in Loop: Header=BB82_6 Depth=1
	s_or_b32 exec_lo, exec_lo, s44
	s_delay_alu instid0(SALU_CYCLE_1)
	s_and_b32 s44, s94, exec_lo
.LBB82_389:                             ;   in Loop: Header=BB82_6 Depth=1
	s_or_b32 exec_lo, exec_lo, s55
.LBB82_390:                             ;   in Loop: Header=BB82_6 Depth=1
	s_delay_alu instid0(SALU_CYCLE_1)
	s_and_b32 vcc_lo, exec_lo, s54
	s_cbranch_vccz .LBB82_402
; %bb.391:                              ;   in Loop: Header=BB82_6 Depth=1
                                        ; implicit-def: $vgpr19
	s_and_saveexec_b32 s33, s13
	s_cbranch_execz .LBB82_401
; %bb.392:                              ;   in Loop: Header=BB82_6 Depth=1
	v_dual_mov_b32 v2, v10 :: v_dual_mov_b32 v5, v0
	s_mov_b32 s34, 0
                                        ; implicit-def: $sgpr53
	s_branch .LBB82_396
.LBB82_393:                             ;   in Loop: Header=BB82_396 Depth=2
	s_or_b32 exec_lo, exec_lo, s54
	s_wait_dscnt 0x0
	s_barrier_signal -1
	s_barrier_wait -1
	ds_load_b64 v[18:19], v13 offset:3072
	s_wait_dscnt 0x0
	s_barrier_signal -1
	s_barrier_wait -1
	v_cmp_eq_f32_e32 vcc_lo, 0, v18
	s_cbranch_vccz .LBB82_399
; %bb.394:                              ;   in Loop: Header=BB82_396 Depth=2
	v_dual_add_nc_u32 v5, s35, v5 :: v_dual_add_nc_u32 v2, s57, v2
	s_mov_b32 s54, 0
	s_delay_alu instid0(VALU_DEP_1)
	v_cmp_le_u32_e32 vcc_lo, s77, v5
	s_or_not1_b32 s55, vcc_lo, exec_lo
.LBB82_395:                             ;   in Loop: Header=BB82_396 Depth=2
	s_delay_alu instid0(SALU_CYCLE_1) | instskip(NEXT) | instid1(SALU_CYCLE_1)
	s_and_b32 s55, exec_lo, s55
	s_or_b32 s34, s55, s34
	s_and_not1_b32 s53, s53, exec_lo
	s_and_b32 s54, s54, exec_lo
	s_delay_alu instid0(SALU_CYCLE_1)
	s_or_b32 s53, s53, s54
	s_and_not1_b32 exec_lo, exec_lo, s34
	s_cbranch_execz .LBB82_400
.LBB82_396:                             ;   Parent Loop BB82_6 Depth=1
                                        ; =>  This Inner Loop Header: Depth=2
	s_mov_b32 s54, exec_lo
	s_delay_alu instid0(VALU_DEP_1)
	v_cmpx_gt_u32_e64 s36, v5
	s_cbranch_execz .LBB82_393
; %bb.397:                              ;   in Loop: Header=BB82_396 Depth=2
	global_load_b32 v17, v2, s[38:39] scale_offset
	s_wait_loadcnt 0x0
	v_cmp_lt_i32_e32 vcc_lo, -1, v17
	v_cndmask_b32_e64 v12, -1, 0x80000000, vcc_lo
	v_cmp_o_f32_e32 vcc_lo, v17, v17
	s_delay_alu instid0(VALU_DEP_2) | instskip(NEXT) | instid1(VALU_DEP_1)
	v_xor_b32_e32 v12, v12, v17
	v_cndmask_b32_e32 v12, -1, v12, vcc_lo
	s_delay_alu instid0(VALU_DEP_1) | instskip(NEXT) | instid1(VALU_DEP_1)
	v_and_b32_e32 v12, v12, v33
	v_cmp_eq_u32_e32 vcc_lo, v12, v24
	s_and_b32 exec_lo, exec_lo, vcc_lo
	s_cbranch_execz .LBB82_393
; %bb.398:                              ;   in Loop: Header=BB82_396 Depth=2
	ds_store_b64 v13, v[16:17] offset:3072
	s_branch .LBB82_393
.LBB82_399:                             ;   in Loop: Header=BB82_396 Depth=2
	s_mov_b32 s55, -1
	s_mov_b32 s54, -1
                                        ; implicit-def: $vgpr5
                                        ; implicit-def: $vgpr2
	s_branch .LBB82_395
.LBB82_400:                             ;   in Loop: Header=BB82_6 Depth=1
	s_or_b32 exec_lo, exec_lo, s34
	s_delay_alu instid0(SALU_CYCLE_1) | instskip(SKIP_1) | instid1(SALU_CYCLE_1)
	s_and_not1_b32 s34, s44, exec_lo
	s_and_b32 s44, s53, exec_lo
	s_or_b32 s44, s34, s44
.LBB82_401:                             ;   in Loop: Header=BB82_6 Depth=1
	s_or_b32 exec_lo, exec_lo, s33
	s_mov_b32 s33, 0
	s_mov_b32 s34, -1
.LBB82_402:                             ;   in Loop: Header=BB82_6 Depth=1
	s_or_not1_b32 s53, s44, exec_lo
.LBB82_403:                             ;   in Loop: Header=BB82_6 Depth=1
	s_or_b32 exec_lo, exec_lo, s52
	s_mov_b32 s52, 0
	s_and_saveexec_b32 s44, s53
	s_cbranch_execz .LBB82_414
; %bb.404:                              ;   in Loop: Header=BB82_6 Depth=1
	v_dual_mov_b32 v4, 1 :: v_dual_mov_b32 v2, 1
	s_xor_b32 s52, s31, -1
	s_delay_alu instid0(SALU_CYCLE_1)
	s_and_saveexec_b32 s31, s52
	s_cbranch_execz .LBB82_413
; %bb.405:                              ;   in Loop: Header=BB82_6 Depth=1
	s_mov_b32 s52, exec_lo
	v_cmpx_ge_u32_e64 s17, v3
	s_xor_b32 s52, exec_lo, s52
	s_cbranch_execz .LBB82_410
; %bb.406:                              ;   in Loop: Header=BB82_6 Depth=1
	ds_load_b32 v2, v13 offset:4096
	v_and_b32_e32 v24, s19, v24
	v_or_b32_e32 v33, s18, v33
	s_wait_dscnt 0x0
	v_cmp_ne_u32_e32 vcc_lo, 0, v2
	s_cbranch_vccnz .LBB82_410
; %bb.407:                              ;   in Loop: Header=BB82_6 Depth=1
	s_and_saveexec_b32 s18, s5
; %bb.408:                              ;   in Loop: Header=BB82_6 Depth=1
	v_mov_b32_e32 v2, s17
	ds_store_b32 v13, v2 offset:4100
; %bb.409:                              ;   in Loop: Header=BB82_6 Depth=1
	s_or_b32 exec_lo, exec_lo, s18
	s_wait_dscnt 0x0
	s_barrier_signal -1
	s_barrier_wait -1
.LBB82_410:                             ;   in Loop: Header=BB82_6 Depth=1
	s_and_not1_saveexec_b32 s18, s52
; %bb.411:                              ;   in Loop: Header=BB82_6 Depth=1
	v_subrev_nc_u32_e32 v3, s17, v3
; %bb.412:                              ;   in Loop: Header=BB82_6 Depth=1
	s_or_b32 exec_lo, exec_lo, s18
	s_delay_alu instid0(VALU_DEP_1)
	v_dual_mov_b32 v4, 5 :: v_dual_mov_b32 v2, v3
.LBB82_413:                             ;   in Loop: Header=BB82_6 Depth=1
	s_or_b32 exec_lo, exec_lo, s31
	s_delay_alu instid0(VALU_DEP_1)
	v_mov_b32_e32 v3, v2
	s_mov_b32 s52, exec_lo
.LBB82_414:                             ;   in Loop: Header=BB82_6 Depth=1
	s_or_b32 exec_lo, exec_lo, s44
	s_delay_alu instid0(SALU_CYCLE_1)
	s_or_not1_b32 s31, s52, exec_lo
.LBB82_415:                             ;   in Loop: Header=BB82_6 Depth=1
	s_or_b32 exec_lo, exec_lo, s20
	s_delay_alu instid0(SALU_CYCLE_1)
	s_and_not1_b32 s17, s29, exec_lo
	s_and_b32 s18, s34, exec_lo
	s_and_not1_b32 s19, s28, exec_lo
	s_and_b32 s20, s33, exec_lo
	v_mov_b32_e32 v2, v3
	s_or_b32 s29, s17, s18
	s_or_b32 s28, s19, s20
	s_and_b32 s34, s31, exec_lo
.LBB82_416:                             ;   in Loop: Header=BB82_6 Depth=1
	s_or_b32 exec_lo, exec_lo, s30
	s_delay_alu instid0(SALU_CYCLE_1)
	s_or_not1_b32 s30, s34, exec_lo
.LBB82_417:                             ;   in Loop: Header=BB82_6 Depth=1
	s_or_b32 exec_lo, exec_lo, s21
	s_delay_alu instid0(SALU_CYCLE_1)
	s_and_not1_b32 s17, s25, exec_lo
	s_and_b32 s18, s29, exec_lo
	s_and_not1_b32 s19, s22, exec_lo
	s_and_b32 s20, s28, exec_lo
	v_mov_b32_e32 v35, v2
	s_or_b32 s25, s17, s18
	s_or_b32 s22, s19, s20
	s_and_b32 s30, s30, exec_lo
.LBB82_418:                             ;   in Loop: Header=BB82_6 Depth=1
	s_or_b32 exec_lo, exec_lo, s27
	s_delay_alu instid0(SALU_CYCLE_1)
	s_or_not1_b32 s27, s30, exec_lo
.LBB82_419:                             ;   in Loop: Header=BB82_6 Depth=1
	s_or_b32 exec_lo, exec_lo, s14
	s_mov_b32 s14, s23
	s_mov_b32 s17, s15
	s_and_saveexec_b32 s18, s27
; %bb.420:                              ;   in Loop: Header=BB82_6 Depth=1
	v_cmp_ne_u32_e32 vcc_lo, 5, v4
	v_cmp_eq_u32_e64 s14, 5, v4
	s_and_not1_b32 s17, s15, exec_lo
	s_and_not1_b32 s19, s23, exec_lo
	s_and_b32 s20, vcc_lo, exec_lo
	s_and_b32 s14, s14, exec_lo
	s_or_b32 s17, s17, s20
	s_or_b32 s14, s19, s14
; %bb.421:                              ;   in Loop: Header=BB82_6 Depth=1
	s_or_b32 exec_lo, exec_lo, s18
	s_delay_alu instid0(SALU_CYCLE_1)
	s_and_not1_b32 s18, s26, exec_lo
	s_and_b32 s19, s25, exec_lo
	s_and_not1_b32 s16, s16, exec_lo
	s_and_b32 s20, s22, exec_lo
	s_or_b32 s26, s18, s19
	s_and_not1_b32 s15, s15, exec_lo
	s_and_b32 s17, s17, exec_lo
	s_and_not1_b32 s18, s23, exec_lo
	s_and_b32 s14, s14, exec_lo
	s_or_b32 s16, s16, s20
	s_or_b32 s15, s15, s17
	;; [unrolled: 1-line block ×3, first 2 shown]
.LBB82_422:                             ;   in Loop: Header=BB82_6 Depth=1
	s_or_b32 exec_lo, exec_lo, s24
	s_mov_b32 s24, 0
	s_mov_b32 s25, 0
	s_and_saveexec_b32 s14, s23
.LBB82_423:                             ;   in Loop: Header=BB82_6 Depth=1
	v_mov_b32_e32 v4, 0
	s_or_b32 s15, s15, exec_lo
.LBB82_424:                             ;   in Loop: Header=BB82_6 Depth=1
	s_or_b32 exec_lo, exec_lo, s14
	s_delay_alu instid0(SALU_CYCLE_1)
	s_and_not1_b32 s14, s90, exec_lo
	s_and_b32 s18, s26, exec_lo
	s_and_not1_b32 s19, s88, exec_lo
	s_and_b32 s16, s16, exec_lo
	v_mov_b32_e32 v34, v35
	s_or_b32 s90, s14, s18
	s_or_b32 s88, s19, s16
	s_and_not1_b32 s14, s92, exec_lo
	s_and_b32 s16, s25, exec_lo
	s_and_not1_b32 s18, s91, exec_lo
	s_and_b32 s19, s24, exec_lo
	s_mov_b32 s17, -1
	s_and_not1_b32 s89, s89, exec_lo
	s_or_b32 s92, s14, s16
	s_or_b32 s91, s18, s19
	s_and_saveexec_b32 s14, s15
	s_delay_alu instid0(SALU_CYCLE_1)
	s_xor_b32 s14, exec_lo, s14
	s_cbranch_execz .LBB82_5
; %bb.425:                              ;   in Loop: Header=BB82_6 Depth=1
	s_mov_b32 s15, -1
	s_mov_b32 s16, -1
	s_mov_b32 s17, exec_lo
	v_cmpx_eq_u32_e32 0, v4
	s_cbranch_execz .LBB82_4
; %bb.426:                              ;   in Loop: Header=BB82_6 Depth=1
	s_xor_b32 s83, s83, 1
	s_add_co_i32 s18, s80, -2
	s_cmp_eq_u32 s80, 0
	s_mov_b32 s80, s18
	s_cselect_b32 s15, -1, 0
	s_xor_b32 s16, exec_lo, -1
	s_or_not1_b32 s15, s15, exec_lo
	s_branch .LBB82_4
.LBB82_427:
	s_or_b32 exec_lo, exec_lo, s81
	s_xor_b32 s7, s87, -1
	s_xor_b32 s9, s85, -1
	;; [unrolled: 1-line block ×5, first 2 shown]
	s_mov_b32 s8, 0
	s_and_saveexec_b32 s12, s11
	s_delay_alu instid0(SALU_CYCLE_1)
	s_xor_b32 s12, exec_lo, s12
	s_cbranch_execnz .LBB82_432
; %bb.428:
	s_and_not1_saveexec_b32 s0, s12
	s_cbranch_execnz .LBB82_451
.LBB82_429:
	s_or_b32 exec_lo, exec_lo, s0
	s_and_saveexec_b32 s0, s8
.LBB82_430:
	; divergent unreachable
.LBB82_431:
	s_endpgm
.LBB82_432:
	s_and_saveexec_b32 s11, s10
	s_delay_alu instid0(SALU_CYCLE_1)
	s_xor_b32 s13, exec_lo, s11
	s_cbranch_execz .LBB82_449
; %bb.433:
	s_and_saveexec_b32 s10, s9
	s_delay_alu instid0(SALU_CYCLE_1)
	s_xor_b32 s14, exec_lo, s10
	s_cbranch_execz .LBB82_447
; %bb.434:
	;; [unrolled: 5-line block ×3, first 2 shown]
	s_and_saveexec_b32 s7, s6
	s_delay_alu instid0(SALU_CYCLE_1)
	s_xor_b32 s6, exec_lo, s7
; %bb.436:
	v_cmp_lt_i32_e32 vcc_lo, -1, v24
	v_cndmask_b32_e64 v1, 0x80000000, -1, vcc_lo
	s_delay_alu instid0(VALU_DEP_1)
	v_xor_b32_e32 v19, v1, v24
; %bb.437:
	s_or_b32 exec_lo, exec_lo, s6
	s_and_saveexec_b32 s6, s5
; %bb.438:
	v_mov_b32_e32 v1, 0
	ds_store_b32 v1, v1 offset:4108
; %bb.439:
	s_or_b32 exec_lo, exec_lo, s6
	v_mov_b32_e32 v1, 0
	s_wait_dscnt 0x0
	s_barrier_signal -1
	s_barrier_wait -1
	s_and_saveexec_b32 s5, s3
	s_cbranch_execz .LBB82_441
; %bb.440:
	global_load_b32 v1, v[8:9], off
.LBB82_441:
	s_wait_xcnt 0x0
	s_or_b32 exec_lo, exec_lo, s5
	v_cmp_lt_i32_e32 vcc_lo, -1, v19
	s_clause 0x1
	s_load_b32 s5, s[0:1], 0x1c8
	s_load_b32 s16, s[0:1], 0x2a8
	s_add_co_i32 s17, s36, 31
	s_mov_b32 s11, 0
	s_and_not1_b32 s17, s17, 31
	v_cndmask_b32_e64 v2, -1, 0x80000000, vcc_lo
	v_cmp_o_f32_e32 vcc_lo, v19, v19
	s_mul_i32 s10, s60, s58
	s_mul_i32 s6, s59, s58
	s_mov_b32 s7, s11
	v_xor_b32_e32 v2, v2, v19
	s_lshl_b64 s[8:9], s[10:11], 2
	s_lshl_b64 s[18:19], s[6:7], 3
	s_wait_xcnt 0x0
	s_mov_b32 s0, -1
	s_add_nc_u64 s[6:7], s[42:43], s[8:9]
	v_cndmask_b32_e32 v4, -1, v2, vcc_lo
	v_cmp_gt_u32_e32 vcc_lo, s17, v0
	s_add_nc_u64 s[8:9], s[40:41], s[18:19]
	s_mov_b32 s1, 0
	s_and_saveexec_b32 s10, vcc_lo
	s_cbranch_execnz .LBB82_452
; %bb.442:
	s_or_b32 exec_lo, exec_lo, s10
	s_and_saveexec_b32 s4, s0
	s_cbranch_execnz .LBB82_469
.LBB82_443:
	s_or_b32 exec_lo, exec_lo, s4
	s_and_saveexec_b32 s0, s1
	s_delay_alu instid0(SALU_CYCLE_1)
	s_xor_b32 s0, exec_lo, s0
	s_cbranch_execnz .LBB82_492
.LBB82_444:
	s_or_b32 exec_lo, exec_lo, s0
	s_delay_alu instid0(SALU_CYCLE_1)
	s_and_b32 s8, s11, exec_lo
.LBB82_445:
	s_and_not1_saveexec_b32 s0, s15
	s_cbranch_execnz .LBB82_494
.LBB82_446:
	s_or_b32 exec_lo, exec_lo, s0
	s_delay_alu instid0(SALU_CYCLE_1)
	s_and_b32 s8, s8, exec_lo
.LBB82_447:
	s_and_not1_saveexec_b32 s0, s14
	s_cbranch_execnz .LBB82_493
.LBB82_448:
	s_or_b32 exec_lo, exec_lo, s0
	s_delay_alu instid0(SALU_CYCLE_1)
	s_and_b32 s8, s8, exec_lo
.LBB82_449:
	s_and_not1_saveexec_b32 s0, s13
	s_cbranch_execnz .LBB82_488
.LBB82_450:
	s_or_b32 exec_lo, exec_lo, s0
	s_delay_alu instid0(SALU_CYCLE_1)
	s_and_b32 s8, s8, exec_lo
	s_and_not1_saveexec_b32 s0, s12
	s_cbranch_execz .LBB82_429
.LBB82_451:
	s_or_b32 s8, s8, exec_lo
	s_trap 2
	s_or_b32 exec_lo, exec_lo, s0
	s_and_saveexec_b32 s0, s8
	s_cbranch_execnz .LBB82_430
	s_branch .LBB82_431
.LBB82_452:
	v_dual_mov_b32 v3, 0 :: v_dual_add_nc_u32 v2, s35, v0
	s_mov_b32 s18, 0
                                        ; implicit-def: $sgpr19
                                        ; implicit-def: $vgpr11
	s_delay_alu instid0(VALU_DEP_1)
	v_mul_lo_u32 v5, s56, v2
	v_mov_b32_e32 v2, v0
	s_branch .LBB82_454
.LBB82_453:                             ;   in Loop: Header=BB82_454 Depth=1
	s_or_b32 exec_lo, exec_lo, s21
	s_xor_b32 s0, s20, -1
	s_and_b32 s1, exec_lo, s1
	s_wait_loadcnt 0x0
	v_dual_mov_b32 v1, v10 :: v_dual_mov_b32 v2, v7
	s_or_b32 s18, s1, s18
	s_and_not1_b32 s1, s19, exec_lo
	s_and_b32 s0, s0, exec_lo
	s_delay_alu instid0(SALU_CYCLE_1)
	s_or_b32 s19, s1, s0
	s_and_not1_b32 exec_lo, exec_lo, s18
	s_cbranch_execz .LBB82_468
.LBB82_454:                             ; =>This Inner Loop Header: Depth=1
	s_delay_alu instid0(VALU_DEP_1) | instskip(SKIP_1) | instid1(VALU_DEP_1)
	v_dual_mov_b32 v10, 0 :: v_dual_add_nc_u32 v7, s35, v2
	s_mov_b32 s1, exec_lo
	v_cmpx_gt_u32_e64 s36, v7
	s_cbranch_execz .LBB82_456
; %bb.455:                              ;   in Loop: Header=BB82_454 Depth=1
	global_load_b32 v10, v5, s[38:39] scale_offset
.LBB82_456:                             ;   in Loop: Header=BB82_454 Depth=1
	s_wait_xcnt 0x0
	s_or_b32 exec_lo, exec_lo, s1
	s_mov_b32 s20, 0
	s_mov_b32 s1, exec_lo
	v_cmpx_gt_u32_e64 s36, v2
	s_cbranch_execz .LBB82_458
; %bb.457:                              ;   in Loop: Header=BB82_454 Depth=1
	s_wait_loadcnt 0x0
	v_cmp_lt_i32_e64 s0, -1, v1
	s_delay_alu instid0(VALU_DEP_1) | instskip(SKIP_1) | instid1(VALU_DEP_2)
	v_cndmask_b32_e64 v12, -1, 0x80000000, s0
	v_cmp_o_f32_e64 s0, v1, v1
	v_xor_b32_e32 v12, v12, v1
	s_delay_alu instid0(VALU_DEP_1) | instskip(NEXT) | instid1(VALU_DEP_1)
	v_cndmask_b32_e64 v12, -1, v12, s0
	v_cmp_gt_u32_e64 s0, v12, v4
	s_delay_alu instid0(VALU_DEP_1) | instskip(SKIP_1) | instid1(VALU_DEP_1)
	v_cndmask_b32_e64 v13, 0, 1, s0
	v_cmp_lt_u32_e64 s0, v12, v4
	v_cndmask_b32_e64 v12, 0, 1, s0
	s_delay_alu instid0(VALU_DEP_1) | instskip(NEXT) | instid1(VALU_DEP_1)
	v_cndmask_b32_e64 v12, v12, v13, s4
	v_and_b32_e32 v12, 1, v12
	s_delay_alu instid0(VALU_DEP_1)
	v_cmp_eq_u32_e64 s0, 1, v12
	s_and_b32 s20, s0, exec_lo
.LBB82_458:                             ;   in Loop: Header=BB82_454 Depth=1
	s_or_b32 exec_lo, exec_lo, s1
	v_cndmask_b32_e64 v12, 0, 1, s20
	s_delay_alu instid0(VALU_DEP_1) | instskip(SKIP_2) | instid1(SALU_CYCLE_1)
	v_cmp_ne_u32_e64 s0, 0, v12
	s_cmp_lg_u32 s0, 0
	s_cselect_b32 s1, -1, 0
	s_and_b32 s1, s2, s1
	s_delay_alu instid0(SALU_CYCLE_1)
	s_and_saveexec_b32 s21, s1
	s_cbranch_execz .LBB82_462
; %bb.459:                              ;   in Loop: Header=BB82_454 Depth=1
	s_mov_b32 s24, exec_lo
	s_bcnt1_i32_b32 s22, s0
	s_wait_dscnt 0x0
	v_mbcnt_lo_u32_b32 v11, s24, 0
	s_mov_b32 s23, exec_lo
                                        ; implicit-def: $vgpr12
	s_delay_alu instid0(VALU_DEP_1)
	v_cmpx_eq_u32_e32 0, v11
; %bb.460:                              ;   in Loop: Header=BB82_454 Depth=1
	s_bcnt1_i32_b32 s1, s24
	s_delay_alu instid0(SALU_CYCLE_1) | instskip(NEXT) | instid1(SALU_CYCLE_1)
	s_mul_i32 s1, s22, s1
	v_mov_b32_e32 v12, s1
	ds_add_rtn_u32 v12, v3, v12 offset:4108
; %bb.461:                              ;   in Loop: Header=BB82_454 Depth=1
	s_or_b32 exec_lo, exec_lo, s23
	s_wait_dscnt 0x0
	v_readfirstlane_b32 s1, v12
	s_delay_alu instid0(VALU_DEP_1)
	v_mad_u32_u24 v11, s22, v11, s1
.LBB82_462:                             ;   in Loop: Header=BB82_454 Depth=1
	s_or_b32 exec_lo, exec_lo, s21
	s_wait_dscnt 0x0
	ds_bpermute_b32 v11, v3, v11
	s_mov_b32 s1, -1
	s_mov_b32 s22, -1
	s_and_saveexec_b32 s21, s20
	s_cbranch_execz .LBB82_466
; %bb.463:                              ;   in Loop: Header=BB82_454 Depth=1
	v_and_b32_e32 v12, s0, v6
	s_mov_b32 s20, 0
	s_mov_b32 s22, exec_lo
	s_wait_dscnt 0x0
	s_delay_alu instid0(VALU_DEP_1) | instskip(NEXT) | instid1(VALU_DEP_1)
	v_bcnt_u32_b32 v12, v12, v11
	v_cmpx_gt_u32_e64 s37, v12
	s_cbranch_execz .LBB82_465
; %bb.464:                              ;   in Loop: Header=BB82_454 Depth=1
	s_wait_kmcnt 0x0
	v_mul_lo_u32 v13, v12, s5
	v_mul_lo_u32 v12, v12, s16
	s_mov_b32 s20, exec_lo
	s_wait_loadcnt 0x0
	global_store_b32 v13, v1, s[6:7] scale_offset
	global_store_b64 v12, v[2:3], s[8:9] scale_offset
.LBB82_465:                             ;   in Loop: Header=BB82_454 Depth=1
	s_wait_xcnt 0x0
	s_or_b32 exec_lo, exec_lo, s22
	s_delay_alu instid0(SALU_CYCLE_1)
	s_or_not1_b32 s22, s20, exec_lo
.LBB82_466:                             ;   in Loop: Header=BB82_454 Depth=1
	s_or_b32 exec_lo, exec_lo, s21
	s_mov_b32 s20, -1
	s_and_saveexec_b32 s21, s22
	s_cbranch_execz .LBB82_453
; %bb.467:                              ;   in Loop: Header=BB82_454 Depth=1
	v_cmp_le_u32_e64 s0, s17, v7
	v_add_nc_u32_e32 v5, s57, v5
	s_xor_b32 s20, exec_lo, -1
	s_or_not1_b32 s1, s0, exec_lo
	s_branch .LBB82_453
.LBB82_468:
	s_or_b32 exec_lo, exec_lo, s18
	s_delay_alu instid0(SALU_CYCLE_1)
	s_mov_b32 s1, exec_lo
	s_or_not1_b32 s0, s19, exec_lo
	s_or_b32 exec_lo, exec_lo, s10
	s_and_saveexec_b32 s4, s0
	s_cbranch_execz .LBB82_443
.LBB82_469:
	v_mov_b32_e32 v10, 0
	s_wait_storecnt 0x0
	s_wait_loadcnt_dscnt 0x0
	s_barrier_signal -1
	s_barrier_wait -1
	s_and_saveexec_b32 s0, s3
	s_cbranch_execz .LBB82_471
; %bb.470:
	global_load_b32 v10, v[8:9], off
.LBB82_471:
	s_wait_xcnt 0x0
	s_or_b32 exec_lo, exec_lo, s0
	s_mov_b32 s0, 0
	s_and_saveexec_b32 s3, vcc_lo
	s_cbranch_execz .LBB82_491
; %bb.472:
	v_add_nc_u32_e32 v1, s35, v0
	s_mov_b32 s10, 0
                                        ; implicit-def: $sgpr11
                                        ; implicit-def: $vgpr7
	s_delay_alu instid0(VALU_DEP_1)
	v_mul_lo_u32 v2, s56, v1
	v_mov_b32_e32 v1, 0
	s_branch .LBB82_475
.LBB82_473:                             ;   in Loop: Header=BB82_475 Depth=1
	s_or_b32 exec_lo, exec_lo, s20
	s_delay_alu instid0(SALU_CYCLE_1)
	s_or_not1_b32 s20, s18, exec_lo
	s_or_not1_b32 s19, s19, exec_lo
.LBB82_474:                             ;   in Loop: Header=BB82_475 Depth=1
	s_or_b32 exec_lo, exec_lo, s0
	s_xor_b32 s0, s20, -1
	s_and_b32 s18, exec_lo, s19
	v_dual_mov_b32 v0, v3 :: v_dual_mov_b32 v10, v5
	s_or_b32 s10, s18, s10
	s_and_not1_b32 s11, s11, exec_lo
	s_and_b32 s0, s0, exec_lo
	s_delay_alu instid0(SALU_CYCLE_1)
	s_or_b32 s11, s11, s0
	s_and_not1_b32 exec_lo, exec_lo, s10
	s_cbranch_execz .LBB82_489
.LBB82_475:                             ; =>This Inner Loop Header: Depth=1
	v_dual_add_nc_u32 v3, s35, v0 :: v_dual_mov_b32 v5, 0
	s_mov_b32 s0, exec_lo
	s_delay_alu instid0(VALU_DEP_1)
	v_cmpx_gt_u32_e64 s36, v3
	s_cbranch_execz .LBB82_477
; %bb.476:                              ;   in Loop: Header=BB82_475 Depth=1
	global_load_b32 v5, v2, s[38:39] scale_offset
.LBB82_477:                             ;   in Loop: Header=BB82_475 Depth=1
	s_wait_xcnt 0x0
	s_or_b32 exec_lo, exec_lo, s0
	s_wait_loadcnt 0x0
	v_cmp_lt_i32_e32 vcc_lo, -1, v10
	v_cndmask_b32_e64 v8, -1, 0x80000000, vcc_lo
	v_cmp_o_f32_e32 vcc_lo, v10, v10
	s_delay_alu instid0(VALU_DEP_2) | instskip(NEXT) | instid1(VALU_DEP_1)
	v_xor_b32_e32 v8, v8, v10
	v_cndmask_b32_e32 v8, -1, v8, vcc_lo
	v_cmp_gt_u32_e32 vcc_lo, s36, v0
	s_delay_alu instid0(VALU_DEP_2) | instskip(SKIP_1) | instid1(SALU_CYCLE_1)
	v_cmp_eq_u32_e64 s0, v8, v4
	s_and_b32 s18, vcc_lo, s0
	v_cndmask_b32_e64 v8, 0, 1, s18
	s_delay_alu instid0(VALU_DEP_1) | instskip(SKIP_2) | instid1(SALU_CYCLE_1)
	v_cmp_ne_u32_e32 vcc_lo, 0, v8
	s_cmp_lg_u32 vcc_lo, 0
	s_cselect_b32 s0, -1, 0
	s_and_b32 s0, s2, s0
	s_delay_alu instid0(SALU_CYCLE_1)
	s_and_saveexec_b32 s19, s0
	s_cbranch_execz .LBB82_481
; %bb.478:                              ;   in Loop: Header=BB82_475 Depth=1
	s_mov_b32 s22, exec_lo
	s_bcnt1_i32_b32 s20, vcc_lo
	v_mbcnt_lo_u32_b32 v7, s22, 0
	s_mov_b32 s21, exec_lo
                                        ; implicit-def: $vgpr8
	s_delay_alu instid0(VALU_DEP_1)
	v_cmpx_eq_u32_e32 0, v7
; %bb.479:                              ;   in Loop: Header=BB82_475 Depth=1
	s_bcnt1_i32_b32 s0, s22
	s_delay_alu instid0(SALU_CYCLE_1) | instskip(NEXT) | instid1(SALU_CYCLE_1)
	s_mul_i32 s0, s20, s0
	v_mov_b32_e32 v8, s0
	ds_add_rtn_u32 v8, v1, v8 offset:4108
; %bb.480:                              ;   in Loop: Header=BB82_475 Depth=1
	s_or_b32 exec_lo, exec_lo, s21
	s_wait_dscnt 0x0
	v_readfirstlane_b32 s0, v8
	s_delay_alu instid0(VALU_DEP_1)
	v_mad_u32_u24 v7, s20, v7, s0
.LBB82_481:                             ;   in Loop: Header=BB82_475 Depth=1
	s_or_b32 exec_lo, exec_lo, s19
	ds_bpermute_b32 v7, v1, v7
	s_cmp_eq_u32 vcc_lo, 0
	s_mov_b32 s19, -1
	s_cselect_b32 s20, -1, 0
	s_wait_dscnt 0x0
	v_cmp_gt_u32_e64 s0, s37, v7
	s_or_b32 s21, s20, s0
	s_mov_b32 s20, -1
	s_and_saveexec_b32 s0, s21
	s_cbranch_execz .LBB82_474
; %bb.482:                              ;   in Loop: Header=BB82_475 Depth=1
	v_dual_sub_nc_u32 v9, s37, v7 :: v_dual_bitop2_b32 v8, vcc_lo, v6 bitop3:0x40
	s_mov_b32 s21, -1
	s_delay_alu instid0(VALU_DEP_1) | instskip(NEXT) | instid1(VALU_DEP_1)
	v_bcnt_u32_b32 v8, v8, 0
	v_bcnt_u32_b32 v8, 0, v8
	s_delay_alu instid0(VALU_DEP_1)
	v_cmp_gt_u32_e32 vcc_lo, v9, v8
	s_and_b32 s22, s18, vcc_lo
	s_mov_b32 s18, -1
	s_and_saveexec_b32 s20, s22
	s_cbranch_execz .LBB82_486
; %bb.483:                              ;   in Loop: Header=BB82_475 Depth=1
	v_add_nc_u32_e32 v8, v7, v8
	s_mov_b32 s21, 0
	s_mov_b32 s18, exec_lo
	s_delay_alu instid0(VALU_DEP_1)
	v_cmpx_gt_u32_e64 s37, v8
	s_cbranch_execz .LBB82_485
; %bb.484:                              ;   in Loop: Header=BB82_475 Depth=1
	s_wait_kmcnt 0x0
	v_mul_lo_u32 v9, v8, s5
	v_mul_lo_u32 v8, v8, s16
	s_mov_b32 s21, exec_lo
	global_store_b32 v9, v10, s[6:7] scale_offset
	global_store_b64 v8, v[0:1], s[8:9] scale_offset
.LBB82_485:                             ;   in Loop: Header=BB82_475 Depth=1
	s_wait_xcnt 0x0
	s_or_b32 exec_lo, exec_lo, s18
	s_delay_alu instid0(SALU_CYCLE_1)
	s_xor_b32 s18, exec_lo, -1
	s_or_not1_b32 s21, s21, exec_lo
.LBB82_486:                             ;   in Loop: Header=BB82_475 Depth=1
	s_or_b32 exec_lo, exec_lo, s20
	s_and_saveexec_b32 s20, s21
	s_cbranch_execz .LBB82_473
; %bb.487:                              ;   in Loop: Header=BB82_475 Depth=1
	v_cmp_le_u32_e32 vcc_lo, s17, v3
	v_add_nc_u32_e32 v2, s57, v2
	s_or_b32 s18, s18, exec_lo
	s_or_not1_b32 s19, vcc_lo, exec_lo
	s_branch .LBB82_473
.LBB82_488:
	s_or_b32 s8, s8, exec_lo
	s_trap 2
	s_branch .LBB82_450
.LBB82_489:
	s_or_b32 exec_lo, exec_lo, s10
	s_mov_b32 s0, 0
	s_and_saveexec_b32 s2, s11
	s_delay_alu instid0(SALU_CYCLE_1)
	s_xor_b32 s2, exec_lo, s2
	s_cbranch_execnz .LBB82_495
.LBB82_490:
	s_or_b32 exec_lo, exec_lo, s2
	s_delay_alu instid0(SALU_CYCLE_1)
	s_and_b32 s0, s0, exec_lo
.LBB82_491:
	s_or_b32 exec_lo, exec_lo, s3
	s_delay_alu instid0(SALU_CYCLE_1) | instskip(SKIP_3) | instid1(SALU_CYCLE_1)
	s_and_b32 s11, s0, exec_lo
	s_and_not1_b32 s1, s1, exec_lo
	s_or_b32 exec_lo, exec_lo, s4
	s_and_saveexec_b32 s0, s1
	s_xor_b32 s0, exec_lo, s0
	s_cbranch_execz .LBB82_444
.LBB82_492:
	s_or_b32 s11, s11, exec_lo
	s_trap 2
	s_branch .LBB82_444
.LBB82_493:
	s_or_b32 s8, s8, exec_lo
	s_trap 2
	s_branch .LBB82_448
.LBB82_494:
	s_or_b32 s8, s8, exec_lo
	s_trap 2
	s_branch .LBB82_446
.LBB82_495:
	s_mov_b32 s0, exec_lo
	s_trap 2
	s_branch .LBB82_490
	.section	.rodata,"a",@progbits
	.p2align	6, 0x0
	.amdhsa_kernel _ZN2at6native6sbtopk10gatherTopKIfjLi1ELb0EEEvNS_4cuda6detail10TensorInfoIKT_T0_EES8_S8_bS8_S8_NS5_IS6_S8_EES8_NS5_IlS8_EES8_PS6_
		.amdhsa_group_segment_fixed_size 4112
		.amdhsa_private_segment_fixed_size 0
		.amdhsa_kernarg_size 952
		.amdhsa_user_sgpr_count 2
		.amdhsa_user_sgpr_dispatch_ptr 0
		.amdhsa_user_sgpr_queue_ptr 0
		.amdhsa_user_sgpr_kernarg_segment_ptr 1
		.amdhsa_user_sgpr_dispatch_id 0
		.amdhsa_user_sgpr_kernarg_preload_length 0
		.amdhsa_user_sgpr_kernarg_preload_offset 0
		.amdhsa_user_sgpr_private_segment_size 0
		.amdhsa_wavefront_size32 1
		.amdhsa_uses_dynamic_stack 0
		.amdhsa_enable_private_segment 0
		.amdhsa_system_sgpr_workgroup_id_x 1
		.amdhsa_system_sgpr_workgroup_id_y 1
		.amdhsa_system_sgpr_workgroup_id_z 1
		.amdhsa_system_sgpr_workgroup_info 0
		.amdhsa_system_vgpr_workitem_id 0
		.amdhsa_next_free_vgpr 64
		.amdhsa_next_free_sgpr 101
		.amdhsa_named_barrier_count 0
		.amdhsa_reserve_vcc 1
		.amdhsa_float_round_mode_32 0
		.amdhsa_float_round_mode_16_64 0
		.amdhsa_float_denorm_mode_32 3
		.amdhsa_float_denorm_mode_16_64 3
		.amdhsa_fp16_overflow 0
		.amdhsa_memory_ordered 1
		.amdhsa_forward_progress 1
		.amdhsa_inst_pref_size 130
		.amdhsa_round_robin_scheduling 0
		.amdhsa_exception_fp_ieee_invalid_op 0
		.amdhsa_exception_fp_denorm_src 0
		.amdhsa_exception_fp_ieee_div_zero 0
		.amdhsa_exception_fp_ieee_overflow 0
		.amdhsa_exception_fp_ieee_underflow 0
		.amdhsa_exception_fp_ieee_inexact 0
		.amdhsa_exception_int_div_zero 0
	.end_amdhsa_kernel
	.section	.text._ZN2at6native6sbtopk10gatherTopKIfjLi1ELb0EEEvNS_4cuda6detail10TensorInfoIKT_T0_EES8_S8_bS8_S8_NS5_IS6_S8_EES8_NS5_IlS8_EES8_PS6_,"axG",@progbits,_ZN2at6native6sbtopk10gatherTopKIfjLi1ELb0EEEvNS_4cuda6detail10TensorInfoIKT_T0_EES8_S8_bS8_S8_NS5_IS6_S8_EES8_NS5_IlS8_EES8_PS6_,comdat
.Lfunc_end82:
	.size	_ZN2at6native6sbtopk10gatherTopKIfjLi1ELb0EEEvNS_4cuda6detail10TensorInfoIKT_T0_EES8_S8_bS8_S8_NS5_IS6_S8_EES8_NS5_IlS8_EES8_PS6_, .Lfunc_end82-_ZN2at6native6sbtopk10gatherTopKIfjLi1ELb0EEEvNS_4cuda6detail10TensorInfoIKT_T0_EES8_S8_bS8_S8_NS5_IS6_S8_EES8_NS5_IlS8_EES8_PS6_
                                        ; -- End function
	.set _ZN2at6native6sbtopk10gatherTopKIfjLi1ELb0EEEvNS_4cuda6detail10TensorInfoIKT_T0_EES8_S8_bS8_S8_NS5_IS6_S8_EES8_NS5_IlS8_EES8_PS6_.num_vgpr, 64
	.set _ZN2at6native6sbtopk10gatherTopKIfjLi1ELb0EEEvNS_4cuda6detail10TensorInfoIKT_T0_EES8_S8_bS8_S8_NS5_IS6_S8_EES8_NS5_IlS8_EES8_PS6_.num_agpr, 0
	.set _ZN2at6native6sbtopk10gatherTopKIfjLi1ELb0EEEvNS_4cuda6detail10TensorInfoIKT_T0_EES8_S8_bS8_S8_NS5_IS6_S8_EES8_NS5_IlS8_EES8_PS6_.numbered_sgpr, 101
	.set _ZN2at6native6sbtopk10gatherTopKIfjLi1ELb0EEEvNS_4cuda6detail10TensorInfoIKT_T0_EES8_S8_bS8_S8_NS5_IS6_S8_EES8_NS5_IlS8_EES8_PS6_.num_named_barrier, 0
	.set _ZN2at6native6sbtopk10gatherTopKIfjLi1ELb0EEEvNS_4cuda6detail10TensorInfoIKT_T0_EES8_S8_bS8_S8_NS5_IS6_S8_EES8_NS5_IlS8_EES8_PS6_.private_seg_size, 0
	.set _ZN2at6native6sbtopk10gatherTopKIfjLi1ELb0EEEvNS_4cuda6detail10TensorInfoIKT_T0_EES8_S8_bS8_S8_NS5_IS6_S8_EES8_NS5_IlS8_EES8_PS6_.uses_vcc, 1
	.set _ZN2at6native6sbtopk10gatherTopKIfjLi1ELb0EEEvNS_4cuda6detail10TensorInfoIKT_T0_EES8_S8_bS8_S8_NS5_IS6_S8_EES8_NS5_IlS8_EES8_PS6_.uses_flat_scratch, 0
	.set _ZN2at6native6sbtopk10gatherTopKIfjLi1ELb0EEEvNS_4cuda6detail10TensorInfoIKT_T0_EES8_S8_bS8_S8_NS5_IS6_S8_EES8_NS5_IlS8_EES8_PS6_.has_dyn_sized_stack, 0
	.set _ZN2at6native6sbtopk10gatherTopKIfjLi1ELb0EEEvNS_4cuda6detail10TensorInfoIKT_T0_EES8_S8_bS8_S8_NS5_IS6_S8_EES8_NS5_IlS8_EES8_PS6_.has_recursion, 0
	.set _ZN2at6native6sbtopk10gatherTopKIfjLi1ELb0EEEvNS_4cuda6detail10TensorInfoIKT_T0_EES8_S8_bS8_S8_NS5_IS6_S8_EES8_NS5_IlS8_EES8_PS6_.has_indirect_call, 0
	.section	.AMDGPU.csdata,"",@progbits
; Kernel info:
; codeLenInByte = 16584
; TotalNumSgprs: 103
; NumVgprs: 64
; ScratchSize: 0
; MemoryBound: 0
; FloatMode: 240
; IeeeMode: 1
; LDSByteSize: 4112 bytes/workgroup (compile time only)
; SGPRBlocks: 0
; VGPRBlocks: 3
; NumSGPRsForWavesPerEU: 103
; NumVGPRsForWavesPerEU: 64
; NamedBarCnt: 0
; Occupancy: 16
; WaveLimiterHint : 1
; COMPUTE_PGM_RSRC2:SCRATCH_EN: 0
; COMPUTE_PGM_RSRC2:USER_SGPR: 2
; COMPUTE_PGM_RSRC2:TRAP_HANDLER: 0
; COMPUTE_PGM_RSRC2:TGID_X_EN: 1
; COMPUTE_PGM_RSRC2:TGID_Y_EN: 1
; COMPUTE_PGM_RSRC2:TGID_Z_EN: 1
; COMPUTE_PGM_RSRC2:TIDIG_COMP_CNT: 0
	.section	.text._ZN2at6native6mbtopk23computeBlockDigitCountsIfjjLi2EEEvNS_4cuda6detail10TensorInfoIKT_T0_EEjPjjS8_iijT1_PSB_Ps,"axG",@progbits,_ZN2at6native6mbtopk23computeBlockDigitCountsIfjjLi2EEEvNS_4cuda6detail10TensorInfoIKT_T0_EEjPjjS8_iijT1_PSB_Ps,comdat
	.protected	_ZN2at6native6mbtopk23computeBlockDigitCountsIfjjLi2EEEvNS_4cuda6detail10TensorInfoIKT_T0_EEjPjjS8_iijT1_PSB_Ps ; -- Begin function _ZN2at6native6mbtopk23computeBlockDigitCountsIfjjLi2EEEvNS_4cuda6detail10TensorInfoIKT_T0_EEjPjjS8_iijT1_PSB_Ps
	.globl	_ZN2at6native6mbtopk23computeBlockDigitCountsIfjjLi2EEEvNS_4cuda6detail10TensorInfoIKT_T0_EEjPjjS8_iijT1_PSB_Ps
	.p2align	8
	.type	_ZN2at6native6mbtopk23computeBlockDigitCountsIfjjLi2EEEvNS_4cuda6detail10TensorInfoIKT_T0_EEjPjjS8_iijT1_PSB_Ps,@function
_ZN2at6native6mbtopk23computeBlockDigitCountsIfjjLi2EEEvNS_4cuda6detail10TensorInfoIKT_T0_EEjPjjS8_iijT1_PSB_Ps: ; @_ZN2at6native6mbtopk23computeBlockDigitCountsIfjjLi2EEEvNS_4cuda6detail10TensorInfoIKT_T0_EEjPjjS8_iijT1_PSB_Ps
; %bb.0:
	s_load_b64 s[2:3], s[0:1], 0xf8
	s_bfe_u32 s4, ttmp6, 0x40010
	s_and_b32 s6, ttmp7, 0xffff
	s_add_co_i32 s7, s4, 1
	s_bfe_u32 s8, ttmp6, 0x40004
	s_mul_i32 s7, s6, s7
	s_load_b64 s[4:5], s[0:1], 0x110
	s_add_co_i32 s7, s8, s7
	s_bfe_u32 s9, ttmp6, 0x4000c
	s_bfe_u32 s11, ttmp6, 0x40014
	s_add_co_i32 s9, s9, 1
	s_and_b32 s10, ttmp6, 15
	s_mul_i32 s9, ttmp9, s9
	s_add_co_i32 s11, s11, 1
	s_add_co_i32 s12, s10, s9
	s_bfe_u32 s10, ttmp6, 0x40008
	s_mov_b32 s15, 0
	s_wait_kmcnt 0x0
	s_cvt_f32_u32 s8, s2
	s_delay_alu instid0(SALU_CYCLE_3) | instskip(SKIP_1) | instid1(SALU_CYCLE_1)
	v_rcp_iflag_f32_e32 v1, s8
	s_lshr_b32 s8, ttmp7, 16
	s_mul_i32 s9, s8, s11
	s_getreg_b32 s11, hwreg(HW_REG_IB_STS2, 6, 4)
	s_add_co_i32 s10, s10, s9
	s_cmp_eq_u32 s11, 0
	v_nop
	v_readfirstlane_b32 s13, v1
	s_cselect_b32 s14, s8, s10
	s_load_b128 s[8:11], s[0:1], 0xe8
	s_mul_i32 s5, s5, s14
	s_cselect_b32 s12, ttmp9, s12
	s_mul_f32 s13, s13, 0x4f7ffffe
	s_cselect_b32 s6, s6, s7
	s_sub_co_i32 s7, 0, s2
	s_add_co_i32 s5, s5, s6
	s_cvt_u32_f32 s13, s13
	s_mul_i32 s16, s5, s4
	s_delay_alu instid0(SALU_CYCLE_1) | instskip(NEXT) | instid1(SALU_CYCLE_1)
	s_add_co_i32 s16, s16, s12
	s_mul_i32 s7, s7, s13
	s_delay_alu instid0(SALU_CYCLE_1) | instskip(NEXT) | instid1(SALU_CYCLE_1)
	s_mul_hi_u32 s4, s13, s7
	s_add_co_i32 s13, s13, s4
	s_delay_alu instid0(SALU_CYCLE_1) | instskip(NEXT) | instid1(SALU_CYCLE_1)
	s_mul_hi_u32 s4, s16, s13
	s_mul_i32 s5, s4, s2
	s_add_co_i32 s6, s4, 1
	s_sub_co_i32 s5, s16, s5
	s_delay_alu instid0(SALU_CYCLE_1)
	s_sub_co_i32 s7, s5, s2
	s_cmp_ge_u32 s5, s2
	s_cselect_b32 s4, s6, s4
	s_cselect_b32 s5, s7, s5
	s_add_co_i32 s6, s4, 1
	s_cmp_ge_u32 s5, s2
	s_cselect_b32 s14, s6, s4
	s_wait_kmcnt 0x0
	s_cmp_ge_u32 s14, s8
	s_cbranch_scc1 .LBB83_27
; %bb.1:
	s_load_b32 s18, s[0:1], 0xc
	v_cmp_gt_u32_e32 vcc_lo, 0x100, v0
	s_wait_kmcnt 0x0
	s_cvt_f32_u32 s4, s18
	s_delay_alu instid0(SALU_CYCLE_3) | instskip(SKIP_1) | instid1(TRANS32_DEP_1)
	v_rcp_iflag_f32_e32 v1, s4
	v_nop
	v_readfirstlane_b32 s19, v1
	v_lshlrev_b32_e32 v1, 2, v0
	s_and_saveexec_b32 s4, vcc_lo
; %bb.2:
	v_mov_b32_e32 v2, 0
	ds_store_b32 v1, v2
; %bb.3:
	s_or_b32 exec_lo, exec_lo, s4
	s_clause 0x1
	s_load_b32 s8, s[0:1], 0xd8
	s_load_b128 s[4:7], s[0:1], 0x100
	s_mul_i32 s12, s14, s2
	s_mov_b32 s13, 0
	s_sub_co_i32 s22, s16, s12
	s_wait_dscnt 0x0
	s_mul_i32 s12, s11, s22
	s_add_co_i32 s22, s22, 1
	s_lshl_b32 s17, s12, 8
	s_barrier_signal -1
	s_barrier_wait -1
	s_wait_kmcnt 0x0
	s_sub_co_i32 s12, s8, s17
	s_delay_alu instid0(SALU_CYCLE_1) | instskip(NEXT) | instid1(SALU_CYCLE_1)
	s_add_nc_u64 s[20:21], s[12:13], 0xff
	s_lshr_b64 s[20:21], s[20:21], 8
	s_cmp_lt_u32 s22, s2
	s_cselect_b32 s11, s11, s20
	s_delay_alu instid0(SALU_CYCLE_1)
	s_cmp_lt_i32 s11, 1
	s_cbranch_scc1 .LBB83_25
; %bb.4:
	s_mul_f32 s2, s19, 0x4f7ffffe
	s_sub_co_i32 s12, 0, s18
	s_mov_b32 s21, s15
	s_clause 0x1
	s_load_b64 s[22:23], s[0:1], 0x6c
	s_load_b64 s[24:25], s[0:1], 0x0
	s_cvt_u32_f32 s2, s2
	s_wait_xcnt 0x0
	s_load_b32 s1, s[4:5], s14 offset:0x0 scale_offset
	s_delay_alu instid0(SALU_CYCLE_1) | instskip(NEXT) | instid1(SALU_CYCLE_1)
	s_mul_i32 s12, s12, s2
	s_mul_hi_u32 s12, s2, s12
	s_delay_alu instid0(SALU_CYCLE_1) | instskip(NEXT) | instid1(SALU_CYCLE_1)
	s_add_co_i32 s20, s2, s12
	s_mul_u64 s[20:21], s[14:15], s[20:21]
	s_delay_alu instid0(SALU_CYCLE_1) | instskip(NEXT) | instid1(SALU_CYCLE_1)
	s_mul_i32 s2, s21, s18
	s_sub_co_i32 s0, s14, s2
	s_add_co_i32 s2, s21, 1
	s_sub_co_i32 s12, s0, s18
	s_cmp_ge_u32 s0, s18
	s_cselect_b32 s2, s2, s21
	s_cselect_b32 s0, s12, s0
	s_wait_xcnt 0x0
	s_add_co_i32 s4, s2, 1
	s_cmp_ge_u32 s0, s18
	s_cselect_b32 s0, s4, s2
	s_delay_alu instid0(SALU_CYCLE_1) | instskip(SKIP_3) | instid1(SALU_CYCLE_1)
	s_mul_i32 s2, s0, s18
	s_wait_kmcnt 0x0
	s_mul_i32 s0, s0, s22
	s_sub_co_i32 s2, s14, s2
	s_mul_i32 s2, s2, s23
	s_delay_alu instid0(SALU_CYCLE_1)
	s_add_co_i32 s12, s0, s2
	s_and_b32 s2, s10, 0xff
	s_lshl_b64 s[4:5], s[12:13], 2
	s_cmp_lt_u32 s11, 4
	s_add_nc_u64 s[4:5], s[24:25], s[4:5]
	s_cbranch_scc1 .LBB83_19
; %bb.5:
	v_dual_mov_b32 v7, 1 :: v_dual_add_nc_u32 v6, s17, v0
	s_and_b32 s13, s11, 0x7ffffffc
	s_lshl_b32 s10, s9, 10
	s_mov_b32 s12, 0
	s_delay_alu instid0(VALU_DEP_1)
	v_add_nc_u32_e32 v2, 0x300, v6
	v_add_nc_u32_e32 v4, 0x200, v6
	;; [unrolled: 1-line block ×3, first 2 shown]
	v_mul_lo_u32 v6, s9, v6
	s_mov_b32 s14, 0
	v_mul_lo_u32 v3, s9, v2
	v_mul_lo_u32 v4, s9, v4
	;; [unrolled: 1-line block ×3, first 2 shown]
	s_branch .LBB83_7
.LBB83_6:                               ;   in Loop: Header=BB83_7 Depth=1
	s_or_b32 exec_lo, exec_lo, s15
	v_add_nc_u32_e32 v2, 0x400, v2
	s_add_co_i32 s14, s14, 4
	s_add_co_i32 s12, s12, s10
	s_cmp_eq_u32 s13, s14
	s_cbranch_scc1 .LBB83_19
.LBB83_7:                               ; =>This Inner Loop Header: Depth=1
	v_add_nc_u32_e32 v8, 0xfffffd00, v2
	s_mov_b32 s15, exec_lo
	s_delay_alu instid0(VALU_DEP_1)
	v_cmpx_gt_u32_e64 s8, v8
	s_cbranch_execz .LBB83_10
; %bb.8:                                ;   in Loop: Header=BB83_7 Depth=1
	v_add_nc_u32_e32 v8, s12, v6
	global_load_b32 v8, v8, s[4:5] scale_offset
	s_wait_loadcnt 0x0
	v_cmp_lt_i32_e64 s0, -1, v8
	s_delay_alu instid0(VALU_DEP_1) | instskip(SKIP_1) | instid1(VALU_DEP_2)
	v_cndmask_b32_e64 v9, -1, 0x80000000, s0
	v_cmp_o_f32_e64 s0, v8, v8
	v_xor_b32_e32 v9, v9, v8
	s_wait_xcnt 0x0
	s_delay_alu instid0(VALU_DEP_1) | instskip(NEXT) | instid1(VALU_DEP_1)
	v_cndmask_b32_e64 v8, -1, v9, s0
	v_bitop3_b32 v9, v8, s3, s1 bitop3:0x48
	s_delay_alu instid0(VALU_DEP_1)
	v_cmp_eq_u32_e64 s0, 0, v9
	s_and_b32 exec_lo, exec_lo, s0
; %bb.9:                                ;   in Loop: Header=BB83_7 Depth=1
	v_bfe_u32 v8, v8, s2, 8
	s_delay_alu instid0(VALU_DEP_1)
	v_lshlrev_b32_e32 v8, 2, v8
	ds_add_u32 v8, v7
.LBB83_10:                              ;   in Loop: Header=BB83_7 Depth=1
	s_or_b32 exec_lo, exec_lo, s15
	v_add_nc_u32_e32 v8, 0xfffffe00, v2
	s_mov_b32 s15, exec_lo
	s_delay_alu instid0(VALU_DEP_1)
	v_cmpx_gt_u32_e64 s8, v8
	s_cbranch_execz .LBB83_13
; %bb.11:                               ;   in Loop: Header=BB83_7 Depth=1
	v_add_nc_u32_e32 v8, s12, v5
	global_load_b32 v8, v8, s[4:5] scale_offset
	s_wait_loadcnt 0x0
	v_cmp_lt_i32_e64 s0, -1, v8
	s_delay_alu instid0(VALU_DEP_1) | instskip(SKIP_1) | instid1(VALU_DEP_2)
	v_cndmask_b32_e64 v9, -1, 0x80000000, s0
	v_cmp_o_f32_e64 s0, v8, v8
	v_xor_b32_e32 v9, v9, v8
	s_delay_alu instid0(VALU_DEP_1) | instskip(NEXT) | instid1(VALU_DEP_1)
	v_cndmask_b32_e64 v8, -1, v9, s0
	v_bitop3_b32 v9, v8, s3, s1 bitop3:0x48
	s_delay_alu instid0(VALU_DEP_1)
	v_cmp_eq_u32_e64 s0, 0, v9
	s_and_b32 exec_lo, exec_lo, s0
; %bb.12:                               ;   in Loop: Header=BB83_7 Depth=1
	v_bfe_u32 v8, v8, s2, 8
	s_delay_alu instid0(VALU_DEP_1)
	v_lshlrev_b32_e32 v8, 2, v8
	ds_add_u32 v8, v7
.LBB83_13:                              ;   in Loop: Header=BB83_7 Depth=1
	s_or_b32 exec_lo, exec_lo, s15
	v_add_nc_u32_e32 v8, 0xffffff00, v2
	s_mov_b32 s15, exec_lo
	s_delay_alu instid0(VALU_DEP_1)
	v_cmpx_gt_u32_e64 s8, v8
	s_cbranch_execz .LBB83_16
; %bb.14:                               ;   in Loop: Header=BB83_7 Depth=1
	v_add_nc_u32_e32 v8, s12, v4
	global_load_b32 v8, v8, s[4:5] scale_offset
	s_wait_loadcnt 0x0
	v_cmp_lt_i32_e64 s0, -1, v8
	s_delay_alu instid0(VALU_DEP_1) | instskip(SKIP_1) | instid1(VALU_DEP_2)
	v_cndmask_b32_e64 v9, -1, 0x80000000, s0
	v_cmp_o_f32_e64 s0, v8, v8
	v_xor_b32_e32 v9, v9, v8
	s_delay_alu instid0(VALU_DEP_1) | instskip(NEXT) | instid1(VALU_DEP_1)
	v_cndmask_b32_e64 v8, -1, v9, s0
	v_bitop3_b32 v9, v8, s3, s1 bitop3:0x48
	s_delay_alu instid0(VALU_DEP_1)
	v_cmp_eq_u32_e64 s0, 0, v9
	s_and_b32 exec_lo, exec_lo, s0
; %bb.15:                               ;   in Loop: Header=BB83_7 Depth=1
	v_bfe_u32 v8, v8, s2, 8
	s_delay_alu instid0(VALU_DEP_1)
	v_lshlrev_b32_e32 v8, 2, v8
	ds_add_u32 v8, v7
.LBB83_16:                              ;   in Loop: Header=BB83_7 Depth=1
	s_or_b32 exec_lo, exec_lo, s15
	s_delay_alu instid0(SALU_CYCLE_1)
	s_mov_b32 s15, exec_lo
	v_cmpx_gt_u32_e64 s8, v2
	s_cbranch_execz .LBB83_6
; %bb.17:                               ;   in Loop: Header=BB83_7 Depth=1
	v_add_nc_u32_e32 v8, s12, v3
	global_load_b32 v8, v8, s[4:5] scale_offset
	s_wait_loadcnt 0x0
	v_cmp_lt_i32_e64 s0, -1, v8
	s_delay_alu instid0(VALU_DEP_1) | instskip(SKIP_1) | instid1(VALU_DEP_2)
	v_cndmask_b32_e64 v9, -1, 0x80000000, s0
	v_cmp_o_f32_e64 s0, v8, v8
	v_xor_b32_e32 v9, v9, v8
	s_delay_alu instid0(VALU_DEP_1) | instskip(NEXT) | instid1(VALU_DEP_1)
	v_cndmask_b32_e64 v8, -1, v9, s0
	v_bitop3_b32 v9, v8, s3, s1 bitop3:0x48
	s_delay_alu instid0(VALU_DEP_1)
	v_cmp_eq_u32_e64 s0, 0, v9
	s_and_b32 exec_lo, exec_lo, s0
	s_cbranch_execz .LBB83_6
; %bb.18:                               ;   in Loop: Header=BB83_7 Depth=1
	v_bfe_u32 v8, v8, s2, 8
	s_delay_alu instid0(VALU_DEP_1)
	v_lshlrev_b32_e32 v8, 2, v8
	ds_add_u32 v8, v7
	s_branch .LBB83_6
.LBB83_19:
	s_and_b32 s10, s11, 3
	s_delay_alu instid0(SALU_CYCLE_1)
	s_cmp_eq_u32 s10, 0
	s_cbranch_scc1 .LBB83_25
; %bb.20:
	s_lshl_b32 s0, s13, 8
	v_mov_b32_e32 v4, 1
	v_add3_u32 v2, s0, s17, v0
	s_delay_alu instid0(VALU_DEP_1)
	v_mul_lo_u32 v3, s9, v2
	s_lshl_b32 s9, s9, 8
	s_branch .LBB83_22
.LBB83_21:                              ;   in Loop: Header=BB83_22 Depth=1
	s_or_b32 exec_lo, exec_lo, s11
	s_delay_alu instid0(VALU_DEP_2) | instskip(SKIP_2) | instid1(SALU_CYCLE_1)
	v_add_nc_u32_e32 v3, s9, v3
	v_add_nc_u32_e32 v2, 0x100, v2
	s_add_co_i32 s10, s10, -1
	s_cmp_lg_u32 s10, 0
	s_cbranch_scc0 .LBB83_25
.LBB83_22:                              ; =>This Inner Loop Header: Depth=1
	s_mov_b32 s11, exec_lo
	v_cmpx_gt_u32_e64 s8, v2
	s_cbranch_execz .LBB83_21
; %bb.23:                               ;   in Loop: Header=BB83_22 Depth=1
	global_load_b32 v5, v3, s[4:5] scale_offset
	s_wait_loadcnt 0x0
	v_cmp_lt_i32_e64 s0, -1, v5
	s_delay_alu instid0(VALU_DEP_1) | instskip(SKIP_1) | instid1(VALU_DEP_2)
	v_cndmask_b32_e64 v6, -1, 0x80000000, s0
	v_cmp_o_f32_e64 s0, v5, v5
	v_xor_b32_e32 v6, v6, v5
	s_delay_alu instid0(VALU_DEP_1) | instskip(NEXT) | instid1(VALU_DEP_1)
	v_cndmask_b32_e64 v5, -1, v6, s0
	v_bitop3_b32 v6, v5, s3, s1 bitop3:0x48
	s_delay_alu instid0(VALU_DEP_1)
	v_cmp_eq_u32_e64 s0, 0, v6
	s_and_b32 exec_lo, exec_lo, s0
	s_cbranch_execz .LBB83_21
; %bb.24:                               ;   in Loop: Header=BB83_22 Depth=1
	v_bfe_u32 v5, v5, s2, 8
	s_delay_alu instid0(VALU_DEP_1)
	v_lshlrev_b32_e32 v5, 2, v5
	ds_add_u32 v5, v4
	s_branch .LBB83_21
.LBB83_25:
	s_wait_dscnt 0x0
	s_barrier_signal -1
	s_barrier_wait -1
	s_and_saveexec_b32 s0, vcc_lo
	s_cbranch_execz .LBB83_27
; %bb.26:
	ds_load_b32 v1, v1
	v_lshl_or_b32 v0, s16, 8, v0
	s_wait_dscnt 0x0
	global_store_b16 v0, v1, s[6:7] scale_offset
.LBB83_27:
	s_endpgm
	.section	.rodata,"a",@progbits
	.p2align	6, 0x0
	.amdhsa_kernel _ZN2at6native6mbtopk23computeBlockDigitCountsIfjjLi2EEEvNS_4cuda6detail10TensorInfoIKT_T0_EEjPjjS8_iijT1_PSB_Ps
		.amdhsa_group_segment_fixed_size 1024
		.amdhsa_private_segment_fixed_size 0
		.amdhsa_kernarg_size 528
		.amdhsa_user_sgpr_count 2
		.amdhsa_user_sgpr_dispatch_ptr 0
		.amdhsa_user_sgpr_queue_ptr 0
		.amdhsa_user_sgpr_kernarg_segment_ptr 1
		.amdhsa_user_sgpr_dispatch_id 0
		.amdhsa_user_sgpr_kernarg_preload_length 0
		.amdhsa_user_sgpr_kernarg_preload_offset 0
		.amdhsa_user_sgpr_private_segment_size 0
		.amdhsa_wavefront_size32 1
		.amdhsa_uses_dynamic_stack 0
		.amdhsa_enable_private_segment 0
		.amdhsa_system_sgpr_workgroup_id_x 1
		.amdhsa_system_sgpr_workgroup_id_y 1
		.amdhsa_system_sgpr_workgroup_id_z 1
		.amdhsa_system_sgpr_workgroup_info 0
		.amdhsa_system_vgpr_workitem_id 0
		.amdhsa_next_free_vgpr 10
		.amdhsa_next_free_sgpr 26
		.amdhsa_named_barrier_count 0
		.amdhsa_reserve_vcc 1
		.amdhsa_float_round_mode_32 0
		.amdhsa_float_round_mode_16_64 0
		.amdhsa_float_denorm_mode_32 3
		.amdhsa_float_denorm_mode_16_64 3
		.amdhsa_fp16_overflow 0
		.amdhsa_memory_ordered 1
		.amdhsa_forward_progress 1
		.amdhsa_inst_pref_size 13
		.amdhsa_round_robin_scheduling 0
		.amdhsa_exception_fp_ieee_invalid_op 0
		.amdhsa_exception_fp_denorm_src 0
		.amdhsa_exception_fp_ieee_div_zero 0
		.amdhsa_exception_fp_ieee_overflow 0
		.amdhsa_exception_fp_ieee_underflow 0
		.amdhsa_exception_fp_ieee_inexact 0
		.amdhsa_exception_int_div_zero 0
	.end_amdhsa_kernel
	.section	.text._ZN2at6native6mbtopk23computeBlockDigitCountsIfjjLi2EEEvNS_4cuda6detail10TensorInfoIKT_T0_EEjPjjS8_iijT1_PSB_Ps,"axG",@progbits,_ZN2at6native6mbtopk23computeBlockDigitCountsIfjjLi2EEEvNS_4cuda6detail10TensorInfoIKT_T0_EEjPjjS8_iijT1_PSB_Ps,comdat
.Lfunc_end83:
	.size	_ZN2at6native6mbtopk23computeBlockDigitCountsIfjjLi2EEEvNS_4cuda6detail10TensorInfoIKT_T0_EEjPjjS8_iijT1_PSB_Ps, .Lfunc_end83-_ZN2at6native6mbtopk23computeBlockDigitCountsIfjjLi2EEEvNS_4cuda6detail10TensorInfoIKT_T0_EEjPjjS8_iijT1_PSB_Ps
                                        ; -- End function
	.set _ZN2at6native6mbtopk23computeBlockDigitCountsIfjjLi2EEEvNS_4cuda6detail10TensorInfoIKT_T0_EEjPjjS8_iijT1_PSB_Ps.num_vgpr, 10
	.set _ZN2at6native6mbtopk23computeBlockDigitCountsIfjjLi2EEEvNS_4cuda6detail10TensorInfoIKT_T0_EEjPjjS8_iijT1_PSB_Ps.num_agpr, 0
	.set _ZN2at6native6mbtopk23computeBlockDigitCountsIfjjLi2EEEvNS_4cuda6detail10TensorInfoIKT_T0_EEjPjjS8_iijT1_PSB_Ps.numbered_sgpr, 26
	.set _ZN2at6native6mbtopk23computeBlockDigitCountsIfjjLi2EEEvNS_4cuda6detail10TensorInfoIKT_T0_EEjPjjS8_iijT1_PSB_Ps.num_named_barrier, 0
	.set _ZN2at6native6mbtopk23computeBlockDigitCountsIfjjLi2EEEvNS_4cuda6detail10TensorInfoIKT_T0_EEjPjjS8_iijT1_PSB_Ps.private_seg_size, 0
	.set _ZN2at6native6mbtopk23computeBlockDigitCountsIfjjLi2EEEvNS_4cuda6detail10TensorInfoIKT_T0_EEjPjjS8_iijT1_PSB_Ps.uses_vcc, 1
	.set _ZN2at6native6mbtopk23computeBlockDigitCountsIfjjLi2EEEvNS_4cuda6detail10TensorInfoIKT_T0_EEjPjjS8_iijT1_PSB_Ps.uses_flat_scratch, 0
	.set _ZN2at6native6mbtopk23computeBlockDigitCountsIfjjLi2EEEvNS_4cuda6detail10TensorInfoIKT_T0_EEjPjjS8_iijT1_PSB_Ps.has_dyn_sized_stack, 0
	.set _ZN2at6native6mbtopk23computeBlockDigitCountsIfjjLi2EEEvNS_4cuda6detail10TensorInfoIKT_T0_EEjPjjS8_iijT1_PSB_Ps.has_recursion, 0
	.set _ZN2at6native6mbtopk23computeBlockDigitCountsIfjjLi2EEEvNS_4cuda6detail10TensorInfoIKT_T0_EEjPjjS8_iijT1_PSB_Ps.has_indirect_call, 0
	.section	.AMDGPU.csdata,"",@progbits
; Kernel info:
; codeLenInByte = 1612
; TotalNumSgprs: 28
; NumVgprs: 10
; ScratchSize: 0
; MemoryBound: 0
; FloatMode: 240
; IeeeMode: 1
; LDSByteSize: 1024 bytes/workgroup (compile time only)
; SGPRBlocks: 0
; VGPRBlocks: 0
; NumSGPRsForWavesPerEU: 28
; NumVGPRsForWavesPerEU: 10
; NamedBarCnt: 0
; Occupancy: 16
; WaveLimiterHint : 1
; COMPUTE_PGM_RSRC2:SCRATCH_EN: 0
; COMPUTE_PGM_RSRC2:USER_SGPR: 2
; COMPUTE_PGM_RSRC2:TRAP_HANDLER: 0
; COMPUTE_PGM_RSRC2:TGID_X_EN: 1
; COMPUTE_PGM_RSRC2:TGID_Y_EN: 1
; COMPUTE_PGM_RSRC2:TGID_Z_EN: 1
; COMPUTE_PGM_RSRC2:TIDIG_COMP_CNT: 0
	.section	.text._ZN2at6native6mbtopk10gatherTopKIfjLi2EEEvNS_4cuda6detail10TensorInfoIKT_T0_EES8_S8_bjS8_NS5_IS6_S8_EES8_NS5_IlS8_EES8_jjPS6_PjSD_j,"axG",@progbits,_ZN2at6native6mbtopk10gatherTopKIfjLi2EEEvNS_4cuda6detail10TensorInfoIKT_T0_EES8_S8_bjS8_NS5_IS6_S8_EES8_NS5_IlS8_EES8_jjPS6_PjSD_j,comdat
	.protected	_ZN2at6native6mbtopk10gatherTopKIfjLi2EEEvNS_4cuda6detail10TensorInfoIKT_T0_EES8_S8_bjS8_NS5_IS6_S8_EES8_NS5_IlS8_EES8_jjPS6_PjSD_j ; -- Begin function _ZN2at6native6mbtopk10gatherTopKIfjLi2EEEvNS_4cuda6detail10TensorInfoIKT_T0_EES8_S8_bjS8_NS5_IS6_S8_EES8_NS5_IlS8_EES8_jjPS6_PjSD_j
	.globl	_ZN2at6native6mbtopk10gatherTopKIfjLi2EEEvNS_4cuda6detail10TensorInfoIKT_T0_EES8_S8_bjS8_NS5_IS6_S8_EES8_NS5_IlS8_EES8_jjPS6_PjSD_j
	.p2align	8
	.type	_ZN2at6native6mbtopk10gatherTopKIfjLi2EEEvNS_4cuda6detail10TensorInfoIKT_T0_EES8_S8_bjS8_NS5_IS6_S8_EES8_NS5_IlS8_EES8_jjPS6_PjSD_j,@function
_ZN2at6native6mbtopk10gatherTopKIfjLi2EEEvNS_4cuda6detail10TensorInfoIKT_T0_EES8_S8_bjS8_NS5_IS6_S8_EES8_NS5_IlS8_EES8_jjPS6_PjSD_j: ; @_ZN2at6native6mbtopk10gatherTopKIfjLi2EEEvNS_4cuda6detail10TensorInfoIKT_T0_EES8_S8_bjS8_NS5_IS6_S8_EES8_NS5_IlS8_EES8_jjPS6_PjSD_j
; %bb.0:
	s_bfe_u32 s2, ttmp6, 0x40010
	s_and_b32 s4, ttmp7, 0xffff
	s_add_co_i32 s5, s2, 1
	s_clause 0x1
	s_load_b32 s6, s[0:1], 0x2d0
	s_load_b64 s[2:3], s[0:1], 0x2d8
	s_bfe_u32 s8, ttmp6, 0x4000c
	s_mul_i32 s5, s4, s5
	s_bfe_u32 s7, ttmp6, 0x40004
	s_add_co_i32 s8, s8, 1
	s_bfe_u32 s9, ttmp6, 0x40014
	s_add_co_i32 s7, s7, s5
	s_and_b32 s5, ttmp6, 15
	s_mul_i32 s8, ttmp9, s8
	s_lshr_b32 s10, ttmp7, 16
	s_add_co_i32 s9, s9, 1
	s_add_co_i32 s5, s5, s8
	s_mul_i32 s8, s10, s9
	s_bfe_u32 s9, ttmp6, 0x40008
	s_getreg_b32 s11, hwreg(HW_REG_IB_STS2, 6, 4)
	s_add_co_i32 s9, s9, s8
	s_cmp_eq_u32 s11, 0
	s_mov_b32 s17, 0
	s_cselect_b32 s8, s10, s9
	s_cselect_b32 s4, s4, s7
	s_wait_kmcnt 0x0
	s_mul_i32 s3, s3, s8
	s_cselect_b32 s5, ttmp9, s5
	s_add_co_i32 s3, s3, s4
	s_delay_alu instid0(SALU_CYCLE_1) | instskip(NEXT) | instid1(SALU_CYCLE_1)
	s_mul_i32 s2, s3, s2
	s_add_co_i32 s2, s2, s5
	s_delay_alu instid0(SALU_CYCLE_1)
	s_cmp_ge_u32 s2, s6
	s_cbranch_scc1 .LBB84_40
; %bb.1:
	s_clause 0x6
	s_load_b96 s[12:14], s[0:1], 0x2a8
	s_load_b32 s41, s[0:1], 0xc
	s_load_b32 s33, s[0:1], 0xfc
	;; [unrolled: 1-line block ×3, first 2 shown]
	s_load_b64 s[18:19], s[0:1], 0x23c
	s_load_b64 s[20:21], s[0:1], 0x15c
	;; [unrolled: 1-line block ×3, first 2 shown]
	s_mov_b32 s25, s17
	s_mov_b32 s27, s17
	s_wait_kmcnt 0x0
	s_cvt_f32_u32 s3, s14
	s_cvt_f32_u32 s4, s41
	;; [unrolled: 1-line block ×4, first 2 shown]
	v_rcp_iflag_f32_e32 v1, s3
	s_sub_co_i32 s8, 0, s14
	v_rcp_iflag_f32_e32 v2, s5
	v_rcp_iflag_f32_e32 v3, s6
	s_delay_alu instid0(TRANS32_DEP_3) | instskip(SKIP_2) | instid1(TRANS32_DEP_3)
	v_readfirstlane_b32 s3, v1
	v_rcp_iflag_f32_e32 v1, s4
	s_load_b128 s[4:7], s[0:1], 0x2b8
	v_readfirstlane_b32 s10, v2
	s_mul_f32 s3, s3, 0x4f7ffffe
	s_delay_alu instid0(TRANS32_DEP_1) | instskip(NEXT) | instid1(SALU_CYCLE_2)
	v_readfirstlane_b32 s9, v1
	s_cvt_u32_f32 s3, s3
	s_mul_f32 s10, s10, 0x4f7ffffe
	s_mul_f32 s9, s9, 0x4f7ffffe
	s_delay_alu instid0(SALU_CYCLE_1) | instskip(NEXT) | instid1(SALU_CYCLE_1)
	s_mul_i32 s8, s8, s3
	s_mul_hi_u32 s8, s3, s8
	s_delay_alu instid0(SALU_CYCLE_1) | instskip(SKIP_3) | instid1(SALU_CYCLE_1)
	s_cvt_u32_f32 s9, s9
	s_add_co_i32 s3, s3, s8
	v_readfirstlane_b32 s8, v3
	s_mul_hi_u32 s3, s2, s3
	s_mul_i32 s11, s3, s14
	s_add_co_i32 s16, s3, 1
	s_sub_co_i32 s11, s2, s11
	s_mul_f32 s8, s8, 0x4f7ffffe
	s_sub_co_i32 s24, s11, s14
	s_cmp_ge_u32 s11, s14
	s_cselect_b32 s3, s16, s3
	s_cselect_b32 s11, s24, s11
	s_add_co_i32 s16, s3, 1
	s_cmp_ge_u32 s11, s14
	s_cvt_u32_f32 s8, s8
	s_cselect_b32 s16, s16, s3
	s_sub_co_i32 s3, 0, s41
	s_wait_kmcnt 0x0
	s_load_b32 s40, s[4:5], s16 offset:0x0 scale_offset
	s_mul_i32 s28, s16, s14
	s_mul_i32 s3, s3, s9
	s_sub_co_i32 s42, s2, s28
	s_mul_hi_u32 s3, s9, s3
	s_cvt_u32_f32 s2, s10
	s_wait_xcnt 0x0
	s_add_co_i32 s4, s9, s3
	s_sub_co_i32 s3, 0, s33
	s_sub_co_i32 s9, 0, s15
	s_mul_i32 s3, s3, s2
	s_mul_i32 s9, s9, s8
	s_mul_hi_u32 s3, s2, s3
	s_mul_hi_u32 s9, s8, s9
	s_add_co_i32 s24, s2, s3
	v_cmp_ne_u32_e64 s2, 0, v0
	v_cmp_eq_u32_e64 s3, 0, v0
	s_mov_b32 s5, s17
	s_add_co_i32 s26, s8, s9
	s_and_saveexec_b32 s43, s3
	s_cbranch_execz .LBB84_17
; %bb.2:
	s_load_b64 s[34:35], s[0:1], 0x2c8
	s_mov_b32 s29, 0
	s_delay_alu instid0(SALU_CYCLE_1)
	s_lshl_b64 s[36:37], s[28:29], 2
	s_cmp_lt_u32 s14, 4
	s_cbranch_scc1 .LBB84_14
; %bb.3:
	s_mov_b64 s[30:31], 0
	s_mov_b32 s28, 0
.LBB84_4:                               ; =>This Inner Loop Header: Depth=1
	s_add_nc_u64 s[38:39], s[6:7], s[36:37]
	s_cmp_ge_u32 s28, s42
	s_load_b128 s[8:11], s[38:39], 0x0
	s_wait_kmcnt 0x0
	s_add_nc_u64 s[38:39], s[34:35], s[36:37]
	s_cbranch_scc0 .LBB84_11
; %bb.5:                                ;   in Loop: Header=BB84_4 Depth=1
	s_add_co_i32 s44, s28, 1
	s_delay_alu instid0(SALU_CYCLE_1)
	s_cmp_ge_u32 s44, s42
	s_cbranch_scc0 .LBB84_12
.LBB84_6:                               ;   in Loop: Header=BB84_4 Depth=1
	s_add_co_i32 s44, s44, 1
	s_delay_alu instid0(SALU_CYCLE_1)
	s_cmp_ge_u32 s44, s42
	s_cbranch_scc0 .LBB84_13
.LBB84_7:                               ;   in Loop: Header=BB84_4 Depth=1
	s_add_co_i32 s44, s44, 1
	s_delay_alu instid0(SALU_CYCLE_1)
	s_cmp_ge_u32 s44, s42
	s_cbranch_scc1 .LBB84_9
.LBB84_8:                               ;   in Loop: Header=BB84_4 Depth=1
	s_load_b32 s38, s[38:39], 0xc
	s_add_co_i32 s31, s11, s31
	s_wait_kmcnt 0x0
	s_add_co_i32 s30, s38, s30
.LBB84_9:                               ;   in Loop: Header=BB84_4 Depth=1
	s_add_co_i32 s8, s8, s29
	s_add_nc_u64 s[6:7], s[6:7], 16
	s_add_co_i32 s8, s8, s9
	s_add_co_i32 s9, s44, 4
	;; [unrolled: 1-line block ×3, first 2 shown]
	s_add_nc_u64 s[34:35], s[34:35], 16
	s_add_co_i32 s29, s8, s11
	s_add_co_i32 s8, s44, 1
	s_cmp_ge_u32 s9, s14
	s_cbranch_scc1 .LBB84_15
; %bb.10:                               ;   in Loop: Header=BB84_4 Depth=1
	s_mov_b32 s28, s8
	s_branch .LBB84_4
.LBB84_11:                              ;   in Loop: Header=BB84_4 Depth=1
	s_load_b32 s44, s[38:39], 0x0
	s_add_co_i32 s31, s8, s31
	s_wait_kmcnt 0x0
	s_add_co_i32 s30, s44, s30
	s_add_co_i32 s44, s28, 1
	s_delay_alu instid0(SALU_CYCLE_1)
	s_cmp_ge_u32 s44, s42
	s_cbranch_scc1 .LBB84_6
.LBB84_12:                              ;   in Loop: Header=BB84_4 Depth=1
	s_load_b32 s45, s[38:39], 0x4
	s_add_co_i32 s31, s9, s31
	s_wait_kmcnt 0x0
	s_add_co_i32 s30, s45, s30
	s_add_co_i32 s44, s44, 1
	s_delay_alu instid0(SALU_CYCLE_1)
	s_cmp_ge_u32 s44, s42
	s_cbranch_scc1 .LBB84_7
.LBB84_13:                              ;   in Loop: Header=BB84_4 Depth=1
	s_load_b32 s45, s[38:39], 0x8
	s_add_co_i32 s31, s10, s31
	s_wait_kmcnt 0x0
	s_add_co_i32 s30, s45, s30
	s_add_co_i32 s44, s44, 1
	s_delay_alu instid0(SALU_CYCLE_1)
	s_cmp_ge_u32 s44, s42
	s_cbranch_scc0 .LBB84_8
	s_branch .LBB84_9
.LBB84_14:
	s_mov_b64 s[30:31], 0
	s_add_nc_u64 s[6:7], s[6:7], s[36:37]
	s_wait_kmcnt 0x0
	s_add_nc_u64 s[8:9], s[34:35], s[36:37]
	s_mov_b32 s10, 0
	s_delay_alu instid0(SALU_CYCLE_1)
	s_cmp_ge_u32 s10, s14
	s_cbranch_scc0 .LBB84_38
	s_branch .LBB84_16
.LBB84_15:
	s_add_co_i32 s10, s28, 4
	s_add_nc_u64 s[8:9], s[34:35], s[36:37]
	s_add_nc_u64 s[6:7], s[6:7], s[36:37]
	s_cmp_ge_u32 s10, s14
	s_cbranch_scc0 .LBB84_38
.LBB84_16:
	v_dual_mov_b32 v2, s30 :: v_dual_mov_b32 v3, s29
	v_dual_mov_b32 v4, s31 :: v_dual_mov_b32 v1, 0
	ds_store_b96 v1, v[2:4] offset:1056
.LBB84_17:
	s_or_b32 exec_lo, exec_lo, s43
	s_mul_u64 s[6:7], s[16:17], s[26:27]
	s_mul_u64 s[34:35], s[16:17], s[4:5]
	s_clause 0x3
	s_load_b96 s[4:6], s[0:1], 0xd8
	s_load_b64 s[28:29], s[0:1], 0x1d0
	s_load_b64 s[10:11], s[0:1], 0xf0
	;; [unrolled: 1-line block ×3, first 2 shown]
	s_mul_u64 s[30:31], s[16:17], s[24:25]
	s_mul_i32 s17, s13, s42
	s_mov_b32 s25, 0
	s_lshl_b32 s17, s17, 8
	s_add_co_i32 s42, s42, 1
	s_wait_dscnt 0x0
	s_barrier_signal -1
	s_barrier_wait -1
	s_wait_kmcnt 0x0
	s_sub_co_i32 s24, s4, s17
	s_delay_alu instid0(SALU_CYCLE_1) | instskip(NEXT) | instid1(SALU_CYCLE_1)
	s_add_nc_u64 s[26:27], s[24:25], 0xff
	s_lshr_b64 s[26:27], s[26:27], 8
	s_cmp_lt_u32 s42, s14
	s_cselect_b32 s13, s13, s26
	s_delay_alu instid0(SALU_CYCLE_1)
	s_cmp_eq_u32 s13, 0
	s_cbranch_scc1 .LBB84_40
; %bb.18:
	s_mul_i32 s14, s35, s41
	s_add_co_i32 s24, s35, 1
	s_sub_co_i32 s14, s16, s14
	v_dual_mov_b32 v7, 0 :: v_dual_lshrrev_b32 v1, 3, v0
	s_sub_co_i32 s26, s14, s41
	s_cmp_ge_u32 s14, s41
	v_add_nc_u32_e32 v8, -1, v0
	s_cselect_b32 s24, s24, s35
	s_cselect_b32 s14, s26, s14
	s_add_co_i32 s26, s24, 1
	s_cmp_ge_u32 s14, s41
	s_mul_i32 s14, s31, s33
	s_cselect_b32 s24, s26, s24
	s_sub_co_i32 s14, s16, s14
	s_mul_i32 s26, s24, s41
	s_mul_i32 s22, s24, s22
	s_sub_co_i32 s26, s16, s26
	s_add_co_i32 s27, s31, 1
	s_mul_i32 s26, s26, s23
	s_sub_co_i32 s23, s14, s33
	s_add_co_i32 s24, s22, s26
	s_cmp_ge_u32 s14, s33
	s_mul_i32 s22, s7, s15
	s_cselect_b32 s26, s27, s31
	s_cselect_b32 s14, s23, s14
	s_add_co_i32 s27, s26, 1
	s_cmp_ge_u32 s14, s33
	s_mov_b32 s23, s25
	s_cselect_b32 s14, s27, s26
	s_sub_co_i32 s26, s16, s22
	s_mul_i32 s22, s14, s33
	s_mul_i32 s14, s14, s20
	s_sub_co_i32 s22, s16, s22
	s_add_co_i32 s27, s7, 1
	s_mul_i32 s22, s22, s21
	s_sub_co_i32 s20, s26, s15
	s_add_co_i32 s22, s14, s22
	s_cmp_ge_u32 s26, s15
	s_mov_b32 s21, s25
	s_cselect_b32 s7, s27, s7
	s_cselect_b32 s14, s20, s26
	s_add_co_i32 s20, s7, 1
	s_cmp_ge_u32 s14, s15
	s_clause 0x1
	s_load_b32 s26, s[0:1], 0xe8
	s_load_b32 s14, s[0:1], 0x1c8
	ds_load_b96 v[2:4], v7 offset:1056
	s_cselect_b32 s7, s20, s7
	v_and_b32_e32 v5, 28, v1
	s_wait_xcnt 0x0
	s_mul_i32 s0, s7, s15
	s_mul_i32 s7, s7, s18
	s_sub_co_i32 s0, s16, s0
	v_dual_add_nc_u32 v6, s17, v0 :: v_dual_lshlrev_b32 v11, 5, v0
	s_mul_i32 s15, s0, s19
	v_lshrrev_b32_e32 v9, 3, v8
	s_add_co_i32 s20, s7, s15
	s_lshl_b64 s[0:1], s[24:25], 2
	s_lshl_b64 s[18:19], s[22:23], 2
	;; [unrolled: 1-line block ×3, first 2 shown]
	s_cmp_gt_i32 s40, -1
	v_and_b32_e32 v10, 0xfc, v0
	s_cselect_b32 s7, 0x80000000, -1
	s_add_nc_u64 s[8:9], s[8:9], s[0:1]
	s_xor_b32 s7, s7, s40
	s_cmp_o_f32 s40, s40
	s_wait_dscnt 0x0
	v_add_nc_u32_e32 v1, v2, v3
	v_lshl_add_u32 v2, v0, 2, v5
	s_wait_kmcnt 0x0
	v_mul_lo_u32 v5, s26, v6
	v_and_b32_e32 v9, 0x1ffffffc, v9
	v_mbcnt_lo_u32_b32 v3, -1, 0
	v_cmp_gt_u32_e64 s0, 32, v0
	s_cselect_b32 s15, s7, -1
	s_bitcmp1_b32 s6, 0
	v_lshl_add_u32 v0, v8, 2, v9
	v_add_nc_u32_e32 v8, v10, v11
	v_dual_add_nc_u32 v11, -1, v3 :: v_dual_bitop2_b32 v9, 15, v3 bitop3:0x40
	v_bfe_i32 v10, v3, 4, 1
	s_add_nc_u64 s[10:11], s[10:11], s[18:19]
	s_add_nc_u64 s[6:7], s[28:29], s[20:21]
	s_cselect_b32 s1, -1, 0
	s_lshl_b32 s16, s26, 8
                                        ; implicit-def: $vgpr12
	s_branch .LBB84_21
.LBB84_19:                              ;   in Loop: Header=BB84_21 Depth=1
	s_wait_xcnt 0x0
	s_or_b32 exec_lo, exec_lo, s17
	v_add_nc_u32_e32 v1, v15, v1
.LBB84_20:                              ;   in Loop: Header=BB84_21 Depth=1
	v_dual_add_nc_u32 v4, v14, v4 :: v_dual_add_nc_u32 v5, s16, v5
	v_add_nc_u32_e32 v6, 0x100, v6
	s_add_co_i32 s13, s13, -1
	s_delay_alu instid0(SALU_CYCLE_1)
	s_cmp_lg_u32 s13, 0
	s_cbranch_scc0 .LBB84_40
.LBB84_21:                              ; =>This Inner Loop Header: Depth=1
	v_dual_mov_b32 v15, 0 :: v_dual_mov_b32 v13, 0
	s_mov_b32 s17, exec_lo
	v_cmpx_gt_u32_e64 s4, v6
	s_cbranch_execz .LBB84_23
; %bb.22:                               ;   in Loop: Header=BB84_21 Depth=1
	global_load_b32 v12, v5, s[8:9] scale_offset
	s_wait_loadcnt 0x0
	v_cmp_lt_i32_e32 vcc_lo, -1, v12
	v_cndmask_b32_e64 v13, -1, 0x80000000, vcc_lo
	v_cmp_o_f32_e32 vcc_lo, v12, v12
	s_delay_alu instid0(VALU_DEP_2) | instskip(NEXT) | instid1(VALU_DEP_1)
	v_xor_b32_e32 v13, v13, v12
	v_cndmask_b32_e32 v13, -1, v13, vcc_lo
	s_delay_alu instid0(VALU_DEP_1) | instskip(SKIP_3) | instid1(VALU_DEP_1)
	v_cmp_lt_u32_e32 vcc_lo, s15, v13
	v_cndmask_b32_e64 v14, 0, 1, vcc_lo
	v_cmp_gt_u32_e32 vcc_lo, s15, v13
	v_cndmask_b32_e64 v15, 0, 1, vcc_lo
	v_cndmask_b32_e64 v14, v15, v14, s1
	s_delay_alu instid0(VALU_DEP_1)
	v_and_b32_e32 v15, 1, v14
	v_cmp_eq_u32_e32 vcc_lo, s15, v13
	v_cndmask_b32_e64 v13, 0, 1, vcc_lo
.LBB84_23:                              ;   in Loop: Header=BB84_21 Depth=1
	s_wait_xcnt 0x0
	s_or_b32 exec_lo, exec_lo, s17
	ds_store_b32 v2, v15
	s_wait_dscnt 0x0
	s_barrier_signal -1
	s_barrier_wait -1
	s_and_saveexec_b32 s17, s0
	s_cbranch_execz .LBB84_25
; %bb.24:                               ;   in Loop: Header=BB84_21 Depth=1
	ds_load_2addr_b32 v[16:17], v8 offset1:1
	ds_load_2addr_b32 v[18:19], v8 offset0:2 offset1:3
	ds_load_2addr_b32 v[20:21], v8 offset0:4 offset1:5
	;; [unrolled: 1-line block ×3, first 2 shown]
	v_cmp_ne_u32_e32 vcc_lo, 0, v9
	; wave barrier
	s_wait_dscnt 0x3
	v_add_nc_u32_e32 v14, v17, v16
	s_wait_dscnt 0x2
	s_delay_alu instid0(VALU_DEP_1) | instskip(SKIP_1) | instid1(VALU_DEP_1)
	v_add3_u32 v14, v14, v18, v19
	s_wait_dscnt 0x1
	v_add3_u32 v14, v14, v20, v21
	s_wait_dscnt 0x0
	s_delay_alu instid0(VALU_DEP_1) | instskip(NEXT) | instid1(VALU_DEP_1)
	v_add3_u32 v14, v14, v22, v23
	v_mov_b32_dpp v17, v14 row_shr:1 row_mask:0xf bank_mask:0xf
	s_delay_alu instid0(VALU_DEP_1) | instskip(SKIP_1) | instid1(VALU_DEP_2)
	v_cndmask_b32_e32 v17, 0, v17, vcc_lo
	v_cmp_lt_u32_e32 vcc_lo, 1, v9
	v_add_nc_u32_e32 v14, v17, v14
	s_delay_alu instid0(VALU_DEP_1) | instskip(NEXT) | instid1(VALU_DEP_1)
	v_mov_b32_dpp v17, v14 row_shr:2 row_mask:0xf bank_mask:0xf
	v_cndmask_b32_e32 v17, 0, v17, vcc_lo
	v_cmp_lt_u32_e32 vcc_lo, 3, v9
	s_delay_alu instid0(VALU_DEP_2) | instskip(NEXT) | instid1(VALU_DEP_1)
	v_add_nc_u32_e32 v14, v14, v17
	v_mov_b32_dpp v17, v14 row_shr:4 row_mask:0xf bank_mask:0xf
	s_delay_alu instid0(VALU_DEP_1) | instskip(SKIP_1) | instid1(VALU_DEP_2)
	v_cndmask_b32_e32 v17, 0, v17, vcc_lo
	v_cmp_lt_u32_e32 vcc_lo, 7, v9
	v_add_nc_u32_e32 v14, v14, v17
	s_delay_alu instid0(VALU_DEP_1) | instskip(NEXT) | instid1(VALU_DEP_1)
	v_mov_b32_dpp v17, v14 row_shr:8 row_mask:0xf bank_mask:0xf
	v_cndmask_b32_e32 v17, 0, v17, vcc_lo
	v_cmp_gt_i32_e32 vcc_lo, 0, v11
	s_delay_alu instid0(VALU_DEP_2) | instskip(SKIP_3) | instid1(VALU_DEP_1)
	v_dual_add_nc_u32 v14, v14, v17 :: v_dual_cndmask_b32 v18, v11, v3, vcc_lo
	ds_swizzle_b32 v17, v14 offset:swizzle(BROADCAST,32,15)
	s_wait_dscnt 0x0
	v_dual_lshlrev_b32 v18, 2, v18 :: v_dual_bitop2_b32 v17, v10, v17 bitop3:0x40
	v_add_nc_u32_e32 v14, v14, v17
	ds_bpermute_b32 v14, v18, v14
	s_wait_dscnt 0x0
	v_add_nc_u32_e32 v14, v14, v16
	s_delay_alu instid0(VALU_DEP_1)
	v_cndmask_b32_e64 v14, v14, v15, s3
	ds_store_b32 v8, v14
	; wave barrier
	ds_load_2addr_b32 v[16:17], v8 offset0:1 offset1:2
	ds_load_2addr_b32 v[18:19], v8 offset0:3 offset1:4
	;; [unrolled: 1-line block ×3, first 2 shown]
	ds_load_b32 v22, v8 offset:28
	s_wait_dscnt 0x3
	v_add_nc_u32_e32 v14, v16, v14
	s_delay_alu instid0(VALU_DEP_1) | instskip(SKIP_1) | instid1(VALU_DEP_1)
	v_add_nc_u32_e32 v16, v17, v14
	s_wait_dscnt 0x2
	v_add_nc_u32_e32 v17, v18, v16
	s_delay_alu instid0(VALU_DEP_1) | instskip(SKIP_1) | instid1(VALU_DEP_1)
	v_add_nc_u32_e32 v18, v19, v17
	s_wait_dscnt 0x1
	v_add_nc_u32_e32 v19, v20, v18
	s_delay_alu instid0(VALU_DEP_1) | instskip(SKIP_1) | instid1(VALU_DEP_1)
	v_add_nc_u32_e32 v20, v21, v19
	s_wait_dscnt 0x0
	v_add_nc_u32_e32 v21, v22, v20
	ds_store_2addr_b32 v8, v14, v16 offset0:1 offset1:2
	ds_store_2addr_b32 v8, v17, v18 offset0:3 offset1:4
	;; [unrolled: 1-line block ×3, first 2 shown]
	ds_store_b32 v8, v21 offset:28
.LBB84_25:                              ;   in Loop: Header=BB84_21 Depth=1
	s_or_b32 exec_lo, exec_lo, s17
	v_mov_b32_e32 v16, 0
	s_wait_dscnt 0x0
	s_barrier_signal -1
	s_barrier_wait -1
	s_and_saveexec_b32 s17, s2
; %bb.26:                               ;   in Loop: Header=BB84_21 Depth=1
	ds_load_b32 v16, v0
; %bb.27:                               ;   in Loop: Header=BB84_21 Depth=1
	s_or_b32 exec_lo, exec_lo, s17
	ds_load_b32 v14, v7 offset:1048
	s_mov_b32 s17, exec_lo
	s_wait_dscnt 0x0
	s_barrier_signal -1
	s_barrier_wait -1
	v_cmpx_ne_u32_e32 0, v15
	s_cbranch_execz .LBB84_29
; %bb.28:                               ;   in Loop: Header=BB84_21 Depth=1
	v_add_nc_u32_e32 v15, v16, v4
	s_delay_alu instid0(VALU_DEP_1)
	v_mul_lo_u32 v16, v15, s14
	v_mul_lo_u32 v15, v15, s12
	global_store_b32 v16, v12, s[10:11] scale_offset
	global_store_b64 v15, v[6:7], s[6:7] scale_offset
.LBB84_29:                              ;   in Loop: Header=BB84_21 Depth=1
	s_wait_xcnt 0x0
	s_or_b32 exec_lo, exec_lo, s17
	v_cmp_le_u32_e32 vcc_lo, s5, v1
	s_cbranch_vccnz .LBB84_20
; %bb.30:                               ;   in Loop: Header=BB84_21 Depth=1
	ds_store_b32 v2, v13
	s_wait_storecnt_dscnt 0x0
	s_barrier_signal -1
	s_barrier_wait -1
	s_and_saveexec_b32 s17, s0
	s_cbranch_execz .LBB84_32
; %bb.31:                               ;   in Loop: Header=BB84_21 Depth=1
	ds_load_2addr_b32 v[16:17], v8 offset1:1
	ds_load_2addr_b32 v[18:19], v8 offset0:2 offset1:3
	ds_load_2addr_b32 v[20:21], v8 offset0:4 offset1:5
	ds_load_2addr_b32 v[22:23], v8 offset0:6 offset1:7
	v_cmp_ne_u32_e32 vcc_lo, 0, v9
	; wave barrier
	s_wait_dscnt 0x3
	v_add_nc_u32_e32 v15, v17, v16
	s_wait_dscnt 0x2
	s_delay_alu instid0(VALU_DEP_1) | instskip(SKIP_1) | instid1(VALU_DEP_1)
	v_add3_u32 v15, v15, v18, v19
	s_wait_dscnt 0x1
	v_add3_u32 v15, v15, v20, v21
	s_wait_dscnt 0x0
	s_delay_alu instid0(VALU_DEP_1) | instskip(NEXT) | instid1(VALU_DEP_1)
	v_add3_u32 v15, v15, v22, v23
	v_mov_b32_dpp v17, v15 row_shr:1 row_mask:0xf bank_mask:0xf
	s_delay_alu instid0(VALU_DEP_1) | instskip(SKIP_1) | instid1(VALU_DEP_2)
	v_cndmask_b32_e32 v17, 0, v17, vcc_lo
	v_cmp_lt_u32_e32 vcc_lo, 1, v9
	v_add_nc_u32_e32 v15, v17, v15
	s_delay_alu instid0(VALU_DEP_1) | instskip(NEXT) | instid1(VALU_DEP_1)
	v_mov_b32_dpp v17, v15 row_shr:2 row_mask:0xf bank_mask:0xf
	v_cndmask_b32_e32 v17, 0, v17, vcc_lo
	v_cmp_lt_u32_e32 vcc_lo, 3, v9
	s_delay_alu instid0(VALU_DEP_2) | instskip(NEXT) | instid1(VALU_DEP_1)
	v_add_nc_u32_e32 v15, v15, v17
	v_mov_b32_dpp v17, v15 row_shr:4 row_mask:0xf bank_mask:0xf
	s_delay_alu instid0(VALU_DEP_1) | instskip(SKIP_1) | instid1(VALU_DEP_2)
	v_cndmask_b32_e32 v17, 0, v17, vcc_lo
	v_cmp_lt_u32_e32 vcc_lo, 7, v9
	v_add_nc_u32_e32 v15, v15, v17
	s_delay_alu instid0(VALU_DEP_1) | instskip(NEXT) | instid1(VALU_DEP_1)
	v_mov_b32_dpp v17, v15 row_shr:8 row_mask:0xf bank_mask:0xf
	v_cndmask_b32_e32 v17, 0, v17, vcc_lo
	v_cmp_gt_i32_e32 vcc_lo, 0, v11
	s_delay_alu instid0(VALU_DEP_2) | instskip(SKIP_4) | instid1(VALU_DEP_1)
	v_add_nc_u32_e32 v15, v15, v17
	v_cndmask_b32_e32 v18, v11, v3, vcc_lo
	ds_swizzle_b32 v17, v15 offset:swizzle(BROADCAST,32,15)
	s_wait_dscnt 0x0
	v_dual_lshlrev_b32 v18, 2, v18 :: v_dual_bitop2_b32 v17, v10, v17 bitop3:0x40
	v_add_nc_u32_e32 v15, v15, v17
	ds_bpermute_b32 v15, v18, v15
	s_wait_dscnt 0x0
	v_add_nc_u32_e32 v15, v15, v16
	s_delay_alu instid0(VALU_DEP_1)
	v_cndmask_b32_e64 v15, v15, v13, s3
	ds_store_b32 v8, v15
	; wave barrier
	ds_load_2addr_b32 v[16:17], v8 offset0:1 offset1:2
	ds_load_2addr_b32 v[18:19], v8 offset0:3 offset1:4
	;; [unrolled: 1-line block ×3, first 2 shown]
	ds_load_b32 v22, v8 offset:28
	s_wait_dscnt 0x3
	v_add_nc_u32_e32 v15, v16, v15
	s_delay_alu instid0(VALU_DEP_1) | instskip(SKIP_1) | instid1(VALU_DEP_1)
	v_add_nc_u32_e32 v16, v17, v15
	s_wait_dscnt 0x2
	v_add_nc_u32_e32 v17, v18, v16
	s_delay_alu instid0(VALU_DEP_1) | instskip(SKIP_1) | instid1(VALU_DEP_1)
	v_add_nc_u32_e32 v18, v19, v17
	s_wait_dscnt 0x1
	v_add_nc_u32_e32 v19, v20, v18
	s_delay_alu instid0(VALU_DEP_1) | instskip(SKIP_1) | instid1(VALU_DEP_1)
	v_add_nc_u32_e32 v20, v21, v19
	s_wait_dscnt 0x0
	v_add_nc_u32_e32 v21, v22, v20
	ds_store_2addr_b32 v8, v15, v16 offset0:1 offset1:2
	ds_store_2addr_b32 v8, v17, v18 offset0:3 offset1:4
	ds_store_2addr_b32 v8, v19, v20 offset0:5 offset1:6
	ds_store_b32 v8, v21 offset:28
.LBB84_32:                              ;   in Loop: Header=BB84_21 Depth=1
	s_or_b32 exec_lo, exec_lo, s17
	v_mov_b32_e32 v16, 0
	s_wait_dscnt 0x0
	s_barrier_signal -1
	s_barrier_wait -1
	s_and_saveexec_b32 s17, s2
; %bb.33:                               ;   in Loop: Header=BB84_21 Depth=1
	ds_load_b32 v16, v0
; %bb.34:                               ;   in Loop: Header=BB84_21 Depth=1
	s_or_b32 exec_lo, exec_lo, s17
	ds_load_b32 v15, v7 offset:1048
	s_mov_b32 s17, exec_lo
	s_wait_dscnt 0x0
	s_barrier_signal -1
	s_barrier_wait -1
	v_cmpx_ne_u32_e32 0, v13
	s_cbranch_execz .LBB84_19
; %bb.35:                               ;   in Loop: Header=BB84_21 Depth=1
	v_add_nc_u32_e32 v13, v16, v1
	s_delay_alu instid0(VALU_DEP_1)
	v_cmp_gt_u32_e32 vcc_lo, s5, v13
	s_and_b32 exec_lo, exec_lo, vcc_lo
	s_cbranch_execz .LBB84_19
; %bb.36:                               ;   in Loop: Header=BB84_21 Depth=1
	v_mul_lo_u32 v16, v13, s14
	v_mul_lo_u32 v13, v13, s12
	global_store_b32 v16, v12, s[10:11] scale_offset
	global_store_b64 v13, v[6:7], s[6:7] scale_offset
	s_branch .LBB84_19
.LBB84_37:                              ;   in Loop: Header=BB84_38 Depth=1
	s_add_co_i32 s10, s10, 1
	s_wait_kmcnt 0x0
	s_add_co_i32 s29, s11, s29
	s_add_nc_u64 s[6:7], s[6:7], 4
	s_cmp_lt_u32 s10, s14
	s_add_nc_u64 s[8:9], s[8:9], 4
	s_cbranch_scc0 .LBB84_16
.LBB84_38:                              ; =>This Inner Loop Header: Depth=1
	s_load_b32 s11, s[6:7], 0x0
	s_cmp_ge_u32 s10, s42
	s_cbranch_scc1 .LBB84_37
; %bb.39:                               ;   in Loop: Header=BB84_38 Depth=1
	s_load_b32 s28, s[8:9], 0x0
	s_wait_kmcnt 0x0
	s_add_co_i32 s31, s11, s31
	s_add_co_i32 s30, s28, s30
	s_branch .LBB84_37
.LBB84_40:
	s_endpgm
	.section	.rodata,"a",@progbits
	.p2align	6, 0x0
	.amdhsa_kernel _ZN2at6native6mbtopk10gatherTopKIfjLi2EEEvNS_4cuda6detail10TensorInfoIKT_T0_EES8_S8_bjS8_NS5_IS6_S8_EES8_NS5_IlS8_EES8_jjPS6_PjSD_j
		.amdhsa_group_segment_fixed_size 1068
		.amdhsa_private_segment_fixed_size 0
		.amdhsa_kernarg_size 984
		.amdhsa_user_sgpr_count 2
		.amdhsa_user_sgpr_dispatch_ptr 0
		.amdhsa_user_sgpr_queue_ptr 0
		.amdhsa_user_sgpr_kernarg_segment_ptr 1
		.amdhsa_user_sgpr_dispatch_id 0
		.amdhsa_user_sgpr_kernarg_preload_length 0
		.amdhsa_user_sgpr_kernarg_preload_offset 0
		.amdhsa_user_sgpr_private_segment_size 0
		.amdhsa_wavefront_size32 1
		.amdhsa_uses_dynamic_stack 0
		.amdhsa_enable_private_segment 0
		.amdhsa_system_sgpr_workgroup_id_x 1
		.amdhsa_system_sgpr_workgroup_id_y 1
		.amdhsa_system_sgpr_workgroup_id_z 1
		.amdhsa_system_sgpr_workgroup_info 0
		.amdhsa_system_vgpr_workitem_id 0
		.amdhsa_next_free_vgpr 24
		.amdhsa_next_free_sgpr 46
		.amdhsa_named_barrier_count 0
		.amdhsa_reserve_vcc 1
		.amdhsa_float_round_mode_32 0
		.amdhsa_float_round_mode_16_64 0
		.amdhsa_float_denorm_mode_32 3
		.amdhsa_float_denorm_mode_16_64 3
		.amdhsa_fp16_overflow 0
		.amdhsa_memory_ordered 1
		.amdhsa_forward_progress 1
		.amdhsa_inst_pref_size 22
		.amdhsa_round_robin_scheduling 0
		.amdhsa_exception_fp_ieee_invalid_op 0
		.amdhsa_exception_fp_denorm_src 0
		.amdhsa_exception_fp_ieee_div_zero 0
		.amdhsa_exception_fp_ieee_overflow 0
		.amdhsa_exception_fp_ieee_underflow 0
		.amdhsa_exception_fp_ieee_inexact 0
		.amdhsa_exception_int_div_zero 0
	.end_amdhsa_kernel
	.section	.text._ZN2at6native6mbtopk10gatherTopKIfjLi2EEEvNS_4cuda6detail10TensorInfoIKT_T0_EES8_S8_bjS8_NS5_IS6_S8_EES8_NS5_IlS8_EES8_jjPS6_PjSD_j,"axG",@progbits,_ZN2at6native6mbtopk10gatherTopKIfjLi2EEEvNS_4cuda6detail10TensorInfoIKT_T0_EES8_S8_bjS8_NS5_IS6_S8_EES8_NS5_IlS8_EES8_jjPS6_PjSD_j,comdat
.Lfunc_end84:
	.size	_ZN2at6native6mbtopk10gatherTopKIfjLi2EEEvNS_4cuda6detail10TensorInfoIKT_T0_EES8_S8_bjS8_NS5_IS6_S8_EES8_NS5_IlS8_EES8_jjPS6_PjSD_j, .Lfunc_end84-_ZN2at6native6mbtopk10gatherTopKIfjLi2EEEvNS_4cuda6detail10TensorInfoIKT_T0_EES8_S8_bjS8_NS5_IS6_S8_EES8_NS5_IlS8_EES8_jjPS6_PjSD_j
                                        ; -- End function
	.set _ZN2at6native6mbtopk10gatherTopKIfjLi2EEEvNS_4cuda6detail10TensorInfoIKT_T0_EES8_S8_bjS8_NS5_IS6_S8_EES8_NS5_IlS8_EES8_jjPS6_PjSD_j.num_vgpr, 24
	.set _ZN2at6native6mbtopk10gatherTopKIfjLi2EEEvNS_4cuda6detail10TensorInfoIKT_T0_EES8_S8_bjS8_NS5_IS6_S8_EES8_NS5_IlS8_EES8_jjPS6_PjSD_j.num_agpr, 0
	.set _ZN2at6native6mbtopk10gatherTopKIfjLi2EEEvNS_4cuda6detail10TensorInfoIKT_T0_EES8_S8_bjS8_NS5_IS6_S8_EES8_NS5_IlS8_EES8_jjPS6_PjSD_j.numbered_sgpr, 46
	.set _ZN2at6native6mbtopk10gatherTopKIfjLi2EEEvNS_4cuda6detail10TensorInfoIKT_T0_EES8_S8_bjS8_NS5_IS6_S8_EES8_NS5_IlS8_EES8_jjPS6_PjSD_j.num_named_barrier, 0
	.set _ZN2at6native6mbtopk10gatherTopKIfjLi2EEEvNS_4cuda6detail10TensorInfoIKT_T0_EES8_S8_bjS8_NS5_IS6_S8_EES8_NS5_IlS8_EES8_jjPS6_PjSD_j.private_seg_size, 0
	.set _ZN2at6native6mbtopk10gatherTopKIfjLi2EEEvNS_4cuda6detail10TensorInfoIKT_T0_EES8_S8_bjS8_NS5_IS6_S8_EES8_NS5_IlS8_EES8_jjPS6_PjSD_j.uses_vcc, 1
	.set _ZN2at6native6mbtopk10gatherTopKIfjLi2EEEvNS_4cuda6detail10TensorInfoIKT_T0_EES8_S8_bjS8_NS5_IS6_S8_EES8_NS5_IlS8_EES8_jjPS6_PjSD_j.uses_flat_scratch, 0
	.set _ZN2at6native6mbtopk10gatherTopKIfjLi2EEEvNS_4cuda6detail10TensorInfoIKT_T0_EES8_S8_bjS8_NS5_IS6_S8_EES8_NS5_IlS8_EES8_jjPS6_PjSD_j.has_dyn_sized_stack, 0
	.set _ZN2at6native6mbtopk10gatherTopKIfjLi2EEEvNS_4cuda6detail10TensorInfoIKT_T0_EES8_S8_bjS8_NS5_IS6_S8_EES8_NS5_IlS8_EES8_jjPS6_PjSD_j.has_recursion, 0
	.set _ZN2at6native6mbtopk10gatherTopKIfjLi2EEEvNS_4cuda6detail10TensorInfoIKT_T0_EES8_S8_bjS8_NS5_IS6_S8_EES8_NS5_IlS8_EES8_jjPS6_PjSD_j.has_indirect_call, 0
	.section	.AMDGPU.csdata,"",@progbits
; Kernel info:
; codeLenInByte = 2776
; TotalNumSgprs: 48
; NumVgprs: 24
; ScratchSize: 0
; MemoryBound: 0
; FloatMode: 240
; IeeeMode: 1
; LDSByteSize: 1068 bytes/workgroup (compile time only)
; SGPRBlocks: 0
; VGPRBlocks: 1
; NumSGPRsForWavesPerEU: 48
; NumVGPRsForWavesPerEU: 24
; NamedBarCnt: 0
; Occupancy: 16
; WaveLimiterHint : 1
; COMPUTE_PGM_RSRC2:SCRATCH_EN: 0
; COMPUTE_PGM_RSRC2:USER_SGPR: 2
; COMPUTE_PGM_RSRC2:TRAP_HANDLER: 0
; COMPUTE_PGM_RSRC2:TGID_X_EN: 1
; COMPUTE_PGM_RSRC2:TGID_Y_EN: 1
; COMPUTE_PGM_RSRC2:TGID_Z_EN: 1
; COMPUTE_PGM_RSRC2:TIDIG_COMP_CNT: 0
	.section	.text._ZN2at6native6sbtopk10gatherTopKIfjLi2ELb0EEEvNS_4cuda6detail10TensorInfoIKT_T0_EES8_S8_bS8_S8_NS5_IS6_S8_EES8_NS5_IlS8_EES8_PS6_,"axG",@progbits,_ZN2at6native6sbtopk10gatherTopKIfjLi2ELb0EEEvNS_4cuda6detail10TensorInfoIKT_T0_EES8_S8_bS8_S8_NS5_IS6_S8_EES8_NS5_IlS8_EES8_PS6_,comdat
	.protected	_ZN2at6native6sbtopk10gatherTopKIfjLi2ELb0EEEvNS_4cuda6detail10TensorInfoIKT_T0_EES8_S8_bS8_S8_NS5_IS6_S8_EES8_NS5_IlS8_EES8_PS6_ ; -- Begin function _ZN2at6native6sbtopk10gatherTopKIfjLi2ELb0EEEvNS_4cuda6detail10TensorInfoIKT_T0_EES8_S8_bS8_S8_NS5_IS6_S8_EES8_NS5_IlS8_EES8_PS6_
	.globl	_ZN2at6native6sbtopk10gatherTopKIfjLi2ELb0EEEvNS_4cuda6detail10TensorInfoIKT_T0_EES8_S8_bS8_S8_NS5_IS6_S8_EES8_NS5_IlS8_EES8_PS6_
	.p2align	8
	.type	_ZN2at6native6sbtopk10gatherTopKIfjLi2ELb0EEEvNS_4cuda6detail10TensorInfoIKT_T0_EES8_S8_bS8_S8_NS5_IS6_S8_EES8_NS5_IlS8_EES8_PS6_,@function
_ZN2at6native6sbtopk10gatherTopKIfjLi2ELb0EEEvNS_4cuda6detail10TensorInfoIKT_T0_EES8_S8_bS8_S8_NS5_IS6_S8_EES8_NS5_IlS8_EES8_PS6_: ; @_ZN2at6native6sbtopk10gatherTopKIfjLi2ELb0EEEvNS_4cuda6detail10TensorInfoIKT_T0_EES8_S8_bS8_S8_NS5_IS6_S8_EES8_NS5_IlS8_EES8_PS6_
; %bb.0:
	s_clause 0x1
	s_load_b128 s[36:39], s[0:1], 0xd8
	s_load_b64 s[8:9], s[0:1], 0x2b8
	s_bfe_u32 s2, ttmp6, 0x40010
	s_and_b32 s3, ttmp7, 0xffff
	s_add_co_i32 s2, s2, 1
	s_bfe_u32 s5, ttmp6, 0x4000c
	s_mul_i32 s2, s3, s2
	s_bfe_u32 s4, ttmp6, 0x40004
	s_add_co_i32 s5, s5, 1
	s_bfe_u32 s6, ttmp6, 0x40014
	s_add_co_i32 s4, s4, s2
	s_and_b32 s2, ttmp6, 15
	s_mul_i32 s5, ttmp9, s5
	s_lshr_b32 s7, ttmp7, 16
	s_add_co_i32 s6, s6, 1
	s_add_co_i32 s2, s2, s5
	s_mul_i32 s5, s7, s6
	s_bfe_u32 s6, ttmp6, 0x40008
	s_getreg_b32 s10, hwreg(HW_REG_IB_STS2, 6, 4)
	s_add_co_i32 s6, s6, s5
	s_cmp_eq_u32 s10, 0
	s_mov_b32 s41, 0
	s_cselect_b32 s5, s7, s6
	s_cselect_b32 s3, s3, s4
	s_wait_kmcnt 0x0
	s_mul_i32 s5, s9, s5
	s_cselect_b32 s9, ttmp9, s2
	s_add_co_i32 s2, s5, s3
	s_delay_alu instid0(SALU_CYCLE_1) | instskip(NEXT) | instid1(SALU_CYCLE_1)
	s_mul_i32 s2, s2, s8
	s_add_co_i32 s40, s2, s9
	s_delay_alu instid0(SALU_CYCLE_1)
	s_cmp_ge_u32 s40, s39
	s_cbranch_scc1 .LBB85_431
; %bb.1:
	s_clause 0x7
	s_load_b32 s16, s[0:1], 0xc
	s_load_b64 s[44:45], s[0:1], 0x15c
	s_load_b64 s[42:43], s[0:1], 0x23c
	s_load_b32 s64, s[0:1], 0xfc
	s_load_b32 s63, s[0:1], 0x1dc
	;; [unrolled: 1-line block ×3, first 2 shown]
	s_load_b64 s[12:13], s[0:1], 0x6c
	s_load_b64 s[10:11], s[0:1], 0x0
	v_cmp_eq_u32_e64 s5, 0, v0
	s_add_nc_u64 s[14:15], s[0:1], 0x2b8
	s_mov_b32 s7, s41
	v_mov_b32_e32 v13, 0
	s_wait_kmcnt 0x0
	s_cvt_f32_u32 s2, s16
	s_sub_co_i32 s4, 0, s64
	s_cvt_f32_u32 s3, s63
	s_delay_alu instid0(SALU_CYCLE_1) | instskip(SKIP_2) | instid1(TRANS32_DEP_1)
	v_rcp_iflag_f32_e32 v1, s2
	s_sub_co_i32 s2, 0, s16
	v_nop
	v_mul_f32_e32 v1, 0x4f7ffffe, v1
	s_delay_alu instid0(VALU_DEP_1) | instskip(NEXT) | instid1(VALU_DEP_1)
	v_cvt_u32_f32_e32 v1, v1
	v_mul_lo_u32 v2, s2, v1
	s_cvt_f32_u32 s2, s64
	s_delay_alu instid0(VALU_DEP_1) | instskip(NEXT) | instid1(VALU_DEP_1)
	v_mul_hi_u32 v2, v1, v2
	v_add_nc_u32_e32 v12, v1, v2
	s_delay_alu instid0(SALU_CYCLE_1) | instskip(NEXT) | instid1(VALU_DEP_1)
	v_rcp_iflag_f32_e32 v1, s2
	v_mul_u64_e32 v[2:3], s[40:41], v[12:13]
	v_rcp_iflag_f32_e32 v2, s3
	s_delay_alu instid0(TRANS32_DEP_2) | instskip(SKIP_1) | instid1(TRANS32_DEP_1)
	v_readfirstlane_b32 s2, v1
	s_mul_f32 s2, s2, 0x4f7ffffe
	v_readfirstlane_b32 s3, v2
	s_delay_alu instid0(SALU_CYCLE_2) | instskip(SKIP_1) | instid1(SALU_CYCLE_2)
	s_cvt_u32_f32 s2, s2
	s_mul_f32 s3, s3, 0x4f7ffffe
	s_mul_i32 s4, s4, s2
	s_delay_alu instid0(SALU_CYCLE_2) | instskip(SKIP_2) | instid1(SALU_CYCLE_1)
	s_cvt_u32_f32 s6, s3
	s_sub_co_i32 s3, 0, s63
	s_mul_hi_u32 s4, s2, s4
	s_mul_i32 s3, s3, s6
	s_add_co_i32 s2, s2, s4
	s_mul_hi_u32 s4, s6, s3
	s_mov_b32 s3, s41
	s_add_co_i32 s6, s6, s4
	s_and_saveexec_b32 s4, s5
; %bb.2:
	v_dual_mov_b32 v4, 0 :: v_dual_mov_b32 v5, s36
	s_delay_alu instid0(VALU_DEP_1)
	v_mov_b32_e32 v6, v4
	ds_store_b96 v4, v[4:6] offset:4096
; %bb.3:
	s_or_b32 exec_lo, exec_lo, s4
	v_mul_lo_u32 v1, v3, s16
	v_add_nc_u32_e32 v2, 1, v3
	s_clause 0x1
	s_load_b64 s[46:47], s[0:1], 0x1d0
	s_load_b64 s[48:49], s[0:1], 0xf0
	s_wait_dscnt 0x0
	s_barrier_signal -1
	s_barrier_wait -1
	s_load_b32 s17, s[14:15], 0xc
	v_mbcnt_lo_u32_b32 v9, -1, 0
	s_mul_u64 s[34:35], s[40:41], s[6:7]
	v_cmp_gt_u32_e64 s7, 32, v0
	v_sub_nc_u32_e32 v4, s40, v1
	s_bitcmp1_b32 s38, 0
	s_mul_u64 s[50:51], s[40:41], s[2:3]
	s_cselect_b32 s4, -1, 0
	v_add_max_u32_e64 v7, v0, 2, s36
	v_subrev_nc_u32_e32 v5, s16, v4
	v_cmp_le_u32_e32 vcc_lo, s16, v4
	s_xor_b32 s65, s4, -1
	s_movk_i32 s18, 0x1f0
	v_xad_u32 v16, v0, -1, v7
	v_dual_cndmask_b32 v2, v3, v2 :: v_dual_lshlrev_b32 v1, 2, v0
	v_cndmask_b32_e32 v3, v4, v5, vcc_lo
	v_mul_lo_u32 v14, s62, v0
	v_cmp_gt_u32_e64 s3, s36, v0
	v_cmp_gt_u32_e64 s6, 2, v0
	v_add_nc_u32_e32 v4, 1, v2
	v_cmp_le_u32_e32 vcc_lo, s16, v3
	v_mov_b32_e32 v15, v13
	s_wait_kmcnt 0x0
	s_and_b32 s41, s17, 0xffff
	v_cmp_eq_u32_e64 s2, 0, v9
	s_lshl_b32 s67, s41, 2
	v_cndmask_b32_e32 v4, v2, v4, vcc_lo
	v_lshlrev_b64_e64 v[2:3], v9, -1
	v_cmp_gt_i32_e32 vcc_lo, 4, v9
	v_dual_mov_b32 v21, 0 :: v_dual_add_nc_u32 v22, 0xc00, v1
	s_delay_alu instid0(VALU_DEP_4)
	v_mul_lo_u32 v6, v4, s16
	v_lshrrev_b32_e32 v5, 1, v0
	v_mul_lo_u32 v4, v4, s12
	s_and_b32 s66, s7, vcc_lo
	s_cmp_gt_u32 s36, 0x300
	s_cvt_f32_u32 s7, s67
	s_cselect_b32 s68, -1, 0
	s_cmp_gt_u32 s41, 31
	v_not_b32_e32 v8, v2
	s_cselect_b32 s69, -1, 0
	s_add_co_i32 s70, s41, -1
	v_sub_nc_u32_e32 v3, s40, v6
	v_and_or_b32 v23, v5, s18, 0xc00
	v_lshl_or_b32 v32, v9, 2, 0xc00
	v_dual_mov_b32 v26, 0 :: v_dual_mov_b32 v33, 0
	s_delay_alu instid0(VALU_DEP_4)
	v_mul_lo_u32 v3, v3, s13
	s_add_co_i32 s13, s70, s36
	s_cmp_lt_u32 s9, s8
	v_add_nc_u32_e32 v17, -2, v16
	s_cselect_b32 s38, 12, 18
	s_bfe_u32 s71, s17, 0xb0005
	s_mov_b32 s39, 0
	s_add_co_i32 s8, s71, -2
	s_mul_i32 s50, s62, s41
	s_lshr_b32 s9, s8, 1
	s_mov_b32 s79, s62
	v_add_nc_u32_e32 v12, v4, v3
	v_rcp_iflag_f32_e32 v3, s7
	s_add_co_i32 s9, s9, 1
	s_cmp_gt_u32 s41, 63
	v_lshrrev_b32_e32 v2, 1, v17
	s_cselect_b32 s72, -1, 0
	s_and_b32 s73, s71, 0x7fe
	s_and_b32 s74, s9, 7
	v_readfirstlane_b32 s7, v3
	s_cmp_gt_u32 s8, 13
	v_lshlrev_b64_e32 v[4:5], 2, v[12:13]
	s_cselect_b32 s75, -1, 0
	s_and_b32 s76, s9, -8
	s_mul_f32 s7, s7, 0x4f7ffffe
	s_cmp_lg_u32 s74, 0
	s_cvt_f32_u32 s9, s41
	s_cselect_b32 s77, -1, 0
	s_cmp_lg_u32 s73, s71
	s_cvt_u32_f32 s7, s7
	s_cselect_b32 s78, -1, 0
	s_sub_co_i32 s8, 0, s67
	v_rcp_iflag_f32_e32 v3, s9
	s_mul_i32 s8, s8, s7
	v_add_nc_u64_e32 v[6:7], s[10:11], v[4:5]
	s_mul_hi_u32 s8, s7, s8
	v_dual_mov_b32 v34, s37 :: v_dual_bitop2_b32 v4, 2, v1 bitop3:0x54
	s_add_co_i32 s52, s7, s8
	s_delay_alu instid0(TRANS32_DEP_1)
	v_readfirstlane_b32 s9, v3
	s_mul_hi_u32 s7, s36, s52
	v_lshl_add_u64 v[10:11], v[14:15], 2, v[6:7]
	s_mul_i32 s8, s7, s67
	v_and_b32_e32 v15, -2, v16
	s_sub_co_i32 s8, s36, s8
	s_mul_f32 s9, s9, 0x4f7ffffe
	s_sub_co_i32 s10, s8, s67
	s_cmp_ge_u32 s8, s67
	v_dual_mov_b32 v18, 1.0 :: v_dual_bitop2_b32 v5, 3, v1 bitop3:0x54
	s_cselect_b32 s8, s10, s8
	s_cvt_u32_f32 s9, s9
	s_sub_co_i32 s10, s8, s67
	s_cmp_ge_u32 s8, s67
	v_mul_lo_u32 v28, s62, v4
	s_cselect_b32 s16, s10, s8
	s_sub_co_i32 s10, 0, s41
	s_sub_co_i32 s80, s36, s16
	s_mul_i32 s10, s10, s9
	v_dual_add_nc_u32 v2, 1, v2 :: v_dual_add_nc_u32 v24, s80, v0
	s_mul_hi_u32 s10, s9, s10
	v_lshlrev_b32_e32 v31, 4, v0
	s_add_co_i32 s54, s9, s10
	s_delay_alu instid0(VALU_DEP_2)
	v_and_b32_e32 v3, 7, v2
	s_mul_hi_u32 s10, s13, s54
	v_and_b32_e32 v25, -8, v2
	s_mul_i32 s10, s10, s41
	v_add3_u32 v2, s41, s36, v0
	s_sub_co_i32 s11, s13, s10
	v_mul_lo_u32 v12, v24, s62
	s_sub_co_i32 s12, s11, s41
	s_cmp_ge_u32 s11, s41
	v_subrev_nc_u32_e32 v2, s16, v2
	s_cselect_b32 s17, s12, s11
	v_mul_lo_u32 v29, s62, v5
	s_sub_co_i32 s18, s17, s41
	s_cmp_ge_u32 s17, s41
	v_mul_lo_u32 v30, s62, v2
	s_cselect_b32 s17, s18, s17
	v_cmp_lt_u32_e64 s7, 31, v16
	s_sub_co_i32 s81, s13, s17
	v_cmp_lt_u32_e64 s8, 13, v17
	v_cmp_ne_u32_e64 s9, 0, v3
	v_cmp_ne_u32_e64 s10, v16, v15
	v_cmp_gt_u32_e64 s11, s80, v1
	v_cmp_gt_u32_e64 s12, s36, v24
	v_lshl_add_u64 v[16:17], v[12:13], 2, v[6:7]
	v_cmp_gt_u32_e64 s13, s81, v0
	v_lshlrev_b32_e32 v27, 3, v3
	s_mov_b32 s53, s39
	s_mov_b32 s55, s39
	s_lshl_b32 s82, s50, 2
	s_lshl_b32 s83, s41, 4
	s_mov_b32 s84, 30
	s_add_nc_u64 s[56:57], s[14:15], s[38:39]
	s_mov_b32 s85, 0
	s_mov_b32 s87, 0
                                        ; implicit-def: $sgpr86
                                        ; implicit-def: $sgpr90
                                        ; implicit-def: $sgpr89
                                        ; implicit-def: $sgpr91
                                        ; implicit-def: $sgpr88
                                        ; implicit-def: $sgpr95
                                        ; implicit-def: $sgpr96
                                        ; implicit-def: $sgpr92
                                        ; implicit-def: $sgpr94
                                        ; implicit-def: $sgpr93
	s_branch .LBB85_6
.LBB85_4:                               ;   in Loop: Header=BB85_6 Depth=1
	s_or_b32 exec_lo, exec_lo, s17
	v_mov_b32_e32 v34, v35
	s_and_not1_b32 s17, s93, exec_lo
	s_and_b32 s16, s16, exec_lo
	s_and_not1_b32 s94, s94, exec_lo
	s_or_b32 s93, s17, s16
	s_and_not1_b32 s92, s92, exec_lo
	s_and_not1_b32 s96, s96, exec_lo
	;; [unrolled: 1-line block ×3, first 2 shown]
	s_or_not1_b32 s17, s15, exec_lo
.LBB85_5:                               ;   in Loop: Header=BB85_6 Depth=1
	s_or_b32 exec_lo, exec_lo, s14
	s_delay_alu instid0(SALU_CYCLE_1) | instskip(NEXT) | instid1(SALU_CYCLE_1)
	s_and_b32 s14, exec_lo, s17
	s_or_b32 s85, s14, s85
	s_and_not1_b32 s14, s88, exec_lo
	s_and_b32 s15, s93, exec_lo
	s_and_not1_b32 s16, s91, exec_lo
	s_or_b32 s88, s14, s15
	s_and_b32 s14, s94, exec_lo
	s_and_not1_b32 s15, s89, exec_lo
	s_and_b32 s17, s92, exec_lo
	s_or_b32 s91, s16, s14
	s_or_b32 s89, s15, s17
	s_and_not1_b32 s14, s90, exec_lo
	s_and_b32 s15, s96, exec_lo
	s_and_not1_b32 s16, s86, exec_lo
	s_and_b32 s17, s95, exec_lo
	s_or_b32 s90, s14, s15
	s_or_b32 s86, s16, s17
	s_and_not1_b32 exec_lo, exec_lo, s85
	s_cbranch_execz .LBB85_427
.LBB85_6:                               ; =>This Loop Header: Depth=1
                                        ;     Child Loop BB85_12 Depth 2
                                        ;     Child Loop BB85_33 Depth 2
	;; [unrolled: 1-line block ×27, first 2 shown]
	ds_load_b64 v[2:3], v13 offset:4096
	s_wait_dscnt 0x0
	v_readfirstlane_b32 s38, v2
	s_cmp_lg_u32 s38, 0
	s_cbranch_scc1 .LBB85_52
; %bb.7:                                ;   in Loop: Header=BB85_6 Depth=1
	s_and_b32 vcc_lo, exec_lo, s68
	s_cbranch_vccz .LBB85_20
; %bb.8:                                ;   in Loop: Header=BB85_6 Depth=1
	v_cmp_gt_u32_e32 vcc_lo, 0x301, v3
	s_mov_b32 s16, 0
	s_mov_b32 s14, 0
	s_cbranch_vccz .LBB85_21
; %bb.9:                                ;   in Loop: Header=BB85_6 Depth=1
	s_and_saveexec_b32 s17, s3
	s_cbranch_execz .LBB85_27
; %bb.10:                               ;   in Loop: Header=BB85_6 Depth=1
	global_load_b32 v3, v[10:11], off
	s_load_u16 s18, s[56:57], 0x0
	s_mov_b32 s20, 0
	s_wait_kmcnt 0x0
	v_dual_mov_b32 v4, v0 :: v_dual_add_nc_u32 v2, s18, v0
	s_mul_i32 s19, s62, s18
	s_delay_alu instid0(VALU_DEP_1)
	v_mul_lo_u32 v2, s62, v2
	s_branch .LBB85_12
.LBB85_11:                              ;   in Loop: Header=BB85_12 Depth=2
	s_or_b32 exec_lo, exec_lo, s15
	v_dual_mov_b32 v3, v5 :: v_dual_add_nc_u32 v2, s19, v2
	s_and_not1_b32 exec_lo, exec_lo, s20
	s_cbranch_execz .LBB85_27
.LBB85_12:                              ;   Parent Loop BB85_6 Depth=1
                                        ; =>  This Inner Loop Header: Depth=2
	s_wait_dscnt 0x0
	v_dual_add_nc_u32 v4, s18, v4 :: v_dual_mov_b32 v12, 0
	v_mov_b32_e32 v5, 0
	s_mov_b32 s15, exec_lo
	s_delay_alu instid0(VALU_DEP_2)
	v_cmp_le_u32_e32 vcc_lo, s36, v4
	v_cmpx_gt_u32_e64 s36, v4
	s_cbranch_execz .LBB85_14
; %bb.13:                               ;   in Loop: Header=BB85_12 Depth=2
	v_readfirstlane_b32 s22, v6
	v_readfirstlane_b32 s23, v7
	global_load_b32 v5, v2, s[22:23] scale_offset
.LBB85_14:                              ;   in Loop: Header=BB85_12 Depth=2
	s_wait_xcnt 0x0
	s_or_b32 exec_lo, exec_lo, s15
	s_wait_loadcnt 0x0
	v_cmp_lt_i32_e64 s14, -1, v3
	s_delay_alu instid0(VALU_DEP_1) | instskip(SKIP_1) | instid1(VALU_DEP_2)
	v_cndmask_b32_e64 v19, -1, 0x80000000, s14
	v_cmp_o_f32_e64 s14, v3, v3
	v_xor_b32_e32 v19, v19, v3
	s_delay_alu instid0(VALU_DEP_1) | instskip(NEXT) | instid1(VALU_DEP_1)
	v_cndmask_b32_e64 v19, -1, v19, s14
	v_and_b32_e32 v19, v19, v33
	s_delay_alu instid0(VALU_DEP_1) | instskip(SKIP_2) | instid1(SALU_CYCLE_1)
	v_cmp_eq_u32_e64 s14, v19, v26
	s_cmp_lg_u32 s14, 0
	s_cselect_b32 s15, -1, 0
	s_and_b32 s15, s2, s15
	s_delay_alu instid0(SALU_CYCLE_1)
	s_and_saveexec_b32 s21, s15
	s_cbranch_execz .LBB85_18
; %bb.15:                               ;   in Loop: Header=BB85_12 Depth=2
	s_mov_b32 s24, exec_lo
	s_bcnt1_i32_b32 s22, s14
	v_mbcnt_lo_u32_b32 v12, s24, 0
	s_mov_b32 s23, exec_lo
                                        ; implicit-def: $vgpr19
	s_delay_alu instid0(VALU_DEP_1)
	v_cmpx_eq_u32_e32 0, v12
; %bb.16:                               ;   in Loop: Header=BB85_12 Depth=2
	s_bcnt1_i32_b32 s15, s24
	s_delay_alu instid0(SALU_CYCLE_1) | instskip(NEXT) | instid1(SALU_CYCLE_1)
	s_mul_i32 s15, s22, s15
	v_mov_b32_e32 v19, s15
	ds_add_rtn_u32 v19, v13, v19 offset:4104
; %bb.17:                               ;   in Loop: Header=BB85_12 Depth=2
	s_or_b32 exec_lo, exec_lo, s23
	s_wait_dscnt 0x0
	v_readfirstlane_b32 s15, v19
	s_delay_alu instid0(VALU_DEP_1)
	v_mad_u32_u24 v12, s22, v12, s15
.LBB85_18:                              ;   in Loop: Header=BB85_12 Depth=2
	s_or_b32 exec_lo, exec_lo, s21
	ds_bpermute_b32 v12, v13, v12
	s_and_b32 s15, exec_lo, vcc_lo
	s_delay_alu instid0(SALU_CYCLE_1)
	s_or_b32 s20, s15, s20
	s_and_saveexec_b32 s15, s14
	s_cbranch_execz .LBB85_11
; %bb.19:                               ;   in Loop: Header=BB85_12 Depth=2
	v_and_b32_e32 v19, s14, v8
	s_delay_alu instid0(VALU_DEP_1) | instskip(NEXT) | instid1(VALU_DEP_1)
	v_bcnt_u32_b32 v19, v19, 0
	v_lshlrev_b32_e32 v19, 2, v19
	s_wait_dscnt 0x0
	s_delay_alu instid0(VALU_DEP_1)
	v_lshl_add_u32 v12, v12, 2, v19
	ds_store_b32 v12, v3
	s_branch .LBB85_11
.LBB85_20:                              ;   in Loop: Header=BB85_6 Depth=1
	s_mov_b32 s16, -1
	s_mov_b32 s14, 0
.LBB85_21:                              ;   in Loop: Header=BB85_6 Depth=1
	s_and_b32 vcc_lo, exec_lo, s16
	s_cbranch_vccz .LBB85_50
.LBB85_22:                              ;   in Loop: Header=BB85_6 Depth=1
	s_and_saveexec_b32 s15, s3
	s_cbranch_execz .LBB85_47
; %bb.23:                               ;   in Loop: Header=BB85_6 Depth=1
	global_load_b32 v19, v[10:11], off
	s_load_u16 s17, s[56:57], 0x0
	s_mov_b32 s16, exec_lo
	s_wait_kmcnt 0x0
	v_dual_mov_b32 v4, v0 :: v_dual_add_nc_u32 v2, s17, v0
	s_delay_alu instid0(VALU_DEP_1)
	v_cmpx_gt_u32_e64 s36, v2
	s_cbranch_execz .LBB85_46
; %bb.24:                               ;   in Loop: Header=BB85_6 Depth=1
	s_mov_b32 s14, 0
	s_mul_i32 s18, s62, s17
                                        ; implicit-def: $vgpr4
                                        ; implicit-def: $vgpr12
                                        ; implicit-def: $vgpr3
                                        ; implicit-def: $vgpr5
	s_and_saveexec_b32 s19, s7
	s_delay_alu instid0(SALU_CYCLE_1)
	s_xor_b32 s19, exec_lo, s19
	s_cbranch_execnz .LBB85_30
; %bb.25:                               ;   in Loop: Header=BB85_6 Depth=1
	s_and_not1_saveexec_b32 s19, s19
	s_cbranch_execnz .LBB85_41
.LBB85_26:                              ;   in Loop: Header=BB85_6 Depth=1
	s_or_b32 exec_lo, exec_lo, s19
	s_and_saveexec_b32 s18, s14
	s_cbranch_execnz .LBB85_42
	s_branch .LBB85_45
.LBB85_27:                              ;   in Loop: Header=BB85_6 Depth=1
	s_or_b32 exec_lo, exec_lo, s17
	s_wait_dscnt 0x0
	s_barrier_signal -1
	s_barrier_wait -1
	s_and_saveexec_b32 s14, s5
	s_cbranch_execz .LBB85_29
; %bb.28:                               ;   in Loop: Header=BB85_6 Depth=1
	ds_load_b32 v2, v13 offset:4104
	s_wait_dscnt 0x0
	ds_store_b32 v13, v2 offset:4096
.LBB85_29:                              ;   in Loop: Header=BB85_6 Depth=1
	s_or_b32 exec_lo, exec_lo, s14
	s_wait_dscnt 0x0
	s_barrier_signal -1
	s_mov_b32 s14, -1
	s_barrier_wait -1
	s_and_b32 vcc_lo, exec_lo, s16
	s_cbranch_vccnz .LBB85_22
	s_branch .LBB85_50
.LBB85_30:                              ;   in Loop: Header=BB85_6 Depth=1
	s_cvt_f32_u32 s14, s17
	v_add_max_u32_e64 v3, v2, s17, s36
	s_delay_alu instid0(SALU_CYCLE_2) | instskip(SKIP_1) | instid1(VALU_DEP_1)
	v_rcp_iflag_f32_e32 v4, s14
	s_lshl_b32 s14, s17, 1
	v_sub_nc_u32_e32 v3, v3, v0
	s_delay_alu instid0(VALU_DEP_1) | instskip(NEXT) | instid1(TRANS32_DEP_1)
	v_cmp_ne_u32_e32 vcc_lo, s14, v3
	v_readfirstlane_b32 s20, v4
	v_cndmask_b32_e64 v4, 0, 1, vcc_lo
	s_mul_f32 s20, s20, 0x4f7ffffe
	s_delay_alu instid0(VALU_DEP_1) | instskip(NEXT) | instid1(SALU_CYCLE_2)
	v_or_b32_e32 v4, s14, v4
	s_cvt_u32_f32 s14, s20
	s_sub_co_i32 s20, 0, s17
	s_delay_alu instid0(SALU_CYCLE_2) | instskip(NEXT) | instid1(VALU_DEP_1)
	s_mul_i32 s20, s20, s14
	v_sub_nc_u32_e32 v3, v3, v4
	s_mul_hi_u32 s20, s14, s20
	s_delay_alu instid0(SALU_CYCLE_1)
	s_add_co_i32 s14, s14, s20
	s_delay_alu instid0(VALU_DEP_1) | instid1(SALU_CYCLE_1)
	v_mul_hi_u32 v4, v3, s14
	s_delay_alu instid0(VALU_DEP_1) | instskip(NEXT) | instid1(VALU_DEP_1)
	v_mul_lo_u32 v5, v4, s17
	v_dual_sub_nc_u32 v3, v3, v5 :: v_dual_add_nc_u32 v5, 1, v4
	s_delay_alu instid0(VALU_DEP_1) | instskip(SKIP_1) | instid1(VALU_DEP_1)
	v_subrev_nc_u32_e32 v12, s17, v3
	v_cmp_le_u32_e64 s14, s17, v3
	v_dual_cndmask_b32 v4, v4, v5, s14 :: v_dual_cndmask_b32 v3, v3, v12, s14
	s_delay_alu instid0(VALU_DEP_1) | instskip(NEXT) | instid1(VALU_DEP_2)
	v_add_nc_u32_e32 v5, 1, v4
	v_cmp_le_u32_e64 s14, s17, v3
	s_delay_alu instid0(VALU_DEP_1) | instskip(SKIP_2) | instid1(VALU_DEP_2)
	v_cndmask_b32_e64 v3, v4, v5, s14
	v_mul_lo_u32 v4, s62, v2
	s_abs_i32 s14, s18
	v_add_co_ci_u32_e64 v3, null, 0, v3, vcc_lo
	s_delay_alu instid0(VALU_DEP_1) | instskip(SKIP_2) | instid1(SALU_CYCLE_1)
	v_mul_hi_u32 v5, s14, v3
	v_mul_lo_u32 v3, s14, v3
	s_not_b32 s14, s18
	s_ashr_i32 s14, s14, 31
	s_cmp_eq_u32 s17, 1
	s_delay_alu instid0(VALU_DEP_4) | instskip(SKIP_1) | instid1(VALU_DEP_3)
	v_xor_b32_e32 v4, s14, v4
	s_cselect_b32 s20, -1, 0
	v_cmp_eq_u32_e32 vcc_lo, 0, v5
	s_delay_alu instid0(VALU_DEP_2) | instskip(SKIP_2) | instid1(SALU_CYCLE_1)
	v_cmp_le_u32_e64 s14, v3, v4
	v_mov_b32_e32 v3, v0
                                        ; implicit-def: $vgpr4
	s_and_b32 s20, vcc_lo, s20
	s_and_b32 s21, s20, s14
	s_mov_b32 s20, -1
	s_and_saveexec_b32 s14, s21
	s_cbranch_execz .LBB85_40
; %bb.31:                               ;   in Loop: Header=BB85_6 Depth=1
	v_dual_mov_b32 v12, 0 :: v_dual_add_nc_u32 v3, 1, v2
	s_delay_alu instid0(VALU_DEP_1)
	v_mov_b64_e32 v[4:5], v[2:3]
	s_and_saveexec_b32 s20, s8
	s_cbranch_execz .LBB85_35
; %bb.32:                               ;   in Loop: Header=BB85_6 Depth=1
	v_mov_b64_e32 v[4:5], v[2:3]
	v_dual_mov_b32 v20, v25 :: v_dual_mov_b32 v35, v1
	s_mov_b32 s21, 0
	s_mov_b32 s22, 0
.LBB85_33:                              ;   Parent Loop BB85_6 Depth=1
                                        ; =>  This Inner Loop Header: Depth=2
	s_delay_alu instid0(VALU_DEP_2) | instskip(NEXT) | instid1(VALU_DEP_3)
	v_mul_lo_u32 v12, v4, s62
	v_dual_add_nc_u32 v40, 4, v4 :: v_dual_add_nc_u32 v44, 4, v5
	v_dual_mov_b32 v41, v13 :: v_dual_add_nc_u32 v48, 6, v4
	v_dual_mov_b32 v49, v13 :: v_dual_add_nc_u32 v38, 2, v5
	v_dual_mov_b32 v39, v13 :: v_dual_add_nc_u32 v50, 6, v5
	v_dual_mov_b32 v45, v13 :: v_dual_add_nc_u32 v56, 10, v5
	v_mov_b32_e32 v51, v13
	v_lshl_add_u64 v[36:37], v[12:13], 2, v[6:7]
	v_dual_add_nc_u32 v12, 2, v4 :: v_dual_add_nc_u32 v62, 12, v4
	v_dual_add_nc_u32 v60, 12, v5 :: v_dual_add_nc_u32 v61, 14, v5
	v_mov_b32_e32 v57, v13
	global_load_b32 v3, v[36:37], off
	s_wait_xcnt 0x0
	v_mov_b32_e32 v37, v13
	v_mul_lo_u32 v12, v12, s62
	v_mul_lo_u32 v36, v5, s79
	;; [unrolled: 1-line block ×3, first 2 shown]
	v_dual_mov_b32 v55, v13 :: v_dual_add_nc_u32 v63, 14, v4
	v_add_nc_u32_e32 v20, -8, v20
	s_add_co_i32 s22, s22, 16
	v_dual_add_nc_u32 v54, 8, v5 :: v_dual_add_nc_u32 v5, 16, v5
	s_delay_alu instid0(VALU_DEP_2)
	v_cmp_eq_u32_e32 vcc_lo, 0, v20
	v_lshl_add_u64 v[42:43], v[12:13], 2, v[6:7]
	v_mul_lo_u32 v12, v40, s62
	v_add_nc_u32_e32 v40, 8, v4
	v_lshl_add_u64 v[36:37], v[36:37], 2, v[6:7]
	s_or_b32 s21, vcc_lo, s21
	s_delay_alu instid0(VALU_DEP_3) | instskip(SKIP_2) | instid1(VALU_DEP_2)
	v_lshl_add_u64 v[46:47], v[12:13], 2, v[6:7]
	v_mul_lo_u32 v12, v48, s62
	v_dual_add_nc_u32 v48, 10, v4 :: v_dual_add_nc_u32 v4, 16, v4
	v_lshl_add_u64 v[52:53], v[12:13], 2, v[6:7]
	v_mul_lo_u32 v12, v40, s62
	v_mul_lo_u32 v40, v44, s79
	;; [unrolled: 1-line block ×5, first 2 shown]
	v_lshl_add_u64 v[58:59], v[12:13], 2, v[6:7]
	v_mul_lo_u32 v12, v48, s62
	v_mul_lo_u32 v48, v54, s79
	;; [unrolled: 1-line block ×3, first 2 shown]
	s_delay_alu instid0(VALU_DEP_3)
	v_lshl_add_u64 v[60:61], v[12:13], 2, v[6:7]
	v_mul_lo_u32 v12, v62, s62
	global_load_b32 v62, v[36:37], off
	s_wait_xcnt 0x0
	v_lshl_add_u64 v[36:37], v[38:39], 2, v[6:7]
	v_lshl_add_u64 v[38:39], v[40:41], 2, v[6:7]
	;; [unrolled: 1-line block ×7, first 2 shown]
	s_clause 0x8
	global_load_b32 v42, v[42:43], off
	global_load_b32 v43, v[36:37], off
	;; [unrolled: 1-line block ×9, first 2 shown]
	v_lshl_add_u64 v[56:57], v[12:13], 2, v[6:7]
	v_mul_lo_u32 v12, v63, s62
	s_delay_alu instid0(VALU_DEP_1)
	v_lshl_add_u64 v[36:37], v[12:13], 2, v[6:7]
	s_clause 0x3
	global_load_b32 v47, v[48:49], off
	global_load_b32 v48, v[56:57], off
	;; [unrolled: 1-line block ×4, first 2 shown]
	v_mov_b32_e32 v12, s22
	s_wait_loadcnt 0xe
	ds_store_2addr_b32 v35, v19, v3 offset1:1
	global_load_b32 v19, v[54:55], off
	s_wait_loadcnt 0xd
	ds_store_2addr_b32 v35, v62, v42 offset0:2 offset1:3
	s_wait_loadcnt 0xb
	ds_store_2addr_b32 v35, v43, v46 offset0:4 offset1:5
	;; [unrolled: 2-line block ×7, first 2 shown]
	v_add_nc_u32_e32 v35, 64, v35
	s_wait_xcnt 0x0
	s_and_not1_b32 exec_lo, exec_lo, s21
	s_cbranch_execnz .LBB85_33
; %bb.34:                               ;   in Loop: Header=BB85_6 Depth=1
	s_or_b32 exec_lo, exec_lo, s21
.LBB85_35:                              ;   in Loop: Header=BB85_6 Depth=1
	s_delay_alu instid0(SALU_CYCLE_1)
	s_or_b32 exec_lo, exec_lo, s20
	s_and_saveexec_b32 s20, s9
	s_cbranch_execz .LBB85_39
; %bb.36:                               ;   in Loop: Header=BB85_6 Depth=1
	v_lshl_add_u32 v3, v12, 2, v1
	v_mov_b32_e32 v20, v27
	s_mov_b32 s21, 0
.LBB85_37:                              ;   Parent Loop BB85_6 Depth=1
                                        ; =>  This Inner Loop Header: Depth=2
	v_mul_lo_u32 v12, v4, s62
	v_mul_lo_u32 v36, v5, s79
	s_delay_alu instid0(VALU_DEP_3) | instskip(SKIP_1) | instid1(VALU_DEP_2)
	v_dual_mov_b32 v37, v13 :: v_dual_add_nc_u32 v20, -8, v20
	v_dual_add_nc_u32 v5, 2, v5 :: v_dual_add_nc_u32 v4, 2, v4
	v_cmp_eq_u32_e32 vcc_lo, 0, v20
	v_lshl_add_u64 v[38:39], v[12:13], 2, v[6:7]
	s_delay_alu instid0(VALU_DEP_4)
	v_lshl_add_u64 v[36:37], v[36:37], 2, v[6:7]
	s_or_b32 s21, vcc_lo, s21
	s_clause 0x1
	global_load_b32 v35, v[38:39], off
	global_load_b32 v12, v[36:37], off
	s_wait_loadcnt 0x1
	ds_store_2addr_b32 v3, v19, v35 offset1:1
	s_wait_loadcnt 0x0
	v_dual_add_nc_u32 v3, 8, v3 :: v_dual_mov_b32 v19, v12
	s_and_not1_b32 exec_lo, exec_lo, s21
	s_cbranch_execnz .LBB85_37
; %bb.38:                               ;   in Loop: Header=BB85_6 Depth=1
	s_or_b32 exec_lo, exec_lo, s21
	v_mov_b32_e32 v19, v12
.LBB85_39:                              ;   in Loop: Header=BB85_6 Depth=1
	s_or_b32 exec_lo, exec_lo, s20
	v_dual_add_nc_u32 v2, v2, v15 :: v_dual_add_nc_u32 v3, v0, v15
	s_or_not1_b32 s20, s10, exec_lo
	s_delay_alu instid0(VALU_DEP_1)
	v_add_nc_u32_e32 v4, -1, v2
.LBB85_40:                              ;   in Loop: Header=BB85_6 Depth=1
	s_or_b32 exec_lo, exec_lo, s14
	s_wait_loadcnt 0x0
	v_dual_mov_b32 v5, s18 :: v_dual_mov_b32 v12, v19
	s_and_b32 s14, s20, exec_lo
	s_and_not1_saveexec_b32 s19, s19
	s_cbranch_execz .LBB85_26
.LBB85_41:                              ;   in Loop: Header=BB85_6 Depth=1
	s_wait_loadcnt 0x0
	v_dual_mov_b32 v5, s18 :: v_dual_mov_b32 v12, v19
	v_mov_b32_e32 v3, v0
	s_or_b32 s14, s14, exec_lo
	s_or_b32 exec_lo, exec_lo, s19
	s_and_saveexec_b32 s18, s14
	s_cbranch_execz .LBB85_45
.LBB85_42:                              ;   in Loop: Header=BB85_6 Depth=1
	v_mul_lo_u32 v4, s62, v2
	s_mov_b32 s19, 0
	s_sub_co_i32 s14, 0, s17
.LBB85_43:                              ;   Parent Loop BB85_6 Depth=1
                                        ; =>  This Inner Loop Header: Depth=2
	v_readfirstlane_b32 s20, v6
	v_readfirstlane_b32 s21, v7
	v_dual_mov_b32 v20, v2 :: v_dual_lshlrev_b32 v3, 2, v3
	s_wait_loadcnt 0x0
	global_load_b32 v19, v4, s[20:21] scale_offset
	s_wait_xcnt 0x0
	v_dual_add_nc_u32 v2, s17, v20 :: v_dual_add_nc_u32 v4, v4, v5
	ds_store_b32 v3, v12
	v_mov_b32_e32 v3, v20
	v_cmp_le_u32_e32 vcc_lo, s36, v2
	s_or_b32 s19, vcc_lo, s19
	s_wait_loadcnt 0x0
	v_mov_b32_e32 v12, v19
	s_and_not1_b32 exec_lo, exec_lo, s19
	s_cbranch_execnz .LBB85_43
; %bb.44:                               ;   in Loop: Header=BB85_6 Depth=1
	s_or_b32 exec_lo, exec_lo, s19
	v_add_nc_u32_e32 v4, s14, v2
.LBB85_45:                              ;   in Loop: Header=BB85_6 Depth=1
	s_or_b32 exec_lo, exec_lo, s18
.LBB85_46:                              ;   in Loop: Header=BB85_6 Depth=1
	s_delay_alu instid0(SALU_CYCLE_1) | instskip(NEXT) | instid1(VALU_DEP_1)
	s_or_b32 exec_lo, exec_lo, s16
	v_lshlrev_b32_e32 v2, 2, v4
	s_wait_loadcnt 0x0
	ds_store_b32 v2, v19
.LBB85_47:                              ;   in Loop: Header=BB85_6 Depth=1
	s_or_b32 exec_lo, exec_lo, s15
	s_wait_dscnt 0x0
	s_barrier_signal -1
	s_barrier_wait -1
	s_and_saveexec_b32 s14, s5
; %bb.48:                               ;   in Loop: Header=BB85_6 Depth=1
	v_mov_b32_e32 v2, s36
	ds_store_b32 v13, v2 offset:4096
; %bb.49:                               ;   in Loop: Header=BB85_6 Depth=1
	s_or_b32 exec_lo, exec_lo, s14
	s_mov_b32 s14, -1
	s_wait_dscnt 0x0
	s_barrier_signal -1
	s_barrier_wait -1
.LBB85_50:                              ;   in Loop: Header=BB85_6 Depth=1
	s_and_b32 vcc_lo, exec_lo, s14
	s_mov_b32 s38, 0
	s_cbranch_vccz .LBB85_52
; %bb.51:                               ;   in Loop: Header=BB85_6 Depth=1
	ds_load_b32 v2, v13 offset:4096
	s_wait_dscnt 0x0
	v_readfirstlane_b32 s38, v2
.LBB85_52:                              ;   in Loop: Header=BB85_6 Depth=1
	s_delay_alu instid0(VALU_DEP_1)
	s_cmp_lt_i32 s38, 1
	s_mov_b32 s14, -1
                                        ; implicit-def: $vgpr4_vgpr5
	s_cbranch_scc1 .LBB85_65
; %bb.53:                               ;   in Loop: Header=BB85_6 Depth=1
	s_and_b32 vcc_lo, exec_lo, s14
	s_cbranch_vccnz .LBB85_76
.LBB85_54:                              ;   in Loop: Header=BB85_6 Depth=1
	s_lshl_b32 s16, s87, 7
	s_and_saveexec_b32 s14, s2
.LBB85_55:                              ;   in Loop: Header=BB85_6 Depth=1
	v_lshl_add_u32 v12, s16, 2, v23
	ds_store_b128 v12, v[2:5]
.LBB85_56:                              ;   in Loop: Header=BB85_6 Depth=1
	s_or_b32 exec_lo, exec_lo, s14
	s_wait_dscnt 0x0
	s_barrier_signal -1
	s_barrier_wait -1
	s_and_saveexec_b32 s17, s66
	s_cbranch_execz .LBB85_89
; %bb.57:                               ;   in Loop: Header=BB85_6 Depth=1
	v_dual_add_nc_u32 v4, s16, v9 :: v_dual_mov_b32 v2, 0
	s_and_not1_b32 vcc_lo, exec_lo, s69
	s_cbranch_vccnz .LBB85_88
; %bb.58:                               ;   in Loop: Header=BB85_6 Depth=1
	s_and_not1_b32 vcc_lo, exec_lo, s72
	s_cbranch_vccnz .LBB85_85
; %bb.59:                               ;   in Loop: Header=BB85_6 Depth=1
	v_lshl_add_u32 v5, v4, 2, 0xc00
	s_and_not1_b32 vcc_lo, exec_lo, s75
	s_cbranch_vccnz .LBB85_115
; %bb.60:                               ;   in Loop: Header=BB85_6 Depth=1
	v_dual_mov_b32 v2, 0 :: v_dual_mov_b32 v3, 0
	s_mov_b32 s15, 1
	s_mov_b32 s14, 0
	;; [unrolled: 1-line block ×3, first 2 shown]
.LBB85_61:                              ;   Parent Loop BB85_6 Depth=1
                                        ; =>  This Inner Loop Header: Depth=2
	v_lshl_add_u32 v12, s15, 4, v5
	v_lshl_add_u32 v19, s14, 4, v5
	s_add_co_i32 s18, s18, -8
	s_add_co_i32 s15, s15, 16
	s_add_co_i32 s14, s14, 16
	ds_load_2addr_b32 v[36:37], v12 offset1:8
	ds_load_2addr_b32 v[38:39], v19 offset1:8
	ds_load_2addr_b32 v[40:41], v12 offset0:16 offset1:24
	ds_load_2addr_b32 v[42:43], v19 offset0:16 offset1:24
	;; [unrolled: 1-line block ×6, first 2 shown]
	s_cmp_lg_u32 s18, 0
	s_wait_dscnt 0x7
	v_add3_u32 v3, v36, v3, v37
	s_wait_dscnt 0x6
	v_add3_u32 v2, v38, v2, v39
	s_wait_dscnt 0x5
	s_delay_alu instid0(VALU_DEP_2) | instskip(SKIP_1) | instid1(VALU_DEP_2)
	v_add3_u32 v3, v40, v3, v41
	s_wait_dscnt 0x4
	v_add3_u32 v2, v42, v2, v43
	s_wait_dscnt 0x3
	s_delay_alu instid0(VALU_DEP_2) | instskip(SKIP_1) | instid1(VALU_DEP_2)
	;; [unrolled: 5-line block ×3, first 2 shown]
	v_add3_u32 v3, v48, v3, v49
	s_wait_dscnt 0x0
	v_add3_u32 v2, v50, v2, v51
	s_cbranch_scc1 .LBB85_61
; %bb.62:                               ;   in Loop: Header=BB85_6 Depth=1
	s_and_not1_b32 vcc_lo, exec_lo, s77
	s_mov_b32 s18, s74
	s_cbranch_vccnz .LBB85_64
.LBB85_63:                              ;   Parent Loop BB85_6 Depth=1
                                        ; =>  This Inner Loop Header: Depth=2
	v_lshl_add_u32 v12, s15, 4, v5
	v_lshl_add_u32 v19, s14, 4, v5
	s_add_co_i32 s18, s18, -1
	s_add_co_i32 s15, s15, 2
	s_add_co_i32 s14, s14, 2
	ds_load_b32 v12, v12
	ds_load_b32 v19, v19
	s_cmp_lg_u32 s18, 0
	s_wait_dscnt 0x0
	v_dual_add_nc_u32 v3, v12, v3 :: v_dual_add_nc_u32 v2, v19, v2
	s_cbranch_scc1 .LBB85_63
.LBB85_64:                              ;   in Loop: Header=BB85_6 Depth=1
	s_delay_alu instid0(VALU_DEP_1) | instskip(SKIP_2) | instid1(SALU_CYCLE_1)
	v_add_nc_u32_e32 v2, v2, v3
	s_mov_b32 s14, s73
	s_mov_b32 s15, s78
	s_and_b32 vcc_lo, exec_lo, s15
	s_cbranch_vccnz .LBB85_86
	s_branch .LBB85_88
.LBB85_65:                              ;   in Loop: Header=BB85_6 Depth=1
	v_mov_b64_e32 v[4:5], 0
	v_mov_b64_e32 v[2:3], 0
	s_and_saveexec_b32 s34, s11
	s_cbranch_execz .LBB85_69
; %bb.66:                               ;   in Loop: Header=BB85_6 Depth=1
	v_mov_b32_e32 v12, v1
	s_mov_b32 s97, 0
	s_mov_b32 s98, 0
	;; [unrolled: 1-line block ×6, first 2 shown]
.LBB85_67:                              ;   Parent Loop BB85_6 Depth=1
                                        ; =>  This Inner Loop Header: Depth=2
	v_dual_lshlrev_b32 v2, 2, v14 :: v_dual_add_nc_u32 v4, s98, v28
	v_mad_u32 v3, s62, v1, s62
	v_readfirstlane_b32 s14, v6
	v_readfirstlane_b32 s15, v7
	s_delay_alu instid0(VALU_DEP_4)
	v_dual_add_nc_u32 v5, s98, v29 :: v_dual_add_nc_u32 v2, s98, v2
	v_add_nc_u32_e32 v12, s67, v12
	global_load_b32 v2, v2, s[14:15] scale_offset
	v_cmp_le_u32_e32 vcc_lo, s80, v12
	v_add_nc_u32_e32 v3, s98, v3
	s_clause 0x2
	global_load_b32 v3, v3, s[14:15] scale_offset
	global_load_b32 v4, v4, s[14:15] scale_offset
	;; [unrolled: 1-line block ×3, first 2 shown]
	s_add_co_i32 s98, s98, s82
	s_wait_loadcnt 0x3
	s_wait_xcnt 0x0
	v_cmp_lt_i32_e64 s14, -1, v2
	s_wait_loadcnt 0x2
	v_cmp_lt_i32_e64 s15, -1, v3
	s_delay_alu instid0(VALU_DEP_2) | instskip(SKIP_3) | instid1(VALU_DEP_3)
	v_cndmask_b32_e64 v19, -1, 0x80000000, s14
	v_cmp_o_f32_e64 s14, v2, v2
	s_wait_loadcnt 0x0
	v_cmp_o_f32_e64 s16, v5, v5
	v_xor_b32_e32 v19, v19, v2
	v_cndmask_b32_e64 v2, -1, 0x80000000, s15
	v_cmp_lt_i32_e64 s15, -1, v4
	s_delay_alu instid0(VALU_DEP_1) | instskip(SKIP_3) | instid1(VALU_DEP_3)
	v_cndmask_b32_e64 v20, -1, 0x80000000, s15
	v_cmp_lt_i32_e64 s15, -1, v5
	v_cndmask_b32_e64 v19, -1, v19, s14
	v_cmp_o_f32_e64 s14, v3, v3
	v_cndmask_b32_e64 v35, -1, 0x80000000, s15
	v_cmp_o_f32_e64 s15, v4, v4
	v_xor_b32_e32 v2, v2, v3
	v_xor_b32_e32 v3, v20, v4
	s_delay_alu instid0(VALU_DEP_4) | instskip(SKIP_2) | instid1(VALU_DEP_4)
	v_xor_b32_e32 v4, v35, v5
	v_and_b32_e32 v5, v19, v33
	v_bfe_u32 v19, v19, s84, 2
	v_dual_cndmask_b32 v3, -1, v3, s15 :: v_dual_cndmask_b32 v2, -1, v2, s14
	s_delay_alu instid0(VALU_DEP_4) | instskip(NEXT) | instid1(VALU_DEP_4)
	v_cndmask_b32_e64 v4, -1, v4, s16
	v_cmp_eq_u32_e64 s14, v5, v26
	s_delay_alu instid0(VALU_DEP_4)
	v_cmp_eq_u32_e64 s15, 0, v19
	v_cmp_eq_u32_e64 s16, 1, v19
	;; [unrolled: 1-line block ×4, first 2 shown]
	v_and_b32_e32 v5, v2, v33
	s_and_b32 s15, s14, s15
	v_bfe_u32 v2, v2, s84, 2
	v_cndmask_b32_e64 v35, 0, 1, s15
	s_and_b32 s15, s14, s16
	v_and_b32_e32 v19, v3, v33
	v_bfe_u32 v3, v3, s84, 2
	v_cndmask_b32_e64 v36, 0, 1, s15
	s_and_b32 s15, s14, s17
	s_and_b32 s14, s14, s18
	v_and_b32_e32 v20, v4, v33
	v_bfe_u32 v4, v4, s84, 2
	v_cndmask_b32_e64 v38, 0, 1, s14
	v_cmp_eq_u32_e64 s14, v5, v26
	v_cmp_eq_u32_e64 s17, 0, v2
	v_cndmask_b32_e64 v37, 0, 1, s15
	v_cmp_eq_u32_e64 s15, v19, v26
	v_cmp_eq_u32_e64 s18, 0, v3
	;; [unrolled: 1-line block ×4, first 2 shown]
	s_and_b32 s17, s14, s17
	v_cmp_eq_u32_e64 s20, 1, v2
	v_cmp_eq_u32_e64 s23, 2, v2
	v_cmp_eq_u32_e64 s26, 3, v2
	v_cndmask_b32_e64 v2, 0, 1, s17
	s_and_b32 s17, s15, s18
	v_cmp_eq_u32_e64 s21, 1, v3
	v_cmp_eq_u32_e64 s24, 2, v3
	v_cmp_eq_u32_e64 s27, 3, v3
	v_cndmask_b32_e64 v3, 0, 1, s17
	;; [unrolled: 5-line block ×3, first 2 shown]
	s_and_b32 s17, s14, s20
	v_cmp_ne_u32_e64 s29, 0, v35
	v_cndmask_b32_e64 v5, 0, 1, s17
	s_and_b32 s17, s15, s21
	v_cmp_ne_u32_e64 s33, 0, v38
	v_cndmask_b32_e64 v19, 0, 1, s17
	;; [unrolled: 3-line block ×3, first 2 shown]
	s_and_b32 s17, s14, s23
	s_and_b32 s14, s14, s26
	v_cndmask_b32_e64 v35, 0, 1, s17
	s_and_b32 s17, s15, s24
	v_cndmask_b32_e64 v38, 0, 1, s14
	;; [unrolled: 2-line block ×4, first 2 shown]
	s_and_b32 s14, s16, s28
	v_cmp_ne_u32_e64 s31, 0, v37
	v_cndmask_b32_e64 v37, 0, 1, s17
	v_cndmask_b32_e64 v40, 0, 1, s14
	v_cmp_ne_u32_e64 s14, 0, v2
	v_cmp_ne_u32_e64 s17, 0, v5
	;; [unrolled: 1-line block ×8, first 2 shown]
	s_bcnt1_i32_b32 s26, s29
	s_bcnt1_i32_b32 s27, s30
	;; [unrolled: 1-line block ×4, first 2 shown]
	v_cmp_ne_u32_e64 s16, 0, v4
	v_cmp_ne_u32_e64 s19, 0, v20
	;; [unrolled: 1-line block ×4, first 2 shown]
	s_add_co_i32 s26, s26, s58
	s_add_co_i32 s27, s27, s59
	;; [unrolled: 1-line block ×4, first 2 shown]
	s_bcnt1_i32_b32 s14, s14
	s_bcnt1_i32_b32 s17, s17
	;; [unrolled: 1-line block ×8, first 2 shown]
	s_add_co_i32 s17, s27, s17
	s_add_co_i32 s14, s26, s14
	;; [unrolled: 1-line block ×4, first 2 shown]
	s_bcnt1_i32_b32 s16, s16
	s_bcnt1_i32_b32 s19, s19
	s_bcnt1_i32_b32 s22, s22
	s_bcnt1_i32_b32 s25, s25
	s_add_co_i32 s14, s14, s15
	s_add_co_i32 s15, s17, s18
	;; [unrolled: 1-line block ×8, first 2 shown]
	v_mov_b64_e32 v[2:3], s[58:59]
	v_mov_b64_e32 v[4:5], s[60:61]
	s_or_b32 s97, vcc_lo, s97
	s_delay_alu instid0(SALU_CYCLE_1)
	s_and_not1_b32 exec_lo, exec_lo, s97
	s_cbranch_execnz .LBB85_67
; %bb.68:                               ;   in Loop: Header=BB85_6 Depth=1
	s_or_b32 exec_lo, exec_lo, s97
.LBB85_69:                              ;   in Loop: Header=BB85_6 Depth=1
	s_delay_alu instid0(SALU_CYCLE_1)
	s_or_b32 exec_lo, exec_lo, s34
	s_and_saveexec_b32 s18, s12
	s_cbranch_execz .LBB85_75
; %bb.70:                               ;   in Loop: Header=BB85_6 Depth=1
	global_load_b32 v35, v[16:17], off
	v_dual_mov_b32 v12, v30 :: v_dual_mov_b32 v19, v24
	s_mov_b32 s19, 0
	s_branch .LBB85_72
.LBB85_71:                              ;   in Loop: Header=BB85_72 Depth=2
	s_wait_xcnt 0x0
	s_or_b32 exec_lo, exec_lo, s15
	s_wait_loadcnt 0x0
	v_cmp_lt_i32_e64 s14, -1, v35
	s_and_b32 s15, exec_lo, vcc_lo
	v_add_nc_u32_e32 v12, s50, v12
	s_or_b32 s19, s15, s19
	v_cndmask_b32_e64 v36, -1, 0x80000000, s14
	v_cmp_o_f32_e64 s14, v35, v35
	s_delay_alu instid0(VALU_DEP_2) | instskip(NEXT) | instid1(VALU_DEP_1)
	v_xor_b32_e32 v36, v36, v35
	v_cndmask_b32_e64 v35, -1, v36, s14
	s_delay_alu instid0(VALU_DEP_1) | instskip(SKIP_1) | instid1(VALU_DEP_2)
	v_and_b32_e32 v36, v35, v33
	v_bfe_u32 v35, v35, s84, 2
	v_cmp_eq_u32_e32 vcc_lo, v36, v26
	s_delay_alu instid0(VALU_DEP_2) | instskip(SKIP_4) | instid1(SALU_CYCLE_1)
	v_cmp_eq_u32_e64 s14, 0, v35
	v_cmp_eq_u32_e64 s15, 1, v35
	v_cmp_eq_u32_e64 s16, 2, v35
	v_cmp_eq_u32_e64 s17, 3, v35
	s_and_b32 s14, vcc_lo, s14
	v_cndmask_b32_e64 v35, 0, 1, s14
	s_and_b32 s14, vcc_lo, s15
	s_delay_alu instid0(SALU_CYCLE_1) | instskip(SKIP_1) | instid1(SALU_CYCLE_1)
	v_cndmask_b32_e64 v36, 0, 1, s14
	s_and_b32 s14, vcc_lo, s16
	v_cndmask_b32_e64 v37, 0, 1, s14
	s_and_b32 s14, vcc_lo, s17
	v_cmp_ne_u32_e32 vcc_lo, 0, v35
	v_cndmask_b32_e64 v38, 0, 1, s14
	v_cmp_ne_u32_e64 s14, 0, v36
	v_cmp_ne_u32_e64 s15, 0, v37
	v_mov_b32_e32 v35, v20
	s_bcnt1_i32_b32 s17, vcc_lo
	v_cmp_ne_u32_e64 s16, 0, v38
	s_bcnt1_i32_b32 s14, s14
	s_bcnt1_i32_b32 s15, s15
	v_dual_add_nc_u32 v3, s14, v3 :: v_dual_add_nc_u32 v2, s17, v2
	s_bcnt1_i32_b32 s16, s16
	s_delay_alu instid0(SALU_CYCLE_1)
	v_dual_add_nc_u32 v4, s15, v4 :: v_dual_add_nc_u32 v5, s16, v5
	s_and_not1_b32 exec_lo, exec_lo, s19
	s_cbranch_execz .LBB85_74
.LBB85_72:                              ;   Parent Loop BB85_6 Depth=1
                                        ; =>  This Inner Loop Header: Depth=2
	s_delay_alu instid0(VALU_DEP_1) | instskip(SKIP_1) | instid1(VALU_DEP_1)
	v_dual_mov_b32 v20, 0 :: v_dual_add_nc_u32 v19, s41, v19
	s_mov_b32 s15, exec_lo
	v_cmp_le_u32_e32 vcc_lo, s36, v19
	s_wait_xcnt 0x0
	v_cmpx_gt_u32_e64 s36, v19
	s_cbranch_execz .LBB85_71
; %bb.73:                               ;   in Loop: Header=BB85_72 Depth=2
	v_readfirstlane_b32 s16, v6
	v_readfirstlane_b32 s17, v7
	global_load_b32 v20, v12, s[16:17] scale_offset
	s_branch .LBB85_71
.LBB85_74:                              ;   in Loop: Header=BB85_6 Depth=1
	s_or_b32 exec_lo, exec_lo, s19
.LBB85_75:                              ;   in Loop: Header=BB85_6 Depth=1
	s_delay_alu instid0(SALU_CYCLE_1)
	s_or_b32 exec_lo, exec_lo, s18
	s_branch .LBB85_54
.LBB85_76:                              ;   in Loop: Header=BB85_6 Depth=1
	s_mul_u64 s[14:15], s[38:39], s[52:53]
	v_mov_b64_e32 v[4:5], 0
	s_mul_i32 s14, s15, s67
	v_mov_b64_e32 v[2:3], 0
	s_sub_co_i32 s14, s38, s14
	s_mov_b32 s98, exec_lo
	s_sub_co_i32 s15, s14, s67
	s_cmp_ge_u32 s14, s67
	s_cselect_b32 s14, s15, s14
	s_delay_alu instid0(SALU_CYCLE_1) | instskip(SKIP_2) | instid1(SALU_CYCLE_1)
	s_sub_co_i32 s15, s14, s67
	s_cmp_ge_u32 s14, s67
	s_cselect_b32 s14, s15, s14
	s_sub_co_i32 s97, s38, s14
	s_delay_alu instid0(SALU_CYCLE_1)
	v_cmpx_gt_u32_e64 s97, v1
	s_cbranch_execz .LBB85_80
; %bb.77:                               ;   in Loop: Header=BB85_6 Depth=1
	v_dual_mov_b32 v12, v31 :: v_dual_mov_b32 v19, v1
	s_mov_b32 s99, 0
	s_mov_b32 s100, s84
	;; [unrolled: 1-line block ×6, first 2 shown]
.LBB85_78:                              ;   Parent Loop BB85_6 Depth=1
                                        ; =>  This Inner Loop Header: Depth=2
	ds_load_b128 v[2:5], v12
	v_dual_add_nc_u32 v19, s67, v19 :: v_dual_add_nc_u32 v12, s83, v12
	s_delay_alu instid0(VALU_DEP_1)
	v_cmp_le_u32_e32 vcc_lo, s97, v19
	s_wait_dscnt 0x0
	v_cmp_lt_i32_e64 s14, -1, v3
	v_cmp_o_f32_e64 s15, v4, v4
	v_cmp_o_f32_e64 s16, v5, v5
	;; [unrolled: 1-line block ×3, first 2 shown]
	s_delay_alu instid0(VALU_DEP_4) | instskip(SKIP_1) | instid1(VALU_DEP_2)
	v_cndmask_b32_e64 v20, -1, 0x80000000, s14
	v_cmp_lt_i32_e64 s14, -1, v2
	v_xor_b32_e32 v20, v20, v3
	s_delay_alu instid0(VALU_DEP_2) | instskip(SKIP_1) | instid1(VALU_DEP_1)
	v_cndmask_b32_e64 v35, -1, 0x80000000, s14
	v_cmp_lt_i32_e64 s14, -1, v4
	v_cndmask_b32_e64 v36, -1, 0x80000000, s14
	v_cmp_lt_i32_e64 s14, -1, v5
	s_delay_alu instid0(VALU_DEP_1) | instskip(SKIP_3) | instid1(VALU_DEP_4)
	v_cndmask_b32_e64 v37, -1, 0x80000000, s14
	v_cmp_o_f32_e64 s14, v3, v3
	v_xor_b32_e32 v3, v35, v2
	v_xor_b32_e32 v35, v36, v4
	;; [unrolled: 1-line block ×3, first 2 shown]
	s_delay_alu instid0(VALU_DEP_1) | instskip(NEXT) | instid1(VALU_DEP_3)
	v_dual_cndmask_b32 v4, -1, v4, s16 :: v_dual_cndmask_b32 v2, -1, v3, s17
	v_dual_cndmask_b32 v3, -1, v20, s14 :: v_dual_cndmask_b32 v5, -1, v35, s15
	s_delay_alu instid0(VALU_DEP_2) | instskip(NEXT) | instid1(VALU_DEP_3)
	v_and_b32_e32 v37, v4, v33
	v_and_b32_e32 v20, v2, v33
	s_delay_alu instid0(VALU_DEP_3) | instskip(NEXT) | instid1(VALU_DEP_4)
	v_dual_lshrrev_b32 v2, s84, v2 :: v_dual_bitop2_b32 v35, v3, v33 bitop3:0x40
	v_dual_lshrrev_b32 v3, s100, v3 :: v_dual_bitop2_b32 v36, v5, v33 bitop3:0x40
	v_dual_lshrrev_b32 v4, s100, v4 :: v_dual_lshrrev_b32 v5, s84, v5
	s_delay_alu instid0(VALU_DEP_3) | instskip(NEXT) | instid1(VALU_DEP_3)
	v_and_b32_e32 v2, 3, v2
	v_and_b32_e32 v3, 3, v3
	v_cmp_eq_u32_e64 s14, v20, v26
	v_cmp_eq_u32_e64 s15, v35, v26
	v_and_b32_e32 v4, 3, v4
	v_cmp_eq_u32_e64 s18, 0, v2
	v_cmp_eq_u32_e64 s19, 0, v3
	;; [unrolled: 1-line block ×4, first 2 shown]
	v_and_b32_e32 v5, 3, v5
	s_and_b32 s18, s14, s18
	v_cmp_eq_u32_e64 s22, 2, v2
	v_cmp_eq_u32_e64 s25, 3, v2
	v_cndmask_b32_e64 v2, 0, 1, s18
	s_and_b32 s18, s15, s19
	v_cmp_eq_u32_e64 s23, 2, v3
	v_cmp_eq_u32_e64 s24, 3, v3
	v_cndmask_b32_e64 v3, 0, 1, s18
	s_and_b32 s18, s14, s20
	v_cmp_eq_u32_e64 s27, 0, v4
	v_cmp_eq_u32_e64 s29, 1, v4
	;; [unrolled: 1-line block ×4, first 2 shown]
	v_cndmask_b32_e64 v4, 0, 1, s18
	s_and_b32 s18, s15, s21
	v_cmp_eq_u32_e64 s16, v36, v26
	v_cmp_eq_u32_e64 s26, 0, v5
	;; [unrolled: 1-line block ×5, first 2 shown]
	v_cndmask_b32_e64 v5, 0, 1, s18
	s_and_b32 s18, s14, s22
	v_cmp_eq_u32_e64 s17, v37, v26
	v_cndmask_b32_e64 v20, 0, 1, s18
	s_and_b32 s18, s15, s23
	s_and_b32 s14, s14, s25
	v_cndmask_b32_e64 v35, 0, 1, s18
	s_and_b32 s18, s16, s26
	v_cndmask_b32_e64 v42, 0, 1, s14
	v_cndmask_b32_e64 v36, 0, 1, s18
	s_and_b32 s18, s17, s27
	s_and_b32 s14, s15, s24
	v_cndmask_b32_e64 v37, 0, 1, s18
	s_and_b32 s18, s16, s28
	v_cndmask_b32_e64 v43, 0, 1, s14
	v_cndmask_b32_e64 v38, 0, 1, s18
	s_and_b32 s18, s17, s29
	s_and_b32 s14, s16, s34
	v_cndmask_b32_e64 v39, 0, 1, s18
	s_and_b32 s18, s16, s30
	v_cndmask_b32_e64 v44, 0, 1, s14
	v_cndmask_b32_e64 v40, 0, 1, s18
	s_and_b32 s18, s17, s31
	s_and_b32 s14, s17, s33
	v_cndmask_b32_e64 v41, 0, 1, s18
	v_cndmask_b32_e64 v45, 0, 1, s14
	v_cmp_ne_u32_e64 s14, 0, v2
	v_cmp_ne_u32_e64 s16, 0, v4
	;; [unrolled: 1-line block ×12, first 2 shown]
	s_bcnt1_i32_b32 s14, s14
	s_bcnt1_i32_b32 s16, s16
	;; [unrolled: 1-line block ×4, first 2 shown]
	v_cmp_ne_u32_e64 s21, 0, v37
	v_cmp_ne_u32_e64 s23, 0, v39
	;; [unrolled: 1-line block ×4, first 2 shown]
	s_bcnt1_i32_b32 s15, s15
	s_bcnt1_i32_b32 s17, s17
	s_bcnt1_i32_b32 s19, s19
	s_bcnt1_i32_b32 s27, s27
	s_add_co_i32 s14, s14, s58
	s_add_co_i32 s16, s16, s59
	s_add_co_i32 s18, s18, s60
	s_add_co_i32 s26, s26, s61
	s_bcnt1_i32_b32 s20, s20
	s_bcnt1_i32_b32 s22, s22
	s_bcnt1_i32_b32 s24, s24
	s_bcnt1_i32_b32 s28, s28
	s_add_co_i32 s16, s16, s17
	s_add_co_i32 s14, s14, s15
	s_add_co_i32 s15, s26, s27
	s_add_co_i32 s17, s18, s19
	;; [unrolled: 8-line block ×3, first 2 shown]
	s_add_co_i32 s59, s16, s23
	s_add_co_i32 s58, s14, s21
	;; [unrolled: 1-line block ×4, first 2 shown]
	v_mov_b64_e32 v[2:3], s[58:59]
	v_mov_b64_e32 v[4:5], s[60:61]
	s_or_b32 s99, vcc_lo, s99
	s_delay_alu instid0(SALU_CYCLE_1)
	s_and_not1_b32 exec_lo, exec_lo, s99
	s_cbranch_execnz .LBB85_78
; %bb.79:                               ;   in Loop: Header=BB85_6 Depth=1
	s_or_b32 exec_lo, exec_lo, s99
.LBB85_80:                              ;   in Loop: Header=BB85_6 Depth=1
	s_delay_alu instid0(SALU_CYCLE_1) | instskip(SKIP_2) | instid1(VALU_DEP_1)
	s_or_b32 exec_lo, exec_lo, s98
	v_add_nc_u32_e32 v12, s97, v0
	s_mov_b32 s19, exec_lo
	v_cmpx_gt_u32_e64 s38, v12
	s_cbranch_execz .LBB85_84
; %bb.81:                               ;   in Loop: Header=BB85_6 Depth=1
	v_lshlrev_b32_e32 v19, 2, v12
	s_mov_b32 s20, 0
.LBB85_82:                              ;   Parent Loop BB85_6 Depth=1
                                        ; =>  This Inner Loop Header: Depth=2
	ds_load_b32 v20, v19
	v_dual_add_nc_u32 v12, s41, v12 :: v_dual_add_nc_u32 v19, s67, v19
	s_delay_alu instid0(VALU_DEP_1) | instskip(SKIP_2) | instid1(VALU_DEP_1)
	v_cmp_le_u32_e32 vcc_lo, s38, v12
	s_wait_dscnt 0x0
	v_cmp_lt_i32_e64 s14, -1, v20
	v_cndmask_b32_e64 v35, -1, 0x80000000, s14
	v_cmp_o_f32_e64 s14, v20, v20
	s_delay_alu instid0(VALU_DEP_2) | instskip(NEXT) | instid1(VALU_DEP_1)
	v_xor_b32_e32 v35, v35, v20
	v_cndmask_b32_e64 v20, -1, v35, s14
	s_delay_alu instid0(VALU_DEP_1) | instskip(SKIP_1) | instid1(VALU_DEP_2)
	v_and_b32_e32 v35, v20, v33
	v_bfe_u32 v20, v20, s84, 2
	v_cmp_eq_u32_e64 s14, v35, v26
	s_delay_alu instid0(VALU_DEP_2) | instskip(SKIP_4) | instid1(SALU_CYCLE_1)
	v_cmp_eq_u32_e64 s15, 0, v20
	v_cmp_eq_u32_e64 s16, 1, v20
	;; [unrolled: 1-line block ×4, first 2 shown]
	s_and_b32 s15, s14, s15
	v_cndmask_b32_e64 v20, 0, 1, s15
	s_and_b32 s15, s14, s16
	s_delay_alu instid0(SALU_CYCLE_1)
	v_cndmask_b32_e64 v35, 0, 1, s15
	s_and_b32 s15, s14, s17
	s_and_b32 s14, s14, s18
	v_cndmask_b32_e64 v36, 0, 1, s15
	v_cndmask_b32_e64 v37, 0, 1, s14
	v_cmp_ne_u32_e64 s14, 0, v20
	v_cmp_ne_u32_e64 s15, 0, v35
	s_delay_alu instid0(VALU_DEP_4) | instskip(NEXT) | instid1(VALU_DEP_4)
	v_cmp_ne_u32_e64 s16, 0, v36
	v_cmp_ne_u32_e64 s17, 0, v37
	s_bcnt1_i32_b32 s14, s14
	s_bcnt1_i32_b32 s15, s15
	v_add_nc_u32_e32 v2, s14, v2
	s_bcnt1_i32_b32 s16, s16
	s_bcnt1_i32_b32 s17, s17
	s_delay_alu instid0(SALU_CYCLE_1) | instskip(SKIP_2) | instid1(SALU_CYCLE_1)
	v_dual_add_nc_u32 v3, s15, v3 :: v_dual_add_nc_u32 v5, s17, v5
	v_add_nc_u32_e32 v4, s16, v4
	s_or_b32 s20, vcc_lo, s20
	s_and_not1_b32 exec_lo, exec_lo, s20
	s_cbranch_execnz .LBB85_82
; %bb.83:                               ;   in Loop: Header=BB85_6 Depth=1
	s_or_b32 exec_lo, exec_lo, s20
.LBB85_84:                              ;   in Loop: Header=BB85_6 Depth=1
	s_delay_alu instid0(SALU_CYCLE_1)
	s_or_b32 exec_lo, exec_lo, s19
	s_lshl_b32 s16, s87, 7
	s_and_saveexec_b32 s14, s2
	s_cbranch_execnz .LBB85_55
	s_branch .LBB85_56
.LBB85_85:                              ;   in Loop: Header=BB85_6 Depth=1
	v_mov_b32_e32 v2, 0
	s_mov_b32 s14, 0
	s_cbranch_execz .LBB85_88
.LBB85_86:                              ;   in Loop: Header=BB85_6 Depth=1
	s_lshl_b32 s15, s87, 9
	s_lshl_b32 s18, s14, 4
	s_sub_co_i32 s14, s71, s14
	v_add3_u32 v3, s15, s18, v32
.LBB85_87:                              ;   Parent Loop BB85_6 Depth=1
                                        ; =>  This Inner Loop Header: Depth=2
	ds_load_b32 v5, v3
	v_add_nc_u32_e32 v3, 16, v3
	s_add_co_i32 s14, s14, -1
	s_delay_alu instid0(SALU_CYCLE_1)
	s_cmp_eq_u32 s14, 0
	s_wait_dscnt 0x0
	v_add_nc_u32_e32 v2, v5, v2
	s_cbranch_scc0 .LBB85_87
.LBB85_88:                              ;   in Loop: Header=BB85_6 Depth=1
	s_delay_alu instid0(VALU_DEP_1)
	v_lshlrev_b32_e32 v3, 2, v4
	ds_store_b32 v3, v2 offset:3072
.LBB85_89:                              ;   in Loop: Header=BB85_6 Depth=1
	s_or_b32 exec_lo, exec_lo, s17
	s_lshl_b32 s14, s16, 2
	s_wait_dscnt 0x0
	v_mov_b32_e32 v2, s14
	s_barrier_signal -1
	s_barrier_wait -1
	v_cmp_eq_u32_e64 s14, 1, v34
	ds_load_b128 v[2:5], v2 offset:3072
	s_lshl_b32 s18, 3, s84
	s_mov_b32 s26, -1
	s_not_b32 s19, s18
	s_mov_b32 s16, 0
	s_and_not1_b32 vcc_lo, exec_lo, s65
	s_mov_b32 s23, 0
	s_mov_b32 s15, 0
                                        ; implicit-def: $sgpr24
                                        ; implicit-def: $sgpr25
                                        ; implicit-def: $vgpr35
                                        ; implicit-def: $vgpr12
	s_wait_dscnt 0x0
	v_readfirstlane_b32 s17, v2
	v_readfirstlane_b32 s20, v3
	;; [unrolled: 1-line block ×4, first 2 shown]
                                        ; implicit-def: $vgpr4
                                        ; implicit-def: $vgpr5
                                        ; implicit-def: $vgpr3
	s_cbranch_vccnz .LBB85_256
; %bb.90:                               ;   in Loop: Header=BB85_6 Depth=1
	s_cmp_eq_u32 s17, 1
	v_dual_mov_b32 v5, v26 :: v_dual_mov_b32 v12, v33
	v_mov_b32_e32 v3, v21
	s_cselect_b32 s15, -1, 0
	s_mov_b32 s29, -1
	s_and_b32 s28, s15, s14
                                        ; implicit-def: $sgpr25
                                        ; implicit-def: $sgpr24
	s_delay_alu instid0(SALU_CYCLE_1)
	s_and_saveexec_b32 s15, s28
	s_cbranch_execz .LBB85_119
; %bb.91:                               ;   in Loop: Header=BB85_6 Depth=1
	ds_load_b32 v2, v13 offset:4096
	s_wait_dscnt 0x0
	s_barrier_signal -1
	s_barrier_wait -1
	v_readfirstlane_b32 s26, v2
	s_and_saveexec_b32 s23, s6
; %bb.92:                               ;   in Loop: Header=BB85_6 Depth=1
	ds_store_b32 v22, v13
; %bb.93:                               ;   in Loop: Header=BB85_6 Depth=1
	s_or_b32 exec_lo, exec_lo, s23
	v_and_b32_e32 v5, s19, v26
	v_or_b32_e32 v12, s18, v33
	s_mov_b32 s24, -1
	s_mov_b32 s25, 0
	s_cmp_eq_u32 s26, 0
	s_mov_b32 s23, 0
	s_mov_b32 s27, -1
	s_wait_dscnt 0x0
	s_barrier_signal -1
	s_barrier_wait -1
                                        ; implicit-def: $vgpr3
	s_cbranch_scc1 .LBB85_105
; %bb.94:                               ;   in Loop: Header=BB85_6 Depth=1
	s_add_co_i32 s38, s26, s70
	s_mov_b32 s29, exec_lo
	s_mul_u64 s[30:31], s[38:39], s[54:55]
                                        ; implicit-def: $vgpr3
	s_delay_alu instid0(SALU_CYCLE_1) | instskip(NEXT) | instid1(SALU_CYCLE_1)
	s_mul_i32 s23, s31, s41
	s_sub_co_i32 s23, s38, s23
	s_delay_alu instid0(SALU_CYCLE_1) | instskip(SKIP_2) | instid1(SALU_CYCLE_1)
	s_sub_co_i32 s27, s23, s41
	s_cmp_ge_u32 s23, s41
	s_cselect_b32 s23, s27, s23
	s_sub_co_i32 s27, s23, s41
	s_cmp_ge_u32 s23, s41
	s_cselect_b32 s23, s27, s23
	s_mov_b32 s27, 0
	s_sub_co_i32 s30, s38, s23
	s_mov_b32 s23, 0
	v_cmpx_gt_u32_e64 s30, v0
	s_cbranch_execz .LBB85_104
; %bb.95:                               ;   in Loop: Header=BB85_6 Depth=1
	v_dual_mov_b32 v4, v1 :: v_dual_mov_b32 v20, v0
                                        ; implicit-def: $sgpr31
	s_branch .LBB85_99
.LBB85_96:                              ;   in Loop: Header=BB85_99 Depth=2
	s_or_b32 exec_lo, exec_lo, s33
	s_wait_dscnt 0x0
	s_barrier_signal -1
	s_barrier_wait -1
	ds_load_b64 v[2:3], v13 offset:3072
	s_wait_dscnt 0x0
	s_barrier_signal -1
	s_barrier_wait -1
	v_cmp_neq_f32_e32 vcc_lo, 0, v2
	s_cbranch_vccnz .LBB85_102
; %bb.97:                               ;   in Loop: Header=BB85_99 Depth=2
	v_add_nc_u32_e32 v20, s41, v20
	v_add_nc_u32_e32 v4, s67, v4
	s_mov_b32 s33, 0
	s_delay_alu instid0(VALU_DEP_2)
	v_cmp_le_u32_e32 vcc_lo, s30, v20
	s_or_not1_b32 s34, vcc_lo, exec_lo
.LBB85_98:                              ;   in Loop: Header=BB85_99 Depth=2
	s_delay_alu instid0(SALU_CYCLE_1) | instskip(NEXT) | instid1(SALU_CYCLE_1)
	s_and_b32 s34, exec_lo, s34
	s_or_b32 s23, s34, s23
	s_and_not1_b32 s31, s31, exec_lo
	s_and_b32 s33, s33, exec_lo
	s_delay_alu instid0(SALU_CYCLE_1)
	s_or_b32 s31, s31, s33
	s_and_not1_b32 exec_lo, exec_lo, s23
	s_cbranch_execz .LBB85_103
.LBB85_99:                              ;   Parent Loop BB85_6 Depth=1
                                        ; =>  This Inner Loop Header: Depth=2
	s_mov_b32 s33, exec_lo
	s_delay_alu instid0(VALU_DEP_1)
	v_cmpx_gt_u32_e64 s26, v20
	s_cbranch_execz .LBB85_96
; %bb.100:                              ;   in Loop: Header=BB85_99 Depth=2
	ds_load_b32 v19, v4
	s_wait_dscnt 0x0
	v_cmp_lt_i32_e32 vcc_lo, -1, v19
	v_cndmask_b32_e64 v2, -1, 0x80000000, vcc_lo
	v_cmp_o_f32_e32 vcc_lo, v19, v19
	s_delay_alu instid0(VALU_DEP_2) | instskip(NEXT) | instid1(VALU_DEP_1)
	v_xor_b32_e32 v2, v2, v19
	v_cndmask_b32_e32 v2, -1, v2, vcc_lo
	s_delay_alu instid0(VALU_DEP_1) | instskip(NEXT) | instid1(VALU_DEP_1)
	v_and_b32_e32 v2, v2, v12
	v_cmp_eq_u32_e32 vcc_lo, v2, v5
	s_and_b32 exec_lo, exec_lo, vcc_lo
	s_cbranch_execz .LBB85_96
; %bb.101:                              ;   in Loop: Header=BB85_99 Depth=2
	ds_store_b64 v13, v[18:19] offset:3072
	s_branch .LBB85_96
.LBB85_102:                             ;   in Loop: Header=BB85_99 Depth=2
	s_mov_b32 s34, -1
	s_mov_b32 s33, -1
                                        ; implicit-def: $vgpr20
                                        ; implicit-def: $vgpr4
	s_branch .LBB85_98
.LBB85_103:                             ;   in Loop: Header=BB85_6 Depth=1
	s_or_b32 exec_lo, exec_lo, s23
	s_delay_alu instid0(SALU_CYCLE_1)
	s_and_b32 s23, s31, exec_lo
.LBB85_104:                             ;   in Loop: Header=BB85_6 Depth=1
	s_or_b32 exec_lo, exec_lo, s29
.LBB85_105:                             ;   in Loop: Header=BB85_6 Depth=1
	s_delay_alu instid0(SALU_CYCLE_1)
	s_and_b32 vcc_lo, exec_lo, s27
	s_cbranch_vccz .LBB85_118
; %bb.106:                              ;   in Loop: Header=BB85_6 Depth=1
                                        ; implicit-def: $vgpr3
	s_and_saveexec_b32 s24, s13
	s_cbranch_execz .LBB85_117
; %bb.107:                              ;   in Loop: Header=BB85_6 Depth=1
	v_dual_mov_b32 v4, v14 :: v_dual_mov_b32 v20, v0
	s_mov_b32 s25, 0
                                        ; implicit-def: $sgpr26
	s_branch .LBB85_111
.LBB85_108:                             ;   in Loop: Header=BB85_111 Depth=2
	s_or_b32 exec_lo, exec_lo, s27
	s_wait_dscnt 0x0
	s_barrier_signal -1
	s_barrier_wait -1
	ds_load_b64 v[2:3], v13 offset:3072
	s_wait_dscnt 0x0
	s_barrier_signal -1
	s_barrier_wait -1
	v_cmp_neq_f32_e32 vcc_lo, 0, v2
	s_cbranch_vccnz .LBB85_114
; %bb.109:                              ;   in Loop: Header=BB85_111 Depth=2
	v_add_nc_u32_e32 v20, s41, v20
	v_add_nc_u32_e32 v4, s50, v4
	s_mov_b32 s27, 0
	s_delay_alu instid0(VALU_DEP_2)
	v_cmp_le_u32_e32 vcc_lo, s81, v20
	s_or_not1_b32 s29, vcc_lo, exec_lo
.LBB85_110:                             ;   in Loop: Header=BB85_111 Depth=2
	s_delay_alu instid0(SALU_CYCLE_1) | instskip(NEXT) | instid1(SALU_CYCLE_1)
	s_and_b32 s29, exec_lo, s29
	s_or_b32 s25, s29, s25
	s_and_not1_b32 s26, s26, exec_lo
	s_and_b32 s27, s27, exec_lo
	s_delay_alu instid0(SALU_CYCLE_1)
	s_or_b32 s26, s26, s27
	s_and_not1_b32 exec_lo, exec_lo, s25
	s_cbranch_execz .LBB85_116
.LBB85_111:                             ;   Parent Loop BB85_6 Depth=1
                                        ; =>  This Inner Loop Header: Depth=2
	s_mov_b32 s27, exec_lo
	s_delay_alu instid0(VALU_DEP_1)
	v_cmpx_gt_u32_e64 s36, v20
	s_cbranch_execz .LBB85_108
; %bb.112:                              ;   in Loop: Header=BB85_111 Depth=2
	v_readfirstlane_b32 s30, v6
	v_readfirstlane_b32 s31, v7
	global_load_b32 v19, v4, s[30:31] scale_offset
	s_wait_loadcnt 0x0
	v_cmp_lt_i32_e32 vcc_lo, -1, v19
	v_cndmask_b32_e64 v2, -1, 0x80000000, vcc_lo
	v_cmp_o_f32_e32 vcc_lo, v19, v19
	s_delay_alu instid0(VALU_DEP_2) | instskip(NEXT) | instid1(VALU_DEP_1)
	v_xor_b32_e32 v2, v2, v19
	v_cndmask_b32_e32 v2, -1, v2, vcc_lo
	s_delay_alu instid0(VALU_DEP_1) | instskip(NEXT) | instid1(VALU_DEP_1)
	v_and_b32_e32 v2, v2, v12
	v_cmp_eq_u32_e32 vcc_lo, v2, v5
	s_and_b32 exec_lo, exec_lo, vcc_lo
	s_cbranch_execz .LBB85_108
; %bb.113:                              ;   in Loop: Header=BB85_111 Depth=2
	ds_store_b64 v13, v[18:19] offset:3072
	s_branch .LBB85_108
.LBB85_114:                             ;   in Loop: Header=BB85_111 Depth=2
	s_mov_b32 s29, -1
	s_mov_b32 s27, -1
                                        ; implicit-def: $vgpr20
                                        ; implicit-def: $vgpr4
	s_branch .LBB85_110
.LBB85_115:                             ;   in Loop: Header=BB85_6 Depth=1
	s_mov_b64 s[14:15], 0x100000000
	v_mov_b64_e32 v[2:3], 0
	s_and_not1_b32 vcc_lo, exec_lo, s77
	s_mov_b32 s18, s74
	s_cbranch_vccz .LBB85_63
	s_branch .LBB85_64
.LBB85_116:                             ;   in Loop: Header=BB85_6 Depth=1
	s_or_b32 exec_lo, exec_lo, s25
	s_delay_alu instid0(SALU_CYCLE_1) | instskip(SKIP_1) | instid1(SALU_CYCLE_1)
	s_and_not1_b32 s23, s23, exec_lo
	s_and_b32 s25, s26, exec_lo
	s_or_b32 s23, s23, s25
.LBB85_117:                             ;   in Loop: Header=BB85_6 Depth=1
	s_or_b32 exec_lo, exec_lo, s24
	s_mov_b32 s24, 0
	s_mov_b32 s25, -1
.LBB85_118:                             ;   in Loop: Header=BB85_6 Depth=1
	s_or_not1_b32 s29, s23, exec_lo
.LBB85_119:                             ;   in Loop: Header=BB85_6 Depth=1
	s_or_b32 exec_lo, exec_lo, s15
	s_mov_b32 s26, 0
	s_mov_b32 s23, 0
	;; [unrolled: 1-line block ×3, first 2 shown]
                                        ; implicit-def: $vgpr35
                                        ; implicit-def: $vgpr4
	s_and_saveexec_b32 s27, s29
	s_cbranch_execz .LBB85_255
; %bb.120:                              ;   in Loop: Header=BB85_6 Depth=1
	v_dual_mov_b32 v35, 1 :: v_dual_mov_b32 v4, 1
	s_xor_b32 s23, s28, -1
	s_mov_b32 s30, 0
	s_and_saveexec_b32 s15, s23
	s_cbranch_execz .LBB85_129
; %bb.121:                              ;   in Loop: Header=BB85_6 Depth=1
	s_mov_b32 s23, exec_lo
	v_cmpx_ge_u32_e64 s17, v34
	s_xor_b32 s23, exec_lo, s23
	s_cbranch_execz .LBB85_126
; %bb.122:                              ;   in Loop: Header=BB85_6 Depth=1
	ds_load_b32 v2, v13 offset:4096
	v_and_b32_e32 v5, s19, v5
	v_or_b32_e32 v12, s18, v12
	s_wait_dscnt 0x0
	v_cmp_ne_u32_e32 vcc_lo, 0, v2
	s_cbranch_vccnz .LBB85_126
; %bb.123:                              ;   in Loop: Header=BB85_6 Depth=1
	s_and_saveexec_b32 s28, s5
; %bb.124:                              ;   in Loop: Header=BB85_6 Depth=1
	v_mov_b32_e32 v2, s17
	ds_store_b32 v13, v2 offset:4100
; %bb.125:                              ;   in Loop: Header=BB85_6 Depth=1
	s_or_b32 exec_lo, exec_lo, s28
	s_wait_dscnt 0x0
	s_barrier_signal -1
	s_barrier_wait -1
.LBB85_126:                             ;   in Loop: Header=BB85_6 Depth=1
	s_or_saveexec_b32 s23, s23
	v_dual_mov_b32 v4, 8 :: v_dual_mov_b32 v35, v34
	s_mov_b32 s28, 0
	s_xor_b32 exec_lo, exec_lo, s23
; %bb.127:                              ;   in Loop: Header=BB85_6 Depth=1
	v_subrev_nc_u32_e32 v35, s17, v34
	v_mov_b32_e32 v4, 0
	s_mov_b32 s28, exec_lo
; %bb.128:                              ;   in Loop: Header=BB85_6 Depth=1
	s_or_b32 exec_lo, exec_lo, s23
	s_delay_alu instid0(SALU_CYCLE_1)
	s_and_b32 s30, s28, exec_lo
.LBB85_129:                             ;   in Loop: Header=BB85_6 Depth=1
	s_or_b32 exec_lo, exec_lo, s15
	s_mov_b32 s29, -1
                                        ; implicit-def: $sgpr23
                                        ; implicit-def: $sgpr28
	s_and_saveexec_b32 s15, s30
	s_delay_alu instid0(SALU_CYCLE_1)
	s_xor_b32 s15, exec_lo, s15
	s_cbranch_execz .LBB85_252
; %bb.130:                              ;   in Loop: Header=BB85_6 Depth=1
	v_cmp_eq_u32_e32 vcc_lo, 1, v35
	s_cmp_eq_u32 s20, 1
	s_mov_b32 s31, -1
	s_cselect_b32 s23, -1, 0
                                        ; implicit-def: $sgpr28
	s_delay_alu instid0(SALU_CYCLE_1) | instskip(NEXT) | instid1(SALU_CYCLE_1)
	s_and_b32 s30, s23, vcc_lo
                                        ; implicit-def: $sgpr23
	s_and_saveexec_b32 s29, s30
	s_cbranch_execz .LBB85_158
; %bb.131:                              ;   in Loop: Header=BB85_6 Depth=1
	ds_load_b32 v2, v13 offset:4096
	s_wait_dscnt 0x0
	s_barrier_signal -1
	s_barrier_wait -1
	v_readfirstlane_b32 s33, v2
	s_and_saveexec_b32 s23, s6
; %bb.132:                              ;   in Loop: Header=BB85_6 Depth=1
	ds_store_b32 v22, v13
; %bb.133:                              ;   in Loop: Header=BB85_6 Depth=1
	s_or_b32 exec_lo, exec_lo, s23
	s_lshl_b32 s23, 1, s84
	v_or_b32_e32 v12, s18, v12
	v_and_or_b32 v5, v5, s19, s23
	s_mov_b32 s23, -1
	s_mov_b32 s28, 0
	s_cmp_eq_u32 s33, 0
	s_mov_b32 s31, 0
	s_mov_b32 s34, -1
	s_wait_dscnt 0x0
	s_barrier_signal -1
	s_barrier_wait -1
                                        ; implicit-def: $vgpr3
	s_cbranch_scc1 .LBB85_145
; %bb.134:                              ;   in Loop: Header=BB85_6 Depth=1
	s_add_co_i32 s38, s33, s70
                                        ; implicit-def: $vgpr3
	s_delay_alu instid0(SALU_CYCLE_1) | instskip(NEXT) | instid1(SALU_CYCLE_1)
	s_mul_u64 s[58:59], s[38:39], s[54:55]
	s_mul_i32 s31, s59, s41
	s_delay_alu instid0(SALU_CYCLE_1) | instskip(NEXT) | instid1(SALU_CYCLE_1)
	s_sub_co_i32 s31, s38, s31
	s_sub_co_i32 s34, s31, s41
	s_cmp_ge_u32 s31, s41
	s_cselect_b32 s31, s34, s31
	s_delay_alu instid0(SALU_CYCLE_1)
	s_sub_co_i32 s34, s31, s41
	s_cmp_ge_u32 s31, s41
	s_cselect_b32 s31, s34, s31
	s_mov_b32 s34, 0
	s_sub_co_i32 s58, s38, s31
	s_mov_b32 s31, 0
	s_mov_b32 s38, exec_lo
	v_cmpx_gt_u32_e64 s58, v0
	s_cbranch_execz .LBB85_144
; %bb.135:                              ;   in Loop: Header=BB85_6 Depth=1
	v_dual_mov_b32 v20, v1 :: v_dual_mov_b32 v36, v0
                                        ; implicit-def: $sgpr59
	s_branch .LBB85_139
.LBB85_136:                             ;   in Loop: Header=BB85_139 Depth=2
	s_or_b32 exec_lo, exec_lo, s60
	s_wait_dscnt 0x0
	s_barrier_signal -1
	s_barrier_wait -1
	ds_load_b64 v[2:3], v13 offset:3072
	s_wait_dscnt 0x0
	s_barrier_signal -1
	s_barrier_wait -1
	v_cmp_neq_f32_e32 vcc_lo, 0, v2
	s_cbranch_vccnz .LBB85_142
; %bb.137:                              ;   in Loop: Header=BB85_139 Depth=2
	v_add_nc_u32_e32 v36, s41, v36
	v_add_nc_u32_e32 v20, s67, v20
	s_mov_b32 s60, 0
	s_delay_alu instid0(VALU_DEP_2)
	v_cmp_le_u32_e32 vcc_lo, s58, v36
	s_or_not1_b32 s61, vcc_lo, exec_lo
.LBB85_138:                             ;   in Loop: Header=BB85_139 Depth=2
	s_delay_alu instid0(SALU_CYCLE_1) | instskip(NEXT) | instid1(SALU_CYCLE_1)
	s_and_b32 s61, exec_lo, s61
	s_or_b32 s31, s61, s31
	s_and_not1_b32 s59, s59, exec_lo
	s_and_b32 s60, s60, exec_lo
	s_delay_alu instid0(SALU_CYCLE_1)
	s_or_b32 s59, s59, s60
	s_and_not1_b32 exec_lo, exec_lo, s31
	s_cbranch_execz .LBB85_143
.LBB85_139:                             ;   Parent Loop BB85_6 Depth=1
                                        ; =>  This Inner Loop Header: Depth=2
	s_mov_b32 s60, exec_lo
	s_delay_alu instid0(VALU_DEP_1)
	v_cmpx_gt_u32_e64 s33, v36
	s_cbranch_execz .LBB85_136
; %bb.140:                              ;   in Loop: Header=BB85_139 Depth=2
	ds_load_b32 v19, v20
	s_wait_dscnt 0x0
	v_cmp_lt_i32_e32 vcc_lo, -1, v19
	v_cndmask_b32_e64 v2, -1, 0x80000000, vcc_lo
	v_cmp_o_f32_e32 vcc_lo, v19, v19
	s_delay_alu instid0(VALU_DEP_2) | instskip(NEXT) | instid1(VALU_DEP_1)
	v_xor_b32_e32 v2, v2, v19
	v_cndmask_b32_e32 v2, -1, v2, vcc_lo
	s_delay_alu instid0(VALU_DEP_1) | instskip(NEXT) | instid1(VALU_DEP_1)
	v_and_b32_e32 v2, v2, v12
	v_cmp_eq_u32_e32 vcc_lo, v2, v5
	s_and_b32 exec_lo, exec_lo, vcc_lo
	s_cbranch_execz .LBB85_136
; %bb.141:                              ;   in Loop: Header=BB85_139 Depth=2
	ds_store_b64 v13, v[18:19] offset:3072
	s_branch .LBB85_136
.LBB85_142:                             ;   in Loop: Header=BB85_139 Depth=2
	s_mov_b32 s61, -1
	s_mov_b32 s60, -1
                                        ; implicit-def: $vgpr36
                                        ; implicit-def: $vgpr20
	s_branch .LBB85_138
.LBB85_143:                             ;   in Loop: Header=BB85_6 Depth=1
	s_or_b32 exec_lo, exec_lo, s31
	s_delay_alu instid0(SALU_CYCLE_1)
	s_and_b32 s31, s59, exec_lo
.LBB85_144:                             ;   in Loop: Header=BB85_6 Depth=1
	s_or_b32 exec_lo, exec_lo, s38
.LBB85_145:                             ;   in Loop: Header=BB85_6 Depth=1
	s_delay_alu instid0(SALU_CYCLE_1)
	s_and_b32 vcc_lo, exec_lo, s34
	s_cbranch_vccz .LBB85_157
; %bb.146:                              ;   in Loop: Header=BB85_6 Depth=1
                                        ; implicit-def: $vgpr3
	s_and_saveexec_b32 s23, s13
	s_cbranch_execz .LBB85_156
; %bb.147:                              ;   in Loop: Header=BB85_6 Depth=1
	v_dual_mov_b32 v20, v14 :: v_dual_mov_b32 v36, v0
	s_mov_b32 s28, 0
                                        ; implicit-def: $sgpr33
	s_branch .LBB85_151
.LBB85_148:                             ;   in Loop: Header=BB85_151 Depth=2
	s_or_b32 exec_lo, exec_lo, s34
	s_wait_dscnt 0x0
	s_barrier_signal -1
	s_barrier_wait -1
	ds_load_b64 v[2:3], v13 offset:3072
	s_wait_dscnt 0x0
	s_barrier_signal -1
	s_barrier_wait -1
	v_cmp_eq_f32_e32 vcc_lo, 0, v2
	s_cbranch_vccz .LBB85_154
; %bb.149:                              ;   in Loop: Header=BB85_151 Depth=2
	v_add_nc_u32_e32 v36, s41, v36
	v_add_nc_u32_e32 v20, s50, v20
	s_mov_b32 s34, 0
	s_delay_alu instid0(VALU_DEP_2)
	v_cmp_le_u32_e32 vcc_lo, s81, v36
	s_or_not1_b32 s38, vcc_lo, exec_lo
.LBB85_150:                             ;   in Loop: Header=BB85_151 Depth=2
	s_delay_alu instid0(SALU_CYCLE_1) | instskip(NEXT) | instid1(SALU_CYCLE_1)
	s_and_b32 s38, exec_lo, s38
	s_or_b32 s28, s38, s28
	s_and_not1_b32 s33, s33, exec_lo
	s_and_b32 s34, s34, exec_lo
	s_delay_alu instid0(SALU_CYCLE_1)
	s_or_b32 s33, s33, s34
	s_and_not1_b32 exec_lo, exec_lo, s28
	s_cbranch_execz .LBB85_155
.LBB85_151:                             ;   Parent Loop BB85_6 Depth=1
                                        ; =>  This Inner Loop Header: Depth=2
	s_mov_b32 s34, exec_lo
	s_delay_alu instid0(VALU_DEP_1)
	v_cmpx_gt_u32_e64 s36, v36
	s_cbranch_execz .LBB85_148
; %bb.152:                              ;   in Loop: Header=BB85_151 Depth=2
	v_readfirstlane_b32 s58, v6
	v_readfirstlane_b32 s59, v7
	global_load_b32 v19, v20, s[58:59] scale_offset
	s_wait_loadcnt 0x0
	v_cmp_lt_i32_e32 vcc_lo, -1, v19
	v_cndmask_b32_e64 v2, -1, 0x80000000, vcc_lo
	v_cmp_o_f32_e32 vcc_lo, v19, v19
	s_delay_alu instid0(VALU_DEP_2) | instskip(NEXT) | instid1(VALU_DEP_1)
	v_xor_b32_e32 v2, v2, v19
	v_cndmask_b32_e32 v2, -1, v2, vcc_lo
	s_delay_alu instid0(VALU_DEP_1) | instskip(NEXT) | instid1(VALU_DEP_1)
	v_and_b32_e32 v2, v2, v12
	v_cmp_eq_u32_e32 vcc_lo, v2, v5
	s_and_b32 exec_lo, exec_lo, vcc_lo
	s_cbranch_execz .LBB85_148
; %bb.153:                              ;   in Loop: Header=BB85_151 Depth=2
	ds_store_b64 v13, v[18:19] offset:3072
	s_branch .LBB85_148
.LBB85_154:                             ;   in Loop: Header=BB85_151 Depth=2
	s_mov_b32 s38, -1
	s_mov_b32 s34, -1
                                        ; implicit-def: $vgpr36
                                        ; implicit-def: $vgpr20
	s_branch .LBB85_150
.LBB85_155:                             ;   in Loop: Header=BB85_6 Depth=1
	s_or_b32 exec_lo, exec_lo, s28
	s_delay_alu instid0(SALU_CYCLE_1) | instskip(SKIP_1) | instid1(SALU_CYCLE_1)
	s_and_not1_b32 s28, s31, exec_lo
	s_and_b32 s31, s33, exec_lo
	s_or_b32 s31, s28, s31
.LBB85_156:                             ;   in Loop: Header=BB85_6 Depth=1
	s_or_b32 exec_lo, exec_lo, s23
	s_mov_b32 s23, 0
	s_mov_b32 s28, -1
.LBB85_157:                             ;   in Loop: Header=BB85_6 Depth=1
	s_or_not1_b32 s31, s31, exec_lo
.LBB85_158:                             ;   in Loop: Header=BB85_6 Depth=1
	s_or_b32 exec_lo, exec_lo, s29
	s_mov_b32 s33, 0
	s_and_saveexec_b32 s29, s31
	s_cbranch_execz .LBB85_251
; %bb.159:                              ;   in Loop: Header=BB85_6 Depth=1
	v_dual_mov_b32 v20, 1 :: v_dual_mov_b32 v4, 1
	s_xor_b32 s31, s30, -1
	s_mov_b32 s38, 0
	s_and_saveexec_b32 s30, s31
	s_cbranch_execz .LBB85_168
; %bb.160:                              ;   in Loop: Header=BB85_6 Depth=1
	s_mov_b32 s31, exec_lo
	v_cmpx_ge_u32_e64 s20, v35
	s_xor_b32 s31, exec_lo, s31
	s_cbranch_execz .LBB85_165
; %bb.161:                              ;   in Loop: Header=BB85_6 Depth=1
	ds_load_b32 v2, v13 offset:4096
	s_lshl_b32 s33, 1, s84
	v_or_b32_e32 v12, s18, v12
	v_and_or_b32 v5, v5, s19, s33
	s_wait_dscnt 0x0
	v_cmp_ne_u32_e32 vcc_lo, 0, v2
	s_cbranch_vccnz .LBB85_165
; %bb.162:                              ;   in Loop: Header=BB85_6 Depth=1
	s_and_saveexec_b32 s33, s5
; %bb.163:                              ;   in Loop: Header=BB85_6 Depth=1
	v_mov_b32_e32 v2, s20
	ds_store_b32 v13, v2 offset:4100
; %bb.164:                              ;   in Loop: Header=BB85_6 Depth=1
	s_or_b32 exec_lo, exec_lo, s33
	s_wait_dscnt 0x0
	s_barrier_signal -1
	s_barrier_wait -1
.LBB85_165:                             ;   in Loop: Header=BB85_6 Depth=1
	s_or_saveexec_b32 s31, s31
	v_mov_b32_e32 v4, 8
	s_mov_b32 s33, 0
	s_xor_b32 exec_lo, exec_lo, s31
; %bb.166:                              ;   in Loop: Header=BB85_6 Depth=1
	v_subrev_nc_u32_e32 v35, s20, v35
	v_mov_b32_e32 v4, 0
	s_mov_b32 s33, exec_lo
; %bb.167:                              ;   in Loop: Header=BB85_6 Depth=1
	s_or_b32 exec_lo, exec_lo, s31
	s_delay_alu instid0(VALU_DEP_2)
	v_mov_b32_e32 v20, v35
	s_and_b32 s38, s33, exec_lo
.LBB85_168:                             ;   in Loop: Header=BB85_6 Depth=1
	s_or_b32 exec_lo, exec_lo, s30
	s_mov_b32 s34, -1
                                        ; implicit-def: $sgpr31
                                        ; implicit-def: $sgpr33
	s_and_saveexec_b32 s30, s38
	s_cbranch_execz .LBB85_250
; %bb.169:                              ;   in Loop: Header=BB85_6 Depth=1
	v_cmp_eq_u32_e32 vcc_lo, 1, v20
	s_cmp_eq_u32 s21, 1
	s_mov_b32 s38, -1
	s_cselect_b32 s31, -1, 0
                                        ; implicit-def: $sgpr33
	s_delay_alu instid0(SALU_CYCLE_1) | instskip(NEXT) | instid1(SALU_CYCLE_1)
	s_and_b32 s58, s31, vcc_lo
                                        ; implicit-def: $sgpr31
	s_and_saveexec_b32 s34, s58
	s_cbranch_execz .LBB85_197
; %bb.170:                              ;   in Loop: Header=BB85_6 Depth=1
	ds_load_b32 v2, v13 offset:4096
	s_wait_dscnt 0x0
	s_barrier_signal -1
	s_barrier_wait -1
	v_readfirstlane_b32 s59, v2
	s_and_saveexec_b32 s31, s6
; %bb.171:                              ;   in Loop: Header=BB85_6 Depth=1
	ds_store_b32 v22, v13
; %bb.172:                              ;   in Loop: Header=BB85_6 Depth=1
	s_or_b32 exec_lo, exec_lo, s31
	s_lshl_b32 s31, 2, s84
	v_or_b32_e32 v12, s18, v12
	v_and_or_b32 v5, v5, s19, s31
	s_mov_b32 s31, -1
	s_mov_b32 s33, 0
	s_cmp_eq_u32 s59, 0
	s_mov_b32 s38, 0
	s_mov_b32 s60, -1
	s_wait_dscnt 0x0
	s_barrier_signal -1
	s_barrier_wait -1
                                        ; implicit-def: $vgpr3
	s_cbranch_scc1 .LBB85_184
; %bb.173:                              ;   in Loop: Header=BB85_6 Depth=1
	s_add_co_i32 s38, s59, s70
                                        ; implicit-def: $vgpr3
	s_delay_alu instid0(SALU_CYCLE_1) | instskip(NEXT) | instid1(SALU_CYCLE_1)
	s_mul_u64 s[60:61], s[38:39], s[54:55]
	s_mul_i32 s60, s61, s41
	s_delay_alu instid0(SALU_CYCLE_1) | instskip(NEXT) | instid1(SALU_CYCLE_1)
	s_sub_co_i32 s60, s38, s60
	s_sub_co_i32 s61, s60, s41
	s_cmp_ge_u32 s60, s41
	s_cselect_b32 s60, s61, s60
	s_delay_alu instid0(SALU_CYCLE_1)
	s_sub_co_i32 s61, s60, s41
	s_cmp_ge_u32 s60, s41
	s_cselect_b32 s60, s61, s60
	s_mov_b32 s61, exec_lo
	s_sub_co_i32 s97, s38, s60
	s_mov_b32 s60, 0
	s_mov_b32 s38, 0
	v_cmpx_gt_u32_e64 s97, v0
	s_cbranch_execz .LBB85_183
; %bb.174:                              ;   in Loop: Header=BB85_6 Depth=1
	v_dual_mov_b32 v35, v1 :: v_dual_mov_b32 v36, v0
                                        ; implicit-def: $sgpr98
	s_branch .LBB85_178
.LBB85_175:                             ;   in Loop: Header=BB85_178 Depth=2
	s_or_b32 exec_lo, exec_lo, s99
	s_wait_dscnt 0x0
	s_barrier_signal -1
	s_barrier_wait -1
	ds_load_b64 v[2:3], v13 offset:3072
	s_wait_dscnt 0x0
	s_barrier_signal -1
	s_barrier_wait -1
	v_cmp_neq_f32_e32 vcc_lo, 0, v2
	s_cbranch_vccnz .LBB85_181
; %bb.176:                              ;   in Loop: Header=BB85_178 Depth=2
	v_dual_add_nc_u32 v36, s41, v36 :: v_dual_add_nc_u32 v35, s67, v35
	s_mov_b32 s99, 0
	s_delay_alu instid0(VALU_DEP_1)
	v_cmp_le_u32_e32 vcc_lo, s97, v36
	s_or_not1_b32 s100, vcc_lo, exec_lo
.LBB85_177:                             ;   in Loop: Header=BB85_178 Depth=2
	s_delay_alu instid0(SALU_CYCLE_1) | instskip(NEXT) | instid1(SALU_CYCLE_1)
	s_and_b32 s100, exec_lo, s100
	s_or_b32 s38, s100, s38
	s_and_not1_b32 s98, s98, exec_lo
	s_and_b32 s99, s99, exec_lo
	s_delay_alu instid0(SALU_CYCLE_1)
	s_or_b32 s98, s98, s99
	s_and_not1_b32 exec_lo, exec_lo, s38
	s_cbranch_execz .LBB85_182
.LBB85_178:                             ;   Parent Loop BB85_6 Depth=1
                                        ; =>  This Inner Loop Header: Depth=2
	s_mov_b32 s99, exec_lo
	s_delay_alu instid0(VALU_DEP_1)
	v_cmpx_gt_u32_e64 s59, v36
	s_cbranch_execz .LBB85_175
; %bb.179:                              ;   in Loop: Header=BB85_178 Depth=2
	ds_load_b32 v19, v35
	s_wait_dscnt 0x0
	v_cmp_lt_i32_e32 vcc_lo, -1, v19
	v_cndmask_b32_e64 v2, -1, 0x80000000, vcc_lo
	v_cmp_o_f32_e32 vcc_lo, v19, v19
	s_delay_alu instid0(VALU_DEP_2) | instskip(NEXT) | instid1(VALU_DEP_1)
	v_xor_b32_e32 v2, v2, v19
	v_cndmask_b32_e32 v2, -1, v2, vcc_lo
	s_delay_alu instid0(VALU_DEP_1) | instskip(NEXT) | instid1(VALU_DEP_1)
	v_and_b32_e32 v2, v2, v12
	v_cmp_eq_u32_e32 vcc_lo, v2, v5
	s_and_b32 exec_lo, exec_lo, vcc_lo
	s_cbranch_execz .LBB85_175
; %bb.180:                              ;   in Loop: Header=BB85_178 Depth=2
	ds_store_b64 v13, v[18:19] offset:3072
	s_branch .LBB85_175
.LBB85_181:                             ;   in Loop: Header=BB85_178 Depth=2
	s_mov_b32 s100, -1
	s_mov_b32 s99, -1
                                        ; implicit-def: $vgpr36
                                        ; implicit-def: $vgpr35
	s_branch .LBB85_177
.LBB85_182:                             ;   in Loop: Header=BB85_6 Depth=1
	s_or_b32 exec_lo, exec_lo, s38
	s_delay_alu instid0(SALU_CYCLE_1)
	s_and_b32 s38, s98, exec_lo
.LBB85_183:                             ;   in Loop: Header=BB85_6 Depth=1
	s_or_b32 exec_lo, exec_lo, s61
.LBB85_184:                             ;   in Loop: Header=BB85_6 Depth=1
	s_delay_alu instid0(SALU_CYCLE_1)
	s_and_b32 vcc_lo, exec_lo, s60
	s_cbranch_vccz .LBB85_196
; %bb.185:                              ;   in Loop: Header=BB85_6 Depth=1
                                        ; implicit-def: $vgpr3
	s_and_saveexec_b32 s31, s13
	s_cbranch_execz .LBB85_195
; %bb.186:                              ;   in Loop: Header=BB85_6 Depth=1
	v_dual_mov_b32 v35, v14 :: v_dual_mov_b32 v36, v0
	s_mov_b32 s33, 0
                                        ; implicit-def: $sgpr59
	s_branch .LBB85_190
.LBB85_187:                             ;   in Loop: Header=BB85_190 Depth=2
	s_or_b32 exec_lo, exec_lo, s60
	s_wait_dscnt 0x0
	s_barrier_signal -1
	s_barrier_wait -1
	ds_load_b64 v[2:3], v13 offset:3072
	s_wait_dscnt 0x0
	s_barrier_signal -1
	s_barrier_wait -1
	v_cmp_eq_f32_e32 vcc_lo, 0, v2
	s_cbranch_vccz .LBB85_193
; %bb.188:                              ;   in Loop: Header=BB85_190 Depth=2
	v_dual_add_nc_u32 v36, s41, v36 :: v_dual_add_nc_u32 v35, s50, v35
	s_mov_b32 s60, 0
	s_delay_alu instid0(VALU_DEP_1)
	v_cmp_le_u32_e32 vcc_lo, s81, v36
	s_or_not1_b32 s61, vcc_lo, exec_lo
.LBB85_189:                             ;   in Loop: Header=BB85_190 Depth=2
	s_delay_alu instid0(SALU_CYCLE_1) | instskip(NEXT) | instid1(SALU_CYCLE_1)
	s_and_b32 s61, exec_lo, s61
	s_or_b32 s33, s61, s33
	s_and_not1_b32 s59, s59, exec_lo
	s_and_b32 s60, s60, exec_lo
	s_delay_alu instid0(SALU_CYCLE_1)
	s_or_b32 s59, s59, s60
	s_and_not1_b32 exec_lo, exec_lo, s33
	s_cbranch_execz .LBB85_194
.LBB85_190:                             ;   Parent Loop BB85_6 Depth=1
                                        ; =>  This Inner Loop Header: Depth=2
	s_mov_b32 s60, exec_lo
	s_delay_alu instid0(VALU_DEP_1)
	v_cmpx_gt_u32_e64 s36, v36
	s_cbranch_execz .LBB85_187
; %bb.191:                              ;   in Loop: Header=BB85_190 Depth=2
	v_readfirstlane_b32 s98, v6
	v_readfirstlane_b32 s99, v7
	global_load_b32 v19, v35, s[98:99] scale_offset
	s_wait_loadcnt 0x0
	v_cmp_lt_i32_e32 vcc_lo, -1, v19
	v_cndmask_b32_e64 v2, -1, 0x80000000, vcc_lo
	v_cmp_o_f32_e32 vcc_lo, v19, v19
	s_delay_alu instid0(VALU_DEP_2) | instskip(NEXT) | instid1(VALU_DEP_1)
	v_xor_b32_e32 v2, v2, v19
	v_cndmask_b32_e32 v2, -1, v2, vcc_lo
	s_delay_alu instid0(VALU_DEP_1) | instskip(NEXT) | instid1(VALU_DEP_1)
	v_and_b32_e32 v2, v2, v12
	v_cmp_eq_u32_e32 vcc_lo, v2, v5
	s_and_b32 exec_lo, exec_lo, vcc_lo
	s_cbranch_execz .LBB85_187
; %bb.192:                              ;   in Loop: Header=BB85_190 Depth=2
	ds_store_b64 v13, v[18:19] offset:3072
	s_branch .LBB85_187
.LBB85_193:                             ;   in Loop: Header=BB85_190 Depth=2
	s_mov_b32 s61, -1
	s_mov_b32 s60, -1
                                        ; implicit-def: $vgpr36
                                        ; implicit-def: $vgpr35
	s_branch .LBB85_189
.LBB85_194:                             ;   in Loop: Header=BB85_6 Depth=1
	s_or_b32 exec_lo, exec_lo, s33
	s_delay_alu instid0(SALU_CYCLE_1) | instskip(SKIP_1) | instid1(SALU_CYCLE_1)
	s_and_not1_b32 s33, s38, exec_lo
	s_and_b32 s38, s59, exec_lo
	s_or_b32 s38, s33, s38
.LBB85_195:                             ;   in Loop: Header=BB85_6 Depth=1
	s_or_b32 exec_lo, exec_lo, s31
	s_mov_b32 s31, 0
	s_mov_b32 s33, -1
.LBB85_196:                             ;   in Loop: Header=BB85_6 Depth=1
	s_or_not1_b32 s38, s38, exec_lo
.LBB85_197:                             ;   in Loop: Header=BB85_6 Depth=1
	s_or_b32 exec_lo, exec_lo, s34
	s_mov_b32 s59, 0
	s_and_saveexec_b32 s34, s38
	s_cbranch_execz .LBB85_249
; %bb.198:                              ;   in Loop: Header=BB85_6 Depth=1
	v_dual_mov_b32 v35, 1 :: v_dual_mov_b32 v4, 1
	s_xor_b32 s58, s58, -1
	s_delay_alu instid0(SALU_CYCLE_1)
	s_and_saveexec_b32 s38, s58
	s_cbranch_execz .LBB85_207
; %bb.199:                              ;   in Loop: Header=BB85_6 Depth=1
	s_mov_b32 s58, exec_lo
	v_cmpx_ge_u32_e64 s21, v20
	s_xor_b32 s58, exec_lo, s58
	s_cbranch_execz .LBB85_204
; %bb.200:                              ;   in Loop: Header=BB85_6 Depth=1
	ds_load_b32 v2, v13 offset:4096
	s_lshl_b32 s59, 2, s84
	v_or_b32_e32 v12, s18, v12
	v_and_or_b32 v5, v5, s19, s59
	s_wait_dscnt 0x0
	v_cmp_ne_u32_e32 vcc_lo, 0, v2
	s_cbranch_vccnz .LBB85_204
; %bb.201:                              ;   in Loop: Header=BB85_6 Depth=1
	s_and_saveexec_b32 s59, s5
; %bb.202:                              ;   in Loop: Header=BB85_6 Depth=1
	v_mov_b32_e32 v2, s21
	ds_store_b32 v13, v2 offset:4100
; %bb.203:                              ;   in Loop: Header=BB85_6 Depth=1
	s_or_b32 exec_lo, exec_lo, s59
	s_wait_dscnt 0x0
	s_barrier_signal -1
	s_barrier_wait -1
.LBB85_204:                             ;   in Loop: Header=BB85_6 Depth=1
	s_or_saveexec_b32 s58, s58
	v_mov_b32_e32 v4, 8
	s_mov_b32 s59, 0
	s_xor_b32 exec_lo, exec_lo, s58
; %bb.205:                              ;   in Loop: Header=BB85_6 Depth=1
	v_subrev_nc_u32_e32 v20, s21, v20
	v_mov_b32_e32 v4, 0
	s_mov_b32 s59, exec_lo
; %bb.206:                              ;   in Loop: Header=BB85_6 Depth=1
	s_or_b32 exec_lo, exec_lo, s58
	s_delay_alu instid0(VALU_DEP_2)
	v_mov_b32_e32 v35, v20
	s_and_b32 s59, s59, exec_lo
.LBB85_207:                             ;   in Loop: Header=BB85_6 Depth=1
	s_or_b32 exec_lo, exec_lo, s38
	s_mov_b32 s38, -1
                                        ; implicit-def: $sgpr61
                                        ; implicit-def: $sgpr60
	s_and_saveexec_b32 s58, s59
	s_cbranch_execz .LBB85_248
; %bb.208:                              ;   in Loop: Header=BB85_6 Depth=1
	v_cmp_eq_u32_e32 vcc_lo, 1, v35
	s_cmp_eq_u32 s22, 1
	s_mov_b32 s98, -1
	s_cselect_b32 s38, -1, 0
                                        ; implicit-def: $sgpr61
                                        ; implicit-def: $sgpr60
	s_delay_alu instid0(SALU_CYCLE_1) | instskip(NEXT) | instid1(SALU_CYCLE_1)
	s_and_b32 s59, s38, vcc_lo
	s_and_saveexec_b32 s97, s59
	s_cbranch_execz .LBB85_236
; %bb.209:                              ;   in Loop: Header=BB85_6 Depth=1
	ds_load_b32 v2, v13 offset:4096
	s_wait_dscnt 0x0
	s_barrier_signal -1
	s_barrier_wait -1
	v_readfirstlane_b32 s98, v2
	s_and_saveexec_b32 s38, s6
; %bb.210:                              ;   in Loop: Header=BB85_6 Depth=1
	ds_store_b32 v22, v13
; %bb.211:                              ;   in Loop: Header=BB85_6 Depth=1
	s_or_b32 exec_lo, exec_lo, s38
	v_or_b32_e32 v5, s18, v5
	v_or_b32_e32 v12, s18, v12
	s_mov_b32 s60, -1
	s_mov_b32 s61, 0
	s_cmp_eq_u32 s98, 0
	s_mov_b32 s38, 0
	s_mov_b32 s99, -1
	s_wait_dscnt 0x0
	s_barrier_signal -1
	s_barrier_wait -1
                                        ; implicit-def: $vgpr3
	s_cbranch_scc1 .LBB85_223
; %bb.212:                              ;   in Loop: Header=BB85_6 Depth=1
	s_add_co_i32 s38, s98, s70
                                        ; implicit-def: $vgpr3
	s_delay_alu instid0(SALU_CYCLE_1) | instskip(NEXT) | instid1(SALU_CYCLE_1)
	s_mul_u64 s[100:101], s[38:39], s[54:55]
	s_mul_i32 s99, s101, s41
	s_delay_alu instid0(SALU_CYCLE_1) | instskip(NEXT) | instid1(SALU_CYCLE_1)
	s_sub_co_i32 s99, s38, s99
	s_sub_co_i32 s100, s99, s41
	s_cmp_ge_u32 s99, s41
	s_cselect_b32 s99, s100, s99
	s_delay_alu instid0(SALU_CYCLE_1)
	s_sub_co_i32 s100, s99, s41
	s_cmp_ge_u32 s99, s41
	s_cselect_b32 s99, s100, s99
	s_mov_b32 s100, exec_lo
	s_sub_co_i32 s101, s38, s99
	s_mov_b32 s99, 0
	s_mov_b32 s38, 0
	v_cmpx_gt_u32_e64 s101, v0
	s_cbranch_execz .LBB85_222
; %bb.213:                              ;   in Loop: Header=BB85_6 Depth=1
	v_dual_mov_b32 v20, v1 :: v_dual_mov_b32 v36, v0
                                        ; implicit-def: $sgpr102
	s_branch .LBB85_217
.LBB85_214:                             ;   in Loop: Header=BB85_217 Depth=2
	s_or_b32 exec_lo, exec_lo, s103
	s_wait_dscnt 0x0
	s_barrier_signal -1
	s_barrier_wait -1
	ds_load_b64 v[2:3], v13 offset:3072
	s_wait_dscnt 0x0
	s_barrier_signal -1
	s_barrier_wait -1
	v_cmp_neq_f32_e32 vcc_lo, 0, v2
	s_cbranch_vccnz .LBB85_220
; %bb.215:                              ;   in Loop: Header=BB85_217 Depth=2
	v_add_nc_u32_e32 v36, s41, v36
	v_add_nc_u32_e32 v20, s67, v20
	s_mov_b32 s103, 0
	s_delay_alu instid0(VALU_DEP_2)
	v_cmp_le_u32_e32 vcc_lo, s101, v36
	s_or_not1_b32 s104, vcc_lo, exec_lo
.LBB85_216:                             ;   in Loop: Header=BB85_217 Depth=2
	s_delay_alu instid0(SALU_CYCLE_1) | instskip(NEXT) | instid1(SALU_CYCLE_1)
	s_and_b32 s104, exec_lo, s104
	s_or_b32 s38, s104, s38
	s_and_not1_b32 s102, s102, exec_lo
	s_and_b32 s103, s103, exec_lo
	s_delay_alu instid0(SALU_CYCLE_1)
	s_or_b32 s102, s102, s103
	s_and_not1_b32 exec_lo, exec_lo, s38
	s_cbranch_execz .LBB85_221
.LBB85_217:                             ;   Parent Loop BB85_6 Depth=1
                                        ; =>  This Inner Loop Header: Depth=2
	s_mov_b32 s103, exec_lo
	s_delay_alu instid0(VALU_DEP_1)
	v_cmpx_gt_u32_e64 s98, v36
	s_cbranch_execz .LBB85_214
; %bb.218:                              ;   in Loop: Header=BB85_217 Depth=2
	ds_load_b32 v19, v20
	s_wait_dscnt 0x0
	v_cmp_lt_i32_e32 vcc_lo, -1, v19
	v_cndmask_b32_e64 v2, -1, 0x80000000, vcc_lo
	v_cmp_o_f32_e32 vcc_lo, v19, v19
	s_delay_alu instid0(VALU_DEP_2) | instskip(NEXT) | instid1(VALU_DEP_1)
	v_xor_b32_e32 v2, v2, v19
	v_cndmask_b32_e32 v2, -1, v2, vcc_lo
	s_delay_alu instid0(VALU_DEP_1) | instskip(NEXT) | instid1(VALU_DEP_1)
	v_and_b32_e32 v2, v2, v12
	v_cmp_eq_u32_e32 vcc_lo, v2, v5
	s_and_b32 exec_lo, exec_lo, vcc_lo
	s_cbranch_execz .LBB85_214
; %bb.219:                              ;   in Loop: Header=BB85_217 Depth=2
	ds_store_b64 v13, v[18:19] offset:3072
	s_branch .LBB85_214
.LBB85_220:                             ;   in Loop: Header=BB85_217 Depth=2
	s_mov_b32 s104, -1
	s_mov_b32 s103, -1
                                        ; implicit-def: $vgpr36
                                        ; implicit-def: $vgpr20
	s_branch .LBB85_216
.LBB85_221:                             ;   in Loop: Header=BB85_6 Depth=1
	s_or_b32 exec_lo, exec_lo, s38
	s_delay_alu instid0(SALU_CYCLE_1)
	s_and_b32 s38, s102, exec_lo
.LBB85_222:                             ;   in Loop: Header=BB85_6 Depth=1
	s_or_b32 exec_lo, exec_lo, s100
.LBB85_223:                             ;   in Loop: Header=BB85_6 Depth=1
	s_delay_alu instid0(SALU_CYCLE_1)
	s_and_b32 vcc_lo, exec_lo, s99
	s_cbranch_vccz .LBB85_235
; %bb.224:                              ;   in Loop: Header=BB85_6 Depth=1
                                        ; implicit-def: $vgpr3
	s_and_saveexec_b32 s60, s13
	s_cbranch_execz .LBB85_234
; %bb.225:                              ;   in Loop: Header=BB85_6 Depth=1
	v_dual_mov_b32 v20, v14 :: v_dual_mov_b32 v36, v0
	s_mov_b32 s61, 0
                                        ; implicit-def: $sgpr98
	s_branch .LBB85_229
.LBB85_226:                             ;   in Loop: Header=BB85_229 Depth=2
	s_or_b32 exec_lo, exec_lo, s99
	s_wait_dscnt 0x0
	s_barrier_signal -1
	s_barrier_wait -1
	ds_load_b64 v[2:3], v13 offset:3072
	s_wait_dscnt 0x0
	s_barrier_signal -1
	s_barrier_wait -1
	v_cmp_eq_f32_e32 vcc_lo, 0, v2
	s_cbranch_vccz .LBB85_232
; %bb.227:                              ;   in Loop: Header=BB85_229 Depth=2
	v_add_nc_u32_e32 v36, s41, v36
	v_add_nc_u32_e32 v20, s50, v20
	s_mov_b32 s99, 0
	s_delay_alu instid0(VALU_DEP_2)
	v_cmp_le_u32_e32 vcc_lo, s81, v36
	s_or_not1_b32 s100, vcc_lo, exec_lo
.LBB85_228:                             ;   in Loop: Header=BB85_229 Depth=2
	s_delay_alu instid0(SALU_CYCLE_1) | instskip(NEXT) | instid1(SALU_CYCLE_1)
	s_and_b32 s100, exec_lo, s100
	s_or_b32 s61, s100, s61
	s_and_not1_b32 s98, s98, exec_lo
	s_and_b32 s99, s99, exec_lo
	s_delay_alu instid0(SALU_CYCLE_1)
	s_or_b32 s98, s98, s99
	s_and_not1_b32 exec_lo, exec_lo, s61
	s_cbranch_execz .LBB85_233
.LBB85_229:                             ;   Parent Loop BB85_6 Depth=1
                                        ; =>  This Inner Loop Header: Depth=2
	s_mov_b32 s99, exec_lo
	s_delay_alu instid0(VALU_DEP_1)
	v_cmpx_gt_u32_e64 s36, v36
	s_cbranch_execz .LBB85_226
; %bb.230:                              ;   in Loop: Header=BB85_229 Depth=2
	v_readfirstlane_b32 s100, v6
	v_readfirstlane_b32 s101, v7
	global_load_b32 v19, v20, s[100:101] scale_offset
	s_wait_loadcnt 0x0
	v_cmp_lt_i32_e32 vcc_lo, -1, v19
	v_cndmask_b32_e64 v2, -1, 0x80000000, vcc_lo
	v_cmp_o_f32_e32 vcc_lo, v19, v19
	s_delay_alu instid0(VALU_DEP_2) | instskip(NEXT) | instid1(VALU_DEP_1)
	v_xor_b32_e32 v2, v2, v19
	v_cndmask_b32_e32 v2, -1, v2, vcc_lo
	s_delay_alu instid0(VALU_DEP_1) | instskip(NEXT) | instid1(VALU_DEP_1)
	v_and_b32_e32 v2, v2, v12
	v_cmp_eq_u32_e32 vcc_lo, v2, v5
	s_and_b32 exec_lo, exec_lo, vcc_lo
	s_cbranch_execz .LBB85_226
; %bb.231:                              ;   in Loop: Header=BB85_229 Depth=2
	ds_store_b64 v13, v[18:19] offset:3072
	s_branch .LBB85_226
.LBB85_232:                             ;   in Loop: Header=BB85_229 Depth=2
	s_mov_b32 s100, -1
	s_mov_b32 s99, -1
                                        ; implicit-def: $vgpr36
                                        ; implicit-def: $vgpr20
	s_branch .LBB85_228
.LBB85_233:                             ;   in Loop: Header=BB85_6 Depth=1
	s_or_b32 exec_lo, exec_lo, s61
	s_delay_alu instid0(SALU_CYCLE_1) | instskip(SKIP_1) | instid1(SALU_CYCLE_1)
	s_and_not1_b32 s38, s38, exec_lo
	s_and_b32 s61, s98, exec_lo
	s_or_b32 s38, s38, s61
.LBB85_234:                             ;   in Loop: Header=BB85_6 Depth=1
	s_or_b32 exec_lo, exec_lo, s60
	s_mov_b32 s60, 0
	s_mov_b32 s61, -1
.LBB85_235:                             ;   in Loop: Header=BB85_6 Depth=1
	s_or_not1_b32 s98, s38, exec_lo
.LBB85_236:                             ;   in Loop: Header=BB85_6 Depth=1
	s_or_b32 exec_lo, exec_lo, s97
	s_mov_b32 s97, 0
	s_and_saveexec_b32 s38, s98
	s_cbranch_execz .LBB85_247
; %bb.237:                              ;   in Loop: Header=BB85_6 Depth=1
	v_dual_mov_b32 v4, 1 :: v_dual_mov_b32 v2, 1
	s_xor_b32 s97, s59, -1
	s_delay_alu instid0(SALU_CYCLE_1)
	s_and_saveexec_b32 s59, s97
	s_cbranch_execz .LBB85_246
; %bb.238:                              ;   in Loop: Header=BB85_6 Depth=1
	s_mov_b32 s97, exec_lo
	v_cmpx_ge_u32_e64 s22, v35
	s_xor_b32 s97, exec_lo, s97
	s_cbranch_execz .LBB85_243
; %bb.239:                              ;   in Loop: Header=BB85_6 Depth=1
	ds_load_b32 v2, v13 offset:4096
	v_or_b32_e32 v5, s18, v5
	v_or_b32_e32 v12, s18, v12
	s_wait_dscnt 0x0
	v_cmp_ne_u32_e32 vcc_lo, 0, v2
	s_cbranch_vccnz .LBB85_243
; %bb.240:                              ;   in Loop: Header=BB85_6 Depth=1
	s_and_saveexec_b32 s98, s5
; %bb.241:                              ;   in Loop: Header=BB85_6 Depth=1
	v_mov_b32_e32 v2, s22
	ds_store_b32 v13, v2 offset:4100
; %bb.242:                              ;   in Loop: Header=BB85_6 Depth=1
	s_or_b32 exec_lo, exec_lo, s98
	s_wait_dscnt 0x0
	s_barrier_signal -1
	s_barrier_wait -1
.LBB85_243:                             ;   in Loop: Header=BB85_6 Depth=1
	s_and_not1_saveexec_b32 s97, s97
; %bb.244:                              ;   in Loop: Header=BB85_6 Depth=1
	v_subrev_nc_u32_e32 v35, s22, v35
; %bb.245:                              ;   in Loop: Header=BB85_6 Depth=1
	s_or_b32 exec_lo, exec_lo, s97
	s_delay_alu instid0(VALU_DEP_1)
	v_dual_mov_b32 v4, 8 :: v_dual_mov_b32 v2, v35
.LBB85_246:                             ;   in Loop: Header=BB85_6 Depth=1
	s_or_b32 exec_lo, exec_lo, s59
	s_delay_alu instid0(VALU_DEP_1)
	v_mov_b32_e32 v35, v2
	s_mov_b32 s97, exec_lo
.LBB85_247:                             ;   in Loop: Header=BB85_6 Depth=1
	s_or_b32 exec_lo, exec_lo, s38
	s_delay_alu instid0(SALU_CYCLE_1)
	s_or_not1_b32 s38, s97, exec_lo
.LBB85_248:                             ;   in Loop: Header=BB85_6 Depth=1
	s_or_b32 exec_lo, exec_lo, s58
	v_mov_b32_e32 v20, v35
	s_and_not1_b32 s33, s33, exec_lo
	s_and_b32 s58, s61, exec_lo
	s_and_not1_b32 s31, s31, exec_lo
	s_and_b32 s59, s60, exec_lo
	s_or_b32 s33, s33, s58
	s_or_b32 s31, s31, s59
	s_and_b32 s59, s38, exec_lo
.LBB85_249:                             ;   in Loop: Header=BB85_6 Depth=1
	s_or_b32 exec_lo, exec_lo, s34
	s_delay_alu instid0(SALU_CYCLE_1)
	s_or_not1_b32 s34, s59, exec_lo
.LBB85_250:                             ;   in Loop: Header=BB85_6 Depth=1
	s_or_b32 exec_lo, exec_lo, s30
	v_mov_b32_e32 v35, v20
	s_and_not1_b32 s28, s28, exec_lo
	s_and_b32 s30, s33, exec_lo
	s_and_not1_b32 s23, s23, exec_lo
	s_and_b32 s31, s31, exec_lo
	s_or_b32 s28, s28, s30
	s_or_b32 s23, s23, s31
	s_and_b32 s33, s34, exec_lo
.LBB85_251:                             ;   in Loop: Header=BB85_6 Depth=1
	s_or_b32 exec_lo, exec_lo, s29
	s_delay_alu instid0(SALU_CYCLE_1)
	s_or_not1_b32 s29, s33, exec_lo
.LBB85_252:                             ;   in Loop: Header=BB85_6 Depth=1
	s_or_b32 exec_lo, exec_lo, s15
	s_mov_b32 s30, 0
	s_mov_b32 s31, 0
	s_and_saveexec_b32 s15, s29
	s_delay_alu instid0(SALU_CYCLE_1)
	s_xor_b32 s29, exec_lo, s15
; %bb.253:                              ;   in Loop: Header=BB85_6 Depth=1
	v_cmp_ne_u32_e32 vcc_lo, 8, v4
	v_cmp_eq_u32_e64 s15, 8, v4
	s_and_b32 s31, vcc_lo, exec_lo
	s_and_b32 s30, s15, exec_lo
; %bb.254:                              ;   in Loop: Header=BB85_6 Depth=1
	s_or_b32 exec_lo, exec_lo, s29
	s_delay_alu instid0(SALU_CYCLE_1)
	s_and_not1_b32 s15, s25, exec_lo
	s_and_b32 s25, s28, exec_lo
	s_and_not1_b32 s24, s24, exec_lo
	s_and_b32 s23, s23, exec_lo
	s_or_b32 s25, s15, s25
	s_or_b32 s24, s24, s23
	s_and_b32 s15, s31, exec_lo
	s_and_b32 s23, s30, exec_lo
.LBB85_255:                             ;   in Loop: Header=BB85_6 Depth=1
	s_or_b32 exec_lo, exec_lo, s27
.LBB85_256:                             ;   in Loop: Header=BB85_6 Depth=1
	s_delay_alu instid0(SALU_CYCLE_1)
	s_and_b32 vcc_lo, exec_lo, s26
	s_cbranch_vccz .LBB85_270
; %bb.257:                              ;   in Loop: Header=BB85_6 Depth=1
	s_cmp_eq_u32 s22, 1
	s_mov_b32 s25, -1
	s_cselect_b32 s16, -1, 0
                                        ; implicit-def: $sgpr26
	s_delay_alu instid0(SALU_CYCLE_1) | instskip(NEXT) | instid1(SALU_CYCLE_1)
	s_and_b32 s14, s16, s14
                                        ; implicit-def: $sgpr16
	s_and_saveexec_b32 s24, s14
	s_cbranch_execz .LBB85_286
; %bb.258:                              ;   in Loop: Header=BB85_6 Depth=1
	ds_load_b32 v2, v13 offset:4096
	s_wait_dscnt 0x0
	s_barrier_signal -1
	s_barrier_wait -1
	v_readfirstlane_b32 s27, v2
	s_and_saveexec_b32 s16, s6
; %bb.259:                              ;   in Loop: Header=BB85_6 Depth=1
	ds_store_b32 v22, v13
; %bb.260:                              ;   in Loop: Header=BB85_6 Depth=1
	s_or_b32 exec_lo, exec_lo, s16
	v_or_b32_e32 v26, s18, v26
	v_or_b32_e32 v33, s18, v33
	s_mov_b32 s16, -1
	s_mov_b32 s26, 0
	s_cmp_eq_u32 s27, 0
	s_mov_b32 s25, 0
	s_mov_b32 s28, -1
	s_wait_dscnt 0x0
	s_barrier_signal -1
	s_barrier_wait -1
                                        ; implicit-def: $vgpr21
	s_cbranch_scc1 .LBB85_273
; %bb.261:                              ;   in Loop: Header=BB85_6 Depth=1
	s_add_co_i32 s38, s27, s70
                                        ; implicit-def: $vgpr21
	s_delay_alu instid0(SALU_CYCLE_1) | instskip(NEXT) | instid1(SALU_CYCLE_1)
	s_mul_u64 s[28:29], s[38:39], s[54:55]
	s_mul_i32 s25, s29, s41
	s_mov_b32 s29, exec_lo
	s_sub_co_i32 s25, s38, s25
	s_delay_alu instid0(SALU_CYCLE_1) | instskip(SKIP_2) | instid1(SALU_CYCLE_1)
	s_sub_co_i32 s28, s25, s41
	s_cmp_ge_u32 s25, s41
	s_cselect_b32 s25, s28, s25
	s_sub_co_i32 s28, s25, s41
	s_cmp_ge_u32 s25, s41
	s_cselect_b32 s25, s28, s25
	s_mov_b32 s28, 0
	s_sub_co_i32 s30, s38, s25
	s_mov_b32 s25, 0
	v_cmpx_gt_u32_e64 s30, v0
	s_cbranch_execz .LBB85_272
; %bb.262:                              ;   in Loop: Header=BB85_6 Depth=1
	v_dual_mov_b32 v2, v1 :: v_dual_mov_b32 v3, v0
                                        ; implicit-def: $sgpr31
	s_branch .LBB85_266
.LBB85_263:                             ;   in Loop: Header=BB85_266 Depth=2
	s_or_b32 exec_lo, exec_lo, s33
	s_wait_dscnt 0x0
	s_barrier_signal -1
	s_barrier_wait -1
	ds_load_b64 v[20:21], v13 offset:3072
	s_wait_dscnt 0x0
	s_barrier_signal -1
	s_barrier_wait -1
	v_cmp_neq_f32_e32 vcc_lo, 0, v20
	s_cbranch_vccnz .LBB85_269
; %bb.264:                              ;   in Loop: Header=BB85_266 Depth=2
	v_dual_add_nc_u32 v3, s41, v3 :: v_dual_add_nc_u32 v2, s67, v2
	s_mov_b32 s33, 0
	s_delay_alu instid0(VALU_DEP_1)
	v_cmp_le_u32_e32 vcc_lo, s30, v3
	s_or_not1_b32 s34, vcc_lo, exec_lo
.LBB85_265:                             ;   in Loop: Header=BB85_266 Depth=2
	s_delay_alu instid0(SALU_CYCLE_1) | instskip(NEXT) | instid1(SALU_CYCLE_1)
	s_and_b32 s34, exec_lo, s34
	s_or_b32 s25, s34, s25
	s_and_not1_b32 s31, s31, exec_lo
	s_and_b32 s33, s33, exec_lo
	s_delay_alu instid0(SALU_CYCLE_1)
	s_or_b32 s31, s31, s33
	s_and_not1_b32 exec_lo, exec_lo, s25
	s_cbranch_execz .LBB85_271
.LBB85_266:                             ;   Parent Loop BB85_6 Depth=1
                                        ; =>  This Inner Loop Header: Depth=2
	s_mov_b32 s33, exec_lo
	s_delay_alu instid0(VALU_DEP_1)
	v_cmpx_gt_u32_e64 s27, v3
	s_cbranch_execz .LBB85_263
; %bb.267:                              ;   in Loop: Header=BB85_266 Depth=2
	ds_load_b32 v19, v2
	s_wait_dscnt 0x0
	v_cmp_lt_i32_e32 vcc_lo, -1, v19
	v_cndmask_b32_e64 v4, -1, 0x80000000, vcc_lo
	v_cmp_o_f32_e32 vcc_lo, v19, v19
	s_delay_alu instid0(VALU_DEP_2) | instskip(NEXT) | instid1(VALU_DEP_1)
	v_xor_b32_e32 v4, v4, v19
	v_cndmask_b32_e32 v4, -1, v4, vcc_lo
	s_delay_alu instid0(VALU_DEP_1) | instskip(NEXT) | instid1(VALU_DEP_1)
	v_and_b32_e32 v4, v4, v33
	v_cmp_eq_u32_e32 vcc_lo, v4, v26
	s_and_b32 exec_lo, exec_lo, vcc_lo
	s_cbranch_execz .LBB85_263
; %bb.268:                              ;   in Loop: Header=BB85_266 Depth=2
	ds_store_b64 v13, v[18:19] offset:3072
	s_branch .LBB85_263
.LBB85_269:                             ;   in Loop: Header=BB85_266 Depth=2
	s_mov_b32 s34, -1
	s_mov_b32 s33, -1
                                        ; implicit-def: $vgpr3
                                        ; implicit-def: $vgpr2
	s_branch .LBB85_265
.LBB85_270:                             ;   in Loop: Header=BB85_6 Depth=1
	v_dual_mov_b32 v26, v5 :: v_dual_mov_b32 v33, v12
	v_mov_b32_e32 v21, v3
	s_mov_b32 s26, 0
	s_and_saveexec_b32 s14, s23
	s_cbranch_execnz .LBB85_423
	s_branch .LBB85_424
.LBB85_271:                             ;   in Loop: Header=BB85_6 Depth=1
	s_or_b32 exec_lo, exec_lo, s25
	s_delay_alu instid0(SALU_CYCLE_1)
	s_and_b32 s25, s31, exec_lo
.LBB85_272:                             ;   in Loop: Header=BB85_6 Depth=1
	s_or_b32 exec_lo, exec_lo, s29
.LBB85_273:                             ;   in Loop: Header=BB85_6 Depth=1
	s_delay_alu instid0(SALU_CYCLE_1)
	s_and_b32 vcc_lo, exec_lo, s28
	s_cbranch_vccz .LBB85_285
; %bb.274:                              ;   in Loop: Header=BB85_6 Depth=1
                                        ; implicit-def: $vgpr21
	s_and_saveexec_b32 s16, s13
	s_cbranch_execz .LBB85_284
; %bb.275:                              ;   in Loop: Header=BB85_6 Depth=1
	v_dual_mov_b32 v2, v14 :: v_dual_mov_b32 v3, v0
	s_mov_b32 s26, 0
                                        ; implicit-def: $sgpr27
	s_branch .LBB85_279
.LBB85_276:                             ;   in Loop: Header=BB85_279 Depth=2
	s_or_b32 exec_lo, exec_lo, s28
	s_wait_dscnt 0x0
	s_barrier_signal -1
	s_barrier_wait -1
	ds_load_b64 v[20:21], v13 offset:3072
	s_wait_dscnt 0x0
	s_barrier_signal -1
	s_barrier_wait -1
	v_cmp_neq_f32_e32 vcc_lo, 0, v20
	s_cbranch_vccnz .LBB85_282
; %bb.277:                              ;   in Loop: Header=BB85_279 Depth=2
	v_dual_add_nc_u32 v3, s41, v3 :: v_dual_add_nc_u32 v2, s50, v2
	s_mov_b32 s28, 0
	s_delay_alu instid0(VALU_DEP_1)
	v_cmp_le_u32_e32 vcc_lo, s81, v3
	s_or_not1_b32 s29, vcc_lo, exec_lo
.LBB85_278:                             ;   in Loop: Header=BB85_279 Depth=2
	s_delay_alu instid0(SALU_CYCLE_1) | instskip(NEXT) | instid1(SALU_CYCLE_1)
	s_and_b32 s29, exec_lo, s29
	s_or_b32 s26, s29, s26
	s_and_not1_b32 s27, s27, exec_lo
	s_and_b32 s28, s28, exec_lo
	s_delay_alu instid0(SALU_CYCLE_1)
	s_or_b32 s27, s27, s28
	s_and_not1_b32 exec_lo, exec_lo, s26
	s_cbranch_execz .LBB85_283
.LBB85_279:                             ;   Parent Loop BB85_6 Depth=1
                                        ; =>  This Inner Loop Header: Depth=2
	s_mov_b32 s28, exec_lo
	s_delay_alu instid0(VALU_DEP_1)
	v_cmpx_gt_u32_e64 s36, v3
	s_cbranch_execz .LBB85_276
; %bb.280:                              ;   in Loop: Header=BB85_279 Depth=2
	v_readfirstlane_b32 s30, v6
	v_readfirstlane_b32 s31, v7
	global_load_b32 v19, v2, s[30:31] scale_offset
	s_wait_loadcnt 0x0
	v_cmp_lt_i32_e32 vcc_lo, -1, v19
	v_cndmask_b32_e64 v4, -1, 0x80000000, vcc_lo
	v_cmp_o_f32_e32 vcc_lo, v19, v19
	s_delay_alu instid0(VALU_DEP_2) | instskip(NEXT) | instid1(VALU_DEP_1)
	v_xor_b32_e32 v4, v4, v19
	v_cndmask_b32_e32 v4, -1, v4, vcc_lo
	s_delay_alu instid0(VALU_DEP_1) | instskip(NEXT) | instid1(VALU_DEP_1)
	v_and_b32_e32 v4, v4, v33
	v_cmp_eq_u32_e32 vcc_lo, v4, v26
	s_and_b32 exec_lo, exec_lo, vcc_lo
	s_cbranch_execz .LBB85_276
; %bb.281:                              ;   in Loop: Header=BB85_279 Depth=2
	ds_store_b64 v13, v[18:19] offset:3072
	s_branch .LBB85_276
.LBB85_282:                             ;   in Loop: Header=BB85_279 Depth=2
	s_mov_b32 s29, -1
	s_mov_b32 s28, -1
                                        ; implicit-def: $vgpr3
                                        ; implicit-def: $vgpr2
	s_branch .LBB85_278
.LBB85_283:                             ;   in Loop: Header=BB85_6 Depth=1
	s_or_b32 exec_lo, exec_lo, s26
	s_delay_alu instid0(SALU_CYCLE_1) | instskip(SKIP_1) | instid1(SALU_CYCLE_1)
	s_and_not1_b32 s25, s25, exec_lo
	s_and_b32 s26, s27, exec_lo
	s_or_b32 s25, s25, s26
.LBB85_284:                             ;   in Loop: Header=BB85_6 Depth=1
	s_or_b32 exec_lo, exec_lo, s16
	s_mov_b32 s16, 0
	s_mov_b32 s26, -1
.LBB85_285:                             ;   in Loop: Header=BB85_6 Depth=1
	s_or_not1_b32 s25, s25, exec_lo
.LBB85_286:                             ;   in Loop: Header=BB85_6 Depth=1
	s_or_b32 exec_lo, exec_lo, s24
                                        ; implicit-def: $vgpr35
                                        ; implicit-def: $vgpr4
	s_and_saveexec_b32 s24, s25
	s_cbranch_execz .LBB85_422
; %bb.287:                              ;   in Loop: Header=BB85_6 Depth=1
	v_dual_mov_b32 v35, 1 :: v_dual_mov_b32 v4, 1
	s_xor_b32 s25, s14, -1
	s_mov_b32 s28, 0
	s_and_saveexec_b32 s14, s25
	s_cbranch_execz .LBB85_296
; %bb.288:                              ;   in Loop: Header=BB85_6 Depth=1
	s_mov_b32 s25, exec_lo
	v_cmpx_ge_u32_e64 s22, v34
	s_xor_b32 s25, exec_lo, s25
	s_cbranch_execz .LBB85_293
; %bb.289:                              ;   in Loop: Header=BB85_6 Depth=1
	ds_load_b32 v2, v13 offset:4096
	v_or_b32_e32 v26, s18, v26
	v_or_b32_e32 v33, s18, v33
	s_wait_dscnt 0x0
	v_cmp_ne_u32_e32 vcc_lo, 0, v2
	s_cbranch_vccnz .LBB85_293
; %bb.290:                              ;   in Loop: Header=BB85_6 Depth=1
	s_and_saveexec_b32 s27, s5
; %bb.291:                              ;   in Loop: Header=BB85_6 Depth=1
	v_mov_b32_e32 v2, s22
	ds_store_b32 v13, v2 offset:4100
; %bb.292:                              ;   in Loop: Header=BB85_6 Depth=1
	s_or_b32 exec_lo, exec_lo, s27
	s_wait_dscnt 0x0
	s_barrier_signal -1
	s_barrier_wait -1
.LBB85_293:                             ;   in Loop: Header=BB85_6 Depth=1
	s_or_saveexec_b32 s25, s25
	v_mov_b32_e32 v4, 5
	s_mov_b32 s27, 0
	s_xor_b32 exec_lo, exec_lo, s25
; %bb.294:                              ;   in Loop: Header=BB85_6 Depth=1
	v_subrev_nc_u32_e32 v34, s22, v34
	v_mov_b32_e32 v4, 0
	s_mov_b32 s27, exec_lo
; %bb.295:                              ;   in Loop: Header=BB85_6 Depth=1
	s_or_b32 exec_lo, exec_lo, s25
	s_delay_alu instid0(VALU_DEP_2)
	v_mov_b32_e32 v35, v34
	s_and_b32 s28, s27, exec_lo
.LBB85_296:                             ;   in Loop: Header=BB85_6 Depth=1
	s_or_b32 exec_lo, exec_lo, s14
	s_mov_b32 s27, -1
                                        ; implicit-def: $sgpr22
                                        ; implicit-def: $sgpr25
	s_and_saveexec_b32 s14, s28
	s_delay_alu instid0(SALU_CYCLE_1)
	s_xor_b32 s14, exec_lo, s14
	s_cbranch_execz .LBB85_419
; %bb.297:                              ;   in Loop: Header=BB85_6 Depth=1
	v_cmp_eq_u32_e32 vcc_lo, 1, v35
	s_cmp_eq_u32 s21, 1
	s_mov_b32 s29, -1
	s_cselect_b32 s22, -1, 0
                                        ; implicit-def: $sgpr25
	s_delay_alu instid0(SALU_CYCLE_1) | instskip(NEXT) | instid1(SALU_CYCLE_1)
	s_and_b32 s28, s22, vcc_lo
                                        ; implicit-def: $sgpr22
	s_and_saveexec_b32 s27, s28
	s_cbranch_execz .LBB85_325
; %bb.298:                              ;   in Loop: Header=BB85_6 Depth=1
	ds_load_b32 v2, v13 offset:4096
	s_wait_dscnt 0x0
	s_barrier_signal -1
	s_barrier_wait -1
	v_readfirstlane_b32 s30, v2
	s_and_saveexec_b32 s22, s6
; %bb.299:                              ;   in Loop: Header=BB85_6 Depth=1
	ds_store_b32 v22, v13
; %bb.300:                              ;   in Loop: Header=BB85_6 Depth=1
	s_or_b32 exec_lo, exec_lo, s22
	s_lshl_b32 s22, 2, s84
	v_or_b32_e32 v33, s18, v33
	v_and_or_b32 v26, v26, s19, s22
	s_mov_b32 s22, -1
	s_mov_b32 s25, 0
	s_cmp_eq_u32 s30, 0
	s_mov_b32 s29, 0
	s_mov_b32 s31, -1
	s_wait_dscnt 0x0
	s_barrier_signal -1
	s_barrier_wait -1
                                        ; implicit-def: $vgpr21
	s_cbranch_scc1 .LBB85_312
; %bb.301:                              ;   in Loop: Header=BB85_6 Depth=1
	s_add_co_i32 s38, s30, s70
	s_mov_b32 s33, exec_lo
	s_mul_u64 s[58:59], s[38:39], s[54:55]
                                        ; implicit-def: $vgpr21
	s_delay_alu instid0(SALU_CYCLE_1) | instskip(NEXT) | instid1(SALU_CYCLE_1)
	s_mul_i32 s29, s59, s41
	s_sub_co_i32 s29, s38, s29
	s_delay_alu instid0(SALU_CYCLE_1) | instskip(SKIP_2) | instid1(SALU_CYCLE_1)
	s_sub_co_i32 s31, s29, s41
	s_cmp_ge_u32 s29, s41
	s_cselect_b32 s29, s31, s29
	s_sub_co_i32 s31, s29, s41
	s_cmp_ge_u32 s29, s41
	s_cselect_b32 s29, s31, s29
	s_mov_b32 s31, 0
	s_sub_co_i32 s34, s38, s29
	s_mov_b32 s29, 0
	v_cmpx_gt_u32_e64 s34, v0
	s_cbranch_execz .LBB85_311
; %bb.302:                              ;   in Loop: Header=BB85_6 Depth=1
	v_dual_mov_b32 v2, v1 :: v_dual_mov_b32 v3, v0
                                        ; implicit-def: $sgpr38
	s_branch .LBB85_306
.LBB85_303:                             ;   in Loop: Header=BB85_306 Depth=2
	s_or_b32 exec_lo, exec_lo, s58
	s_wait_dscnt 0x0
	s_barrier_signal -1
	s_barrier_wait -1
	ds_load_b64 v[20:21], v13 offset:3072
	s_wait_dscnt 0x0
	s_barrier_signal -1
	s_barrier_wait -1
	v_cmp_neq_f32_e32 vcc_lo, 0, v20
	s_cbranch_vccnz .LBB85_309
; %bb.304:                              ;   in Loop: Header=BB85_306 Depth=2
	v_dual_add_nc_u32 v3, s41, v3 :: v_dual_add_nc_u32 v2, s67, v2
	s_mov_b32 s58, 0
	s_delay_alu instid0(VALU_DEP_1)
	v_cmp_le_u32_e32 vcc_lo, s34, v3
	s_or_not1_b32 s59, vcc_lo, exec_lo
.LBB85_305:                             ;   in Loop: Header=BB85_306 Depth=2
	s_delay_alu instid0(SALU_CYCLE_1) | instskip(NEXT) | instid1(SALU_CYCLE_1)
	s_and_b32 s59, exec_lo, s59
	s_or_b32 s29, s59, s29
	s_and_not1_b32 s38, s38, exec_lo
	s_and_b32 s58, s58, exec_lo
	s_delay_alu instid0(SALU_CYCLE_1)
	s_or_b32 s38, s38, s58
	s_and_not1_b32 exec_lo, exec_lo, s29
	s_cbranch_execz .LBB85_310
.LBB85_306:                             ;   Parent Loop BB85_6 Depth=1
                                        ; =>  This Inner Loop Header: Depth=2
	s_mov_b32 s58, exec_lo
	s_delay_alu instid0(VALU_DEP_1)
	v_cmpx_gt_u32_e64 s30, v3
	s_cbranch_execz .LBB85_303
; %bb.307:                              ;   in Loop: Header=BB85_306 Depth=2
	ds_load_b32 v19, v2
	s_wait_dscnt 0x0
	v_cmp_lt_i32_e32 vcc_lo, -1, v19
	v_cndmask_b32_e64 v5, -1, 0x80000000, vcc_lo
	v_cmp_o_f32_e32 vcc_lo, v19, v19
	s_delay_alu instid0(VALU_DEP_2) | instskip(NEXT) | instid1(VALU_DEP_1)
	v_xor_b32_e32 v5, v5, v19
	v_cndmask_b32_e32 v5, -1, v5, vcc_lo
	s_delay_alu instid0(VALU_DEP_1) | instskip(NEXT) | instid1(VALU_DEP_1)
	v_and_b32_e32 v5, v5, v33
	v_cmp_eq_u32_e32 vcc_lo, v5, v26
	s_and_b32 exec_lo, exec_lo, vcc_lo
	s_cbranch_execz .LBB85_303
; %bb.308:                              ;   in Loop: Header=BB85_306 Depth=2
	ds_store_b64 v13, v[18:19] offset:3072
	s_branch .LBB85_303
.LBB85_309:                             ;   in Loop: Header=BB85_306 Depth=2
	s_mov_b32 s59, -1
	s_mov_b32 s58, -1
                                        ; implicit-def: $vgpr3
                                        ; implicit-def: $vgpr2
	s_branch .LBB85_305
.LBB85_310:                             ;   in Loop: Header=BB85_6 Depth=1
	s_or_b32 exec_lo, exec_lo, s29
	s_delay_alu instid0(SALU_CYCLE_1)
	s_and_b32 s29, s38, exec_lo
.LBB85_311:                             ;   in Loop: Header=BB85_6 Depth=1
	s_or_b32 exec_lo, exec_lo, s33
.LBB85_312:                             ;   in Loop: Header=BB85_6 Depth=1
	s_delay_alu instid0(SALU_CYCLE_1)
	s_and_b32 vcc_lo, exec_lo, s31
	s_cbranch_vccz .LBB85_324
; %bb.313:                              ;   in Loop: Header=BB85_6 Depth=1
                                        ; implicit-def: $vgpr21
	s_and_saveexec_b32 s22, s13
	s_cbranch_execz .LBB85_323
; %bb.314:                              ;   in Loop: Header=BB85_6 Depth=1
	v_dual_mov_b32 v2, v14 :: v_dual_mov_b32 v3, v0
	s_mov_b32 s25, 0
                                        ; implicit-def: $sgpr30
	s_branch .LBB85_318
.LBB85_315:                             ;   in Loop: Header=BB85_318 Depth=2
	s_or_b32 exec_lo, exec_lo, s31
	s_wait_dscnt 0x0
	s_barrier_signal -1
	s_barrier_wait -1
	ds_load_b64 v[20:21], v13 offset:3072
	s_wait_dscnt 0x0
	s_barrier_signal -1
	s_barrier_wait -1
	v_cmp_eq_f32_e32 vcc_lo, 0, v20
	s_cbranch_vccz .LBB85_321
; %bb.316:                              ;   in Loop: Header=BB85_318 Depth=2
	v_dual_add_nc_u32 v3, s41, v3 :: v_dual_add_nc_u32 v2, s50, v2
	s_mov_b32 s31, 0
	s_delay_alu instid0(VALU_DEP_1)
	v_cmp_le_u32_e32 vcc_lo, s81, v3
	s_or_not1_b32 s33, vcc_lo, exec_lo
.LBB85_317:                             ;   in Loop: Header=BB85_318 Depth=2
	s_delay_alu instid0(SALU_CYCLE_1) | instskip(NEXT) | instid1(SALU_CYCLE_1)
	s_and_b32 s33, exec_lo, s33
	s_or_b32 s25, s33, s25
	s_and_not1_b32 s30, s30, exec_lo
	s_and_b32 s31, s31, exec_lo
	s_delay_alu instid0(SALU_CYCLE_1)
	s_or_b32 s30, s30, s31
	s_and_not1_b32 exec_lo, exec_lo, s25
	s_cbranch_execz .LBB85_322
.LBB85_318:                             ;   Parent Loop BB85_6 Depth=1
                                        ; =>  This Inner Loop Header: Depth=2
	s_mov_b32 s31, exec_lo
	s_delay_alu instid0(VALU_DEP_1)
	v_cmpx_gt_u32_e64 s36, v3
	s_cbranch_execz .LBB85_315
; %bb.319:                              ;   in Loop: Header=BB85_318 Depth=2
	v_readfirstlane_b32 s58, v6
	v_readfirstlane_b32 s59, v7
	global_load_b32 v19, v2, s[58:59] scale_offset
	s_wait_loadcnt 0x0
	v_cmp_lt_i32_e32 vcc_lo, -1, v19
	v_cndmask_b32_e64 v5, -1, 0x80000000, vcc_lo
	v_cmp_o_f32_e32 vcc_lo, v19, v19
	s_delay_alu instid0(VALU_DEP_2) | instskip(NEXT) | instid1(VALU_DEP_1)
	v_xor_b32_e32 v5, v5, v19
	v_cndmask_b32_e32 v5, -1, v5, vcc_lo
	s_delay_alu instid0(VALU_DEP_1) | instskip(NEXT) | instid1(VALU_DEP_1)
	v_and_b32_e32 v5, v5, v33
	v_cmp_eq_u32_e32 vcc_lo, v5, v26
	s_and_b32 exec_lo, exec_lo, vcc_lo
	s_cbranch_execz .LBB85_315
; %bb.320:                              ;   in Loop: Header=BB85_318 Depth=2
	ds_store_b64 v13, v[18:19] offset:3072
	s_branch .LBB85_315
.LBB85_321:                             ;   in Loop: Header=BB85_318 Depth=2
	s_mov_b32 s33, -1
	s_mov_b32 s31, -1
                                        ; implicit-def: $vgpr3
                                        ; implicit-def: $vgpr2
	s_branch .LBB85_317
.LBB85_322:                             ;   in Loop: Header=BB85_6 Depth=1
	s_or_b32 exec_lo, exec_lo, s25
	s_delay_alu instid0(SALU_CYCLE_1) | instskip(SKIP_1) | instid1(SALU_CYCLE_1)
	s_and_not1_b32 s25, s29, exec_lo
	s_and_b32 s29, s30, exec_lo
	s_or_b32 s29, s25, s29
.LBB85_323:                             ;   in Loop: Header=BB85_6 Depth=1
	s_or_b32 exec_lo, exec_lo, s22
	s_mov_b32 s22, 0
	s_mov_b32 s25, -1
.LBB85_324:                             ;   in Loop: Header=BB85_6 Depth=1
	s_or_not1_b32 s29, s29, exec_lo
.LBB85_325:                             ;   in Loop: Header=BB85_6 Depth=1
	s_or_b32 exec_lo, exec_lo, s27
	s_mov_b32 s30, 0
	s_and_saveexec_b32 s27, s29
	s_cbranch_execz .LBB85_418
; %bb.326:                              ;   in Loop: Header=BB85_6 Depth=1
	v_dual_mov_b32 v2, 1 :: v_dual_mov_b32 v4, 1
	s_xor_b32 s29, s28, -1
	s_mov_b32 s31, 0
	s_and_saveexec_b32 s28, s29
	s_cbranch_execz .LBB85_335
; %bb.327:                              ;   in Loop: Header=BB85_6 Depth=1
	s_mov_b32 s29, exec_lo
	v_cmpx_ge_u32_e64 s21, v35
	s_xor_b32 s29, exec_lo, s29
	s_cbranch_execz .LBB85_332
; %bb.328:                              ;   in Loop: Header=BB85_6 Depth=1
	ds_load_b32 v2, v13 offset:4096
	s_lshl_b32 s30, 2, s84
	v_or_b32_e32 v33, s18, v33
	v_and_or_b32 v26, v26, s19, s30
	s_wait_dscnt 0x0
	v_cmp_ne_u32_e32 vcc_lo, 0, v2
	s_cbranch_vccnz .LBB85_332
; %bb.329:                              ;   in Loop: Header=BB85_6 Depth=1
	s_and_saveexec_b32 s30, s5
; %bb.330:                              ;   in Loop: Header=BB85_6 Depth=1
	v_mov_b32_e32 v2, s21
	ds_store_b32 v13, v2 offset:4100
; %bb.331:                              ;   in Loop: Header=BB85_6 Depth=1
	s_or_b32 exec_lo, exec_lo, s30
	s_wait_dscnt 0x0
	s_barrier_signal -1
	s_barrier_wait -1
.LBB85_332:                             ;   in Loop: Header=BB85_6 Depth=1
	s_or_saveexec_b32 s29, s29
	v_mov_b32_e32 v4, 5
	s_mov_b32 s30, 0
	s_xor_b32 exec_lo, exec_lo, s29
; %bb.333:                              ;   in Loop: Header=BB85_6 Depth=1
	v_subrev_nc_u32_e32 v35, s21, v35
	v_mov_b32_e32 v4, 0
	s_mov_b32 s30, exec_lo
; %bb.334:                              ;   in Loop: Header=BB85_6 Depth=1
	s_or_b32 exec_lo, exec_lo, s29
	s_delay_alu instid0(VALU_DEP_2)
	v_mov_b32_e32 v2, v35
	s_and_b32 s31, s30, exec_lo
.LBB85_335:                             ;   in Loop: Header=BB85_6 Depth=1
	s_or_b32 exec_lo, exec_lo, s28
	s_mov_b32 s30, -1
                                        ; implicit-def: $sgpr28
                                        ; implicit-def: $sgpr29
	s_and_saveexec_b32 s21, s31
	s_cbranch_execz .LBB85_417
; %bb.336:                              ;   in Loop: Header=BB85_6 Depth=1
	v_cmp_eq_u32_e32 vcc_lo, 1, v2
	s_cmp_eq_u32 s20, 1
	s_mov_b32 s33, -1
	s_cselect_b32 s28, -1, 0
                                        ; implicit-def: $sgpr29
	s_delay_alu instid0(SALU_CYCLE_1) | instskip(NEXT) | instid1(SALU_CYCLE_1)
	s_and_b32 s31, s28, vcc_lo
                                        ; implicit-def: $sgpr28
	s_and_saveexec_b32 s30, s31
	s_cbranch_execz .LBB85_364
; %bb.337:                              ;   in Loop: Header=BB85_6 Depth=1
	ds_load_b32 v3, v13 offset:4096
	s_wait_dscnt 0x0
	s_barrier_signal -1
	s_barrier_wait -1
	v_readfirstlane_b32 s34, v3
	s_and_saveexec_b32 s28, s6
; %bb.338:                              ;   in Loop: Header=BB85_6 Depth=1
	ds_store_b32 v22, v13
; %bb.339:                              ;   in Loop: Header=BB85_6 Depth=1
	s_or_b32 exec_lo, exec_lo, s28
	s_lshl_b32 s28, 1, s84
	v_or_b32_e32 v33, s18, v33
	v_and_or_b32 v26, v26, s19, s28
	s_mov_b32 s28, -1
	s_mov_b32 s29, 0
	s_cmp_eq_u32 s34, 0
	s_mov_b32 s33, 0
	s_mov_b32 s38, -1
	s_wait_dscnt 0x0
	s_barrier_signal -1
	s_barrier_wait -1
                                        ; implicit-def: $vgpr21
	s_cbranch_scc1 .LBB85_351
; %bb.340:                              ;   in Loop: Header=BB85_6 Depth=1
	s_add_co_i32 s38, s34, s70
                                        ; implicit-def: $vgpr21
	s_delay_alu instid0(SALU_CYCLE_1) | instskip(NEXT) | instid1(SALU_CYCLE_1)
	s_mul_u64 s[58:59], s[38:39], s[54:55]
	s_mul_i32 s33, s59, s41
	s_delay_alu instid0(SALU_CYCLE_1) | instskip(NEXT) | instid1(SALU_CYCLE_1)
	s_sub_co_i32 s33, s38, s33
	s_sub_co_i32 s58, s33, s41
	s_cmp_ge_u32 s33, s41
	s_cselect_b32 s33, s58, s33
	s_delay_alu instid0(SALU_CYCLE_1)
	s_sub_co_i32 s58, s33, s41
	s_cmp_ge_u32 s33, s41
	s_cselect_b32 s33, s58, s33
	s_mov_b32 s58, exec_lo
	s_sub_co_i32 s59, s38, s33
	s_mov_b32 s38, 0
	s_mov_b32 s33, 0
	v_cmpx_gt_u32_e64 s59, v0
	s_cbranch_execz .LBB85_350
; %bb.341:                              ;   in Loop: Header=BB85_6 Depth=1
	v_dual_mov_b32 v3, v1 :: v_dual_mov_b32 v5, v0
                                        ; implicit-def: $sgpr60
	s_branch .LBB85_345
.LBB85_342:                             ;   in Loop: Header=BB85_345 Depth=2
	s_or_b32 exec_lo, exec_lo, s61
	s_wait_dscnt 0x0
	s_barrier_signal -1
	s_barrier_wait -1
	ds_load_b64 v[20:21], v13 offset:3072
	s_wait_dscnt 0x0
	s_barrier_signal -1
	s_barrier_wait -1
	v_cmp_neq_f32_e32 vcc_lo, 0, v20
	s_cbranch_vccnz .LBB85_348
; %bb.343:                              ;   in Loop: Header=BB85_345 Depth=2
	v_dual_add_nc_u32 v5, s41, v5 :: v_dual_add_nc_u32 v3, s67, v3
	s_mov_b32 s61, 0
	s_delay_alu instid0(VALU_DEP_1)
	v_cmp_le_u32_e32 vcc_lo, s59, v5
	s_or_not1_b32 s97, vcc_lo, exec_lo
.LBB85_344:                             ;   in Loop: Header=BB85_345 Depth=2
	s_delay_alu instid0(SALU_CYCLE_1) | instskip(NEXT) | instid1(SALU_CYCLE_1)
	s_and_b32 s97, exec_lo, s97
	s_or_b32 s33, s97, s33
	s_and_not1_b32 s60, s60, exec_lo
	s_and_b32 s61, s61, exec_lo
	s_delay_alu instid0(SALU_CYCLE_1)
	s_or_b32 s60, s60, s61
	s_and_not1_b32 exec_lo, exec_lo, s33
	s_cbranch_execz .LBB85_349
.LBB85_345:                             ;   Parent Loop BB85_6 Depth=1
                                        ; =>  This Inner Loop Header: Depth=2
	s_mov_b32 s61, exec_lo
	s_delay_alu instid0(VALU_DEP_1)
	v_cmpx_gt_u32_e64 s34, v5
	s_cbranch_execz .LBB85_342
; %bb.346:                              ;   in Loop: Header=BB85_345 Depth=2
	ds_load_b32 v19, v3
	s_wait_dscnt 0x0
	v_cmp_lt_i32_e32 vcc_lo, -1, v19
	v_cndmask_b32_e64 v12, -1, 0x80000000, vcc_lo
	v_cmp_o_f32_e32 vcc_lo, v19, v19
	s_delay_alu instid0(VALU_DEP_2) | instskip(NEXT) | instid1(VALU_DEP_1)
	v_xor_b32_e32 v12, v12, v19
	v_cndmask_b32_e32 v12, -1, v12, vcc_lo
	s_delay_alu instid0(VALU_DEP_1) | instskip(NEXT) | instid1(VALU_DEP_1)
	v_and_b32_e32 v12, v12, v33
	v_cmp_eq_u32_e32 vcc_lo, v12, v26
	s_and_b32 exec_lo, exec_lo, vcc_lo
	s_cbranch_execz .LBB85_342
; %bb.347:                              ;   in Loop: Header=BB85_345 Depth=2
	ds_store_b64 v13, v[18:19] offset:3072
	s_branch .LBB85_342
.LBB85_348:                             ;   in Loop: Header=BB85_345 Depth=2
	s_mov_b32 s97, -1
	s_mov_b32 s61, -1
                                        ; implicit-def: $vgpr5
                                        ; implicit-def: $vgpr3
	s_branch .LBB85_344
.LBB85_349:                             ;   in Loop: Header=BB85_6 Depth=1
	s_or_b32 exec_lo, exec_lo, s33
	s_delay_alu instid0(SALU_CYCLE_1)
	s_and_b32 s33, s60, exec_lo
.LBB85_350:                             ;   in Loop: Header=BB85_6 Depth=1
	s_or_b32 exec_lo, exec_lo, s58
.LBB85_351:                             ;   in Loop: Header=BB85_6 Depth=1
	s_delay_alu instid0(SALU_CYCLE_1)
	s_and_b32 vcc_lo, exec_lo, s38
	s_cbranch_vccz .LBB85_363
; %bb.352:                              ;   in Loop: Header=BB85_6 Depth=1
                                        ; implicit-def: $vgpr21
	s_and_saveexec_b32 s28, s13
	s_cbranch_execz .LBB85_362
; %bb.353:                              ;   in Loop: Header=BB85_6 Depth=1
	v_dual_mov_b32 v3, v14 :: v_dual_mov_b32 v5, v0
	s_mov_b32 s29, 0
                                        ; implicit-def: $sgpr34
	s_branch .LBB85_357
.LBB85_354:                             ;   in Loop: Header=BB85_357 Depth=2
	s_or_b32 exec_lo, exec_lo, s38
	s_wait_dscnt 0x0
	s_barrier_signal -1
	s_barrier_wait -1
	ds_load_b64 v[20:21], v13 offset:3072
	s_wait_dscnt 0x0
	s_barrier_signal -1
	s_barrier_wait -1
	v_cmp_eq_f32_e32 vcc_lo, 0, v20
	s_cbranch_vccz .LBB85_360
; %bb.355:                              ;   in Loop: Header=BB85_357 Depth=2
	v_dual_add_nc_u32 v5, s41, v5 :: v_dual_add_nc_u32 v3, s50, v3
	s_mov_b32 s38, 0
	s_delay_alu instid0(VALU_DEP_1)
	v_cmp_le_u32_e32 vcc_lo, s81, v5
	s_or_not1_b32 s58, vcc_lo, exec_lo
.LBB85_356:                             ;   in Loop: Header=BB85_357 Depth=2
	s_delay_alu instid0(SALU_CYCLE_1) | instskip(NEXT) | instid1(SALU_CYCLE_1)
	s_and_b32 s58, exec_lo, s58
	s_or_b32 s29, s58, s29
	s_and_not1_b32 s34, s34, exec_lo
	s_and_b32 s38, s38, exec_lo
	s_delay_alu instid0(SALU_CYCLE_1)
	s_or_b32 s34, s34, s38
	s_and_not1_b32 exec_lo, exec_lo, s29
	s_cbranch_execz .LBB85_361
.LBB85_357:                             ;   Parent Loop BB85_6 Depth=1
                                        ; =>  This Inner Loop Header: Depth=2
	s_mov_b32 s38, exec_lo
	s_delay_alu instid0(VALU_DEP_1)
	v_cmpx_gt_u32_e64 s36, v5
	s_cbranch_execz .LBB85_354
; %bb.358:                              ;   in Loop: Header=BB85_357 Depth=2
	v_readfirstlane_b32 s58, v6
	v_readfirstlane_b32 s59, v7
	global_load_b32 v19, v3, s[58:59] scale_offset
	s_wait_loadcnt 0x0
	v_cmp_lt_i32_e32 vcc_lo, -1, v19
	v_cndmask_b32_e64 v12, -1, 0x80000000, vcc_lo
	v_cmp_o_f32_e32 vcc_lo, v19, v19
	s_delay_alu instid0(VALU_DEP_2) | instskip(NEXT) | instid1(VALU_DEP_1)
	v_xor_b32_e32 v12, v12, v19
	v_cndmask_b32_e32 v12, -1, v12, vcc_lo
	s_delay_alu instid0(VALU_DEP_1) | instskip(NEXT) | instid1(VALU_DEP_1)
	v_and_b32_e32 v12, v12, v33
	v_cmp_eq_u32_e32 vcc_lo, v12, v26
	s_and_b32 exec_lo, exec_lo, vcc_lo
	s_cbranch_execz .LBB85_354
; %bb.359:                              ;   in Loop: Header=BB85_357 Depth=2
	ds_store_b64 v13, v[18:19] offset:3072
	s_branch .LBB85_354
.LBB85_360:                             ;   in Loop: Header=BB85_357 Depth=2
	s_mov_b32 s58, -1
	s_mov_b32 s38, -1
                                        ; implicit-def: $vgpr5
                                        ; implicit-def: $vgpr3
	s_branch .LBB85_356
.LBB85_361:                             ;   in Loop: Header=BB85_6 Depth=1
	s_or_b32 exec_lo, exec_lo, s29
	s_delay_alu instid0(SALU_CYCLE_1) | instskip(SKIP_1) | instid1(SALU_CYCLE_1)
	s_and_not1_b32 s29, s33, exec_lo
	s_and_b32 s33, s34, exec_lo
	s_or_b32 s33, s29, s33
.LBB85_362:                             ;   in Loop: Header=BB85_6 Depth=1
	s_or_b32 exec_lo, exec_lo, s28
	s_mov_b32 s28, 0
	s_mov_b32 s29, -1
.LBB85_363:                             ;   in Loop: Header=BB85_6 Depth=1
	s_or_not1_b32 s33, s33, exec_lo
.LBB85_364:                             ;   in Loop: Header=BB85_6 Depth=1
	s_or_b32 exec_lo, exec_lo, s30
	s_mov_b32 s34, 0
	s_and_saveexec_b32 s30, s33
	s_cbranch_execz .LBB85_416
; %bb.365:                              ;   in Loop: Header=BB85_6 Depth=1
	v_dual_mov_b32 v3, 1 :: v_dual_mov_b32 v4, 1
	s_xor_b32 s33, s31, -1
	s_mov_b32 s38, 0
	s_and_saveexec_b32 s31, s33
	s_cbranch_execz .LBB85_374
; %bb.366:                              ;   in Loop: Header=BB85_6 Depth=1
	s_mov_b32 s33, exec_lo
	v_cmpx_ge_u32_e64 s20, v2
	s_xor_b32 s33, exec_lo, s33
	s_cbranch_execz .LBB85_371
; %bb.367:                              ;   in Loop: Header=BB85_6 Depth=1
	ds_load_b32 v3, v13 offset:4096
	s_lshl_b32 s34, 1, s84
	v_or_b32_e32 v33, s18, v33
	v_and_or_b32 v26, v26, s19, s34
	s_wait_dscnt 0x0
	v_cmp_ne_u32_e32 vcc_lo, 0, v3
	s_cbranch_vccnz .LBB85_371
; %bb.368:                              ;   in Loop: Header=BB85_6 Depth=1
	s_and_saveexec_b32 s34, s5
; %bb.369:                              ;   in Loop: Header=BB85_6 Depth=1
	v_mov_b32_e32 v3, s20
	ds_store_b32 v13, v3 offset:4100
; %bb.370:                              ;   in Loop: Header=BB85_6 Depth=1
	s_or_b32 exec_lo, exec_lo, s34
	s_wait_dscnt 0x0
	s_barrier_signal -1
	s_barrier_wait -1
.LBB85_371:                             ;   in Loop: Header=BB85_6 Depth=1
	s_or_saveexec_b32 s33, s33
	v_mov_b32_e32 v4, 5
	s_mov_b32 s34, 0
	s_xor_b32 exec_lo, exec_lo, s33
; %bb.372:                              ;   in Loop: Header=BB85_6 Depth=1
	v_subrev_nc_u32_e32 v2, s20, v2
	v_mov_b32_e32 v4, 0
	s_mov_b32 s34, exec_lo
; %bb.373:                              ;   in Loop: Header=BB85_6 Depth=1
	s_or_b32 exec_lo, exec_lo, s33
	s_delay_alu instid0(VALU_DEP_2)
	v_mov_b32_e32 v3, v2
	s_and_b32 s38, s34, exec_lo
.LBB85_374:                             ;   in Loop: Header=BB85_6 Depth=1
	s_or_b32 exec_lo, exec_lo, s31
	s_mov_b32 s31, -1
                                        ; implicit-def: $sgpr34
                                        ; implicit-def: $sgpr33
	s_and_saveexec_b32 s20, s38
	s_cbranch_execz .LBB85_415
; %bb.375:                              ;   in Loop: Header=BB85_6 Depth=1
	v_cmp_eq_u32_e32 vcc_lo, 1, v3
	s_cmp_eq_u32 s17, 1
	s_mov_b32 s59, -1
	s_cselect_b32 s31, -1, 0
                                        ; implicit-def: $sgpr34
                                        ; implicit-def: $sgpr33
	s_delay_alu instid0(SALU_CYCLE_1) | instskip(NEXT) | instid1(SALU_CYCLE_1)
	s_and_b32 s31, s31, vcc_lo
	s_and_saveexec_b32 s58, s31
	s_cbranch_execz .LBB85_403
; %bb.376:                              ;   in Loop: Header=BB85_6 Depth=1
	ds_load_b32 v2, v13 offset:4096
	s_wait_dscnt 0x0
	s_barrier_signal -1
	s_barrier_wait -1
	v_readfirstlane_b32 s59, v2
	s_and_saveexec_b32 s33, s6
; %bb.377:                              ;   in Loop: Header=BB85_6 Depth=1
	ds_store_b32 v22, v13
; %bb.378:                              ;   in Loop: Header=BB85_6 Depth=1
	s_or_b32 exec_lo, exec_lo, s33
	v_and_b32_e32 v26, s19, v26
	v_or_b32_e32 v33, s18, v33
	s_mov_b32 s33, -1
	s_mov_b32 s34, 0
	s_cmp_eq_u32 s59, 0
	s_mov_b32 s38, 0
	s_mov_b32 s60, -1
	s_wait_dscnt 0x0
	s_barrier_signal -1
	s_barrier_wait -1
                                        ; implicit-def: $vgpr21
	s_cbranch_scc1 .LBB85_390
; %bb.379:                              ;   in Loop: Header=BB85_6 Depth=1
	s_add_co_i32 s38, s59, s70
                                        ; implicit-def: $vgpr21
	s_delay_alu instid0(SALU_CYCLE_1) | instskip(NEXT) | instid1(SALU_CYCLE_1)
	s_mul_u64 s[60:61], s[38:39], s[54:55]
	s_mul_i32 s60, s61, s41
	s_delay_alu instid0(SALU_CYCLE_1) | instskip(NEXT) | instid1(SALU_CYCLE_1)
	s_sub_co_i32 s60, s38, s60
	s_sub_co_i32 s61, s60, s41
	s_cmp_ge_u32 s60, s41
	s_cselect_b32 s60, s61, s60
	s_delay_alu instid0(SALU_CYCLE_1)
	s_sub_co_i32 s61, s60, s41
	s_cmp_ge_u32 s60, s41
	s_cselect_b32 s60, s61, s60
	s_mov_b32 s61, exec_lo
	s_sub_co_i32 s97, s38, s60
	s_mov_b32 s60, 0
	s_mov_b32 s38, 0
	v_cmpx_gt_u32_e64 s97, v0
	s_cbranch_execz .LBB85_389
; %bb.380:                              ;   in Loop: Header=BB85_6 Depth=1
	v_dual_mov_b32 v2, v1 :: v_dual_mov_b32 v5, v0
                                        ; implicit-def: $sgpr98
	s_branch .LBB85_384
.LBB85_381:                             ;   in Loop: Header=BB85_384 Depth=2
	s_or_b32 exec_lo, exec_lo, s99
	s_wait_dscnt 0x0
	s_barrier_signal -1
	s_barrier_wait -1
	ds_load_b64 v[20:21], v13 offset:3072
	s_wait_dscnt 0x0
	s_barrier_signal -1
	s_barrier_wait -1
	v_cmp_neq_f32_e32 vcc_lo, 0, v20
	s_cbranch_vccnz .LBB85_387
; %bb.382:                              ;   in Loop: Header=BB85_384 Depth=2
	v_dual_add_nc_u32 v5, s41, v5 :: v_dual_add_nc_u32 v2, s67, v2
	s_mov_b32 s99, 0
	s_delay_alu instid0(VALU_DEP_1)
	v_cmp_le_u32_e32 vcc_lo, s97, v5
	s_or_not1_b32 s100, vcc_lo, exec_lo
.LBB85_383:                             ;   in Loop: Header=BB85_384 Depth=2
	s_delay_alu instid0(SALU_CYCLE_1) | instskip(NEXT) | instid1(SALU_CYCLE_1)
	s_and_b32 s100, exec_lo, s100
	s_or_b32 s38, s100, s38
	s_and_not1_b32 s98, s98, exec_lo
	s_and_b32 s99, s99, exec_lo
	s_delay_alu instid0(SALU_CYCLE_1)
	s_or_b32 s98, s98, s99
	s_and_not1_b32 exec_lo, exec_lo, s38
	s_cbranch_execz .LBB85_388
.LBB85_384:                             ;   Parent Loop BB85_6 Depth=1
                                        ; =>  This Inner Loop Header: Depth=2
	s_mov_b32 s99, exec_lo
	s_delay_alu instid0(VALU_DEP_1)
	v_cmpx_gt_u32_e64 s59, v5
	s_cbranch_execz .LBB85_381
; %bb.385:                              ;   in Loop: Header=BB85_384 Depth=2
	ds_load_b32 v19, v2
	s_wait_dscnt 0x0
	v_cmp_lt_i32_e32 vcc_lo, -1, v19
	v_cndmask_b32_e64 v12, -1, 0x80000000, vcc_lo
	v_cmp_o_f32_e32 vcc_lo, v19, v19
	s_delay_alu instid0(VALU_DEP_2) | instskip(NEXT) | instid1(VALU_DEP_1)
	v_xor_b32_e32 v12, v12, v19
	v_cndmask_b32_e32 v12, -1, v12, vcc_lo
	s_delay_alu instid0(VALU_DEP_1) | instskip(NEXT) | instid1(VALU_DEP_1)
	v_and_b32_e32 v12, v12, v33
	v_cmp_eq_u32_e32 vcc_lo, v12, v26
	s_and_b32 exec_lo, exec_lo, vcc_lo
	s_cbranch_execz .LBB85_381
; %bb.386:                              ;   in Loop: Header=BB85_384 Depth=2
	ds_store_b64 v13, v[18:19] offset:3072
	s_branch .LBB85_381
.LBB85_387:                             ;   in Loop: Header=BB85_384 Depth=2
	s_mov_b32 s100, -1
	s_mov_b32 s99, -1
                                        ; implicit-def: $vgpr5
                                        ; implicit-def: $vgpr2
	s_branch .LBB85_383
.LBB85_388:                             ;   in Loop: Header=BB85_6 Depth=1
	s_or_b32 exec_lo, exec_lo, s38
	s_delay_alu instid0(SALU_CYCLE_1)
	s_and_b32 s38, s98, exec_lo
.LBB85_389:                             ;   in Loop: Header=BB85_6 Depth=1
	s_or_b32 exec_lo, exec_lo, s61
.LBB85_390:                             ;   in Loop: Header=BB85_6 Depth=1
	s_delay_alu instid0(SALU_CYCLE_1)
	s_and_b32 vcc_lo, exec_lo, s60
	s_cbranch_vccz .LBB85_402
; %bb.391:                              ;   in Loop: Header=BB85_6 Depth=1
                                        ; implicit-def: $vgpr21
	s_and_saveexec_b32 s33, s13
	s_cbranch_execz .LBB85_401
; %bb.392:                              ;   in Loop: Header=BB85_6 Depth=1
	v_dual_mov_b32 v2, v14 :: v_dual_mov_b32 v5, v0
	s_mov_b32 s34, 0
                                        ; implicit-def: $sgpr59
	s_branch .LBB85_396
.LBB85_393:                             ;   in Loop: Header=BB85_396 Depth=2
	s_or_b32 exec_lo, exec_lo, s60
	s_wait_dscnt 0x0
	s_barrier_signal -1
	s_barrier_wait -1
	ds_load_b64 v[20:21], v13 offset:3072
	s_wait_dscnt 0x0
	s_barrier_signal -1
	s_barrier_wait -1
	v_cmp_eq_f32_e32 vcc_lo, 0, v20
	s_cbranch_vccz .LBB85_399
; %bb.394:                              ;   in Loop: Header=BB85_396 Depth=2
	v_dual_add_nc_u32 v5, s41, v5 :: v_dual_add_nc_u32 v2, s50, v2
	s_mov_b32 s60, 0
	s_delay_alu instid0(VALU_DEP_1)
	v_cmp_le_u32_e32 vcc_lo, s81, v5
	s_or_not1_b32 s61, vcc_lo, exec_lo
.LBB85_395:                             ;   in Loop: Header=BB85_396 Depth=2
	s_delay_alu instid0(SALU_CYCLE_1) | instskip(NEXT) | instid1(SALU_CYCLE_1)
	s_and_b32 s61, exec_lo, s61
	s_or_b32 s34, s61, s34
	s_and_not1_b32 s59, s59, exec_lo
	s_and_b32 s60, s60, exec_lo
	s_delay_alu instid0(SALU_CYCLE_1)
	s_or_b32 s59, s59, s60
	s_and_not1_b32 exec_lo, exec_lo, s34
	s_cbranch_execz .LBB85_400
.LBB85_396:                             ;   Parent Loop BB85_6 Depth=1
                                        ; =>  This Inner Loop Header: Depth=2
	s_mov_b32 s60, exec_lo
	s_delay_alu instid0(VALU_DEP_1)
	v_cmpx_gt_u32_e64 s36, v5
	s_cbranch_execz .LBB85_393
; %bb.397:                              ;   in Loop: Header=BB85_396 Depth=2
	v_readfirstlane_b32 s98, v6
	v_readfirstlane_b32 s99, v7
	global_load_b32 v19, v2, s[98:99] scale_offset
	s_wait_loadcnt 0x0
	v_cmp_lt_i32_e32 vcc_lo, -1, v19
	v_cndmask_b32_e64 v12, -1, 0x80000000, vcc_lo
	v_cmp_o_f32_e32 vcc_lo, v19, v19
	s_delay_alu instid0(VALU_DEP_2) | instskip(NEXT) | instid1(VALU_DEP_1)
	v_xor_b32_e32 v12, v12, v19
	v_cndmask_b32_e32 v12, -1, v12, vcc_lo
	s_delay_alu instid0(VALU_DEP_1) | instskip(NEXT) | instid1(VALU_DEP_1)
	v_and_b32_e32 v12, v12, v33
	v_cmp_eq_u32_e32 vcc_lo, v12, v26
	s_and_b32 exec_lo, exec_lo, vcc_lo
	s_cbranch_execz .LBB85_393
; %bb.398:                              ;   in Loop: Header=BB85_396 Depth=2
	ds_store_b64 v13, v[18:19] offset:3072
	s_branch .LBB85_393
.LBB85_399:                             ;   in Loop: Header=BB85_396 Depth=2
	s_mov_b32 s61, -1
	s_mov_b32 s60, -1
                                        ; implicit-def: $vgpr5
                                        ; implicit-def: $vgpr2
	s_branch .LBB85_395
.LBB85_400:                             ;   in Loop: Header=BB85_6 Depth=1
	s_or_b32 exec_lo, exec_lo, s34
	s_delay_alu instid0(SALU_CYCLE_1) | instskip(SKIP_1) | instid1(SALU_CYCLE_1)
	s_and_not1_b32 s34, s38, exec_lo
	s_and_b32 s38, s59, exec_lo
	s_or_b32 s38, s34, s38
.LBB85_401:                             ;   in Loop: Header=BB85_6 Depth=1
	s_or_b32 exec_lo, exec_lo, s33
	s_mov_b32 s33, 0
	s_mov_b32 s34, -1
.LBB85_402:                             ;   in Loop: Header=BB85_6 Depth=1
	s_or_not1_b32 s59, s38, exec_lo
.LBB85_403:                             ;   in Loop: Header=BB85_6 Depth=1
	s_or_b32 exec_lo, exec_lo, s58
	s_mov_b32 s58, 0
	s_and_saveexec_b32 s38, s59
	s_cbranch_execz .LBB85_414
; %bb.404:                              ;   in Loop: Header=BB85_6 Depth=1
	v_dual_mov_b32 v4, 1 :: v_dual_mov_b32 v2, 1
	s_xor_b32 s58, s31, -1
	s_delay_alu instid0(SALU_CYCLE_1)
	s_and_saveexec_b32 s31, s58
	s_cbranch_execz .LBB85_413
; %bb.405:                              ;   in Loop: Header=BB85_6 Depth=1
	s_mov_b32 s58, exec_lo
	v_cmpx_ge_u32_e64 s17, v3
	s_xor_b32 s58, exec_lo, s58
	s_cbranch_execz .LBB85_410
; %bb.406:                              ;   in Loop: Header=BB85_6 Depth=1
	ds_load_b32 v2, v13 offset:4096
	v_and_b32_e32 v26, s19, v26
	v_or_b32_e32 v33, s18, v33
	s_wait_dscnt 0x0
	v_cmp_ne_u32_e32 vcc_lo, 0, v2
	s_cbranch_vccnz .LBB85_410
; %bb.407:                              ;   in Loop: Header=BB85_6 Depth=1
	s_and_saveexec_b32 s18, s5
; %bb.408:                              ;   in Loop: Header=BB85_6 Depth=1
	v_mov_b32_e32 v2, s17
	ds_store_b32 v13, v2 offset:4100
; %bb.409:                              ;   in Loop: Header=BB85_6 Depth=1
	s_or_b32 exec_lo, exec_lo, s18
	s_wait_dscnt 0x0
	s_barrier_signal -1
	s_barrier_wait -1
.LBB85_410:                             ;   in Loop: Header=BB85_6 Depth=1
	s_and_not1_saveexec_b32 s18, s58
; %bb.411:                              ;   in Loop: Header=BB85_6 Depth=1
	v_subrev_nc_u32_e32 v3, s17, v3
; %bb.412:                              ;   in Loop: Header=BB85_6 Depth=1
	s_or_b32 exec_lo, exec_lo, s18
	s_delay_alu instid0(VALU_DEP_1)
	v_dual_mov_b32 v4, 5 :: v_dual_mov_b32 v2, v3
.LBB85_413:                             ;   in Loop: Header=BB85_6 Depth=1
	s_or_b32 exec_lo, exec_lo, s31
	s_delay_alu instid0(VALU_DEP_1)
	v_mov_b32_e32 v3, v2
	s_mov_b32 s58, exec_lo
.LBB85_414:                             ;   in Loop: Header=BB85_6 Depth=1
	s_or_b32 exec_lo, exec_lo, s38
	s_delay_alu instid0(SALU_CYCLE_1)
	s_or_not1_b32 s31, s58, exec_lo
.LBB85_415:                             ;   in Loop: Header=BB85_6 Depth=1
	s_or_b32 exec_lo, exec_lo, s20
	s_delay_alu instid0(SALU_CYCLE_1)
	s_and_not1_b32 s17, s29, exec_lo
	s_and_b32 s18, s34, exec_lo
	s_and_not1_b32 s19, s28, exec_lo
	s_and_b32 s20, s33, exec_lo
	v_mov_b32_e32 v2, v3
	s_or_b32 s29, s17, s18
	s_or_b32 s28, s19, s20
	s_and_b32 s34, s31, exec_lo
.LBB85_416:                             ;   in Loop: Header=BB85_6 Depth=1
	s_or_b32 exec_lo, exec_lo, s30
	s_delay_alu instid0(SALU_CYCLE_1)
	s_or_not1_b32 s30, s34, exec_lo
.LBB85_417:                             ;   in Loop: Header=BB85_6 Depth=1
	s_or_b32 exec_lo, exec_lo, s21
	s_delay_alu instid0(SALU_CYCLE_1)
	s_and_not1_b32 s17, s25, exec_lo
	s_and_b32 s18, s29, exec_lo
	s_and_not1_b32 s19, s22, exec_lo
	s_and_b32 s20, s28, exec_lo
	v_mov_b32_e32 v35, v2
	s_or_b32 s25, s17, s18
	s_or_b32 s22, s19, s20
	s_and_b32 s30, s30, exec_lo
.LBB85_418:                             ;   in Loop: Header=BB85_6 Depth=1
	s_or_b32 exec_lo, exec_lo, s27
	s_delay_alu instid0(SALU_CYCLE_1)
	s_or_not1_b32 s27, s30, exec_lo
.LBB85_419:                             ;   in Loop: Header=BB85_6 Depth=1
	s_or_b32 exec_lo, exec_lo, s14
	s_mov_b32 s14, s23
	s_mov_b32 s17, s15
	s_and_saveexec_b32 s18, s27
; %bb.420:                              ;   in Loop: Header=BB85_6 Depth=1
	v_cmp_ne_u32_e32 vcc_lo, 5, v4
	v_cmp_eq_u32_e64 s14, 5, v4
	s_and_not1_b32 s17, s15, exec_lo
	s_and_not1_b32 s19, s23, exec_lo
	s_and_b32 s20, vcc_lo, exec_lo
	s_and_b32 s14, s14, exec_lo
	s_or_b32 s17, s17, s20
	s_or_b32 s14, s19, s14
; %bb.421:                              ;   in Loop: Header=BB85_6 Depth=1
	s_or_b32 exec_lo, exec_lo, s18
	s_delay_alu instid0(SALU_CYCLE_1)
	s_and_not1_b32 s18, s26, exec_lo
	s_and_b32 s19, s25, exec_lo
	s_and_not1_b32 s16, s16, exec_lo
	s_and_b32 s20, s22, exec_lo
	s_or_b32 s26, s18, s19
	s_and_not1_b32 s15, s15, exec_lo
	s_and_b32 s17, s17, exec_lo
	s_and_not1_b32 s18, s23, exec_lo
	s_and_b32 s14, s14, exec_lo
	s_or_b32 s16, s16, s20
	s_or_b32 s15, s15, s17
	;; [unrolled: 1-line block ×3, first 2 shown]
.LBB85_422:                             ;   in Loop: Header=BB85_6 Depth=1
	s_or_b32 exec_lo, exec_lo, s24
	s_mov_b32 s24, 0
	s_mov_b32 s25, 0
	s_and_saveexec_b32 s14, s23
.LBB85_423:                             ;   in Loop: Header=BB85_6 Depth=1
	v_mov_b32_e32 v4, 0
	s_or_b32 s15, s15, exec_lo
.LBB85_424:                             ;   in Loop: Header=BB85_6 Depth=1
	s_or_b32 exec_lo, exec_lo, s14
	s_delay_alu instid0(SALU_CYCLE_1)
	s_and_not1_b32 s14, s94, exec_lo
	s_and_b32 s18, s26, exec_lo
	s_and_not1_b32 s19, s92, exec_lo
	s_and_b32 s16, s16, exec_lo
	v_mov_b32_e32 v34, v35
	s_or_b32 s94, s14, s18
	s_or_b32 s92, s19, s16
	s_and_not1_b32 s14, s96, exec_lo
	s_and_b32 s16, s25, exec_lo
	s_and_not1_b32 s18, s95, exec_lo
	s_and_b32 s19, s24, exec_lo
	s_mov_b32 s17, -1
	s_and_not1_b32 s93, s93, exec_lo
	s_or_b32 s96, s14, s16
	s_or_b32 s95, s18, s19
	s_and_saveexec_b32 s14, s15
	s_delay_alu instid0(SALU_CYCLE_1)
	s_xor_b32 s14, exec_lo, s14
	s_cbranch_execz .LBB85_5
; %bb.425:                              ;   in Loop: Header=BB85_6 Depth=1
	s_mov_b32 s15, -1
	s_mov_b32 s16, -1
	s_mov_b32 s17, exec_lo
	v_cmpx_eq_u32_e32 0, v4
	s_cbranch_execz .LBB85_4
; %bb.426:                              ;   in Loop: Header=BB85_6 Depth=1
	s_xor_b32 s87, s87, 1
	s_add_co_i32 s18, s84, -2
	s_cmp_eq_u32 s84, 0
	s_mov_b32 s84, s18
	s_cselect_b32 s15, -1, 0
	s_xor_b32 s16, exec_lo, -1
	s_or_not1_b32 s15, s15, exec_lo
	s_branch .LBB85_4
.LBB85_427:
	s_or_b32 exec_lo, exec_lo, s85
	s_xor_b32 s7, s91, -1
	s_xor_b32 s9, s89, -1
	s_xor_b32 s10, s90, -1
	s_xor_b32 s11, s86, -1
	s_xor_b32 s6, s88, -1
	s_mov_b32 s8, 0
	s_and_saveexec_b32 s12, s11
	s_delay_alu instid0(SALU_CYCLE_1)
	s_xor_b32 s12, exec_lo, s12
	s_cbranch_execnz .LBB85_432
; %bb.428:
	s_and_not1_saveexec_b32 s0, s12
	s_cbranch_execnz .LBB85_451
.LBB85_429:
	s_or_b32 exec_lo, exec_lo, s0
	s_and_saveexec_b32 s0, s8
.LBB85_430:
	; divergent unreachable
.LBB85_431:
	s_endpgm
.LBB85_432:
	s_and_saveexec_b32 s11, s10
	s_delay_alu instid0(SALU_CYCLE_1)
	s_xor_b32 s13, exec_lo, s11
	s_cbranch_execz .LBB85_449
; %bb.433:
	s_and_saveexec_b32 s10, s9
	s_delay_alu instid0(SALU_CYCLE_1)
	s_xor_b32 s14, exec_lo, s10
	s_cbranch_execz .LBB85_447
; %bb.434:
	;; [unrolled: 5-line block ×3, first 2 shown]
	s_and_saveexec_b32 s7, s6
	s_delay_alu instid0(SALU_CYCLE_1)
	s_xor_b32 s6, exec_lo, s7
; %bb.436:
	v_cmp_lt_i32_e32 vcc_lo, -1, v26
	v_cndmask_b32_e64 v1, 0x80000000, -1, vcc_lo
	s_delay_alu instid0(VALU_DEP_1)
	v_xor_b32_e32 v21, v1, v26
; %bb.437:
	s_or_b32 exec_lo, exec_lo, s6
	s_and_saveexec_b32 s6, s5
; %bb.438:
	v_mov_b32_e32 v1, 0
	ds_store_b32 v1, v1 offset:4108
; %bb.439:
	s_or_b32 exec_lo, exec_lo, s6
	v_mov_b32_e32 v1, 0
	s_wait_dscnt 0x0
	s_barrier_signal -1
	s_barrier_wait -1
	s_and_saveexec_b32 s5, s3
	s_cbranch_execz .LBB85_441
; %bb.440:
	global_load_b32 v1, v[10:11], off
.LBB85_441:
	s_wait_xcnt 0x0
	s_or_b32 exec_lo, exec_lo, s5
	s_mul_i32 s6, s51, s64
	s_add_co_i32 s5, s36, 31
	s_sub_co_i32 s6, s40, s6
	s_and_not1_b32 s5, s5, 31
	s_add_co_i32 s7, s51, 1
	s_sub_co_i32 s8, s6, s64
	s_cmp_ge_u32 s6, s64
	v_cmp_lt_i32_e32 vcc_lo, -1, v21
	s_cselect_b32 s7, s7, s51
	s_cselect_b32 s6, s8, s6
	s_add_co_i32 s8, s7, 1
	s_cmp_ge_u32 s6, s64
	s_mul_i32 s6, s35, s63
	s_cselect_b32 s7, s8, s7
	s_sub_co_i32 s6, s40, s6
	s_mul_i32 s8, s7, s64
	s_mul_i32 s7, s7, s44
	s_sub_co_i32 s8, s40, s8
	s_add_co_i32 s9, s35, 1
	s_mul_i32 s8, s8, s45
	s_sub_co_i32 s11, s6, s63
	s_add_co_i32 s10, s7, s8
	s_cmp_ge_u32 s6, s63
	s_clause 0x1
	s_load_b32 s16, s[0:1], 0x1c8
	s_load_b32 s17, s[0:1], 0x2a8
	s_cselect_b32 s7, s9, s35
	s_cselect_b32 s6, s11, s6
	s_add_co_i32 s8, s7, 1
	s_cmp_ge_u32 s6, s63
	v_cndmask_b32_e64 v2, -1, 0x80000000, vcc_lo
	s_wait_xcnt 0x0
	s_cselect_b32 s1, s8, s7
	v_cmp_o_f32_e32 vcc_lo, v21, v21
	s_mul_i32 s6, s1, s63
	s_mul_i32 s1, s1, s42
	v_xor_b32_e32 v2, v2, v21
	s_sub_co_i32 s6, s40, s6
	s_mov_b32 s11, 0
	s_mul_i32 s6, s6, s43
	s_mov_b32 s7, s11
	s_add_co_i32 s6, s1, s6
	v_cndmask_b32_e32 v4, -1, v2, vcc_lo
	v_cmp_gt_u32_e32 vcc_lo, s5, v0
	s_lshl_b64 s[8:9], s[10:11], 2
	s_lshl_b64 s[18:19], s[6:7], 3
	s_mov_b32 s0, -1
	s_add_nc_u64 s[6:7], s[48:49], s[8:9]
	s_add_nc_u64 s[8:9], s[46:47], s[18:19]
	s_mov_b32 s1, 0
	s_and_saveexec_b32 s10, vcc_lo
	s_cbranch_execnz .LBB85_452
; %bb.442:
	s_or_b32 exec_lo, exec_lo, s10
	s_and_saveexec_b32 s4, s0
	s_cbranch_execnz .LBB85_469
.LBB85_443:
	s_or_b32 exec_lo, exec_lo, s4
	s_and_saveexec_b32 s0, s1
	s_delay_alu instid0(SALU_CYCLE_1)
	s_xor_b32 s0, exec_lo, s0
	s_cbranch_execnz .LBB85_492
.LBB85_444:
	s_or_b32 exec_lo, exec_lo, s0
	s_delay_alu instid0(SALU_CYCLE_1)
	s_and_b32 s8, s11, exec_lo
.LBB85_445:
	s_and_not1_saveexec_b32 s0, s15
	s_cbranch_execnz .LBB85_494
.LBB85_446:
	s_or_b32 exec_lo, exec_lo, s0
	s_delay_alu instid0(SALU_CYCLE_1)
	s_and_b32 s8, s8, exec_lo
.LBB85_447:
	s_and_not1_saveexec_b32 s0, s14
	s_cbranch_execnz .LBB85_493
.LBB85_448:
	s_or_b32 exec_lo, exec_lo, s0
	s_delay_alu instid0(SALU_CYCLE_1)
	s_and_b32 s8, s8, exec_lo
.LBB85_449:
	s_and_not1_saveexec_b32 s0, s13
	s_cbranch_execnz .LBB85_488
.LBB85_450:
	s_or_b32 exec_lo, exec_lo, s0
	s_delay_alu instid0(SALU_CYCLE_1)
	s_and_b32 s8, s8, exec_lo
	s_and_not1_saveexec_b32 s0, s12
	s_cbranch_execz .LBB85_429
.LBB85_451:
	s_or_b32 s8, s8, exec_lo
	s_trap 2
	s_or_b32 exec_lo, exec_lo, s0
	s_and_saveexec_b32 s0, s8
	s_cbranch_execnz .LBB85_430
	s_branch .LBB85_431
.LBB85_452:
	v_dual_mov_b32 v3, 0 :: v_dual_add_nc_u32 v2, s41, v0
	s_mov_b32 s18, 0
                                        ; implicit-def: $sgpr19
                                        ; implicit-def: $vgpr12
	s_delay_alu instid0(VALU_DEP_1)
	v_mul_lo_u32 v5, s62, v2
	v_mov_b32_e32 v2, v0
	s_branch .LBB85_454
.LBB85_453:                             ;   in Loop: Header=BB85_454 Depth=1
	s_or_b32 exec_lo, exec_lo, s21
	s_xor_b32 s0, s20, -1
	s_and_b32 s1, exec_lo, s1
	s_wait_loadcnt 0x0
	v_dual_mov_b32 v1, v13 :: v_dual_mov_b32 v2, v9
	s_or_b32 s18, s1, s18
	s_and_not1_b32 s1, s19, exec_lo
	s_and_b32 s0, s0, exec_lo
	s_delay_alu instid0(SALU_CYCLE_1)
	s_or_b32 s19, s1, s0
	s_and_not1_b32 exec_lo, exec_lo, s18
	s_cbranch_execz .LBB85_468
.LBB85_454:                             ; =>This Inner Loop Header: Depth=1
	s_delay_alu instid0(VALU_DEP_1) | instskip(SKIP_1) | instid1(VALU_DEP_1)
	v_dual_add_nc_u32 v9, s41, v2 :: v_dual_mov_b32 v13, 0
	s_mov_b32 s1, exec_lo
	v_cmpx_gt_u32_e64 s36, v9
	s_cbranch_execz .LBB85_456
; %bb.455:                              ;   in Loop: Header=BB85_454 Depth=1
	v_readfirstlane_b32 s20, v6
	v_readfirstlane_b32 s21, v7
	global_load_b32 v13, v5, s[20:21] scale_offset
.LBB85_456:                             ;   in Loop: Header=BB85_454 Depth=1
	s_wait_xcnt 0x0
	s_or_b32 exec_lo, exec_lo, s1
	s_mov_b32 s20, 0
	s_mov_b32 s1, exec_lo
	v_cmpx_gt_u32_e64 s36, v2
	s_cbranch_execz .LBB85_458
; %bb.457:                              ;   in Loop: Header=BB85_454 Depth=1
	s_wait_loadcnt 0x0
	v_cmp_lt_i32_e64 s0, -1, v1
	s_delay_alu instid0(VALU_DEP_1) | instskip(SKIP_1) | instid1(VALU_DEP_2)
	v_cndmask_b32_e64 v14, -1, 0x80000000, s0
	v_cmp_o_f32_e64 s0, v1, v1
	v_xor_b32_e32 v14, v14, v1
	s_delay_alu instid0(VALU_DEP_1) | instskip(NEXT) | instid1(VALU_DEP_1)
	v_cndmask_b32_e64 v14, -1, v14, s0
	v_cmp_gt_u32_e64 s0, v14, v4
	s_delay_alu instid0(VALU_DEP_1) | instskip(SKIP_1) | instid1(VALU_DEP_1)
	v_cndmask_b32_e64 v15, 0, 1, s0
	v_cmp_lt_u32_e64 s0, v14, v4
	v_cndmask_b32_e64 v14, 0, 1, s0
	s_delay_alu instid0(VALU_DEP_1) | instskip(NEXT) | instid1(VALU_DEP_1)
	v_cndmask_b32_e64 v14, v14, v15, s4
	v_and_b32_e32 v14, 1, v14
	s_delay_alu instid0(VALU_DEP_1)
	v_cmp_eq_u32_e64 s0, 1, v14
	s_and_b32 s20, s0, exec_lo
.LBB85_458:                             ;   in Loop: Header=BB85_454 Depth=1
	s_or_b32 exec_lo, exec_lo, s1
	v_cndmask_b32_e64 v14, 0, 1, s20
	s_delay_alu instid0(VALU_DEP_1) | instskip(SKIP_2) | instid1(SALU_CYCLE_1)
	v_cmp_ne_u32_e64 s0, 0, v14
	s_cmp_lg_u32 s0, 0
	s_cselect_b32 s1, -1, 0
	s_and_b32 s1, s2, s1
	s_delay_alu instid0(SALU_CYCLE_1)
	s_and_saveexec_b32 s21, s1
	s_cbranch_execz .LBB85_462
; %bb.459:                              ;   in Loop: Header=BB85_454 Depth=1
	s_mov_b32 s24, exec_lo
	s_bcnt1_i32_b32 s22, s0
	s_wait_dscnt 0x0
	v_mbcnt_lo_u32_b32 v12, s24, 0
	s_mov_b32 s23, exec_lo
                                        ; implicit-def: $vgpr14
	s_delay_alu instid0(VALU_DEP_1)
	v_cmpx_eq_u32_e32 0, v12
; %bb.460:                              ;   in Loop: Header=BB85_454 Depth=1
	s_bcnt1_i32_b32 s1, s24
	s_delay_alu instid0(SALU_CYCLE_1) | instskip(NEXT) | instid1(SALU_CYCLE_1)
	s_mul_i32 s1, s22, s1
	v_mov_b32_e32 v14, s1
	ds_add_rtn_u32 v14, v3, v14 offset:4108
; %bb.461:                              ;   in Loop: Header=BB85_454 Depth=1
	s_or_b32 exec_lo, exec_lo, s23
	s_wait_dscnt 0x0
	v_readfirstlane_b32 s1, v14
	s_delay_alu instid0(VALU_DEP_1)
	v_mad_u32_u24 v12, s22, v12, s1
.LBB85_462:                             ;   in Loop: Header=BB85_454 Depth=1
	s_or_b32 exec_lo, exec_lo, s21
	s_wait_dscnt 0x0
	ds_bpermute_b32 v12, v3, v12
	s_mov_b32 s1, -1
	s_mov_b32 s22, -1
	s_and_saveexec_b32 s21, s20
	s_cbranch_execz .LBB85_466
; %bb.463:                              ;   in Loop: Header=BB85_454 Depth=1
	v_and_b32_e32 v14, s0, v8
	s_mov_b32 s20, 0
	s_mov_b32 s22, exec_lo
	s_wait_dscnt 0x0
	s_delay_alu instid0(VALU_DEP_1) | instskip(NEXT) | instid1(VALU_DEP_1)
	v_bcnt_u32_b32 v14, v14, v12
	v_cmpx_gt_u32_e64 s37, v14
	s_cbranch_execz .LBB85_465
; %bb.464:                              ;   in Loop: Header=BB85_454 Depth=1
	s_wait_kmcnt 0x0
	v_mul_lo_u32 v15, v14, s16
	v_mul_lo_u32 v14, v14, s17
	s_mov_b32 s20, exec_lo
	s_wait_loadcnt 0x0
	global_store_b32 v15, v1, s[6:7] scale_offset
	global_store_b64 v14, v[2:3], s[8:9] scale_offset
.LBB85_465:                             ;   in Loop: Header=BB85_454 Depth=1
	s_wait_xcnt 0x0
	s_or_b32 exec_lo, exec_lo, s22
	s_delay_alu instid0(SALU_CYCLE_1)
	s_or_not1_b32 s22, s20, exec_lo
.LBB85_466:                             ;   in Loop: Header=BB85_454 Depth=1
	s_or_b32 exec_lo, exec_lo, s21
	s_mov_b32 s20, -1
	s_and_saveexec_b32 s21, s22
	s_cbranch_execz .LBB85_453
; %bb.467:                              ;   in Loop: Header=BB85_454 Depth=1
	v_cmp_le_u32_e64 s0, s5, v9
	v_add_nc_u32_e32 v5, s50, v5
	s_xor_b32 s20, exec_lo, -1
	s_or_not1_b32 s1, s0, exec_lo
	s_branch .LBB85_453
.LBB85_468:
	s_or_b32 exec_lo, exec_lo, s18
	s_delay_alu instid0(SALU_CYCLE_1)
	s_mov_b32 s1, exec_lo
	s_or_not1_b32 s0, s19, exec_lo
	s_or_b32 exec_lo, exec_lo, s10
	s_and_saveexec_b32 s4, s0
	s_cbranch_execz .LBB85_443
.LBB85_469:
	s_wait_dscnt 0x0
	v_mov_b32_e32 v12, 0
	s_wait_loadcnt 0x0
	s_wait_storecnt 0x0
	s_barrier_signal -1
	s_barrier_wait -1
	s_and_saveexec_b32 s0, s3
	s_cbranch_execz .LBB85_471
; %bb.470:
	global_load_b32 v12, v[10:11], off
.LBB85_471:
	s_wait_xcnt 0x0
	s_or_b32 exec_lo, exec_lo, s0
	s_mov_b32 s0, 0
	s_and_saveexec_b32 s3, vcc_lo
	s_cbranch_execz .LBB85_491
; %bb.472:
	v_add_nc_u32_e32 v1, s41, v0
	s_mov_b32 s10, 0
                                        ; implicit-def: $sgpr11
                                        ; implicit-def: $vgpr9
	s_delay_alu instid0(VALU_DEP_1)
	v_mul_lo_u32 v2, s62, v1
	v_mov_b32_e32 v1, 0
	s_branch .LBB85_475
.LBB85_473:                             ;   in Loop: Header=BB85_475 Depth=1
	s_or_b32 exec_lo, exec_lo, s20
	s_delay_alu instid0(SALU_CYCLE_1)
	s_or_not1_b32 s20, s18, exec_lo
	s_or_not1_b32 s19, s19, exec_lo
.LBB85_474:                             ;   in Loop: Header=BB85_475 Depth=1
	s_or_b32 exec_lo, exec_lo, s0
	s_xor_b32 s0, s20, -1
	s_and_b32 s18, exec_lo, s19
	v_dual_mov_b32 v0, v3 :: v_dual_mov_b32 v12, v5
	s_or_b32 s10, s18, s10
	s_and_not1_b32 s11, s11, exec_lo
	s_and_b32 s0, s0, exec_lo
	s_delay_alu instid0(SALU_CYCLE_1)
	s_or_b32 s11, s11, s0
	s_and_not1_b32 exec_lo, exec_lo, s10
	s_cbranch_execz .LBB85_489
.LBB85_475:                             ; =>This Inner Loop Header: Depth=1
	v_dual_add_nc_u32 v3, s41, v0 :: v_dual_mov_b32 v5, 0
	s_mov_b32 s0, exec_lo
	s_delay_alu instid0(VALU_DEP_1)
	v_cmpx_gt_u32_e64 s36, v3
	s_cbranch_execz .LBB85_477
; %bb.476:                              ;   in Loop: Header=BB85_475 Depth=1
	v_readfirstlane_b32 s18, v6
	v_readfirstlane_b32 s19, v7
	global_load_b32 v5, v2, s[18:19] scale_offset
.LBB85_477:                             ;   in Loop: Header=BB85_475 Depth=1
	s_wait_xcnt 0x0
	s_or_b32 exec_lo, exec_lo, s0
	s_wait_loadcnt 0x0
	v_cmp_lt_i32_e32 vcc_lo, -1, v12
	v_cndmask_b32_e64 v10, -1, 0x80000000, vcc_lo
	v_cmp_o_f32_e32 vcc_lo, v12, v12
	s_delay_alu instid0(VALU_DEP_2) | instskip(NEXT) | instid1(VALU_DEP_1)
	v_xor_b32_e32 v10, v10, v12
	v_cndmask_b32_e32 v10, -1, v10, vcc_lo
	v_cmp_gt_u32_e32 vcc_lo, s36, v0
	s_delay_alu instid0(VALU_DEP_2) | instskip(SKIP_1) | instid1(SALU_CYCLE_1)
	v_cmp_eq_u32_e64 s0, v10, v4
	s_and_b32 s18, vcc_lo, s0
	v_cndmask_b32_e64 v10, 0, 1, s18
	s_delay_alu instid0(VALU_DEP_1) | instskip(SKIP_2) | instid1(SALU_CYCLE_1)
	v_cmp_ne_u32_e32 vcc_lo, 0, v10
	s_cmp_lg_u32 vcc_lo, 0
	s_cselect_b32 s0, -1, 0
	s_and_b32 s0, s2, s0
	s_delay_alu instid0(SALU_CYCLE_1)
	s_and_saveexec_b32 s19, s0
	s_cbranch_execz .LBB85_481
; %bb.478:                              ;   in Loop: Header=BB85_475 Depth=1
	s_mov_b32 s22, exec_lo
	s_bcnt1_i32_b32 s20, vcc_lo
	v_mbcnt_lo_u32_b32 v9, s22, 0
	s_mov_b32 s21, exec_lo
                                        ; implicit-def: $vgpr10
	s_delay_alu instid0(VALU_DEP_1)
	v_cmpx_eq_u32_e32 0, v9
; %bb.479:                              ;   in Loop: Header=BB85_475 Depth=1
	s_bcnt1_i32_b32 s0, s22
	s_delay_alu instid0(SALU_CYCLE_1) | instskip(NEXT) | instid1(SALU_CYCLE_1)
	s_mul_i32 s0, s20, s0
	v_mov_b32_e32 v10, s0
	ds_add_rtn_u32 v10, v1, v10 offset:4108
; %bb.480:                              ;   in Loop: Header=BB85_475 Depth=1
	s_or_b32 exec_lo, exec_lo, s21
	s_wait_dscnt 0x0
	v_readfirstlane_b32 s0, v10
	s_delay_alu instid0(VALU_DEP_1)
	v_mad_u32_u24 v9, s20, v9, s0
.LBB85_481:                             ;   in Loop: Header=BB85_475 Depth=1
	s_or_b32 exec_lo, exec_lo, s19
	ds_bpermute_b32 v9, v1, v9
	s_cmp_eq_u32 vcc_lo, 0
	s_mov_b32 s19, -1
	s_cselect_b32 s20, -1, 0
	s_wait_dscnt 0x0
	v_cmp_gt_u32_e64 s0, s37, v9
	s_or_b32 s21, s20, s0
	s_mov_b32 s20, -1
	s_and_saveexec_b32 s0, s21
	s_cbranch_execz .LBB85_474
; %bb.482:                              ;   in Loop: Header=BB85_475 Depth=1
	v_dual_sub_nc_u32 v11, s37, v9 :: v_dual_bitop2_b32 v10, vcc_lo, v8 bitop3:0x40
	s_mov_b32 s21, -1
	s_delay_alu instid0(VALU_DEP_1) | instskip(NEXT) | instid1(VALU_DEP_1)
	v_bcnt_u32_b32 v10, v10, 0
	v_bcnt_u32_b32 v10, 0, v10
	s_delay_alu instid0(VALU_DEP_1)
	v_cmp_gt_u32_e32 vcc_lo, v11, v10
	s_and_b32 s22, s18, vcc_lo
	s_mov_b32 s18, -1
	s_and_saveexec_b32 s20, s22
	s_cbranch_execz .LBB85_486
; %bb.483:                              ;   in Loop: Header=BB85_475 Depth=1
	v_add_nc_u32_e32 v10, v9, v10
	s_mov_b32 s21, 0
	s_mov_b32 s18, exec_lo
	s_delay_alu instid0(VALU_DEP_1)
	v_cmpx_gt_u32_e64 s37, v10
	s_cbranch_execz .LBB85_485
; %bb.484:                              ;   in Loop: Header=BB85_475 Depth=1
	s_wait_kmcnt 0x0
	v_mul_lo_u32 v11, v10, s16
	v_mul_lo_u32 v10, v10, s17
	s_mov_b32 s21, exec_lo
	global_store_b32 v11, v12, s[6:7] scale_offset
	global_store_b64 v10, v[0:1], s[8:9] scale_offset
.LBB85_485:                             ;   in Loop: Header=BB85_475 Depth=1
	s_wait_xcnt 0x0
	s_or_b32 exec_lo, exec_lo, s18
	s_delay_alu instid0(SALU_CYCLE_1)
	s_xor_b32 s18, exec_lo, -1
	s_or_not1_b32 s21, s21, exec_lo
.LBB85_486:                             ;   in Loop: Header=BB85_475 Depth=1
	s_or_b32 exec_lo, exec_lo, s20
	s_and_saveexec_b32 s20, s21
	s_cbranch_execz .LBB85_473
; %bb.487:                              ;   in Loop: Header=BB85_475 Depth=1
	v_cmp_le_u32_e32 vcc_lo, s5, v3
	v_add_nc_u32_e32 v2, s50, v2
	s_or_b32 s18, s18, exec_lo
	s_or_not1_b32 s19, vcc_lo, exec_lo
	s_branch .LBB85_473
.LBB85_488:
	s_or_b32 s8, s8, exec_lo
	s_trap 2
	s_branch .LBB85_450
.LBB85_489:
	s_or_b32 exec_lo, exec_lo, s10
	s_mov_b32 s0, 0
	s_and_saveexec_b32 s2, s11
	s_delay_alu instid0(SALU_CYCLE_1)
	s_xor_b32 s2, exec_lo, s2
	s_cbranch_execnz .LBB85_495
.LBB85_490:
	s_or_b32 exec_lo, exec_lo, s2
	s_delay_alu instid0(SALU_CYCLE_1)
	s_and_b32 s0, s0, exec_lo
.LBB85_491:
	s_or_b32 exec_lo, exec_lo, s3
	s_delay_alu instid0(SALU_CYCLE_1) | instskip(SKIP_3) | instid1(SALU_CYCLE_1)
	s_and_b32 s11, s0, exec_lo
	s_and_not1_b32 s1, s1, exec_lo
	s_or_b32 exec_lo, exec_lo, s4
	s_and_saveexec_b32 s0, s1
	s_xor_b32 s0, exec_lo, s0
	s_cbranch_execz .LBB85_444
.LBB85_492:
	s_or_b32 s11, s11, exec_lo
	s_trap 2
	s_branch .LBB85_444
.LBB85_493:
	s_or_b32 s8, s8, exec_lo
	s_trap 2
	s_branch .LBB85_448
.LBB85_494:
	s_or_b32 s8, s8, exec_lo
	s_trap 2
	s_branch .LBB85_446
.LBB85_495:
	s_mov_b32 s0, exec_lo
	s_trap 2
	s_branch .LBB85_490
	.section	.rodata,"a",@progbits
	.p2align	6, 0x0
	.amdhsa_kernel _ZN2at6native6sbtopk10gatherTopKIfjLi2ELb0EEEvNS_4cuda6detail10TensorInfoIKT_T0_EES8_S8_bS8_S8_NS5_IS6_S8_EES8_NS5_IlS8_EES8_PS6_
		.amdhsa_group_segment_fixed_size 4112
		.amdhsa_private_segment_fixed_size 0
		.amdhsa_kernarg_size 952
		.amdhsa_user_sgpr_count 2
		.amdhsa_user_sgpr_dispatch_ptr 0
		.amdhsa_user_sgpr_queue_ptr 0
		.amdhsa_user_sgpr_kernarg_segment_ptr 1
		.amdhsa_user_sgpr_dispatch_id 0
		.amdhsa_user_sgpr_kernarg_preload_length 0
		.amdhsa_user_sgpr_kernarg_preload_offset 0
		.amdhsa_user_sgpr_private_segment_size 0
		.amdhsa_wavefront_size32 1
		.amdhsa_uses_dynamic_stack 0
		.amdhsa_enable_private_segment 0
		.amdhsa_system_sgpr_workgroup_id_x 1
		.amdhsa_system_sgpr_workgroup_id_y 1
		.amdhsa_system_sgpr_workgroup_id_z 1
		.amdhsa_system_sgpr_workgroup_info 0
		.amdhsa_system_vgpr_workitem_id 0
		.amdhsa_next_free_vgpr 64
		.amdhsa_next_free_sgpr 105
		.amdhsa_named_barrier_count 0
		.amdhsa_reserve_vcc 1
		.amdhsa_float_round_mode_32 0
		.amdhsa_float_round_mode_16_64 0
		.amdhsa_float_denorm_mode_32 3
		.amdhsa_float_denorm_mode_16_64 3
		.amdhsa_fp16_overflow 0
		.amdhsa_memory_ordered 1
		.amdhsa_forward_progress 1
		.amdhsa_inst_pref_size 134
		.amdhsa_round_robin_scheduling 0
		.amdhsa_exception_fp_ieee_invalid_op 0
		.amdhsa_exception_fp_denorm_src 0
		.amdhsa_exception_fp_ieee_div_zero 0
		.amdhsa_exception_fp_ieee_overflow 0
		.amdhsa_exception_fp_ieee_underflow 0
		.amdhsa_exception_fp_ieee_inexact 0
		.amdhsa_exception_int_div_zero 0
	.end_amdhsa_kernel
	.section	.text._ZN2at6native6sbtopk10gatherTopKIfjLi2ELb0EEEvNS_4cuda6detail10TensorInfoIKT_T0_EES8_S8_bS8_S8_NS5_IS6_S8_EES8_NS5_IlS8_EES8_PS6_,"axG",@progbits,_ZN2at6native6sbtopk10gatherTopKIfjLi2ELb0EEEvNS_4cuda6detail10TensorInfoIKT_T0_EES8_S8_bS8_S8_NS5_IS6_S8_EES8_NS5_IlS8_EES8_PS6_,comdat
.Lfunc_end85:
	.size	_ZN2at6native6sbtopk10gatherTopKIfjLi2ELb0EEEvNS_4cuda6detail10TensorInfoIKT_T0_EES8_S8_bS8_S8_NS5_IS6_S8_EES8_NS5_IlS8_EES8_PS6_, .Lfunc_end85-_ZN2at6native6sbtopk10gatherTopKIfjLi2ELb0EEEvNS_4cuda6detail10TensorInfoIKT_T0_EES8_S8_bS8_S8_NS5_IS6_S8_EES8_NS5_IlS8_EES8_PS6_
                                        ; -- End function
	.set _ZN2at6native6sbtopk10gatherTopKIfjLi2ELb0EEEvNS_4cuda6detail10TensorInfoIKT_T0_EES8_S8_bS8_S8_NS5_IS6_S8_EES8_NS5_IlS8_EES8_PS6_.num_vgpr, 64
	.set _ZN2at6native6sbtopk10gatherTopKIfjLi2ELb0EEEvNS_4cuda6detail10TensorInfoIKT_T0_EES8_S8_bS8_S8_NS5_IS6_S8_EES8_NS5_IlS8_EES8_PS6_.num_agpr, 0
	.set _ZN2at6native6sbtopk10gatherTopKIfjLi2ELb0EEEvNS_4cuda6detail10TensorInfoIKT_T0_EES8_S8_bS8_S8_NS5_IS6_S8_EES8_NS5_IlS8_EES8_PS6_.numbered_sgpr, 105
	.set _ZN2at6native6sbtopk10gatherTopKIfjLi2ELb0EEEvNS_4cuda6detail10TensorInfoIKT_T0_EES8_S8_bS8_S8_NS5_IS6_S8_EES8_NS5_IlS8_EES8_PS6_.num_named_barrier, 0
	.set _ZN2at6native6sbtopk10gatherTopKIfjLi2ELb0EEEvNS_4cuda6detail10TensorInfoIKT_T0_EES8_S8_bS8_S8_NS5_IS6_S8_EES8_NS5_IlS8_EES8_PS6_.private_seg_size, 0
	.set _ZN2at6native6sbtopk10gatherTopKIfjLi2ELb0EEEvNS_4cuda6detail10TensorInfoIKT_T0_EES8_S8_bS8_S8_NS5_IS6_S8_EES8_NS5_IlS8_EES8_PS6_.uses_vcc, 1
	.set _ZN2at6native6sbtopk10gatherTopKIfjLi2ELb0EEEvNS_4cuda6detail10TensorInfoIKT_T0_EES8_S8_bS8_S8_NS5_IS6_S8_EES8_NS5_IlS8_EES8_PS6_.uses_flat_scratch, 0
	.set _ZN2at6native6sbtopk10gatherTopKIfjLi2ELb0EEEvNS_4cuda6detail10TensorInfoIKT_T0_EES8_S8_bS8_S8_NS5_IS6_S8_EES8_NS5_IlS8_EES8_PS6_.has_dyn_sized_stack, 0
	.set _ZN2at6native6sbtopk10gatherTopKIfjLi2ELb0EEEvNS_4cuda6detail10TensorInfoIKT_T0_EES8_S8_bS8_S8_NS5_IS6_S8_EES8_NS5_IlS8_EES8_PS6_.has_recursion, 0
	.set _ZN2at6native6sbtopk10gatherTopKIfjLi2ELb0EEEvNS_4cuda6detail10TensorInfoIKT_T0_EES8_S8_bS8_S8_NS5_IS6_S8_EES8_NS5_IlS8_EES8_PS6_.has_indirect_call, 0
	.section	.AMDGPU.csdata,"",@progbits
; Kernel info:
; codeLenInByte = 17048
; TotalNumSgprs: 107
; NumVgprs: 64
; ScratchSize: 0
; MemoryBound: 0
; FloatMode: 240
; IeeeMode: 1
; LDSByteSize: 4112 bytes/workgroup (compile time only)
; SGPRBlocks: 0
; VGPRBlocks: 3
; NumSGPRsForWavesPerEU: 107
; NumVGPRsForWavesPerEU: 64
; NamedBarCnt: 0
; Occupancy: 16
; WaveLimiterHint : 1
; COMPUTE_PGM_RSRC2:SCRATCH_EN: 0
; COMPUTE_PGM_RSRC2:USER_SGPR: 2
; COMPUTE_PGM_RSRC2:TRAP_HANDLER: 0
; COMPUTE_PGM_RSRC2:TGID_X_EN: 1
; COMPUTE_PGM_RSRC2:TGID_Y_EN: 1
; COMPUTE_PGM_RSRC2:TGID_Z_EN: 1
; COMPUTE_PGM_RSRC2:TIDIG_COMP_CNT: 0
	.section	.text._ZN2at6native6mbtopk23computeBlockDigitCountsIfjjLi3EEEvNS_4cuda6detail10TensorInfoIKT_T0_EEjPjjS8_iijT1_PSB_Ps,"axG",@progbits,_ZN2at6native6mbtopk23computeBlockDigitCountsIfjjLi3EEEvNS_4cuda6detail10TensorInfoIKT_T0_EEjPjjS8_iijT1_PSB_Ps,comdat
	.protected	_ZN2at6native6mbtopk23computeBlockDigitCountsIfjjLi3EEEvNS_4cuda6detail10TensorInfoIKT_T0_EEjPjjS8_iijT1_PSB_Ps ; -- Begin function _ZN2at6native6mbtopk23computeBlockDigitCountsIfjjLi3EEEvNS_4cuda6detail10TensorInfoIKT_T0_EEjPjjS8_iijT1_PSB_Ps
	.globl	_ZN2at6native6mbtopk23computeBlockDigitCountsIfjjLi3EEEvNS_4cuda6detail10TensorInfoIKT_T0_EEjPjjS8_iijT1_PSB_Ps
	.p2align	8
	.type	_ZN2at6native6mbtopk23computeBlockDigitCountsIfjjLi3EEEvNS_4cuda6detail10TensorInfoIKT_T0_EEjPjjS8_iijT1_PSB_Ps,@function
_ZN2at6native6mbtopk23computeBlockDigitCountsIfjjLi3EEEvNS_4cuda6detail10TensorInfoIKT_T0_EEjPjjS8_iijT1_PSB_Ps: ; @_ZN2at6native6mbtopk23computeBlockDigitCountsIfjjLi3EEEvNS_4cuda6detail10TensorInfoIKT_T0_EEjPjjS8_iijT1_PSB_Ps
; %bb.0:
	s_load_b64 s[2:3], s[0:1], 0xf8
	s_bfe_u32 s4, ttmp6, 0x40010
	s_and_b32 s10, ttmp7, 0xffff
	s_add_co_i32 s4, s4, 1
	s_bfe_u32 s5, ttmp6, 0x40004
	s_mul_i32 s4, s10, s4
	s_load_b64 s[8:9], s[0:1], 0x110
	s_add_co_i32 s11, s5, s4
	s_bfe_u32 s6, ttmp6, 0x4000c
	s_bfe_u32 s7, ttmp6, 0x40014
	s_add_co_i32 s6, s6, 1
	s_and_b32 s5, ttmp6, 15
	s_mul_i32 s6, ttmp9, s6
	s_add_co_i32 s7, s7, 1
	s_add_co_i32 s12, s5, s6
	s_bfe_u32 s6, ttmp6, 0x40008
	s_mov_b32 s15, 0
	s_wait_kmcnt 0x0
	s_cvt_f32_u32 s4, s2
	s_delay_alu instid0(SALU_CYCLE_3) | instskip(SKIP_1) | instid1(SALU_CYCLE_1)
	v_rcp_iflag_f32_e32 v1, s4
	s_lshr_b32 s4, ttmp7, 16
	s_mul_i32 s5, s4, s7
	s_getreg_b32 s7, hwreg(HW_REG_IB_STS2, 6, 4)
	s_add_co_i32 s6, s6, s5
	s_cmp_eq_u32 s7, 0
	v_nop
	v_readfirstlane_b32 s13, v1
	s_cselect_b32 s14, s4, s6
	s_load_b128 s[4:7], s[0:1], 0xe8
	s_mul_i32 s9, s9, s14
	s_cselect_b32 s12, ttmp9, s12
	s_mul_f32 s13, s13, 0x4f7ffffe
	s_cselect_b32 s10, s10, s11
	s_sub_co_i32 s11, 0, s2
	s_add_co_i32 s9, s9, s10
	s_cvt_u32_f32 s13, s13
	s_mul_i32 s18, s9, s8
	s_delay_alu instid0(SALU_CYCLE_1) | instskip(NEXT) | instid1(SALU_CYCLE_1)
	s_add_co_i32 s18, s18, s12
	s_mul_i32 s11, s11, s13
	s_delay_alu instid0(SALU_CYCLE_1) | instskip(NEXT) | instid1(SALU_CYCLE_1)
	s_mul_hi_u32 s8, s13, s11
	s_add_co_i32 s13, s13, s8
	s_delay_alu instid0(SALU_CYCLE_1) | instskip(NEXT) | instid1(SALU_CYCLE_1)
	s_mul_hi_u32 s8, s18, s13
	s_mul_i32 s9, s8, s2
	s_add_co_i32 s10, s8, 1
	s_sub_co_i32 s9, s18, s9
	s_delay_alu instid0(SALU_CYCLE_1)
	s_sub_co_i32 s11, s9, s2
	s_cmp_ge_u32 s9, s2
	s_cselect_b32 s8, s10, s8
	s_cselect_b32 s9, s11, s9
	s_add_co_i32 s10, s8, 1
	s_cmp_ge_u32 s9, s2
	s_cselect_b32 s21, s10, s8
	s_wait_kmcnt 0x0
	s_cmp_ge_u32 s21, s4
	s_cbranch_scc1 .LBB86_27
; %bb.1:
	s_load_b64 s[16:17], s[0:1], 0xc
	v_cmp_gt_u32_e32 vcc_lo, 0x100, v0
	s_wait_kmcnt 0x0
	s_cvt_f32_u32 s4, s17
	s_sub_co_i32 s8, 0, s17
	s_cvt_f32_u32 s9, s16
	s_delay_alu instid0(SALU_CYCLE_1) | instskip(SKIP_1) | instid1(TRANS32_DEP_1)
	v_rcp_iflag_f32_e32 v1, s4
	v_nop
	v_readfirstlane_b32 s4, v1
	v_rcp_iflag_f32_e32 v1, s9
	s_mul_f32 s4, s4, 0x4f7ffffe
	v_nop
	s_delay_alu instid0(TRANS32_DEP_1) | instskip(NEXT) | instid1(SALU_CYCLE_1)
	v_readfirstlane_b32 s22, v1
	s_cvt_u32_f32 s4, s4
	v_lshlrev_b32_e32 v1, 2, v0
	s_delay_alu instid0(SALU_CYCLE_2) | instskip(NEXT) | instid1(SALU_CYCLE_1)
	s_mul_i32 s8, s8, s4
	s_mul_hi_u32 s8, s4, s8
	s_delay_alu instid0(SALU_CYCLE_1) | instskip(NEXT) | instid1(SALU_CYCLE_1)
	s_add_co_i32 s4, s4, s8
	s_mul_hi_u32 s4, s21, s4
	s_delay_alu instid0(SALU_CYCLE_1) | instskip(SKIP_2) | instid1(SALU_CYCLE_1)
	s_mul_i32 s8, s4, s17
	s_add_co_i32 s9, s4, 1
	s_sub_co_i32 s8, s21, s8
	s_sub_co_i32 s10, s8, s17
	s_cmp_ge_u32 s8, s17
	s_cselect_b32 s4, s9, s4
	s_cselect_b32 s8, s10, s8
	s_add_co_i32 s9, s4, 1
	s_cmp_ge_u32 s8, s17
	s_cselect_b32 s14, s9, s4
	s_and_saveexec_b32 s4, vcc_lo
; %bb.2:
	v_mov_b32_e32 v2, 0
	ds_store_b32 v1, v2
; %bb.3:
	s_or_b32 exec_lo, exec_lo, s4
	s_clause 0x1
	s_load_b32 s4, s[0:1], 0xd8
	s_load_b128 s[8:11], s[0:1], 0x100
	s_mul_i32 s12, s21, s2
	s_mov_b32 s13, 0
	s_sub_co_i32 s20, s18, s12
	s_wait_dscnt 0x0
	s_mul_i32 s12, s7, s20
	s_add_co_i32 s20, s20, 1
	s_lshl_b32 s19, s12, 8
	s_barrier_signal -1
	s_barrier_wait -1
	s_wait_kmcnt 0x0
	s_sub_co_i32 s12, s4, s19
	s_delay_alu instid0(SALU_CYCLE_1) | instskip(NEXT) | instid1(SALU_CYCLE_1)
	s_add_nc_u64 s[24:25], s[12:13], 0xff
	s_lshr_b64 s[24:25], s[24:25], 8
	s_cmp_lt_u32 s20, s2
	s_cselect_b32 s20, s7, s24
	s_delay_alu instid0(SALU_CYCLE_1)
	s_cmp_lt_i32 s20, 1
	s_cbranch_scc1 .LBB86_25
; %bb.4:
	s_mul_f32 s2, s22, 0x4f7ffffe
	s_sub_co_i32 s7, 0, s16
	s_mov_b32 s23, s15
	s_clause 0x1
	s_load_b96 s[24:26], s[0:1], 0x6c
	s_load_b64 s[28:29], s[0:1], 0x0
	s_cvt_u32_f32 s2, s2
	s_wait_xcnt 0x0
	s_mul_i32 s0, s14, s17
	s_delay_alu instid0(SALU_CYCLE_1) | instskip(SKIP_1) | instid1(SALU_CYCLE_1)
	s_sub_co_i32 s0, s21, s0
	s_mul_i32 s7, s7, s2
	s_mul_hi_u32 s7, s2, s7
	s_delay_alu instid0(SALU_CYCLE_1) | instskip(NEXT) | instid1(SALU_CYCLE_1)
	s_add_co_i32 s22, s2, s7
	s_mul_u64 s[22:23], s[14:15], s[22:23]
	s_delay_alu instid0(SALU_CYCLE_1)
	s_mul_i32 s1, s23, s16
	s_add_co_i32 s7, s23, 1
	s_sub_co_i32 s2, s14, s1
	s_load_b32 s1, s[8:9], s21 offset:0x0 scale_offset
	s_sub_co_i32 s12, s2, s16
	s_cmp_ge_u32 s2, s16
	s_wait_kmcnt 0x0
	s_mul_i32 s0, s0, s26
	s_cselect_b32 s7, s7, s23
	s_cselect_b32 s2, s12, s2
	s_add_co_i32 s8, s7, 1
	s_cmp_ge_u32 s2, s16
	s_cselect_b32 s2, s8, s7
	s_delay_alu instid0(SALU_CYCLE_1) | instskip(SKIP_2) | instid1(SALU_CYCLE_1)
	s_mul_i32 s7, s2, s16
	s_mul_i32 s2, s2, s24
	s_sub_co_i32 s7, s14, s7
	s_mul_i32 s7, s7, s25
	s_delay_alu instid0(SALU_CYCLE_1) | instskip(NEXT) | instid1(SALU_CYCLE_1)
	s_add_co_i32 s0, s7, s0
	s_add_co_i32 s12, s0, s2
	s_and_b32 s2, s6, 0xff
	s_lshl_b64 s[8:9], s[12:13], 2
	s_cmp_lt_u32 s20, 4
	s_add_nc_u64 s[6:7], s[28:29], s[8:9]
	s_cbranch_scc1 .LBB86_19
; %bb.5:
	v_dual_mov_b32 v7, 1 :: v_dual_add_nc_u32 v6, s19, v0
	s_and_b32 s13, s20, 0x7ffffffc
	s_lshl_b32 s8, s5, 10
	s_mov_b32 s9, 0
	s_delay_alu instid0(VALU_DEP_1)
	v_add_nc_u32_e32 v2, 0x300, v6
	v_add_nc_u32_e32 v4, 0x200, v6
	v_add_nc_u32_e32 v5, 0x100, v6
	v_mul_lo_u32 v6, s5, v6
	s_mov_b32 s12, 0
	v_mul_lo_u32 v3, s5, v2
	v_mul_lo_u32 v4, s5, v4
	;; [unrolled: 1-line block ×3, first 2 shown]
	s_branch .LBB86_7
.LBB86_6:                               ;   in Loop: Header=BB86_7 Depth=1
	s_or_b32 exec_lo, exec_lo, s14
	v_add_nc_u32_e32 v2, 0x400, v2
	s_add_co_i32 s12, s12, 4
	s_add_co_i32 s9, s9, s8
	s_cmp_eq_u32 s13, s12
	s_cbranch_scc1 .LBB86_19
.LBB86_7:                               ; =>This Inner Loop Header: Depth=1
	v_add_nc_u32_e32 v8, 0xfffffd00, v2
	s_mov_b32 s14, exec_lo
	s_delay_alu instid0(VALU_DEP_1)
	v_cmpx_gt_u32_e64 s4, v8
	s_cbranch_execz .LBB86_10
; %bb.8:                                ;   in Loop: Header=BB86_7 Depth=1
	v_add_nc_u32_e32 v8, s9, v6
	global_load_b32 v8, v8, s[6:7] scale_offset
	s_wait_loadcnt 0x0
	v_cmp_lt_i32_e64 s0, -1, v8
	s_delay_alu instid0(VALU_DEP_1) | instskip(SKIP_1) | instid1(VALU_DEP_2)
	v_cndmask_b32_e64 v9, -1, 0x80000000, s0
	v_cmp_o_f32_e64 s0, v8, v8
	v_xor_b32_e32 v9, v9, v8
	s_wait_xcnt 0x0
	s_delay_alu instid0(VALU_DEP_1) | instskip(NEXT) | instid1(VALU_DEP_1)
	v_cndmask_b32_e64 v8, -1, v9, s0
	v_bitop3_b32 v9, v8, s3, s1 bitop3:0x48
	s_delay_alu instid0(VALU_DEP_1)
	v_cmp_eq_u32_e64 s0, 0, v9
	s_and_b32 exec_lo, exec_lo, s0
; %bb.9:                                ;   in Loop: Header=BB86_7 Depth=1
	v_bfe_u32 v8, v8, s2, 8
	s_delay_alu instid0(VALU_DEP_1)
	v_lshlrev_b32_e32 v8, 2, v8
	ds_add_u32 v8, v7
.LBB86_10:                              ;   in Loop: Header=BB86_7 Depth=1
	s_or_b32 exec_lo, exec_lo, s14
	v_add_nc_u32_e32 v8, 0xfffffe00, v2
	s_mov_b32 s14, exec_lo
	s_delay_alu instid0(VALU_DEP_1)
	v_cmpx_gt_u32_e64 s4, v8
	s_cbranch_execz .LBB86_13
; %bb.11:                               ;   in Loop: Header=BB86_7 Depth=1
	v_add_nc_u32_e32 v8, s9, v5
	global_load_b32 v8, v8, s[6:7] scale_offset
	s_wait_loadcnt 0x0
	v_cmp_lt_i32_e64 s0, -1, v8
	s_delay_alu instid0(VALU_DEP_1) | instskip(SKIP_1) | instid1(VALU_DEP_2)
	v_cndmask_b32_e64 v9, -1, 0x80000000, s0
	v_cmp_o_f32_e64 s0, v8, v8
	v_xor_b32_e32 v9, v9, v8
	s_delay_alu instid0(VALU_DEP_1) | instskip(NEXT) | instid1(VALU_DEP_1)
	v_cndmask_b32_e64 v8, -1, v9, s0
	v_bitop3_b32 v9, v8, s3, s1 bitop3:0x48
	s_delay_alu instid0(VALU_DEP_1)
	v_cmp_eq_u32_e64 s0, 0, v9
	s_and_b32 exec_lo, exec_lo, s0
; %bb.12:                               ;   in Loop: Header=BB86_7 Depth=1
	v_bfe_u32 v8, v8, s2, 8
	s_delay_alu instid0(VALU_DEP_1)
	v_lshlrev_b32_e32 v8, 2, v8
	ds_add_u32 v8, v7
.LBB86_13:                              ;   in Loop: Header=BB86_7 Depth=1
	s_or_b32 exec_lo, exec_lo, s14
	v_add_nc_u32_e32 v8, 0xffffff00, v2
	s_mov_b32 s14, exec_lo
	s_delay_alu instid0(VALU_DEP_1)
	v_cmpx_gt_u32_e64 s4, v8
	s_cbranch_execz .LBB86_16
; %bb.14:                               ;   in Loop: Header=BB86_7 Depth=1
	v_add_nc_u32_e32 v8, s9, v4
	global_load_b32 v8, v8, s[6:7] scale_offset
	s_wait_loadcnt 0x0
	v_cmp_lt_i32_e64 s0, -1, v8
	s_delay_alu instid0(VALU_DEP_1) | instskip(SKIP_1) | instid1(VALU_DEP_2)
	v_cndmask_b32_e64 v9, -1, 0x80000000, s0
	v_cmp_o_f32_e64 s0, v8, v8
	v_xor_b32_e32 v9, v9, v8
	s_delay_alu instid0(VALU_DEP_1) | instskip(NEXT) | instid1(VALU_DEP_1)
	v_cndmask_b32_e64 v8, -1, v9, s0
	v_bitop3_b32 v9, v8, s3, s1 bitop3:0x48
	s_delay_alu instid0(VALU_DEP_1)
	v_cmp_eq_u32_e64 s0, 0, v9
	s_and_b32 exec_lo, exec_lo, s0
; %bb.15:                               ;   in Loop: Header=BB86_7 Depth=1
	v_bfe_u32 v8, v8, s2, 8
	s_delay_alu instid0(VALU_DEP_1)
	v_lshlrev_b32_e32 v8, 2, v8
	ds_add_u32 v8, v7
.LBB86_16:                              ;   in Loop: Header=BB86_7 Depth=1
	s_or_b32 exec_lo, exec_lo, s14
	s_delay_alu instid0(SALU_CYCLE_1)
	s_mov_b32 s14, exec_lo
	v_cmpx_gt_u32_e64 s4, v2
	s_cbranch_execz .LBB86_6
; %bb.17:                               ;   in Loop: Header=BB86_7 Depth=1
	v_add_nc_u32_e32 v8, s9, v3
	global_load_b32 v8, v8, s[6:7] scale_offset
	s_wait_loadcnt 0x0
	v_cmp_lt_i32_e64 s0, -1, v8
	s_delay_alu instid0(VALU_DEP_1) | instskip(SKIP_1) | instid1(VALU_DEP_2)
	v_cndmask_b32_e64 v9, -1, 0x80000000, s0
	v_cmp_o_f32_e64 s0, v8, v8
	v_xor_b32_e32 v9, v9, v8
	s_delay_alu instid0(VALU_DEP_1) | instskip(NEXT) | instid1(VALU_DEP_1)
	v_cndmask_b32_e64 v8, -1, v9, s0
	v_bitop3_b32 v9, v8, s3, s1 bitop3:0x48
	s_delay_alu instid0(VALU_DEP_1)
	v_cmp_eq_u32_e64 s0, 0, v9
	s_and_b32 exec_lo, exec_lo, s0
	s_cbranch_execz .LBB86_6
; %bb.18:                               ;   in Loop: Header=BB86_7 Depth=1
	v_bfe_u32 v8, v8, s2, 8
	s_delay_alu instid0(VALU_DEP_1)
	v_lshlrev_b32_e32 v8, 2, v8
	ds_add_u32 v8, v7
	s_branch .LBB86_6
.LBB86_19:
	s_and_b32 s8, s20, 3
	s_delay_alu instid0(SALU_CYCLE_1)
	s_cmp_eq_u32 s8, 0
	s_cbranch_scc1 .LBB86_25
; %bb.20:
	s_lshl_b32 s0, s13, 8
	v_mov_b32_e32 v4, 1
	v_add3_u32 v2, s0, s19, v0
	s_delay_alu instid0(VALU_DEP_1)
	v_mul_lo_u32 v3, s5, v2
	s_lshl_b32 s5, s5, 8
	s_branch .LBB86_22
.LBB86_21:                              ;   in Loop: Header=BB86_22 Depth=1
	s_or_b32 exec_lo, exec_lo, s9
	s_delay_alu instid0(VALU_DEP_2) | instskip(SKIP_2) | instid1(SALU_CYCLE_1)
	v_add_nc_u32_e32 v3, s5, v3
	v_add_nc_u32_e32 v2, 0x100, v2
	s_add_co_i32 s8, s8, -1
	s_cmp_lg_u32 s8, 0
	s_cbranch_scc0 .LBB86_25
.LBB86_22:                              ; =>This Inner Loop Header: Depth=1
	s_mov_b32 s9, exec_lo
	v_cmpx_gt_u32_e64 s4, v2
	s_cbranch_execz .LBB86_21
; %bb.23:                               ;   in Loop: Header=BB86_22 Depth=1
	global_load_b32 v5, v3, s[6:7] scale_offset
	s_wait_loadcnt 0x0
	v_cmp_lt_i32_e64 s0, -1, v5
	s_delay_alu instid0(VALU_DEP_1) | instskip(SKIP_1) | instid1(VALU_DEP_2)
	v_cndmask_b32_e64 v6, -1, 0x80000000, s0
	v_cmp_o_f32_e64 s0, v5, v5
	v_xor_b32_e32 v6, v6, v5
	s_delay_alu instid0(VALU_DEP_1) | instskip(NEXT) | instid1(VALU_DEP_1)
	v_cndmask_b32_e64 v5, -1, v6, s0
	v_bitop3_b32 v6, v5, s3, s1 bitop3:0x48
	s_delay_alu instid0(VALU_DEP_1)
	v_cmp_eq_u32_e64 s0, 0, v6
	s_and_b32 exec_lo, exec_lo, s0
	s_cbranch_execz .LBB86_21
; %bb.24:                               ;   in Loop: Header=BB86_22 Depth=1
	v_bfe_u32 v5, v5, s2, 8
	s_delay_alu instid0(VALU_DEP_1)
	v_lshlrev_b32_e32 v5, 2, v5
	ds_add_u32 v5, v4
	s_branch .LBB86_21
.LBB86_25:
	s_wait_dscnt 0x0
	s_barrier_signal -1
	s_barrier_wait -1
	s_and_saveexec_b32 s0, vcc_lo
	s_cbranch_execz .LBB86_27
; %bb.26:
	ds_load_b32 v1, v1
	v_lshl_or_b32 v0, s18, 8, v0
	s_wait_dscnt 0x0
	global_store_b16 v0, v1, s[10:11] scale_offset
.LBB86_27:
	s_endpgm
	.section	.rodata,"a",@progbits
	.p2align	6, 0x0
	.amdhsa_kernel _ZN2at6native6mbtopk23computeBlockDigitCountsIfjjLi3EEEvNS_4cuda6detail10TensorInfoIKT_T0_EEjPjjS8_iijT1_PSB_Ps
		.amdhsa_group_segment_fixed_size 1024
		.amdhsa_private_segment_fixed_size 0
		.amdhsa_kernarg_size 528
		.amdhsa_user_sgpr_count 2
		.amdhsa_user_sgpr_dispatch_ptr 0
		.amdhsa_user_sgpr_queue_ptr 0
		.amdhsa_user_sgpr_kernarg_segment_ptr 1
		.amdhsa_user_sgpr_dispatch_id 0
		.amdhsa_user_sgpr_kernarg_preload_length 0
		.amdhsa_user_sgpr_kernarg_preload_offset 0
		.amdhsa_user_sgpr_private_segment_size 0
		.amdhsa_wavefront_size32 1
		.amdhsa_uses_dynamic_stack 0
		.amdhsa_enable_private_segment 0
		.amdhsa_system_sgpr_workgroup_id_x 1
		.amdhsa_system_sgpr_workgroup_id_y 1
		.amdhsa_system_sgpr_workgroup_id_z 1
		.amdhsa_system_sgpr_workgroup_info 0
		.amdhsa_system_vgpr_workitem_id 0
		.amdhsa_next_free_vgpr 10
		.amdhsa_next_free_sgpr 30
		.amdhsa_named_barrier_count 0
		.amdhsa_reserve_vcc 1
		.amdhsa_float_round_mode_32 0
		.amdhsa_float_round_mode_16_64 0
		.amdhsa_float_denorm_mode_32 3
		.amdhsa_float_denorm_mode_16_64 3
		.amdhsa_fp16_overflow 0
		.amdhsa_memory_ordered 1
		.amdhsa_forward_progress 1
		.amdhsa_inst_pref_size 14
		.amdhsa_round_robin_scheduling 0
		.amdhsa_exception_fp_ieee_invalid_op 0
		.amdhsa_exception_fp_denorm_src 0
		.amdhsa_exception_fp_ieee_div_zero 0
		.amdhsa_exception_fp_ieee_overflow 0
		.amdhsa_exception_fp_ieee_underflow 0
		.amdhsa_exception_fp_ieee_inexact 0
		.amdhsa_exception_int_div_zero 0
	.end_amdhsa_kernel
	.section	.text._ZN2at6native6mbtopk23computeBlockDigitCountsIfjjLi3EEEvNS_4cuda6detail10TensorInfoIKT_T0_EEjPjjS8_iijT1_PSB_Ps,"axG",@progbits,_ZN2at6native6mbtopk23computeBlockDigitCountsIfjjLi3EEEvNS_4cuda6detail10TensorInfoIKT_T0_EEjPjjS8_iijT1_PSB_Ps,comdat
.Lfunc_end86:
	.size	_ZN2at6native6mbtopk23computeBlockDigitCountsIfjjLi3EEEvNS_4cuda6detail10TensorInfoIKT_T0_EEjPjjS8_iijT1_PSB_Ps, .Lfunc_end86-_ZN2at6native6mbtopk23computeBlockDigitCountsIfjjLi3EEEvNS_4cuda6detail10TensorInfoIKT_T0_EEjPjjS8_iijT1_PSB_Ps
                                        ; -- End function
	.set _ZN2at6native6mbtopk23computeBlockDigitCountsIfjjLi3EEEvNS_4cuda6detail10TensorInfoIKT_T0_EEjPjjS8_iijT1_PSB_Ps.num_vgpr, 10
	.set _ZN2at6native6mbtopk23computeBlockDigitCountsIfjjLi3EEEvNS_4cuda6detail10TensorInfoIKT_T0_EEjPjjS8_iijT1_PSB_Ps.num_agpr, 0
	.set _ZN2at6native6mbtopk23computeBlockDigitCountsIfjjLi3EEEvNS_4cuda6detail10TensorInfoIKT_T0_EEjPjjS8_iijT1_PSB_Ps.numbered_sgpr, 30
	.set _ZN2at6native6mbtopk23computeBlockDigitCountsIfjjLi3EEEvNS_4cuda6detail10TensorInfoIKT_T0_EEjPjjS8_iijT1_PSB_Ps.num_named_barrier, 0
	.set _ZN2at6native6mbtopk23computeBlockDigitCountsIfjjLi3EEEvNS_4cuda6detail10TensorInfoIKT_T0_EEjPjjS8_iijT1_PSB_Ps.private_seg_size, 0
	.set _ZN2at6native6mbtopk23computeBlockDigitCountsIfjjLi3EEEvNS_4cuda6detail10TensorInfoIKT_T0_EEjPjjS8_iijT1_PSB_Ps.uses_vcc, 1
	.set _ZN2at6native6mbtopk23computeBlockDigitCountsIfjjLi3EEEvNS_4cuda6detail10TensorInfoIKT_T0_EEjPjjS8_iijT1_PSB_Ps.uses_flat_scratch, 0
	.set _ZN2at6native6mbtopk23computeBlockDigitCountsIfjjLi3EEEvNS_4cuda6detail10TensorInfoIKT_T0_EEjPjjS8_iijT1_PSB_Ps.has_dyn_sized_stack, 0
	.set _ZN2at6native6mbtopk23computeBlockDigitCountsIfjjLi3EEEvNS_4cuda6detail10TensorInfoIKT_T0_EEjPjjS8_iijT1_PSB_Ps.has_recursion, 0
	.set _ZN2at6native6mbtopk23computeBlockDigitCountsIfjjLi3EEEvNS_4cuda6detail10TensorInfoIKT_T0_EEjPjjS8_iijT1_PSB_Ps.has_indirect_call, 0
	.section	.AMDGPU.csdata,"",@progbits
; Kernel info:
; codeLenInByte = 1728
; TotalNumSgprs: 32
; NumVgprs: 10
; ScratchSize: 0
; MemoryBound: 0
; FloatMode: 240
; IeeeMode: 1
; LDSByteSize: 1024 bytes/workgroup (compile time only)
; SGPRBlocks: 0
; VGPRBlocks: 0
; NumSGPRsForWavesPerEU: 32
; NumVGPRsForWavesPerEU: 10
; NamedBarCnt: 0
; Occupancy: 16
; WaveLimiterHint : 1
; COMPUTE_PGM_RSRC2:SCRATCH_EN: 0
; COMPUTE_PGM_RSRC2:USER_SGPR: 2
; COMPUTE_PGM_RSRC2:TRAP_HANDLER: 0
; COMPUTE_PGM_RSRC2:TGID_X_EN: 1
; COMPUTE_PGM_RSRC2:TGID_Y_EN: 1
; COMPUTE_PGM_RSRC2:TGID_Z_EN: 1
; COMPUTE_PGM_RSRC2:TIDIG_COMP_CNT: 0
	.section	.text._ZN2at6native6mbtopk10gatherTopKIfjLi3EEEvNS_4cuda6detail10TensorInfoIKT_T0_EES8_S8_bjS8_NS5_IS6_S8_EES8_NS5_IlS8_EES8_jjPS6_PjSD_j,"axG",@progbits,_ZN2at6native6mbtopk10gatherTopKIfjLi3EEEvNS_4cuda6detail10TensorInfoIKT_T0_EES8_S8_bjS8_NS5_IS6_S8_EES8_NS5_IlS8_EES8_jjPS6_PjSD_j,comdat
	.protected	_ZN2at6native6mbtopk10gatherTopKIfjLi3EEEvNS_4cuda6detail10TensorInfoIKT_T0_EES8_S8_bjS8_NS5_IS6_S8_EES8_NS5_IlS8_EES8_jjPS6_PjSD_j ; -- Begin function _ZN2at6native6mbtopk10gatherTopKIfjLi3EEEvNS_4cuda6detail10TensorInfoIKT_T0_EES8_S8_bjS8_NS5_IS6_S8_EES8_NS5_IlS8_EES8_jjPS6_PjSD_j
	.globl	_ZN2at6native6mbtopk10gatherTopKIfjLi3EEEvNS_4cuda6detail10TensorInfoIKT_T0_EES8_S8_bjS8_NS5_IS6_S8_EES8_NS5_IlS8_EES8_jjPS6_PjSD_j
	.p2align	8
	.type	_ZN2at6native6mbtopk10gatherTopKIfjLi3EEEvNS_4cuda6detail10TensorInfoIKT_T0_EES8_S8_bjS8_NS5_IS6_S8_EES8_NS5_IlS8_EES8_jjPS6_PjSD_j,@function
_ZN2at6native6mbtopk10gatherTopKIfjLi3EEEvNS_4cuda6detail10TensorInfoIKT_T0_EES8_S8_bjS8_NS5_IS6_S8_EES8_NS5_IlS8_EES8_jjPS6_PjSD_j: ; @_ZN2at6native6mbtopk10gatherTopKIfjLi3EEEvNS_4cuda6detail10TensorInfoIKT_T0_EES8_S8_bjS8_NS5_IS6_S8_EES8_NS5_IlS8_EES8_jjPS6_PjSD_j
; %bb.0:
	s_bfe_u32 s2, ttmp6, 0x40010
	s_and_b32 s4, ttmp7, 0xffff
	s_add_co_i32 s5, s2, 1
	s_clause 0x1
	s_load_b32 s6, s[0:1], 0x2d0
	s_load_b64 s[2:3], s[0:1], 0x2d8
	s_bfe_u32 s8, ttmp6, 0x4000c
	s_mul_i32 s5, s4, s5
	s_bfe_u32 s7, ttmp6, 0x40004
	s_add_co_i32 s8, s8, 1
	s_bfe_u32 s9, ttmp6, 0x40014
	s_add_co_i32 s7, s7, s5
	s_and_b32 s5, ttmp6, 15
	s_mul_i32 s8, ttmp9, s8
	s_lshr_b32 s10, ttmp7, 16
	s_add_co_i32 s9, s9, 1
	s_add_co_i32 s5, s5, s8
	s_mul_i32 s8, s10, s9
	s_bfe_u32 s9, ttmp6, 0x40008
	s_getreg_b32 s11, hwreg(HW_REG_IB_STS2, 6, 4)
	s_add_co_i32 s9, s9, s8
	s_cmp_eq_u32 s11, 0
	s_mov_b32 s29, 0
	s_cselect_b32 s8, s10, s9
	s_cselect_b32 s4, s4, s7
	s_wait_kmcnt 0x0
	s_mul_i32 s3, s3, s8
	s_cselect_b32 s5, ttmp9, s5
	s_add_co_i32 s3, s3, s4
	s_delay_alu instid0(SALU_CYCLE_1) | instskip(NEXT) | instid1(SALU_CYCLE_1)
	s_mul_i32 s2, s3, s2
	s_add_co_i32 s2, s2, s5
	s_delay_alu instid0(SALU_CYCLE_1)
	s_cmp_ge_u32 s2, s6
	s_cbranch_scc1 .LBB87_40
; %bb.1:
	s_clause 0x4
	s_load_b96 s[12:14], s[0:1], 0x2a8
	s_load_b64 s[30:31], s[0:1], 0xc
	s_load_b64 s[26:27], s[0:1], 0xfc
	;; [unrolled: 1-line block ×3, first 2 shown]
	s_load_b128 s[4:7], s[0:1], 0x2b8
	s_mov_b32 s37, s29
	s_mov_b32 s35, s29
	;; [unrolled: 1-line block ×4, first 2 shown]
	s_wait_kmcnt 0x0
	s_cvt_f32_u32 s3, s14
	s_cvt_f32_u32 s9, s31
	;; [unrolled: 1-line block ×4, first 2 shown]
	v_rcp_iflag_f32_e32 v1, s3
	s_sub_co_i32 s3, 0, s14
	s_cvt_f32_u32 s16, s25
	v_rcp_iflag_f32_e32 v2, s10
	v_rcp_iflag_f32_e32 v4, s15
	s_cvt_f32_u32 s11, s27
	v_rcp_iflag_f32_e32 v5, s16
	v_readfirstlane_b32 s8, v1
	v_rcp_iflag_f32_e32 v1, s9
	v_rcp_iflag_f32_e32 v3, s11
	v_readfirstlane_b32 s9, v2
	s_cvt_f32_u32 s17, s24
	s_mul_f32 s8, s8, 0x4f7ffffe
	s_delay_alu instid0(SALU_CYCLE_2) | instskip(NEXT) | instid1(SALU_CYCLE_2)
	v_rcp_iflag_f32_e32 v6, s17
	s_cvt_u32_f32 s8, s8
	s_delay_alu instid0(TRANS32_DEP_2) | instskip(SKIP_1) | instid1(SALU_CYCLE_1)
	v_readfirstlane_b32 s11, v3
	v_readfirstlane_b32 s17, v5
	s_mul_i32 s3, s3, s8
	s_mul_f32 s11, s11, 0x4f7ffffe
	s_mul_hi_u32 s3, s8, s3
	v_readfirstlane_b32 s18, v6
	s_add_co_i32 s8, s8, s3
	v_readfirstlane_b32 s3, v1
	s_mul_hi_u32 s8, s2, s8
	s_delay_alu instid0(SALU_CYCLE_1)
	s_mul_i32 s10, s8, s14
	s_add_co_i32 s15, s8, 1
	s_sub_co_i32 s10, s2, s10
	s_mul_f32 s3, s3, 0x4f7ffffe
	s_sub_co_i32 s16, s10, s14
	s_cmp_ge_u32 s10, s14
	s_cselect_b32 s8, s15, s8
	s_cselect_b32 s10, s16, s10
	s_add_co_i32 s15, s8, 1
	s_cmp_ge_u32 s10, s14
	s_cvt_u32_f32 s3, s3
	s_cselect_b32 s15, s15, s8
	s_sub_co_i32 s8, 0, s31
	s_mul_i32 s16, s15, s14
	s_mul_i32 s8, s8, s3
	s_sub_co_i32 s50, s2, s16
	s_mul_hi_u32 s8, s3, s8
	v_readfirstlane_b32 s10, v4
	s_add_co_i32 s3, s3, s8
	s_mul_f32 s8, s9, 0x4f7ffffe
	s_mul_hi_u32 s3, s15, s3
	s_load_b32 s33, s[4:5], s15 offset:0x0 scale_offset
	s_mul_i32 s9, s3, s31
	s_cvt_u32_f32 s8, s8
	s_sub_co_i32 s2, s15, s9
	s_add_co_i32 s9, s3, 1
	s_sub_co_i32 s19, s2, s31
	s_cmp_ge_u32 s2, s31
	s_cselect_b32 s3, s9, s3
	s_cselect_b32 s2, s19, s2
	s_add_co_i32 s9, s3, 1
	s_cmp_ge_u32 s2, s31
	s_cvt_u32_f32 s2, s11
	s_cselect_b32 s28, s9, s3
	s_sub_co_i32 s3, 0, s27
	s_mul_f32 s9, s10, 0x4f7ffffe
	s_mul_i32 s3, s3, s2
	s_sub_co_i32 s10, 0, s30
	s_mul_hi_u32 s3, s2, s3
	s_mul_i32 s10, s10, s8
	s_add_co_i32 s2, s2, s3
	s_mul_hi_u32 s3, s8, s10
	s_mul_hi_u32 s2, s15, s2
	s_add_co_i32 s36, s8, s3
	s_mul_i32 s10, s2, s27
	s_add_co_i32 s8, s2, 1
	s_sub_co_i32 s3, s15, s10
	s_mul_f32 s11, s17, 0x4f7ffffe
	s_sub_co_i32 s10, s3, s27
	s_cmp_ge_u32 s3, s27
	s_cselect_b32 s2, s8, s2
	s_cselect_b32 s3, s10, s3
	s_add_co_i32 s8, s2, 1
	s_cmp_ge_u32 s3, s27
	s_cvt_u32_f32 s3, s11
	s_cselect_b32 s34, s8, s2
	s_sub_co_i32 s2, 0, s25
	s_cvt_u32_f32 s8, s9
	s_mul_i32 s2, s2, s3
	s_wait_xcnt 0x0
	s_sub_co_i32 s4, 0, s26
	s_mul_hi_u32 s2, s3, s2
	s_mul_i32 s4, s4, s8
	s_add_co_i32 s3, s3, s2
	s_delay_alu instid0(SALU_CYCLE_1)
	s_mul_hi_u32 s2, s15, s3
	s_mul_hi_u32 s3, s8, s4
	s_mul_i32 s4, s2, s25
	s_add_co_i32 s38, s8, s3
	s_sub_co_i32 s3, s15, s4
	s_add_co_i32 s4, s2, 1
	s_sub_co_i32 s5, s3, s25
	s_cmp_ge_u32 s3, s25
	s_mul_f32 s8, s18, 0x4f7ffffe
	s_cselect_b32 s2, s4, s2
	s_cselect_b32 s3, s5, s3
	s_add_co_i32 s4, s2, 1
	s_cmp_ge_u32 s3, s25
	s_cvt_u32_f32 s5, s8
	s_cselect_b32 s40, s4, s2
	s_sub_co_i32 s3, 0, s24
	v_cmp_ne_u32_e64 s2, 0, v0
	s_mul_i32 s4, s3, s5
	v_cmp_eq_u32_e64 s3, 0, v0
	s_mul_hi_u32 s4, s5, s4
	s_delay_alu instid0(SALU_CYCLE_1)
	s_add_co_i32 s4, s5, s4
	s_mov_b32 s5, s29
	s_and_saveexec_b32 s44, s3
	s_cbranch_execz .LBB87_17
; %bb.2:
	s_load_b64 s[20:21], s[0:1], 0x2c8
	s_mov_b32 s17, 0
	s_delay_alu instid0(SALU_CYCLE_1)
	s_lshl_b64 s[22:23], s[16:17], 2
	s_cmp_lt_u32 s14, 4
	s_cbranch_scc1 .LBB87_14
; %bb.3:
	s_mov_b64 s[18:19], 0
	s_mov_b32 s16, 0
.LBB87_4:                               ; =>This Inner Loop Header: Depth=1
	s_add_nc_u64 s[42:43], s[6:7], s[22:23]
	s_cmp_ge_u32 s16, s50
	s_load_b128 s[8:11], s[42:43], 0x0
	s_wait_kmcnt 0x0
	s_add_nc_u64 s[42:43], s[20:21], s[22:23]
	s_cbranch_scc0 .LBB87_11
; %bb.5:                                ;   in Loop: Header=BB87_4 Depth=1
	s_add_co_i32 s45, s16, 1
	s_delay_alu instid0(SALU_CYCLE_1)
	s_cmp_ge_u32 s45, s50
	s_cbranch_scc0 .LBB87_12
.LBB87_6:                               ;   in Loop: Header=BB87_4 Depth=1
	s_add_co_i32 s45, s45, 1
	s_delay_alu instid0(SALU_CYCLE_1)
	s_cmp_ge_u32 s45, s50
	s_cbranch_scc0 .LBB87_13
.LBB87_7:                               ;   in Loop: Header=BB87_4 Depth=1
	s_add_co_i32 s45, s45, 1
	s_delay_alu instid0(SALU_CYCLE_1)
	s_cmp_ge_u32 s45, s50
	s_cbranch_scc1 .LBB87_9
.LBB87_8:                               ;   in Loop: Header=BB87_4 Depth=1
	s_load_b32 s42, s[42:43], 0xc
	s_add_co_i32 s19, s11, s19
	s_wait_kmcnt 0x0
	s_add_co_i32 s18, s42, s18
.LBB87_9:                               ;   in Loop: Header=BB87_4 Depth=1
	s_add_co_i32 s8, s8, s17
	s_add_nc_u64 s[6:7], s[6:7], 16
	s_add_co_i32 s8, s8, s9
	s_add_co_i32 s9, s45, 4
	;; [unrolled: 1-line block ×3, first 2 shown]
	s_add_nc_u64 s[20:21], s[20:21], 16
	s_add_co_i32 s17, s8, s11
	s_add_co_i32 s8, s45, 1
	s_cmp_ge_u32 s9, s14
	s_cbranch_scc1 .LBB87_15
; %bb.10:                               ;   in Loop: Header=BB87_4 Depth=1
	s_mov_b32 s16, s8
	s_branch .LBB87_4
.LBB87_11:                              ;   in Loop: Header=BB87_4 Depth=1
	s_load_b32 s45, s[42:43], 0x0
	s_add_co_i32 s19, s8, s19
	s_wait_kmcnt 0x0
	s_add_co_i32 s18, s45, s18
	s_add_co_i32 s45, s16, 1
	s_delay_alu instid0(SALU_CYCLE_1)
	s_cmp_ge_u32 s45, s50
	s_cbranch_scc1 .LBB87_6
.LBB87_12:                              ;   in Loop: Header=BB87_4 Depth=1
	s_load_b32 s46, s[42:43], 0x4
	s_add_co_i32 s19, s9, s19
	s_wait_kmcnt 0x0
	s_add_co_i32 s18, s46, s18
	s_add_co_i32 s45, s45, 1
	s_delay_alu instid0(SALU_CYCLE_1)
	s_cmp_ge_u32 s45, s50
	s_cbranch_scc1 .LBB87_7
.LBB87_13:                              ;   in Loop: Header=BB87_4 Depth=1
	s_load_b32 s46, s[42:43], 0x8
	s_add_co_i32 s19, s10, s19
	s_wait_kmcnt 0x0
	s_add_co_i32 s18, s46, s18
	s_add_co_i32 s45, s45, 1
	s_delay_alu instid0(SALU_CYCLE_1)
	s_cmp_ge_u32 s45, s50
	s_cbranch_scc0 .LBB87_8
	s_branch .LBB87_9
.LBB87_14:
	s_mov_b64 s[18:19], 0
	s_add_nc_u64 s[6:7], s[6:7], s[22:23]
	s_wait_kmcnt 0x0
	s_add_nc_u64 s[8:9], s[20:21], s[22:23]
	s_mov_b32 s10, 0
	s_delay_alu instid0(SALU_CYCLE_1)
	s_cmp_ge_u32 s10, s14
	s_cbranch_scc0 .LBB87_38
	s_branch .LBB87_16
.LBB87_15:
	s_add_co_i32 s10, s16, 4
	s_add_nc_u64 s[8:9], s[20:21], s[22:23]
	s_add_nc_u64 s[6:7], s[6:7], s[22:23]
	s_cmp_ge_u32 s10, s14
	s_cbranch_scc0 .LBB87_38
.LBB87_16:
	v_dual_mov_b32 v2, s18 :: v_dual_mov_b32 v3, s17
	v_dual_mov_b32 v4, s19 :: v_dual_mov_b32 v1, 0
	ds_store_b96 v1, v[2:4] offset:1056
.LBB87_17:
	s_or_b32 exec_lo, exec_lo, s44
	s_mul_u64 s[6:7], s[40:41], s[4:5]
	s_clause 0x6
	s_load_b96 s[4:6], s[0:1], 0xd8
	s_load_b96 s[8:10], s[0:1], 0x23c
	s_load_b64 s[42:43], s[0:1], 0x1d0
	s_load_b96 s[16:18], s[0:1], 0x15c
	s_load_b64 s[44:45], s[0:1], 0xf0
	;; [unrolled: 2-line block ×3, first 2 shown]
	s_mul_i32 s11, s13, s50
	s_mul_u64 s[48:49], s[28:29], s[36:37]
	s_lshl_b32 s19, s11, 8
	s_mov_b32 s37, 0
	s_add_co_i32 s11, s50, 1
	s_mul_u64 s[38:39], s[34:35], s[38:39]
	s_wait_dscnt 0x0
	s_barrier_signal -1
	s_barrier_wait -1
	s_wait_kmcnt 0x0
	s_sub_co_i32 s36, s4, s19
	s_delay_alu instid0(SALU_CYCLE_1) | instskip(NEXT) | instid1(SALU_CYCLE_1)
	s_add_nc_u64 s[52:53], s[36:37], 0xff
	s_lshr_b64 s[50:51], s[52:53], 8
	s_cmp_lt_u32 s11, s14
	s_cselect_b32 s13, s13, s50
	s_delay_alu instid0(SALU_CYCLE_1)
	s_cmp_eq_u32 s13, 0
	s_cbranch_scc1 .LBB87_40
; %bb.18:
	s_mul_i32 s14, s49, s30
	s_mul_i32 s11, s28, s31
	s_sub_co_i32 s14, s28, s14
	s_sub_co_i32 s11, s15, s11
	s_add_co_i32 s23, s49, 1
	s_sub_co_i32 s29, s14, s30
	s_cmp_ge_u32 s14, s30
	s_mul_i32 s11, s11, s22
	s_cselect_b32 s23, s23, s49
	s_cselect_b32 s14, s29, s14
	s_add_co_i32 s29, s23, 1
	s_cmp_ge_u32 s14, s30
	s_mul_i32 s14, s34, s27
	s_cselect_b32 s23, s29, s23
	s_mul_i32 s27, s39, s26
	s_mul_i32 s29, s23, s30
	;; [unrolled: 1-line block ×3, first 2 shown]
	s_sub_co_i32 s22, s28, s29
	s_sub_co_i32 s20, s34, s27
	s_mul_i32 s21, s22, s21
	s_sub_co_i32 s14, s15, s14
	s_add_co_i32 s11, s21, s11
	s_sub_co_i32 s21, s20, s26
	s_add_co_i32 s36, s11, s23
	s_add_co_i32 s11, s39, 1
	s_cmp_ge_u32 s20, s26
	s_mul_i32 s14, s14, s18
	s_cselect_b32 s11, s11, s39
	s_cselect_b32 s20, s21, s20
	s_add_co_i32 s21, s11, 1
	s_cmp_ge_u32 s20, s26
	s_mul_i32 s22, s7, s24
	s_cselect_b32 s11, s21, s11
	s_mul_i32 s20, s40, s25
	s_mul_i32 s21, s11, s26
	;; [unrolled: 1-line block ×3, first 2 shown]
	s_sub_co_i32 s21, s34, s21
	s_sub_co_i32 s15, s15, s20
	s_mul_i32 s17, s21, s17
	s_add_co_i32 s16, s7, 1
	s_add_co_i32 s14, s17, s14
	v_dual_mov_b32 v7, 0 :: v_dual_lshrrev_b32 v1, 3, v0
	s_add_co_i32 s14, s14, s11
	s_sub_co_i32 s11, s40, s22
	s_load_b32 s18, s[0:1], 0xe8
	s_sub_co_i32 s17, s11, s24
	s_cmp_ge_u32 s11, s24
	ds_load_b96 v[2:4], v7 offset:1056
	s_cselect_b32 s7, s16, s7
	s_cselect_b32 s11, s17, s11
	s_add_co_i32 s16, s7, 1
	s_cmp_ge_u32 s11, s24
	s_mul_i32 s15, s15, s10
	s_cselect_b32 s7, s16, s7
	v_dual_add_nc_u32 v8, -1, v0 :: v_dual_bitop2_b32 v5, 28, v1 bitop3:0x40
	s_mul_i32 s11, s7, s24
	s_mul_i32 s7, s7, s8
	s_sub_co_i32 s11, s40, s11
	v_dual_add_nc_u32 v6, s19, v0 :: v_dual_lshlrev_b32 v11, 5, v0
	s_mul_i32 s9, s11, s9
	v_lshrrev_b32_e32 v9, 3, v8
	s_add_co_i32 s10, s9, s15
	s_mov_b32 s15, s37
	s_lshl_b64 s[8:9], s[36:37], 2
	s_add_co_i32 s36, s10, s7
	s_lshl_b64 s[10:11], s[14:15], 2
	s_load_b32 s15, s[0:1], 0x1c8
	s_lshl_b64 s[16:17], s[36:37], 3
	s_cmp_gt_i32 s33, -1
	s_wait_dscnt 0x0
	v_add_nc_u32_e32 v1, v2, v3
	s_cselect_b32 s7, 0x80000000, -1
	v_lshl_add_u32 v2, v0, 2, v5
	s_wait_kmcnt 0x0
	v_mul_lo_u32 v5, s18, v6
	v_and_b32_e32 v10, 0xfc, v0
	v_and_b32_e32 v9, 0x1ffffffc, v9
	v_mbcnt_lo_u32_b32 v3, -1, 0
	s_xor_b32 s7, s7, s33
	s_cmp_o_f32 s33, s33
	v_cmp_gt_u32_e64 s0, 32, v0
	v_lshl_add_u32 v0, v8, 2, v9
	v_add_nc_u32_e32 v8, v10, v11
	v_dual_add_nc_u32 v11, -1, v3 :: v_dual_bitop2_b32 v9, 15, v3 bitop3:0x40
	v_bfe_i32 v10, v3, 4, 1
	s_cselect_b32 s14, s7, -1
	s_bitcmp1_b32 s6, 0
	s_add_nc_u64 s[8:9], s[46:47], s[8:9]
	s_add_nc_u64 s[10:11], s[44:45], s[10:11]
	;; [unrolled: 1-line block ×3, first 2 shown]
	s_cselect_b32 s1, -1, 0
	s_lshl_b32 s16, s18, 8
                                        ; implicit-def: $vgpr12
	s_branch .LBB87_21
.LBB87_19:                              ;   in Loop: Header=BB87_21 Depth=1
	s_wait_xcnt 0x0
	s_or_b32 exec_lo, exec_lo, s17
	v_add_nc_u32_e32 v1, v15, v1
.LBB87_20:                              ;   in Loop: Header=BB87_21 Depth=1
	v_dual_add_nc_u32 v4, v14, v4 :: v_dual_add_nc_u32 v5, s16, v5
	v_add_nc_u32_e32 v6, 0x100, v6
	s_add_co_i32 s13, s13, -1
	s_delay_alu instid0(SALU_CYCLE_1)
	s_cmp_lg_u32 s13, 0
	s_cbranch_scc0 .LBB87_40
.LBB87_21:                              ; =>This Inner Loop Header: Depth=1
	v_dual_mov_b32 v15, 0 :: v_dual_mov_b32 v13, 0
	s_mov_b32 s17, exec_lo
	v_cmpx_gt_u32_e64 s4, v6
	s_cbranch_execz .LBB87_23
; %bb.22:                               ;   in Loop: Header=BB87_21 Depth=1
	global_load_b32 v12, v5, s[8:9] scale_offset
	s_wait_loadcnt 0x0
	v_cmp_lt_i32_e32 vcc_lo, -1, v12
	v_cndmask_b32_e64 v13, -1, 0x80000000, vcc_lo
	v_cmp_o_f32_e32 vcc_lo, v12, v12
	s_delay_alu instid0(VALU_DEP_2) | instskip(NEXT) | instid1(VALU_DEP_1)
	v_xor_b32_e32 v13, v13, v12
	v_cndmask_b32_e32 v13, -1, v13, vcc_lo
	s_delay_alu instid0(VALU_DEP_1) | instskip(SKIP_3) | instid1(VALU_DEP_1)
	v_cmp_lt_u32_e32 vcc_lo, s14, v13
	v_cndmask_b32_e64 v14, 0, 1, vcc_lo
	v_cmp_gt_u32_e32 vcc_lo, s14, v13
	v_cndmask_b32_e64 v15, 0, 1, vcc_lo
	v_cndmask_b32_e64 v14, v15, v14, s1
	s_delay_alu instid0(VALU_DEP_1)
	v_and_b32_e32 v15, 1, v14
	v_cmp_eq_u32_e32 vcc_lo, s14, v13
	v_cndmask_b32_e64 v13, 0, 1, vcc_lo
.LBB87_23:                              ;   in Loop: Header=BB87_21 Depth=1
	s_wait_xcnt 0x0
	s_or_b32 exec_lo, exec_lo, s17
	ds_store_b32 v2, v15
	s_wait_dscnt 0x0
	s_barrier_signal -1
	s_barrier_wait -1
	s_and_saveexec_b32 s17, s0
	s_cbranch_execz .LBB87_25
; %bb.24:                               ;   in Loop: Header=BB87_21 Depth=1
	ds_load_2addr_b32 v[16:17], v8 offset1:1
	ds_load_2addr_b32 v[18:19], v8 offset0:2 offset1:3
	ds_load_2addr_b32 v[20:21], v8 offset0:4 offset1:5
	;; [unrolled: 1-line block ×3, first 2 shown]
	v_cmp_ne_u32_e32 vcc_lo, 0, v9
	; wave barrier
	s_wait_dscnt 0x3
	v_add_nc_u32_e32 v14, v17, v16
	s_wait_dscnt 0x2
	s_delay_alu instid0(VALU_DEP_1) | instskip(SKIP_1) | instid1(VALU_DEP_1)
	v_add3_u32 v14, v14, v18, v19
	s_wait_dscnt 0x1
	v_add3_u32 v14, v14, v20, v21
	s_wait_dscnt 0x0
	s_delay_alu instid0(VALU_DEP_1) | instskip(NEXT) | instid1(VALU_DEP_1)
	v_add3_u32 v14, v14, v22, v23
	v_mov_b32_dpp v17, v14 row_shr:1 row_mask:0xf bank_mask:0xf
	s_delay_alu instid0(VALU_DEP_1) | instskip(SKIP_1) | instid1(VALU_DEP_2)
	v_cndmask_b32_e32 v17, 0, v17, vcc_lo
	v_cmp_lt_u32_e32 vcc_lo, 1, v9
	v_add_nc_u32_e32 v14, v17, v14
	s_delay_alu instid0(VALU_DEP_1) | instskip(NEXT) | instid1(VALU_DEP_1)
	v_mov_b32_dpp v17, v14 row_shr:2 row_mask:0xf bank_mask:0xf
	v_cndmask_b32_e32 v17, 0, v17, vcc_lo
	v_cmp_lt_u32_e32 vcc_lo, 3, v9
	s_delay_alu instid0(VALU_DEP_2) | instskip(NEXT) | instid1(VALU_DEP_1)
	v_add_nc_u32_e32 v14, v14, v17
	v_mov_b32_dpp v17, v14 row_shr:4 row_mask:0xf bank_mask:0xf
	s_delay_alu instid0(VALU_DEP_1) | instskip(SKIP_1) | instid1(VALU_DEP_2)
	v_cndmask_b32_e32 v17, 0, v17, vcc_lo
	v_cmp_lt_u32_e32 vcc_lo, 7, v9
	v_add_nc_u32_e32 v14, v14, v17
	s_delay_alu instid0(VALU_DEP_1) | instskip(NEXT) | instid1(VALU_DEP_1)
	v_mov_b32_dpp v17, v14 row_shr:8 row_mask:0xf bank_mask:0xf
	v_cndmask_b32_e32 v17, 0, v17, vcc_lo
	v_cmp_gt_i32_e32 vcc_lo, 0, v11
	s_delay_alu instid0(VALU_DEP_2) | instskip(SKIP_3) | instid1(VALU_DEP_1)
	v_dual_add_nc_u32 v14, v14, v17 :: v_dual_cndmask_b32 v18, v11, v3, vcc_lo
	ds_swizzle_b32 v17, v14 offset:swizzle(BROADCAST,32,15)
	s_wait_dscnt 0x0
	v_dual_lshlrev_b32 v18, 2, v18 :: v_dual_bitop2_b32 v17, v10, v17 bitop3:0x40
	v_add_nc_u32_e32 v14, v14, v17
	ds_bpermute_b32 v14, v18, v14
	s_wait_dscnt 0x0
	v_add_nc_u32_e32 v14, v14, v16
	s_delay_alu instid0(VALU_DEP_1)
	v_cndmask_b32_e64 v14, v14, v15, s3
	ds_store_b32 v8, v14
	; wave barrier
	ds_load_2addr_b32 v[16:17], v8 offset0:1 offset1:2
	ds_load_2addr_b32 v[18:19], v8 offset0:3 offset1:4
	;; [unrolled: 1-line block ×3, first 2 shown]
	ds_load_b32 v22, v8 offset:28
	s_wait_dscnt 0x3
	v_add_nc_u32_e32 v14, v16, v14
	s_delay_alu instid0(VALU_DEP_1) | instskip(SKIP_1) | instid1(VALU_DEP_1)
	v_add_nc_u32_e32 v16, v17, v14
	s_wait_dscnt 0x2
	v_add_nc_u32_e32 v17, v18, v16
	s_delay_alu instid0(VALU_DEP_1) | instskip(SKIP_1) | instid1(VALU_DEP_1)
	v_add_nc_u32_e32 v18, v19, v17
	;; [unrolled: 4-line block ×3, first 2 shown]
	s_wait_dscnt 0x0
	v_add_nc_u32_e32 v21, v22, v20
	ds_store_2addr_b32 v8, v14, v16 offset0:1 offset1:2
	ds_store_2addr_b32 v8, v17, v18 offset0:3 offset1:4
	;; [unrolled: 1-line block ×3, first 2 shown]
	ds_store_b32 v8, v21 offset:28
.LBB87_25:                              ;   in Loop: Header=BB87_21 Depth=1
	s_or_b32 exec_lo, exec_lo, s17
	v_mov_b32_e32 v16, 0
	s_wait_dscnt 0x0
	s_barrier_signal -1
	s_barrier_wait -1
	s_and_saveexec_b32 s17, s2
; %bb.26:                               ;   in Loop: Header=BB87_21 Depth=1
	ds_load_b32 v16, v0
; %bb.27:                               ;   in Loop: Header=BB87_21 Depth=1
	s_or_b32 exec_lo, exec_lo, s17
	ds_load_b32 v14, v7 offset:1048
	s_mov_b32 s17, exec_lo
	s_wait_dscnt 0x0
	s_barrier_signal -1
	s_barrier_wait -1
	v_cmpx_ne_u32_e32 0, v15
	s_cbranch_execz .LBB87_29
; %bb.28:                               ;   in Loop: Header=BB87_21 Depth=1
	v_add_nc_u32_e32 v15, v16, v4
	s_delay_alu instid0(VALU_DEP_1)
	v_mul_lo_u32 v16, v15, s15
	v_mul_lo_u32 v15, v15, s12
	global_store_b32 v16, v12, s[10:11] scale_offset
	global_store_b64 v15, v[6:7], s[6:7] scale_offset
.LBB87_29:                              ;   in Loop: Header=BB87_21 Depth=1
	s_wait_xcnt 0x0
	s_or_b32 exec_lo, exec_lo, s17
	v_cmp_le_u32_e32 vcc_lo, s5, v1
	s_cbranch_vccnz .LBB87_20
; %bb.30:                               ;   in Loop: Header=BB87_21 Depth=1
	ds_store_b32 v2, v13
	s_wait_storecnt_dscnt 0x0
	s_barrier_signal -1
	s_barrier_wait -1
	s_and_saveexec_b32 s17, s0
	s_cbranch_execz .LBB87_32
; %bb.31:                               ;   in Loop: Header=BB87_21 Depth=1
	ds_load_2addr_b32 v[16:17], v8 offset1:1
	ds_load_2addr_b32 v[18:19], v8 offset0:2 offset1:3
	ds_load_2addr_b32 v[20:21], v8 offset0:4 offset1:5
	;; [unrolled: 1-line block ×3, first 2 shown]
	v_cmp_ne_u32_e32 vcc_lo, 0, v9
	; wave barrier
	s_wait_dscnt 0x3
	v_add_nc_u32_e32 v15, v17, v16
	s_wait_dscnt 0x2
	s_delay_alu instid0(VALU_DEP_1) | instskip(SKIP_1) | instid1(VALU_DEP_1)
	v_add3_u32 v15, v15, v18, v19
	s_wait_dscnt 0x1
	v_add3_u32 v15, v15, v20, v21
	s_wait_dscnt 0x0
	s_delay_alu instid0(VALU_DEP_1) | instskip(NEXT) | instid1(VALU_DEP_1)
	v_add3_u32 v15, v15, v22, v23
	v_mov_b32_dpp v17, v15 row_shr:1 row_mask:0xf bank_mask:0xf
	s_delay_alu instid0(VALU_DEP_1) | instskip(SKIP_1) | instid1(VALU_DEP_2)
	v_cndmask_b32_e32 v17, 0, v17, vcc_lo
	v_cmp_lt_u32_e32 vcc_lo, 1, v9
	v_add_nc_u32_e32 v15, v17, v15
	s_delay_alu instid0(VALU_DEP_1) | instskip(NEXT) | instid1(VALU_DEP_1)
	v_mov_b32_dpp v17, v15 row_shr:2 row_mask:0xf bank_mask:0xf
	v_cndmask_b32_e32 v17, 0, v17, vcc_lo
	v_cmp_lt_u32_e32 vcc_lo, 3, v9
	s_delay_alu instid0(VALU_DEP_2) | instskip(NEXT) | instid1(VALU_DEP_1)
	v_add_nc_u32_e32 v15, v15, v17
	v_mov_b32_dpp v17, v15 row_shr:4 row_mask:0xf bank_mask:0xf
	s_delay_alu instid0(VALU_DEP_1) | instskip(SKIP_1) | instid1(VALU_DEP_2)
	v_cndmask_b32_e32 v17, 0, v17, vcc_lo
	v_cmp_lt_u32_e32 vcc_lo, 7, v9
	v_add_nc_u32_e32 v15, v15, v17
	s_delay_alu instid0(VALU_DEP_1) | instskip(NEXT) | instid1(VALU_DEP_1)
	v_mov_b32_dpp v17, v15 row_shr:8 row_mask:0xf bank_mask:0xf
	v_cndmask_b32_e32 v17, 0, v17, vcc_lo
	v_cmp_gt_i32_e32 vcc_lo, 0, v11
	s_delay_alu instid0(VALU_DEP_2) | instskip(SKIP_4) | instid1(VALU_DEP_1)
	v_add_nc_u32_e32 v15, v15, v17
	v_cndmask_b32_e32 v18, v11, v3, vcc_lo
	ds_swizzle_b32 v17, v15 offset:swizzle(BROADCAST,32,15)
	s_wait_dscnt 0x0
	v_dual_lshlrev_b32 v18, 2, v18 :: v_dual_bitop2_b32 v17, v10, v17 bitop3:0x40
	v_add_nc_u32_e32 v15, v15, v17
	ds_bpermute_b32 v15, v18, v15
	s_wait_dscnt 0x0
	v_add_nc_u32_e32 v15, v15, v16
	s_delay_alu instid0(VALU_DEP_1)
	v_cndmask_b32_e64 v15, v15, v13, s3
	ds_store_b32 v8, v15
	; wave barrier
	ds_load_2addr_b32 v[16:17], v8 offset0:1 offset1:2
	ds_load_2addr_b32 v[18:19], v8 offset0:3 offset1:4
	;; [unrolled: 1-line block ×3, first 2 shown]
	ds_load_b32 v22, v8 offset:28
	s_wait_dscnt 0x3
	v_add_nc_u32_e32 v15, v16, v15
	s_delay_alu instid0(VALU_DEP_1) | instskip(SKIP_1) | instid1(VALU_DEP_1)
	v_add_nc_u32_e32 v16, v17, v15
	s_wait_dscnt 0x2
	v_add_nc_u32_e32 v17, v18, v16
	s_delay_alu instid0(VALU_DEP_1) | instskip(SKIP_1) | instid1(VALU_DEP_1)
	v_add_nc_u32_e32 v18, v19, v17
	;; [unrolled: 4-line block ×3, first 2 shown]
	s_wait_dscnt 0x0
	v_add_nc_u32_e32 v21, v22, v20
	ds_store_2addr_b32 v8, v15, v16 offset0:1 offset1:2
	ds_store_2addr_b32 v8, v17, v18 offset0:3 offset1:4
	;; [unrolled: 1-line block ×3, first 2 shown]
	ds_store_b32 v8, v21 offset:28
.LBB87_32:                              ;   in Loop: Header=BB87_21 Depth=1
	s_or_b32 exec_lo, exec_lo, s17
	v_mov_b32_e32 v16, 0
	s_wait_dscnt 0x0
	s_barrier_signal -1
	s_barrier_wait -1
	s_and_saveexec_b32 s17, s2
; %bb.33:                               ;   in Loop: Header=BB87_21 Depth=1
	ds_load_b32 v16, v0
; %bb.34:                               ;   in Loop: Header=BB87_21 Depth=1
	s_or_b32 exec_lo, exec_lo, s17
	ds_load_b32 v15, v7 offset:1048
	s_mov_b32 s17, exec_lo
	s_wait_dscnt 0x0
	s_barrier_signal -1
	s_barrier_wait -1
	v_cmpx_ne_u32_e32 0, v13
	s_cbranch_execz .LBB87_19
; %bb.35:                               ;   in Loop: Header=BB87_21 Depth=1
	v_add_nc_u32_e32 v13, v16, v1
	s_delay_alu instid0(VALU_DEP_1)
	v_cmp_gt_u32_e32 vcc_lo, s5, v13
	s_and_b32 exec_lo, exec_lo, vcc_lo
	s_cbranch_execz .LBB87_19
; %bb.36:                               ;   in Loop: Header=BB87_21 Depth=1
	v_mul_lo_u32 v16, v13, s15
	v_mul_lo_u32 v13, v13, s12
	global_store_b32 v16, v12, s[10:11] scale_offset
	global_store_b64 v13, v[6:7], s[6:7] scale_offset
	s_branch .LBB87_19
.LBB87_37:                              ;   in Loop: Header=BB87_38 Depth=1
	s_add_co_i32 s10, s10, 1
	s_wait_kmcnt 0x0
	s_add_co_i32 s17, s11, s17
	s_add_nc_u64 s[6:7], s[6:7], 4
	s_cmp_lt_u32 s10, s14
	s_add_nc_u64 s[8:9], s[8:9], 4
	s_cbranch_scc0 .LBB87_16
.LBB87_38:                              ; =>This Inner Loop Header: Depth=1
	s_load_b32 s11, s[6:7], 0x0
	s_cmp_ge_u32 s10, s50
	s_cbranch_scc1 .LBB87_37
; %bb.39:                               ;   in Loop: Header=BB87_38 Depth=1
	s_load_b32 s16, s[8:9], 0x0
	s_wait_kmcnt 0x0
	s_add_co_i32 s19, s11, s19
	s_add_co_i32 s18, s16, s18
	s_branch .LBB87_37
.LBB87_40:
	s_endpgm
	.section	.rodata,"a",@progbits
	.p2align	6, 0x0
	.amdhsa_kernel _ZN2at6native6mbtopk10gatherTopKIfjLi3EEEvNS_4cuda6detail10TensorInfoIKT_T0_EES8_S8_bjS8_NS5_IS6_S8_EES8_NS5_IlS8_EES8_jjPS6_PjSD_j
		.amdhsa_group_segment_fixed_size 1068
		.amdhsa_private_segment_fixed_size 0
		.amdhsa_kernarg_size 984
		.amdhsa_user_sgpr_count 2
		.amdhsa_user_sgpr_dispatch_ptr 0
		.amdhsa_user_sgpr_queue_ptr 0
		.amdhsa_user_sgpr_kernarg_segment_ptr 1
		.amdhsa_user_sgpr_dispatch_id 0
		.amdhsa_user_sgpr_kernarg_preload_length 0
		.amdhsa_user_sgpr_kernarg_preload_offset 0
		.amdhsa_user_sgpr_private_segment_size 0
		.amdhsa_wavefront_size32 1
		.amdhsa_uses_dynamic_stack 0
		.amdhsa_enable_private_segment 0
		.amdhsa_system_sgpr_workgroup_id_x 1
		.amdhsa_system_sgpr_workgroup_id_y 1
		.amdhsa_system_sgpr_workgroup_id_z 1
		.amdhsa_system_sgpr_workgroup_info 0
		.amdhsa_system_vgpr_workitem_id 0
		.amdhsa_next_free_vgpr 24
		.amdhsa_next_free_sgpr 54
		.amdhsa_named_barrier_count 0
		.amdhsa_reserve_vcc 1
		.amdhsa_float_round_mode_32 0
		.amdhsa_float_round_mode_16_64 0
		.amdhsa_float_denorm_mode_32 3
		.amdhsa_float_denorm_mode_16_64 3
		.amdhsa_fp16_overflow 0
		.amdhsa_memory_ordered 1
		.amdhsa_forward_progress 1
		.amdhsa_inst_pref_size 25
		.amdhsa_round_robin_scheduling 0
		.amdhsa_exception_fp_ieee_invalid_op 0
		.amdhsa_exception_fp_denorm_src 0
		.amdhsa_exception_fp_ieee_div_zero 0
		.amdhsa_exception_fp_ieee_overflow 0
		.amdhsa_exception_fp_ieee_underflow 0
		.amdhsa_exception_fp_ieee_inexact 0
		.amdhsa_exception_int_div_zero 0
	.end_amdhsa_kernel
	.section	.text._ZN2at6native6mbtopk10gatherTopKIfjLi3EEEvNS_4cuda6detail10TensorInfoIKT_T0_EES8_S8_bjS8_NS5_IS6_S8_EES8_NS5_IlS8_EES8_jjPS6_PjSD_j,"axG",@progbits,_ZN2at6native6mbtopk10gatherTopKIfjLi3EEEvNS_4cuda6detail10TensorInfoIKT_T0_EES8_S8_bjS8_NS5_IS6_S8_EES8_NS5_IlS8_EES8_jjPS6_PjSD_j,comdat
.Lfunc_end87:
	.size	_ZN2at6native6mbtopk10gatherTopKIfjLi3EEEvNS_4cuda6detail10TensorInfoIKT_T0_EES8_S8_bjS8_NS5_IS6_S8_EES8_NS5_IlS8_EES8_jjPS6_PjSD_j, .Lfunc_end87-_ZN2at6native6mbtopk10gatherTopKIfjLi3EEEvNS_4cuda6detail10TensorInfoIKT_T0_EES8_S8_bjS8_NS5_IS6_S8_EES8_NS5_IlS8_EES8_jjPS6_PjSD_j
                                        ; -- End function
	.set _ZN2at6native6mbtopk10gatherTopKIfjLi3EEEvNS_4cuda6detail10TensorInfoIKT_T0_EES8_S8_bjS8_NS5_IS6_S8_EES8_NS5_IlS8_EES8_jjPS6_PjSD_j.num_vgpr, 24
	.set _ZN2at6native6mbtopk10gatherTopKIfjLi3EEEvNS_4cuda6detail10TensorInfoIKT_T0_EES8_S8_bjS8_NS5_IS6_S8_EES8_NS5_IlS8_EES8_jjPS6_PjSD_j.num_agpr, 0
	.set _ZN2at6native6mbtopk10gatherTopKIfjLi3EEEvNS_4cuda6detail10TensorInfoIKT_T0_EES8_S8_bjS8_NS5_IS6_S8_EES8_NS5_IlS8_EES8_jjPS6_PjSD_j.numbered_sgpr, 54
	.set _ZN2at6native6mbtopk10gatherTopKIfjLi3EEEvNS_4cuda6detail10TensorInfoIKT_T0_EES8_S8_bjS8_NS5_IS6_S8_EES8_NS5_IlS8_EES8_jjPS6_PjSD_j.num_named_barrier, 0
	.set _ZN2at6native6mbtopk10gatherTopKIfjLi3EEEvNS_4cuda6detail10TensorInfoIKT_T0_EES8_S8_bjS8_NS5_IS6_S8_EES8_NS5_IlS8_EES8_jjPS6_PjSD_j.private_seg_size, 0
	.set _ZN2at6native6mbtopk10gatherTopKIfjLi3EEEvNS_4cuda6detail10TensorInfoIKT_T0_EES8_S8_bjS8_NS5_IS6_S8_EES8_NS5_IlS8_EES8_jjPS6_PjSD_j.uses_vcc, 1
	.set _ZN2at6native6mbtopk10gatherTopKIfjLi3EEEvNS_4cuda6detail10TensorInfoIKT_T0_EES8_S8_bjS8_NS5_IS6_S8_EES8_NS5_IlS8_EES8_jjPS6_PjSD_j.uses_flat_scratch, 0
	.set _ZN2at6native6mbtopk10gatherTopKIfjLi3EEEvNS_4cuda6detail10TensorInfoIKT_T0_EES8_S8_bjS8_NS5_IS6_S8_EES8_NS5_IlS8_EES8_jjPS6_PjSD_j.has_dyn_sized_stack, 0
	.set _ZN2at6native6mbtopk10gatherTopKIfjLi3EEEvNS_4cuda6detail10TensorInfoIKT_T0_EES8_S8_bjS8_NS5_IS6_S8_EES8_NS5_IlS8_EES8_jjPS6_PjSD_j.has_recursion, 0
	.set _ZN2at6native6mbtopk10gatherTopKIfjLi3EEEvNS_4cuda6detail10TensorInfoIKT_T0_EES8_S8_bjS8_NS5_IS6_S8_EES8_NS5_IlS8_EES8_jjPS6_PjSD_j.has_indirect_call, 0
	.section	.AMDGPU.csdata,"",@progbits
; Kernel info:
; codeLenInByte = 3076
; TotalNumSgprs: 56
; NumVgprs: 24
; ScratchSize: 0
; MemoryBound: 0
; FloatMode: 240
; IeeeMode: 1
; LDSByteSize: 1068 bytes/workgroup (compile time only)
; SGPRBlocks: 0
; VGPRBlocks: 1
; NumSGPRsForWavesPerEU: 56
; NumVGPRsForWavesPerEU: 24
; NamedBarCnt: 0
; Occupancy: 16
; WaveLimiterHint : 1
; COMPUTE_PGM_RSRC2:SCRATCH_EN: 0
; COMPUTE_PGM_RSRC2:USER_SGPR: 2
; COMPUTE_PGM_RSRC2:TRAP_HANDLER: 0
; COMPUTE_PGM_RSRC2:TGID_X_EN: 1
; COMPUTE_PGM_RSRC2:TGID_Y_EN: 1
; COMPUTE_PGM_RSRC2:TGID_Z_EN: 1
; COMPUTE_PGM_RSRC2:TIDIG_COMP_CNT: 0
	.section	.text._ZN2at6native6sbtopk10gatherTopKIfjLi3ELb0EEEvNS_4cuda6detail10TensorInfoIKT_T0_EES8_S8_bS8_S8_NS5_IS6_S8_EES8_NS5_IlS8_EES8_PS6_,"axG",@progbits,_ZN2at6native6sbtopk10gatherTopKIfjLi3ELb0EEEvNS_4cuda6detail10TensorInfoIKT_T0_EES8_S8_bS8_S8_NS5_IS6_S8_EES8_NS5_IlS8_EES8_PS6_,comdat
	.protected	_ZN2at6native6sbtopk10gatherTopKIfjLi3ELb0EEEvNS_4cuda6detail10TensorInfoIKT_T0_EES8_S8_bS8_S8_NS5_IS6_S8_EES8_NS5_IlS8_EES8_PS6_ ; -- Begin function _ZN2at6native6sbtopk10gatherTopKIfjLi3ELb0EEEvNS_4cuda6detail10TensorInfoIKT_T0_EES8_S8_bS8_S8_NS5_IS6_S8_EES8_NS5_IlS8_EES8_PS6_
	.globl	_ZN2at6native6sbtopk10gatherTopKIfjLi3ELb0EEEvNS_4cuda6detail10TensorInfoIKT_T0_EES8_S8_bS8_S8_NS5_IS6_S8_EES8_NS5_IlS8_EES8_PS6_
	.p2align	8
	.type	_ZN2at6native6sbtopk10gatherTopKIfjLi3ELb0EEEvNS_4cuda6detail10TensorInfoIKT_T0_EES8_S8_bS8_S8_NS5_IS6_S8_EES8_NS5_IlS8_EES8_PS6_,@function
_ZN2at6native6sbtopk10gatherTopKIfjLi3ELb0EEEvNS_4cuda6detail10TensorInfoIKT_T0_EES8_S8_bS8_S8_NS5_IS6_S8_EES8_NS5_IlS8_EES8_PS6_: ; @_ZN2at6native6sbtopk10gatherTopKIfjLi3ELb0EEEvNS_4cuda6detail10TensorInfoIKT_T0_EES8_S8_bS8_S8_NS5_IS6_S8_EES8_NS5_IlS8_EES8_PS6_
; %bb.0:
	s_clause 0x1
	s_load_b128 s[36:39], s[0:1], 0xd8
	s_load_b64 s[12:13], s[0:1], 0x2b8
	s_bfe_u32 s2, ttmp6, 0x40010
	s_and_b32 s3, ttmp7, 0xffff
	s_add_co_i32 s2, s2, 1
	s_bfe_u32 s5, ttmp6, 0x4000c
	s_mul_i32 s2, s3, s2
	s_bfe_u32 s4, ttmp6, 0x40004
	s_add_co_i32 s5, s5, 1
	s_bfe_u32 s6, ttmp6, 0x40014
	s_add_co_i32 s4, s4, s2
	s_and_b32 s2, ttmp6, 15
	s_mul_i32 s5, ttmp9, s5
	s_lshr_b32 s7, ttmp7, 16
	s_add_co_i32 s6, s6, 1
	s_add_co_i32 s2, s2, s5
	s_mul_i32 s5, s7, s6
	s_bfe_u32 s6, ttmp6, 0x40008
	s_getreg_b32 s8, hwreg(HW_REG_IB_STS2, 6, 4)
	s_add_co_i32 s6, s6, s5
	s_cmp_eq_u32 s8, 0
	s_mov_b32 s51, 0
	s_cselect_b32 s5, s7, s6
	s_cselect_b32 s3, s3, s4
	s_wait_kmcnt 0x0
	s_mul_i32 s5, s13, s5
	s_cselect_b32 s11, ttmp9, s2
	s_add_co_i32 s2, s5, s3
	s_delay_alu instid0(SALU_CYCLE_1) | instskip(NEXT) | instid1(SALU_CYCLE_1)
	s_mul_i32 s72, s2, s12
	s_add_co_i32 s72, s72, s11
	s_delay_alu instid0(SALU_CYCLE_1)
	s_cmp_ge_u32 s72, s39
	s_cbranch_scc1 .LBB88_431
; %bb.1:
	s_clause 0x5
	s_load_b64 s[18:19], s[0:1], 0xc
	s_load_b64 s[52:53], s[0:1], 0xfc
	;; [unrolled: 1-line block ×4, first 2 shown]
	s_load_b32 s43, s[0:1], 0xe8
	s_load_b96 s[8:10], s[0:1], 0x6c
	s_add_nc_u64 s[14:15], s[0:1], 0x2b8
	s_mov_b32 s55, s51
	s_wait_kmcnt 0x0
	s_cvt_f32_u32 s2, s19
	s_cvt_f32_u32 s3, s53
	s_delay_alu instid0(SALU_CYCLE_2) | instskip(SKIP_1) | instid1(SALU_CYCLE_1)
	v_rcp_iflag_f32_e32 v1, s2
	s_sub_co_i32 s2, 0, s19
	v_rcp_iflag_f32_e32 v4, s3
	s_cvt_f32_u32 s3, s49
	s_delay_alu instid0(SALU_CYCLE_3) | instskip(NEXT) | instid1(TRANS32_DEP_3)
	v_rcp_iflag_f32_e32 v5, s3
	v_mul_f32_e32 v1, 0x4f7ffffe, v1
	s_delay_alu instid0(TRANS32_DEP_2) | instskip(SKIP_2) | instid1(TRANS32_DEP_1)
	v_readfirstlane_b32 s4, v4
	s_sub_co_i32 s3, 0, s18
	v_cvt_u32_f32_e32 v1, v1
	v_readfirstlane_b32 s5, v5
	s_delay_alu instid0(VALU_DEP_2) | instskip(SKIP_2) | instid1(SALU_CYCLE_2)
	v_mul_lo_u32 v2, s2, v1
	s_cvt_f32_u32 s2, s18
	s_mul_f32 s5, s5, 0x4f7ffffe
	v_rcp_iflag_f32_e32 v3, s2
	s_cvt_f32_u32 s2, s52
	s_delay_alu instid0(SALU_CYCLE_1) | instskip(NEXT) | instid1(SALU_CYCLE_2)
	s_cvt_u32_f32 s5, s5
	v_rcp_iflag_f32_e32 v4, s2
	s_delay_alu instid0(VALU_DEP_1) | instskip(SKIP_2) | instid1(TRANS32_DEP_1)
	v_mul_hi_u32 v2, v1, v2
	v_mov_b32_e32 v13, 0
	s_mul_f32 s2, s4, 0x4f7ffffe
	v_readfirstlane_b32 s4, v4
	s_delay_alu instid0(SALU_CYCLE_2) | instskip(SKIP_2) | instid1(VALU_DEP_1)
	s_cvt_u32_f32 s2, s2
	s_mul_f32 s4, s4, 0x4f7ffffe
	v_dual_mul_f32 v2, 0x4f7ffffe, v3 :: v_dual_add_nc_u32 v1, v1, v2
	v_mul_hi_u32 v1, s72, v1
	s_delay_alu instid0(VALU_DEP_2) | instskip(NEXT) | instid1(VALU_DEP_1)
	v_cvt_u32_f32_e32 v2, v2
	v_mul_lo_u32 v4, s3, v2
	s_sub_co_i32 s3, 0, s53
	s_delay_alu instid0(SALU_CYCLE_1) | instskip(NEXT) | instid1(VALU_DEP_3)
	s_mul_i32 s3, s3, s2
	v_mul_lo_u32 v5, v1, s19
	v_mov_b32_e32 v3, v13
	s_mul_hi_u32 s3, s2, s3
	s_delay_alu instid0(SALU_CYCLE_1) | instskip(SKIP_1) | instid1(VALU_DEP_3)
	s_add_co_i32 s2, s2, s3
	s_cvt_u32_f32 s3, s4
	v_mul_hi_u32 v4, v2, v4
	s_mul_hi_u32 s2, s72, s2
	s_delay_alu instid0(SALU_CYCLE_1) | instskip(SKIP_1) | instid1(VALU_DEP_3)
	s_mul_i32 s4, s2, s53
	s_add_co_i32 s6, s2, 1
	v_sub_nc_u32_e32 v5, s72, v5
	s_sub_co_i32 s4, s72, s4
	s_delay_alu instid0(SALU_CYCLE_1) | instskip(SKIP_1) | instid1(VALU_DEP_1)
	s_sub_co_i32 s7, s4, s53
	s_cmp_ge_u32 s4, s53
	v_subrev_nc_u32_e32 v7, s19, v5
	v_cmp_le_u32_e32 vcc_lo, s19, v5
	s_delay_alu instid0(VALU_DEP_4) | instskip(SKIP_3) | instid1(VALU_DEP_2)
	v_dual_add_nc_u32 v6, 1, v1 :: v_dual_add_nc_u32 v2, v2, v4
	s_cselect_b32 s2, s6, s2
	s_cselect_b32 s4, s7, s4
	v_cndmask_b32_e32 v5, v5, v7, vcc_lo
	v_cndmask_b32_e32 v1, v1, v6, vcc_lo
	s_add_co_i32 s6, s2, 1
	s_cmp_ge_u32 s4, s53
	s_delay_alu instid0(VALU_DEP_2) | instskip(NEXT) | instid1(VALU_DEP_2)
	v_cmp_le_u32_e32 vcc_lo, s19, v5
	v_add_nc_u32_e32 v6, 1, v1
	s_cselect_b32 s50, s6, s2
	s_sub_co_i32 s2, 0, s49
	s_cvt_f32_u32 s6, s48
	s_mul_i32 s2, s2, s5
	v_cndmask_b32_e32 v12, v1, v6, vcc_lo
	s_mul_hi_u32 s2, s5, s2
	v_rcp_iflag_f32_e32 v1, s6
	s_sub_co_i32 s4, 0, s52
	s_add_co_i32 s5, s5, s2
	v_mul_u64_e32 v[2:3], v[12:13], v[2:3]
	s_mul_i32 s4, s4, s3
	s_mul_hi_u32 s5, s72, s5
	s_mul_hi_u32 s2, s3, s4
	s_mul_i32 s4, s5, s49
	s_add_co_i32 s2, s3, s2
	s_sub_co_i32 s3, s72, s4
	v_readfirstlane_b32 s6, v1
	s_add_co_i32 s4, s5, 1
	s_sub_co_i32 s7, s3, s49
	s_cmp_ge_u32 s3, s49
	s_cselect_b32 s4, s4, s5
	s_mul_f32 s5, s6, 0x4f7ffffe
	s_cselect_b32 s3, s7, s3
	s_add_co_i32 s6, s4, 1
	s_cmp_ge_u32 s3, s49
	s_cvt_u32_f32 s7, s5
	s_cselect_b32 s54, s6, s4
	s_sub_co_i32 s3, 0, s48
	v_cmp_eq_u32_e64 s5, 0, v0
	s_mul_i32 s4, s3, s7
	s_mov_b32 s3, s51
	s_mul_hi_u32 s4, s7, s4
	s_delay_alu instid0(SALU_CYCLE_1)
	s_add_co_i32 s6, s7, s4
	s_mov_b32 s7, s51
	s_and_saveexec_b32 s4, s5
; %bb.2:
	v_dual_mov_b32 v4, 0 :: v_dual_mov_b32 v5, s36
	s_delay_alu instid0(VALU_DEP_1)
	v_mov_b32_e32 v6, v4
	ds_store_b96 v4, v[4:6] offset:4096
; %bb.3:
	s_or_b32 exec_lo, exec_lo, s4
	v_mul_lo_u32 v1, v3, s18
	v_add_nc_u32_e32 v4, 1, v3
	s_mul_u64 s[60:61], s[50:51], s[2:3]
	s_clause 0x1
	s_load_b96 s[40:42], s[0:1], 0x23c
	s_load_b64 s[20:21], s[0:1], 0x1d0
	s_wait_dscnt 0x0
	s_barrier_signal -1
	s_barrier_wait -1
	s_load_b32 s13, s[14:15], 0xc
	v_mul_lo_u32 v2, v12, s19
	v_mbcnt_lo_u32_b32 v9, -1, 0
	v_sub_nc_u32_e32 v1, v12, v1
	v_add_max_u32_e64 v7, v0, 2, s36
	s_mul_u64 s[34:35], s[54:55], s[6:7]
	s_bitcmp1_b32 s38, 0
	v_cmp_gt_i32_e64 s7, 4, v9
	v_subrev_nc_u32_e32 v5, s18, v1
	v_cmp_le_u32_e32 vcc_lo, s18, v1
	v_lshrrev_b32_e32 v6, 1, v0
	s_cselect_b32 s4, -1, 0
	v_sub_nc_u32_e32 v8, s72, v2
	v_xad_u32 v16, v0, -1, v7
	v_dual_cndmask_b32 v3, v3, v4 :: v_dual_cndmask_b32 v4, v1, v5
	v_cmp_gt_u32_e32 vcc_lo, 32, v0
	s_xor_b32 s55, s4, -1
	s_delay_alu instid0(VALU_DEP_2) | instskip(NEXT) | instid1(VALU_DEP_3)
	v_dual_lshlrev_b32 v1, 2, v0 :: v_dual_add_nc_u32 v5, 1, v3
	v_cmp_le_u32_e64 s2, s18, v4
	s_wait_kmcnt 0x0
	s_and_b32 s47, s13, 0xffff
	s_and_b32 s60, vcc_lo, s7
	v_mov_b32_e32 v15, v13
	s_lshl_b32 s73, s47, 2
	v_cndmask_b32_e64 v4, v3, v5, s2
	v_lshlrev_b64_e64 v[2:3], v9, -1
	s_cmp_gt_u32 s36, 0x300
	s_cvt_f32_u32 s7, s73
	s_cselect_b32 s74, -1, 0
	v_mul_lo_u32 v5, v4, s18
	s_cmp_gt_u32 s47, 31
	v_mul_lo_u32 v4, v4, s8
	s_cselect_b32 s75, -1, 0
	s_add_co_i32 s76, s47, -1
	v_rcp_iflag_f32_e32 v7, s7
	s_add_co_i32 s19, s76, s36
	s_cmp_lt_u32 s11, s12
	s_movk_i32 s18, 0x1f0
	s_cselect_b32 s38, 12, 18
	s_bfe_u32 s77, s13, 0xb0005
	v_sub_nc_u32_e32 v3, v12, v5
	v_mul_lo_u32 v5, v8, s10
	s_add_co_i32 s7, s77, -2
	v_not_b32_e32 v8, v2
	s_lshr_b32 s8, s7, 1
	v_mul_lo_u32 v3, v3, s9
	s_add_co_i32 s8, s8, 1
	v_readfirstlane_b32 s9, v7
	s_cmp_gt_u32 s47, 63
	v_and_or_b32 v23, v6, s18, 0xc00
	s_cselect_b32 s78, -1, 0
	s_and_b32 s79, s77, 0x7fe
	s_and_b32 s80, s8, 7
	s_cmp_gt_u32 s7, 13
	s_mul_f32 s7, s9, 0x4f7ffffe
	s_cselect_b32 s81, -1, 0
	v_add_nc_u32_e32 v3, v3, v5
	s_and_b32 s82, s8, -8
	s_cmp_lg_u32 s80, 0
	s_cvt_u32_f32 s7, s7
	s_cselect_b32 s83, -1, 0
	v_add_nc_u32_e32 v12, v3, v4
	v_add_nc_u32_e32 v3, -2, v16
	s_cmp_lg_u32 s79, s77
	s_cvt_f32_u32 s9, s47
	s_cselect_b32 s84, -1, 0
	s_sub_co_i32 s8, 0, s73
	v_lshrrev_b32_e32 v2, 1, v3
	v_lshlrev_b64_e32 v[4:5], 2, v[12:13]
	s_mul_i32 s8, s8, s7
	v_mul_lo_u32 v14, s43, v0
	s_mul_hi_u32 s8, s7, s8
	v_add_nc_u32_e32 v2, 1, v2
	s_add_co_i32 s62, s7, s8
	s_load_b64 s[58:59], s[0:1], 0xf0
	v_add_nc_u64_e32 v[6:7], s[16:17], v[4:5]
	v_rcp_iflag_f32_e32 v4, s9
	s_mul_hi_u32 s8, s36, s62
	v_mad_u32 v29, s43, v1, s43
	s_mul_i32 s8, s8, s73
                                        ; implicit-def: $vgpr68 : SGPR spill to VGPR lane
	v_cmp_gt_u32_e64 s3, s36, v0
	s_sub_co_i32 s8, s36, s8
	v_lshl_add_u64 v[10:11], v[14:15], 2, v[6:7]
	v_readfirstlane_b32 s9, v4
	s_sub_co_i32 s10, s8, s73
	s_cmp_ge_u32 s8, s73
	v_and_b32_e32 v15, -2, v16
	s_cselect_b32 s8, s10, s8
	s_mul_f32 s9, s9, 0x4f7ffffe
	s_sub_co_i32 s10, s8, s73
	s_cmp_ge_u32 s8, s73
	v_add_nc_u32_e32 v24, v0, v15
	s_cvt_u32_f32 s9, s9
	s_cselect_b32 s16, s10, s8
	s_sub_co_i32 s10, 0, s47
	s_sub_co_i32 s86, s36, s16
	s_mul_i32 s10, s10, s9
	v_dual_add_nc_u32 v25, s86, v0 :: v_dual_bitop2_b32 v4, 7, v2 bitop3:0x40
	s_mul_hi_u32 s10, s9, s10
	v_and_b32_e32 v26, -8, v2
	s_add_co_i32 s64, s9, s10
	v_add3_u32 v2, s47, s36, v0
	s_mul_hi_u32 s10, s19, s64
	v_cmp_lt_u32_e64 s8, 13, v3
	s_mul_i32 s10, s10, s47
	v_cmp_ne_u32_e64 s9, 0, v4
	s_sub_co_i32 s11, s19, s10
	v_mul_lo_u32 v12, v25, s43
	s_sub_co_i32 s12, s11, s47
	s_cmp_ge_u32 s11, s47
	v_dual_lshlrev_b32 v28, 3, v4 :: v_dual_bitop2_b32 v3, 2, v1 bitop3:0x54
	v_dual_lshlrev_b32 v32, 2, v14 :: v_dual_bitop2_b32 v4, 3, v1 bitop3:0x54
	v_lshlrev_b32_e32 v34, 4, v0
	v_subrev_nc_u32_e32 v2, s16, v2
	s_cselect_b32 s13, s12, s11
	v_mul_lo_u32 v30, s43, v3
	s_sub_co_i32 s17, s13, s47
	s_cmp_ge_u32 s13, s47
	v_mul_lo_u32 v31, s43, v4
	v_mul_lo_u32 v33, s43, v2
	s_cselect_b32 s13, s17, s13
	v_writelane_b32 v68, s20, 0
	s_sub_co_i32 s87, s19, s13
	v_cmp_gt_u32_e64 s6, 2, v0
	v_cmp_eq_u32_e64 s2, 0, v9
	v_dual_mov_b32 v37, s37 :: v_dual_add_nc_u32 v22, 0xc00, v1
	v_cmp_lt_u32_e64 s7, 31, v16
	v_cmp_ne_u32_e64 s10, v16, v15
	v_cmp_gt_u32_e64 s11, s86, v1
	v_cmp_gt_u32_e64 s12, s36, v25
	v_lshl_add_u64 v[16:17], v[12:13], 2, v[6:7]
	v_cmp_gt_u32_e64 s13, s87, v0
	v_lshl_or_b32 v35, v9, 2, 0xc00
	v_dual_mov_b32 v18, 1.0 :: v_dual_mov_b32 v21, 0
	v_dual_mov_b32 v27, 0 :: v_dual_mov_b32 v36, 0
	s_mov_b32 s39, 0
	s_mul_i32 s51, s43, s47
	s_mov_b32 s85, s43
	s_mov_b32 s63, s39
	;; [unrolled: 1-line block ×3, first 2 shown]
	s_lshl_b32 s88, s51, 2
	s_lshl_b32 s89, s47, 4
	s_mov_b32 s44, 30
	s_add_nc_u64 s[66:67], s[14:15], s[38:39]
	s_mov_b32 s91, 0
	s_mov_b32 s93, 0
	v_writelane_b32 v68, s21, 1
                                        ; implicit-def: $sgpr92
                                        ; implicit-def: $sgpr96
                                        ; implicit-def: $sgpr95
                                        ; implicit-def: $sgpr97
                                        ; implicit-def: $sgpr94
                                        ; implicit-def: $sgpr101
                                        ; implicit-def: $sgpr102
                                        ; implicit-def: $sgpr98
                                        ; implicit-def: $sgpr100
                                        ; implicit-def: $sgpr99
	s_branch .LBB88_6
.LBB88_4:                               ;   in Loop: Header=BB88_6 Depth=1
	s_or_b32 exec_lo, exec_lo, s17
	v_mov_b32_e32 v37, v38
	s_and_not1_b32 s17, s99, exec_lo
	s_and_b32 s16, s16, exec_lo
	s_and_not1_b32 s100, s100, exec_lo
	s_or_b32 s99, s17, s16
	s_and_not1_b32 s98, s98, exec_lo
	s_and_not1_b32 s102, s102, exec_lo
	;; [unrolled: 1-line block ×3, first 2 shown]
	s_or_not1_b32 s17, s15, exec_lo
.LBB88_5:                               ;   in Loop: Header=BB88_6 Depth=1
	s_or_b32 exec_lo, exec_lo, s14
	s_delay_alu instid0(SALU_CYCLE_1) | instskip(NEXT) | instid1(SALU_CYCLE_1)
	s_and_b32 s14, exec_lo, s17
	s_or_b32 s91, s14, s91
	s_and_not1_b32 s14, s94, exec_lo
	s_and_b32 s15, s99, exec_lo
	s_and_not1_b32 s16, s97, exec_lo
	s_or_b32 s94, s14, s15
	s_and_b32 s14, s100, exec_lo
	s_and_not1_b32 s15, s95, exec_lo
	s_and_b32 s17, s98, exec_lo
	s_or_b32 s97, s16, s14
	s_or_b32 s95, s15, s17
	s_and_not1_b32 s14, s96, exec_lo
	s_and_b32 s15, s102, exec_lo
	s_and_not1_b32 s16, s92, exec_lo
	s_and_b32 s17, s101, exec_lo
	s_or_b32 s96, s14, s15
	s_or_b32 s92, s16, s17
	s_and_not1_b32 exec_lo, exec_lo, s91
	s_cbranch_execz .LBB88_427
.LBB88_6:                               ; =>This Loop Header: Depth=1
                                        ;     Child Loop BB88_12 Depth 2
                                        ;     Child Loop BB88_33 Depth 2
	;; [unrolled: 1-line block ×27, first 2 shown]
	ds_load_b64 v[2:3], v13 offset:4096
	s_wait_dscnt 0x0
	v_readfirstlane_b32 s38, v2
	s_cmp_lg_u32 s38, 0
	s_cbranch_scc1 .LBB88_52
; %bb.7:                                ;   in Loop: Header=BB88_6 Depth=1
	s_and_b32 vcc_lo, exec_lo, s74
	s_cbranch_vccz .LBB88_20
; %bb.8:                                ;   in Loop: Header=BB88_6 Depth=1
	v_cmp_gt_u32_e32 vcc_lo, 0x301, v3
	s_mov_b32 s16, 0
	s_mov_b32 s14, 0
	s_cbranch_vccz .LBB88_21
; %bb.9:                                ;   in Loop: Header=BB88_6 Depth=1
	s_and_saveexec_b32 s17, s3
	s_cbranch_execz .LBB88_27
; %bb.10:                               ;   in Loop: Header=BB88_6 Depth=1
	global_load_b32 v3, v[10:11], off
	s_load_u16 s18, s[66:67], 0x0
	s_mov_b32 s20, 0
	s_wait_kmcnt 0x0
	v_dual_mov_b32 v4, v0 :: v_dual_add_nc_u32 v2, s18, v0
	s_mul_i32 s19, s43, s18
	s_delay_alu instid0(VALU_DEP_1)
	v_mul_lo_u32 v2, s43, v2
	s_branch .LBB88_12
.LBB88_11:                              ;   in Loop: Header=BB88_12 Depth=2
	s_or_b32 exec_lo, exec_lo, s15
	v_dual_mov_b32 v3, v5 :: v_dual_add_nc_u32 v2, s19, v2
	s_and_not1_b32 exec_lo, exec_lo, s20
	s_cbranch_execz .LBB88_27
.LBB88_12:                              ;   Parent Loop BB88_6 Depth=1
                                        ; =>  This Inner Loop Header: Depth=2
	s_wait_dscnt 0x0
	v_dual_add_nc_u32 v4, s18, v4 :: v_dual_mov_b32 v12, 0
	v_mov_b32_e32 v5, 0
	s_mov_b32 s15, exec_lo
	s_delay_alu instid0(VALU_DEP_2)
	v_cmp_le_u32_e32 vcc_lo, s36, v4
	v_cmpx_gt_u32_e64 s36, v4
	s_cbranch_execz .LBB88_14
; %bb.13:                               ;   in Loop: Header=BB88_12 Depth=2
	v_readfirstlane_b32 s22, v6
	v_readfirstlane_b32 s23, v7
	global_load_b32 v5, v2, s[22:23] scale_offset
.LBB88_14:                              ;   in Loop: Header=BB88_12 Depth=2
	s_wait_xcnt 0x0
	s_or_b32 exec_lo, exec_lo, s15
	s_wait_loadcnt 0x0
	v_cmp_lt_i32_e64 s14, -1, v3
	s_delay_alu instid0(VALU_DEP_1) | instskip(SKIP_1) | instid1(VALU_DEP_2)
	v_cndmask_b32_e64 v19, -1, 0x80000000, s14
	v_cmp_o_f32_e64 s14, v3, v3
	v_xor_b32_e32 v19, v19, v3
	s_delay_alu instid0(VALU_DEP_1) | instskip(NEXT) | instid1(VALU_DEP_1)
	v_cndmask_b32_e64 v19, -1, v19, s14
	v_and_b32_e32 v19, v19, v36
	s_delay_alu instid0(VALU_DEP_1) | instskip(SKIP_2) | instid1(SALU_CYCLE_1)
	v_cmp_eq_u32_e64 s14, v19, v27
	s_cmp_lg_u32 s14, 0
	s_cselect_b32 s15, -1, 0
	s_and_b32 s15, s2, s15
	s_delay_alu instid0(SALU_CYCLE_1)
	s_and_saveexec_b32 s21, s15
	s_cbranch_execz .LBB88_18
; %bb.15:                               ;   in Loop: Header=BB88_12 Depth=2
	s_mov_b32 s24, exec_lo
	s_bcnt1_i32_b32 s22, s14
	v_mbcnt_lo_u32_b32 v12, s24, 0
	s_mov_b32 s23, exec_lo
                                        ; implicit-def: $vgpr19
	s_delay_alu instid0(VALU_DEP_1)
	v_cmpx_eq_u32_e32 0, v12
; %bb.16:                               ;   in Loop: Header=BB88_12 Depth=2
	s_bcnt1_i32_b32 s15, s24
	s_delay_alu instid0(SALU_CYCLE_1) | instskip(NEXT) | instid1(SALU_CYCLE_1)
	s_mul_i32 s15, s22, s15
	v_mov_b32_e32 v19, s15
	ds_add_rtn_u32 v19, v13, v19 offset:4104
; %bb.17:                               ;   in Loop: Header=BB88_12 Depth=2
	s_or_b32 exec_lo, exec_lo, s23
	s_wait_dscnt 0x0
	v_readfirstlane_b32 s15, v19
	s_delay_alu instid0(VALU_DEP_1)
	v_mad_u32_u24 v12, s22, v12, s15
.LBB88_18:                              ;   in Loop: Header=BB88_12 Depth=2
	s_or_b32 exec_lo, exec_lo, s21
	ds_bpermute_b32 v12, v13, v12
	s_and_b32 s15, exec_lo, vcc_lo
	s_delay_alu instid0(SALU_CYCLE_1)
	s_or_b32 s20, s15, s20
	s_and_saveexec_b32 s15, s14
	s_cbranch_execz .LBB88_11
; %bb.19:                               ;   in Loop: Header=BB88_12 Depth=2
	v_and_b32_e32 v19, s14, v8
	s_delay_alu instid0(VALU_DEP_1) | instskip(NEXT) | instid1(VALU_DEP_1)
	v_bcnt_u32_b32 v19, v19, 0
	v_lshlrev_b32_e32 v19, 2, v19
	s_wait_dscnt 0x0
	s_delay_alu instid0(VALU_DEP_1)
	v_lshl_add_u32 v12, v12, 2, v19
	ds_store_b32 v12, v3
	s_branch .LBB88_11
.LBB88_20:                              ;   in Loop: Header=BB88_6 Depth=1
	s_mov_b32 s16, -1
	s_mov_b32 s14, 0
.LBB88_21:                              ;   in Loop: Header=BB88_6 Depth=1
	s_and_b32 vcc_lo, exec_lo, s16
	s_cbranch_vccz .LBB88_50
.LBB88_22:                              ;   in Loop: Header=BB88_6 Depth=1
	s_and_saveexec_b32 s15, s3
	s_cbranch_execz .LBB88_47
; %bb.23:                               ;   in Loop: Header=BB88_6 Depth=1
	global_load_b32 v19, v[10:11], off
	s_load_u16 s17, s[66:67], 0x0
	s_mov_b32 s16, exec_lo
	s_wait_kmcnt 0x0
	v_dual_mov_b32 v4, v0 :: v_dual_add_nc_u32 v2, s17, v0
	s_delay_alu instid0(VALU_DEP_1)
	v_cmpx_gt_u32_e64 s36, v2
	s_cbranch_execz .LBB88_46
; %bb.24:                               ;   in Loop: Header=BB88_6 Depth=1
	s_mov_b32 s14, 0
	s_mul_i32 s18, s43, s17
                                        ; implicit-def: $vgpr4
                                        ; implicit-def: $vgpr12
                                        ; implicit-def: $vgpr3
                                        ; implicit-def: $vgpr5
	s_and_saveexec_b32 s19, s7
	s_delay_alu instid0(SALU_CYCLE_1)
	s_xor_b32 s19, exec_lo, s19
	s_cbranch_execnz .LBB88_30
; %bb.25:                               ;   in Loop: Header=BB88_6 Depth=1
	s_and_not1_saveexec_b32 s19, s19
	s_cbranch_execnz .LBB88_41
.LBB88_26:                              ;   in Loop: Header=BB88_6 Depth=1
	s_or_b32 exec_lo, exec_lo, s19
	s_and_saveexec_b32 s18, s14
	s_cbranch_execnz .LBB88_42
	s_branch .LBB88_45
.LBB88_27:                              ;   in Loop: Header=BB88_6 Depth=1
	s_or_b32 exec_lo, exec_lo, s17
	s_wait_dscnt 0x0
	s_barrier_signal -1
	s_barrier_wait -1
	s_and_saveexec_b32 s14, s5
	s_cbranch_execz .LBB88_29
; %bb.28:                               ;   in Loop: Header=BB88_6 Depth=1
	ds_load_b32 v2, v13 offset:4104
	s_wait_dscnt 0x0
	ds_store_b32 v13, v2 offset:4096
.LBB88_29:                              ;   in Loop: Header=BB88_6 Depth=1
	s_or_b32 exec_lo, exec_lo, s14
	s_wait_dscnt 0x0
	s_barrier_signal -1
	s_mov_b32 s14, -1
	s_barrier_wait -1
	s_and_b32 vcc_lo, exec_lo, s16
	s_cbranch_vccnz .LBB88_22
	s_branch .LBB88_50
.LBB88_30:                              ;   in Loop: Header=BB88_6 Depth=1
	s_cvt_f32_u32 s14, s17
	v_add_max_u32_e64 v3, v2, s17, s36
	s_delay_alu instid0(SALU_CYCLE_2) | instskip(SKIP_1) | instid1(VALU_DEP_1)
	v_rcp_iflag_f32_e32 v4, s14
	s_lshl_b32 s14, s17, 1
	v_sub_nc_u32_e32 v3, v3, v0
	s_delay_alu instid0(VALU_DEP_1) | instskip(NEXT) | instid1(TRANS32_DEP_1)
	v_cmp_ne_u32_e32 vcc_lo, s14, v3
	v_readfirstlane_b32 s20, v4
	v_cndmask_b32_e64 v4, 0, 1, vcc_lo
	s_mul_f32 s20, s20, 0x4f7ffffe
	s_delay_alu instid0(VALU_DEP_1) | instskip(NEXT) | instid1(SALU_CYCLE_2)
	v_or_b32_e32 v4, s14, v4
	s_cvt_u32_f32 s14, s20
	s_sub_co_i32 s20, 0, s17
	s_delay_alu instid0(SALU_CYCLE_2) | instskip(NEXT) | instid1(VALU_DEP_1)
	s_mul_i32 s20, s20, s14
	v_sub_nc_u32_e32 v3, v3, v4
	s_mul_hi_u32 s20, s14, s20
	s_delay_alu instid0(SALU_CYCLE_1)
	s_add_co_i32 s14, s14, s20
	s_delay_alu instid0(VALU_DEP_1) | instid1(SALU_CYCLE_1)
	v_mul_hi_u32 v4, v3, s14
	s_delay_alu instid0(VALU_DEP_1) | instskip(NEXT) | instid1(VALU_DEP_1)
	v_mul_lo_u32 v5, v4, s17
	v_dual_sub_nc_u32 v3, v3, v5 :: v_dual_add_nc_u32 v5, 1, v4
	s_delay_alu instid0(VALU_DEP_1) | instskip(SKIP_1) | instid1(VALU_DEP_1)
	v_subrev_nc_u32_e32 v12, s17, v3
	v_cmp_le_u32_e64 s14, s17, v3
	v_dual_cndmask_b32 v4, v4, v5, s14 :: v_dual_cndmask_b32 v3, v3, v12, s14
	s_delay_alu instid0(VALU_DEP_1) | instskip(NEXT) | instid1(VALU_DEP_2)
	v_add_nc_u32_e32 v5, 1, v4
	v_cmp_le_u32_e64 s14, s17, v3
	s_delay_alu instid0(VALU_DEP_1) | instskip(SKIP_2) | instid1(VALU_DEP_2)
	v_cndmask_b32_e64 v3, v4, v5, s14
	v_mul_lo_u32 v4, s43, v2
	s_abs_i32 s14, s18
	v_add_co_ci_u32_e64 v3, null, 0, v3, vcc_lo
	s_delay_alu instid0(VALU_DEP_1) | instskip(SKIP_2) | instid1(SALU_CYCLE_1)
	v_mul_hi_u32 v5, s14, v3
	v_mul_lo_u32 v3, s14, v3
	s_not_b32 s14, s18
	s_ashr_i32 s14, s14, 31
	s_cmp_eq_u32 s17, 1
	s_delay_alu instid0(VALU_DEP_4) | instskip(SKIP_1) | instid1(VALU_DEP_3)
	v_xor_b32_e32 v4, s14, v4
	s_cselect_b32 s20, -1, 0
	v_cmp_eq_u32_e32 vcc_lo, 0, v5
	s_delay_alu instid0(VALU_DEP_2) | instskip(SKIP_2) | instid1(SALU_CYCLE_1)
	v_cmp_le_u32_e64 s14, v3, v4
	v_mov_b32_e32 v3, v0
                                        ; implicit-def: $vgpr4
	s_and_b32 s20, vcc_lo, s20
	s_and_b32 s21, s20, s14
	s_mov_b32 s20, -1
	s_and_saveexec_b32 s14, s21
	s_cbranch_execz .LBB88_40
; %bb.31:                               ;   in Loop: Header=BB88_6 Depth=1
	v_dual_mov_b32 v12, 0 :: v_dual_add_nc_u32 v3, 1, v2
	s_delay_alu instid0(VALU_DEP_1)
	v_mov_b64_e32 v[4:5], v[2:3]
	s_and_saveexec_b32 s20, s8
	s_cbranch_execz .LBB88_35
; %bb.32:                               ;   in Loop: Header=BB88_6 Depth=1
	v_mov_b64_e32 v[4:5], v[2:3]
	v_dual_mov_b32 v20, v26 :: v_dual_mov_b32 v38, v1
	s_mov_b32 s21, 0
	s_mov_b32 s22, 0
.LBB88_33:                              ;   Parent Loop BB88_6 Depth=1
                                        ; =>  This Inner Loop Header: Depth=2
	s_delay_alu instid0(VALU_DEP_2) | instskip(NEXT) | instid1(VALU_DEP_3)
	v_mul_lo_u32 v12, v4, s43
	v_dual_add_nc_u32 v42, 4, v4 :: v_dual_add_nc_u32 v44, 4, v5
	v_dual_mov_b32 v45, v13 :: v_dual_add_nc_u32 v48, 6, v4
	v_dual_mov_b32 v53, v13 :: v_dual_add_nc_u32 v39, 2, v5
	v_dual_mov_b32 v43, v13 :: v_dual_add_nc_u32 v52, 6, v5
	v_dual_mov_b32 v49, v13 :: v_dual_add_nc_u32 v58, 10, v5
	v_mov_b32_e32 v55, v13
	v_lshl_add_u64 v[40:41], v[12:13], 2, v[6:7]
	v_dual_add_nc_u32 v12, 2, v4 :: v_dual_add_nc_u32 v66, 12, v4
	v_dual_add_nc_u32 v60, 12, v5 :: v_dual_add_nc_u32 v64, 14, v5
	v_mov_b32_e32 v61, v13
	global_load_b32 v3, v[40:41], off
	s_wait_xcnt 0x0
	v_mov_b32_e32 v41, v13
	v_mul_lo_u32 v12, v12, s43
	v_mul_lo_u32 v40, v5, s85
	;; [unrolled: 1-line block ×3, first 2 shown]
	v_dual_mov_b32 v59, v13 :: v_dual_add_nc_u32 v67, 14, v4
	v_add_nc_u32_e32 v20, -8, v20
	s_add_co_i32 s22, s22, 16
	v_dual_add_nc_u32 v54, 8, v5 :: v_dual_add_nc_u32 v5, 16, v5
	s_delay_alu instid0(VALU_DEP_2)
	v_cmp_eq_u32_e32 vcc_lo, 0, v20
	v_lshl_add_u64 v[46:47], v[12:13], 2, v[6:7]
	v_mul_lo_u32 v12, v42, s43
	v_add_nc_u32_e32 v42, 8, v4
	v_lshl_add_u64 v[40:41], v[40:41], 2, v[6:7]
	s_or_b32 s21, vcc_lo, s21
	s_delay_alu instid0(VALU_DEP_3) | instskip(SKIP_2) | instid1(VALU_DEP_2)
	v_lshl_add_u64 v[50:51], v[12:13], 2, v[6:7]
	v_mul_lo_u32 v12, v48, s43
	v_dual_add_nc_u32 v48, 10, v4 :: v_dual_add_nc_u32 v4, 16, v4
	v_lshl_add_u64 v[56:57], v[12:13], 2, v[6:7]
	v_mul_lo_u32 v12, v42, s43
	v_mul_lo_u32 v42, v39, s85
	global_load_b32 v39, v[40:41], off
	v_lshl_add_u64 v[62:63], v[12:13], 2, v[6:7]
	v_mul_lo_u32 v12, v48, s43
	v_mul_lo_u32 v48, v52, s85
	;; [unrolled: 1-line block ×6, first 2 shown]
	s_wait_xcnt 0x0
	v_lshl_add_u64 v[40:41], v[42:43], 2, v[6:7]
	v_lshl_add_u64 v[42:43], v[44:45], 2, v[6:7]
	;; [unrolled: 1-line block ×3, first 2 shown]
	v_mul_lo_u32 v12, v66, s43
	v_lshl_add_u64 v[44:45], v[48:49], 2, v[6:7]
	v_lshl_add_u64 v[48:49], v[52:53], 2, v[6:7]
	;; [unrolled: 1-line block ×5, first 2 shown]
	s_clause 0x8
	global_load_b32 v66, v[40:41], off
	global_load_b32 v42, v[42:43], off
	;; [unrolled: 1-line block ×9, first 2 shown]
	v_lshl_add_u64 v[60:61], v[12:13], 2, v[6:7]
	v_mul_lo_u32 v12, v67, s43
	s_delay_alu instid0(VALU_DEP_1)
	v_lshl_add_u64 v[40:41], v[12:13], 2, v[6:7]
	s_clause 0x3
	global_load_b32 v50, v[62:63], off
	global_load_b32 v51, v[64:65], off
	;; [unrolled: 1-line block ×4, first 2 shown]
	v_mov_b32_e32 v12, s22
	s_wait_loadcnt 0xe
	ds_store_2addr_b32 v38, v19, v3 offset1:1
	global_load_b32 v19, v[58:59], off
	s_wait_loadcnt 0x7
	ds_store_2addr_b32 v38, v39, v46 offset0:2 offset1:3
	s_wait_loadcnt 0x6
	ds_store_2addr_b32 v38, v66, v47 offset0:4 offset1:5
	;; [unrolled: 2-line block ×7, first 2 shown]
	v_add_nc_u32_e32 v38, 64, v38
	s_wait_xcnt 0x0
	s_and_not1_b32 exec_lo, exec_lo, s21
	s_cbranch_execnz .LBB88_33
; %bb.34:                               ;   in Loop: Header=BB88_6 Depth=1
	s_or_b32 exec_lo, exec_lo, s21
.LBB88_35:                              ;   in Loop: Header=BB88_6 Depth=1
	s_delay_alu instid0(SALU_CYCLE_1)
	s_or_b32 exec_lo, exec_lo, s20
	s_and_saveexec_b32 s20, s9
	s_cbranch_execz .LBB88_39
; %bb.36:                               ;   in Loop: Header=BB88_6 Depth=1
	v_lshl_add_u32 v3, v12, 2, v1
	v_mov_b32_e32 v20, v28
	s_mov_b32 s21, 0
.LBB88_37:                              ;   Parent Loop BB88_6 Depth=1
                                        ; =>  This Inner Loop Header: Depth=2
	v_mul_lo_u32 v12, v4, s43
	v_mul_lo_u32 v38, v5, s85
	s_delay_alu instid0(VALU_DEP_3) | instskip(SKIP_1) | instid1(VALU_DEP_2)
	v_dual_mov_b32 v39, v13 :: v_dual_add_nc_u32 v20, -8, v20
	v_dual_add_nc_u32 v5, 2, v5 :: v_dual_add_nc_u32 v4, 2, v4
	v_cmp_eq_u32_e32 vcc_lo, 0, v20
	v_lshl_add_u64 v[40:41], v[12:13], 2, v[6:7]
	s_delay_alu instid0(VALU_DEP_4)
	v_lshl_add_u64 v[38:39], v[38:39], 2, v[6:7]
	s_or_b32 s21, vcc_lo, s21
	s_clause 0x1
	global_load_b32 v40, v[40:41], off
	global_load_b32 v12, v[38:39], off
	s_wait_loadcnt 0x1
	ds_store_2addr_b32 v3, v19, v40 offset1:1
	s_wait_loadcnt 0x0
	v_dual_add_nc_u32 v3, 8, v3 :: v_dual_mov_b32 v19, v12
	s_and_not1_b32 exec_lo, exec_lo, s21
	s_cbranch_execnz .LBB88_37
; %bb.38:                               ;   in Loop: Header=BB88_6 Depth=1
	s_or_b32 exec_lo, exec_lo, s21
	v_mov_b32_e32 v19, v12
.LBB88_39:                              ;   in Loop: Header=BB88_6 Depth=1
	s_or_b32 exec_lo, exec_lo, s20
	v_dual_mov_b32 v3, v24 :: v_dual_add_nc_u32 v2, v2, v15
	s_or_not1_b32 s20, s10, exec_lo
	s_delay_alu instid0(VALU_DEP_1)
	v_add_nc_u32_e32 v4, -1, v2
.LBB88_40:                              ;   in Loop: Header=BB88_6 Depth=1
	s_or_b32 exec_lo, exec_lo, s14
	s_wait_loadcnt 0x0
	v_dual_mov_b32 v5, s18 :: v_dual_mov_b32 v12, v19
	s_and_b32 s14, s20, exec_lo
	s_and_not1_saveexec_b32 s19, s19
	s_cbranch_execz .LBB88_26
.LBB88_41:                              ;   in Loop: Header=BB88_6 Depth=1
	s_wait_loadcnt 0x0
	v_dual_mov_b32 v5, s18 :: v_dual_mov_b32 v12, v19
	v_mov_b32_e32 v3, v0
	s_or_b32 s14, s14, exec_lo
	s_or_b32 exec_lo, exec_lo, s19
	s_and_saveexec_b32 s18, s14
	s_cbranch_execz .LBB88_45
.LBB88_42:                              ;   in Loop: Header=BB88_6 Depth=1
	v_mul_lo_u32 v4, s43, v2
	s_mov_b32 s19, 0
	s_sub_co_i32 s14, 0, s17
.LBB88_43:                              ;   Parent Loop BB88_6 Depth=1
                                        ; =>  This Inner Loop Header: Depth=2
	v_readfirstlane_b32 s20, v6
	v_readfirstlane_b32 s21, v7
	v_dual_mov_b32 v20, v2 :: v_dual_lshlrev_b32 v3, 2, v3
	s_wait_loadcnt 0x0
	global_load_b32 v19, v4, s[20:21] scale_offset
	s_wait_xcnt 0x0
	v_dual_add_nc_u32 v2, s17, v20 :: v_dual_add_nc_u32 v4, v4, v5
	ds_store_b32 v3, v12
	v_mov_b32_e32 v3, v20
	v_cmp_le_u32_e32 vcc_lo, s36, v2
	s_or_b32 s19, vcc_lo, s19
	s_wait_loadcnt 0x0
	v_mov_b32_e32 v12, v19
	s_and_not1_b32 exec_lo, exec_lo, s19
	s_cbranch_execnz .LBB88_43
; %bb.44:                               ;   in Loop: Header=BB88_6 Depth=1
	s_or_b32 exec_lo, exec_lo, s19
	v_add_nc_u32_e32 v4, s14, v2
.LBB88_45:                              ;   in Loop: Header=BB88_6 Depth=1
	s_or_b32 exec_lo, exec_lo, s18
.LBB88_46:                              ;   in Loop: Header=BB88_6 Depth=1
	s_delay_alu instid0(SALU_CYCLE_1) | instskip(NEXT) | instid1(VALU_DEP_1)
	s_or_b32 exec_lo, exec_lo, s16
	v_lshlrev_b32_e32 v2, 2, v4
	s_wait_loadcnt 0x0
	ds_store_b32 v2, v19
.LBB88_47:                              ;   in Loop: Header=BB88_6 Depth=1
	s_or_b32 exec_lo, exec_lo, s15
	s_wait_dscnt 0x0
	s_barrier_signal -1
	s_barrier_wait -1
	s_and_saveexec_b32 s14, s5
; %bb.48:                               ;   in Loop: Header=BB88_6 Depth=1
	v_mov_b32_e32 v2, s36
	ds_store_b32 v13, v2 offset:4096
; %bb.49:                               ;   in Loop: Header=BB88_6 Depth=1
	s_or_b32 exec_lo, exec_lo, s14
	s_mov_b32 s14, -1
	s_wait_dscnt 0x0
	s_barrier_signal -1
	s_barrier_wait -1
.LBB88_50:                              ;   in Loop: Header=BB88_6 Depth=1
	s_and_b32 vcc_lo, exec_lo, s14
	s_mov_b32 s38, 0
	s_cbranch_vccz .LBB88_52
; %bb.51:                               ;   in Loop: Header=BB88_6 Depth=1
	ds_load_b32 v2, v13 offset:4096
	s_wait_dscnt 0x0
	v_readfirstlane_b32 s38, v2
.LBB88_52:                              ;   in Loop: Header=BB88_6 Depth=1
	s_delay_alu instid0(VALU_DEP_1)
	s_cmp_lt_i32 s38, 1
	s_mov_b32 s14, -1
                                        ; implicit-def: $vgpr4_vgpr5
	s_cbranch_scc1 .LBB88_65
; %bb.53:                               ;   in Loop: Header=BB88_6 Depth=1
	s_and_b32 vcc_lo, exec_lo, s14
	s_cbranch_vccnz .LBB88_76
.LBB88_54:                              ;   in Loop: Header=BB88_6 Depth=1
	s_lshl_b32 s16, s93, 7
	s_and_saveexec_b32 s14, s2
.LBB88_55:                              ;   in Loop: Header=BB88_6 Depth=1
	v_lshl_add_u32 v12, s16, 2, v23
	ds_store_b128 v12, v[2:5]
.LBB88_56:                              ;   in Loop: Header=BB88_6 Depth=1
	s_or_b32 exec_lo, exec_lo, s14
	s_wait_dscnt 0x0
	s_barrier_signal -1
	s_barrier_wait -1
	s_and_saveexec_b32 s17, s60
	s_cbranch_execz .LBB88_89
; %bb.57:                               ;   in Loop: Header=BB88_6 Depth=1
	v_dual_add_nc_u32 v4, s16, v9 :: v_dual_mov_b32 v2, 0
	s_and_not1_b32 vcc_lo, exec_lo, s75
	s_cbranch_vccnz .LBB88_88
; %bb.58:                               ;   in Loop: Header=BB88_6 Depth=1
	s_and_not1_b32 vcc_lo, exec_lo, s78
	s_cbranch_vccnz .LBB88_85
; %bb.59:                               ;   in Loop: Header=BB88_6 Depth=1
	v_lshl_add_u32 v5, v4, 2, 0xc00
	s_and_not1_b32 vcc_lo, exec_lo, s81
	s_cbranch_vccnz .LBB88_115
; %bb.60:                               ;   in Loop: Header=BB88_6 Depth=1
	v_dual_mov_b32 v2, 0 :: v_dual_mov_b32 v3, 0
	s_mov_b32 s15, 1
	s_mov_b32 s14, 0
	;; [unrolled: 1-line block ×3, first 2 shown]
.LBB88_61:                              ;   Parent Loop BB88_6 Depth=1
                                        ; =>  This Inner Loop Header: Depth=2
	v_lshl_add_u32 v12, s15, 4, v5
	v_lshl_add_u32 v19, s14, 4, v5
	s_add_co_i32 s18, s18, -8
	s_add_co_i32 s15, s15, 16
	s_add_co_i32 s14, s14, 16
	ds_load_2addr_b32 v[38:39], v12 offset1:8
	ds_load_2addr_b32 v[40:41], v19 offset1:8
	ds_load_2addr_b32 v[42:43], v12 offset0:16 offset1:24
	ds_load_2addr_b32 v[44:45], v19 offset0:16 offset1:24
	;; [unrolled: 1-line block ×6, first 2 shown]
	s_cmp_lg_u32 s18, 0
	s_wait_dscnt 0x7
	v_add3_u32 v3, v38, v3, v39
	s_wait_dscnt 0x6
	v_add3_u32 v2, v40, v2, v41
	s_wait_dscnt 0x5
	s_delay_alu instid0(VALU_DEP_2) | instskip(SKIP_1) | instid1(VALU_DEP_2)
	v_add3_u32 v3, v42, v3, v43
	s_wait_dscnt 0x4
	v_add3_u32 v2, v44, v2, v45
	s_wait_dscnt 0x3
	s_delay_alu instid0(VALU_DEP_2) | instskip(SKIP_1) | instid1(VALU_DEP_2)
	;; [unrolled: 5-line block ×3, first 2 shown]
	v_add3_u32 v3, v50, v3, v51
	s_wait_dscnt 0x0
	v_add3_u32 v2, v52, v2, v53
	s_cbranch_scc1 .LBB88_61
; %bb.62:                               ;   in Loop: Header=BB88_6 Depth=1
	s_and_not1_b32 vcc_lo, exec_lo, s83
	s_mov_b32 s18, s80
	s_cbranch_vccnz .LBB88_64
.LBB88_63:                              ;   Parent Loop BB88_6 Depth=1
                                        ; =>  This Inner Loop Header: Depth=2
	v_lshl_add_u32 v12, s15, 4, v5
	v_lshl_add_u32 v19, s14, 4, v5
	s_add_co_i32 s18, s18, -1
	s_add_co_i32 s15, s15, 2
	s_add_co_i32 s14, s14, 2
	ds_load_b32 v12, v12
	ds_load_b32 v19, v19
	s_cmp_lg_u32 s18, 0
	s_wait_dscnt 0x0
	v_dual_add_nc_u32 v3, v12, v3 :: v_dual_add_nc_u32 v2, v19, v2
	s_cbranch_scc1 .LBB88_63
.LBB88_64:                              ;   in Loop: Header=BB88_6 Depth=1
	s_delay_alu instid0(VALU_DEP_1) | instskip(SKIP_2) | instid1(SALU_CYCLE_1)
	v_add_nc_u32_e32 v2, v2, v3
	s_mov_b32 s14, s79
	s_mov_b32 s15, s84
	s_and_b32 vcc_lo, exec_lo, s15
	s_cbranch_vccnz .LBB88_86
	s_branch .LBB88_88
.LBB88_65:                              ;   in Loop: Header=BB88_6 Depth=1
	v_mov_b64_e32 v[4:5], 0
	v_mov_b64_e32 v[2:3], 0
	s_and_saveexec_b32 s103, s11
	s_cbranch_execz .LBB88_69
; %bb.66:                               ;   in Loop: Header=BB88_6 Depth=1
	v_mov_b32_e32 v12, v1
	s_mov_b32 s104, 0
	s_mov_b32 vcc_hi, 0
	s_mov_b32 s68, 0
	s_mov_b32 s69, s104
	;; [unrolled: 1-line block ×4, first 2 shown]
.LBB88_67:                              ;   Parent Loop BB88_6 Depth=1
                                        ; =>  This Inner Loop Header: Depth=2
	v_dual_add_nc_u32 v2, vcc_hi, v32 :: v_dual_add_nc_u32 v3, vcc_hi, v29
	v_readfirstlane_b32 s14, v6
	v_readfirstlane_b32 s15, v7
	v_dual_add_nc_u32 v4, vcc_hi, v30 :: v_dual_add_nc_u32 v5, vcc_hi, v31
	s_clause 0x3
	global_load_b32 v2, v2, s[14:15] scale_offset
	global_load_b32 v3, v3, s[14:15] scale_offset
	;; [unrolled: 1-line block ×4, first 2 shown]
	s_add_co_i32 vcc_hi, vcc_hi, s88
	s_wait_loadcnt 0x3
	s_wait_xcnt 0x0
	v_cmp_lt_i32_e64 s14, -1, v2
	v_cmp_o_f32_e64 s17, v2, v2
	s_wait_loadcnt 0x1
	v_cmp_o_f32_e64 s15, v4, v4
	s_wait_loadcnt 0x0
	v_cmp_o_f32_e64 s16, v5, v5
	v_cndmask_b32_e64 v19, -1, 0x80000000, s14
	v_cmp_lt_i32_e64 s14, -1, v3
	s_delay_alu instid0(VALU_DEP_1) | instskip(SKIP_1) | instid1(VALU_DEP_2)
	v_cndmask_b32_e64 v20, -1, 0x80000000, s14
	v_cmp_lt_i32_e64 s14, -1, v4
	v_dual_add_nc_u32 v12, s73, v12 :: v_dual_bitop2_b32 v20, v20, v3 bitop3:0x14
	s_delay_alu instid0(VALU_DEP_2) | instskip(SKIP_1) | instid1(VALU_DEP_3)
	v_cndmask_b32_e64 v38, -1, 0x80000000, s14
	v_cmp_lt_i32_e64 s14, -1, v5
	v_cmp_le_u32_e32 vcc_lo, s86, v12
	s_delay_alu instid0(VALU_DEP_2) | instskip(SKIP_3) | instid1(VALU_DEP_1)
	v_cndmask_b32_e64 v39, -1, 0x80000000, s14
	v_cmp_o_f32_e64 s14, v3, v3
	v_xor_b32_e32 v3, v19, v2
	v_xor_b32_e32 v19, v38, v4
	v_dual_cndmask_b32 v5, -1, v19, s15 :: v_dual_bitop2_b32 v4, v39, v5 bitop3:0x14
	s_delay_alu instid0(VALU_DEP_3) | instskip(NEXT) | instid1(VALU_DEP_2)
	v_dual_cndmask_b32 v2, -1, v3, s17 :: v_dual_cndmask_b32 v3, -1, v20, s14
	v_cndmask_b32_e64 v4, -1, v4, s16
	s_delay_alu instid0(VALU_DEP_3) | instskip(NEXT) | instid1(VALU_DEP_3)
	v_and_b32_e32 v38, v5, v36
	v_and_b32_e32 v19, v2, v36
	v_bfe_u32 v2, v2, s44, 2
	v_and_b32_e32 v20, v3, v36
	v_bfe_u32 v3, v3, s44, 2
	v_bfe_u32 v5, v5, s44, 2
	v_cmp_eq_u32_e64 s14, v19, v27
	v_cmp_eq_u32_e64 s18, 0, v2
	v_and_b32_e32 v39, v4, v36
	v_bfe_u32 v4, v4, s44, 2
	v_cmp_eq_u32_e64 s15, v20, v27
	v_cmp_eq_u32_e64 s19, 0, v3
	;; [unrolled: 1-line block ×4, first 2 shown]
	s_and_b32 s18, s14, s18
	v_cmp_eq_u32_e64 s17, v39, v27
	v_cmp_eq_u32_e64 s21, 0, v4
	;; [unrolled: 1-line block ×5, first 2 shown]
	v_cndmask_b32_e64 v2, 0, 1, s18
	s_and_b32 s18, s15, s19
	v_cmp_eq_u32_e64 s23, 1, v3
	v_cmp_eq_u32_e64 s27, 2, v3
	v_cmp_eq_u32_e64 s31, 3, v3
	v_cndmask_b32_e64 v3, 0, 1, s18
	s_and_b32 s18, s16, s20
	v_cmp_eq_u32_e64 s25, 1, v4
	v_cmp_eq_u32_e64 s29, 2, v4
	v_cmp_eq_u32_e64 s34, 3, v4
	;; [unrolled: 5-line block ×3, first 2 shown]
	v_cndmask_b32_e64 v5, 0, 1, s18
	s_and_b32 s18, s14, s22
	s_delay_alu instid0(SALU_CYCLE_1) | instskip(SKIP_1) | instid1(SALU_CYCLE_1)
	v_cndmask_b32_e64 v19, 0, 1, s18
	s_and_b32 s18, s15, s23
	v_cndmask_b32_e64 v20, 0, 1, s18
	s_and_b32 s18, s16, s24
	s_delay_alu instid0(SALU_CYCLE_1) | instskip(SKIP_1) | instid1(VALU_DEP_2)
	v_cndmask_b32_e64 v38, 0, 1, s18
	s_and_b32 s18, s17, s25
	v_cmp_ne_u32_e64 s19, 0, v20
	v_cndmask_b32_e64 v39, 0, 1, s18
	s_and_b32 s18, s14, s26
	s_and_b32 s14, s14, s30
	v_cndmask_b32_e64 v40, 0, 1, s18
	s_and_b32 s18, s15, s27
	v_cndmask_b32_e64 v44, 0, 1, s14
	;; [unrolled: 2-line block ×7, first 2 shown]
	v_cndmask_b32_e64 v47, 0, 1, s14
	v_cmp_ne_u32_e64 s14, 0, v2
	v_cmp_ne_u32_e64 s18, 0, v19
	;; [unrolled: 1-line block ×11, first 2 shown]
	s_bcnt1_i32_b32 s14, s14
	s_bcnt1_i32_b32 s18, s18
	;; [unrolled: 1-line block ×4, first 2 shown]
	v_cmp_ne_u32_e64 s17, 0, v5
	v_cmp_ne_u32_e64 s21, 0, v39
	;; [unrolled: 1-line block ×4, first 2 shown]
	s_bcnt1_i32_b32 s15, s15
	s_bcnt1_i32_b32 s19, s19
	s_bcnt1_i32_b32 s23, s23
	s_bcnt1_i32_b32 s27, s27
	s_add_co_i32 s14, s14, s68
	s_add_co_i32 s18, s18, s69
	s_add_co_i32 s22, s22, s70
	s_add_co_i32 s26, s26, s71
	s_bcnt1_i32_b32 s16, s16
	s_bcnt1_i32_b32 s20, s20
	s_bcnt1_i32_b32 s24, s24
	s_bcnt1_i32_b32 s28, s28
	s_add_co_i32 s18, s18, s19
	s_add_co_i32 s14, s14, s15
	s_add_co_i32 s15, s26, s27
	s_add_co_i32 s19, s22, s23
	;; [unrolled: 8-line block ×3, first 2 shown]
	s_add_co_i32 s69, s16, s21
	s_add_co_i32 s68, s14, s17
	;; [unrolled: 1-line block ×4, first 2 shown]
	v_mov_b64_e32 v[2:3], s[68:69]
	v_mov_b64_e32 v[4:5], s[70:71]
	s_or_b32 s104, vcc_lo, s104
	s_delay_alu instid0(SALU_CYCLE_1)
	s_and_not1_b32 exec_lo, exec_lo, s104
	s_cbranch_execnz .LBB88_67
; %bb.68:                               ;   in Loop: Header=BB88_6 Depth=1
	s_or_b32 exec_lo, exec_lo, s104
.LBB88_69:                              ;   in Loop: Header=BB88_6 Depth=1
	s_delay_alu instid0(SALU_CYCLE_1)
	s_or_b32 exec_lo, exec_lo, s103
	s_and_saveexec_b32 s18, s12
	s_cbranch_execz .LBB88_75
; %bb.70:                               ;   in Loop: Header=BB88_6 Depth=1
	global_load_b32 v38, v[16:17], off
	v_dual_mov_b32 v12, v33 :: v_dual_mov_b32 v19, v25
	s_mov_b32 s19, 0
	s_branch .LBB88_72
.LBB88_71:                              ;   in Loop: Header=BB88_72 Depth=2
	s_wait_xcnt 0x0
	s_or_b32 exec_lo, exec_lo, s15
	s_wait_loadcnt 0x0
	v_cmp_lt_i32_e64 s14, -1, v38
	s_and_b32 s15, exec_lo, vcc_lo
	v_add_nc_u32_e32 v12, s51, v12
	s_or_b32 s19, s15, s19
	v_cndmask_b32_e64 v39, -1, 0x80000000, s14
	v_cmp_o_f32_e64 s14, v38, v38
	s_delay_alu instid0(VALU_DEP_2) | instskip(NEXT) | instid1(VALU_DEP_1)
	v_xor_b32_e32 v39, v39, v38
	v_cndmask_b32_e64 v38, -1, v39, s14
	s_delay_alu instid0(VALU_DEP_1) | instskip(SKIP_1) | instid1(VALU_DEP_2)
	v_and_b32_e32 v39, v38, v36
	v_bfe_u32 v38, v38, s44, 2
	v_cmp_eq_u32_e32 vcc_lo, v39, v27
	s_delay_alu instid0(VALU_DEP_2) | instskip(SKIP_4) | instid1(SALU_CYCLE_1)
	v_cmp_eq_u32_e64 s14, 0, v38
	v_cmp_eq_u32_e64 s15, 1, v38
	;; [unrolled: 1-line block ×4, first 2 shown]
	s_and_b32 s14, vcc_lo, s14
	v_cndmask_b32_e64 v38, 0, 1, s14
	s_and_b32 s14, vcc_lo, s15
	s_delay_alu instid0(SALU_CYCLE_1) | instskip(SKIP_1) | instid1(SALU_CYCLE_1)
	v_cndmask_b32_e64 v39, 0, 1, s14
	s_and_b32 s14, vcc_lo, s16
	v_cndmask_b32_e64 v40, 0, 1, s14
	s_and_b32 s14, vcc_lo, s17
	v_cmp_ne_u32_e32 vcc_lo, 0, v38
	v_cndmask_b32_e64 v41, 0, 1, s14
	v_cmp_ne_u32_e64 s14, 0, v39
	v_cmp_ne_u32_e64 s15, 0, v40
	v_mov_b32_e32 v38, v20
	s_bcnt1_i32_b32 s17, vcc_lo
	v_cmp_ne_u32_e64 s16, 0, v41
	s_bcnt1_i32_b32 s14, s14
	s_bcnt1_i32_b32 s15, s15
	v_dual_add_nc_u32 v3, s14, v3 :: v_dual_add_nc_u32 v2, s17, v2
	s_bcnt1_i32_b32 s16, s16
	s_delay_alu instid0(SALU_CYCLE_1)
	v_dual_add_nc_u32 v4, s15, v4 :: v_dual_add_nc_u32 v5, s16, v5
	s_and_not1_b32 exec_lo, exec_lo, s19
	s_cbranch_execz .LBB88_74
.LBB88_72:                              ;   Parent Loop BB88_6 Depth=1
                                        ; =>  This Inner Loop Header: Depth=2
	s_delay_alu instid0(VALU_DEP_1) | instskip(SKIP_1) | instid1(VALU_DEP_1)
	v_dual_mov_b32 v20, 0 :: v_dual_add_nc_u32 v19, s47, v19
	s_mov_b32 s15, exec_lo
	v_cmp_le_u32_e32 vcc_lo, s36, v19
	s_wait_xcnt 0x0
	v_cmpx_gt_u32_e64 s36, v19
	s_cbranch_execz .LBB88_71
; %bb.73:                               ;   in Loop: Header=BB88_72 Depth=2
	v_readfirstlane_b32 s16, v6
	v_readfirstlane_b32 s17, v7
	global_load_b32 v20, v12, s[16:17] scale_offset
	s_branch .LBB88_71
.LBB88_74:                              ;   in Loop: Header=BB88_6 Depth=1
	s_or_b32 exec_lo, exec_lo, s19
.LBB88_75:                              ;   in Loop: Header=BB88_6 Depth=1
	s_delay_alu instid0(SALU_CYCLE_1)
	s_or_b32 exec_lo, exec_lo, s18
	s_branch .LBB88_54
.LBB88_76:                              ;   in Loop: Header=BB88_6 Depth=1
	s_mul_u64 s[14:15], s[38:39], s[62:63]
	v_mov_b64_e32 v[4:5], 0
	s_mul_i32 s14, s15, s73
	v_mov_b64_e32 v[2:3], 0
	s_sub_co_i32 s14, s38, s14
	s_mov_b32 s104, exec_lo
	s_sub_co_i32 s15, s14, s73
	s_cmp_ge_u32 s14, s73
	s_cselect_b32 s14, s15, s14
	s_delay_alu instid0(SALU_CYCLE_1) | instskip(SKIP_2) | instid1(SALU_CYCLE_1)
	s_sub_co_i32 s15, s14, s73
	s_cmp_ge_u32 s14, s73
	s_cselect_b32 s14, s15, s14
	s_sub_co_i32 s103, s38, s14
	s_delay_alu instid0(SALU_CYCLE_1)
	v_cmpx_gt_u32_e64 s103, v1
	s_cbranch_execz .LBB88_80
; %bb.77:                               ;   in Loop: Header=BB88_6 Depth=1
	v_dual_mov_b32 v12, v34 :: v_dual_mov_b32 v19, v1
	s_mov_b32 vcc_hi, 0
	s_mov_b32 s90, s44
	s_mov_b32 s68, 0
	s_mov_b32 s69, vcc_hi
	s_mov_b32 s70, 0
	s_mov_b32 s71, vcc_hi
.LBB88_78:                              ;   Parent Loop BB88_6 Depth=1
                                        ; =>  This Inner Loop Header: Depth=2
	ds_load_b128 v[2:5], v12
	v_dual_add_nc_u32 v19, s73, v19 :: v_dual_add_nc_u32 v12, s89, v12
	s_delay_alu instid0(VALU_DEP_1)
	v_cmp_le_u32_e32 vcc_lo, s103, v19
	s_wait_dscnt 0x0
	v_cmp_lt_i32_e64 s14, -1, v2
	v_cmp_o_f32_e64 s15, v4, v4
	v_cmp_o_f32_e64 s16, v5, v5
	;; [unrolled: 1-line block ×3, first 2 shown]
	s_delay_alu instid0(VALU_DEP_4) | instskip(SKIP_1) | instid1(VALU_DEP_1)
	v_cndmask_b32_e64 v20, -1, 0x80000000, s14
	v_cmp_lt_i32_e64 s14, -1, v3
	v_cndmask_b32_e64 v38, -1, 0x80000000, s14
	v_cmp_lt_i32_e64 s14, -1, v4
	s_delay_alu instid0(VALU_DEP_2) | instskip(NEXT) | instid1(VALU_DEP_2)
	v_xor_b32_e32 v38, v38, v3
	v_cndmask_b32_e64 v39, -1, 0x80000000, s14
	v_cmp_lt_i32_e64 s14, -1, v5
	s_delay_alu instid0(VALU_DEP_1) | instskip(SKIP_3) | instid1(VALU_DEP_4)
	v_cndmask_b32_e64 v40, -1, 0x80000000, s14
	v_cmp_o_f32_e64 s14, v3, v3
	v_xor_b32_e32 v3, v20, v2
	v_xor_b32_e32 v20, v39, v4
	;; [unrolled: 1-line block ×3, first 2 shown]
	s_delay_alu instid0(VALU_DEP_1) | instskip(NEXT) | instid1(VALU_DEP_3)
	v_dual_cndmask_b32 v4, -1, v4, s16 :: v_dual_cndmask_b32 v2, -1, v3, s17
	v_dual_cndmask_b32 v3, -1, v38, s14 :: v_dual_cndmask_b32 v5, -1, v20, s15
	s_delay_alu instid0(VALU_DEP_2) | instskip(NEXT) | instid1(VALU_DEP_3)
	v_and_b32_e32 v40, v4, v36
	v_and_b32_e32 v20, v2, v36
	s_delay_alu instid0(VALU_DEP_3) | instskip(SKIP_1) | instid1(VALU_DEP_3)
	v_dual_lshrrev_b32 v2, s44, v2 :: v_dual_bitop2_b32 v38, v3, v36 bitop3:0x40
	v_dual_lshrrev_b32 v3, s90, v3 :: v_dual_lshrrev_b32 v4, s90, v4
	v_cmp_eq_u32_e64 s14, v20, v27
	v_dual_lshrrev_b32 v5, s44, v5 :: v_dual_bitop2_b32 v39, v5, v36 bitop3:0x40
	s_delay_alu instid0(VALU_DEP_4) | instskip(NEXT) | instid1(VALU_DEP_4)
	v_and_b32_e32 v2, 3, v2
	v_and_b32_e32 v3, 3, v3
	v_cmp_eq_u32_e64 s15, v38, v27
	v_and_b32_e32 v4, 3, v4
	v_and_b32_e32 v5, 3, v5
	v_cmp_eq_u32_e64 s18, 0, v2
	v_cmp_eq_u32_e64 s19, 0, v3
	;; [unrolled: 1-line block ×5, first 2 shown]
	s_and_b32 s18, s14, s18
	v_cmp_eq_u32_e64 s25, 3, v2
	v_cndmask_b32_e64 v2, 0, 1, s18
	s_and_b32 s18, s15, s19
	v_cmp_eq_u32_e64 s23, 2, v3
	v_cmp_eq_u32_e64 s24, 3, v3
	v_cndmask_b32_e64 v3, 0, 1, s18
	s_and_b32 s18, s14, s20
	v_cmp_eq_u32_e64 s27, 0, v4
	v_cmp_eq_u32_e64 s29, 1, v4
	;; [unrolled: 1-line block ×4, first 2 shown]
	v_cndmask_b32_e64 v4, 0, 1, s18
	s_and_b32 s18, s15, s21
	v_cmp_eq_u32_e64 s16, v39, v27
	v_cmp_eq_u32_e64 s26, 0, v5
	;; [unrolled: 1-line block ×5, first 2 shown]
	v_cndmask_b32_e64 v5, 0, 1, s18
	s_and_b32 s18, s14, s22
	v_cmp_eq_u32_e64 s17, v40, v27
	v_cndmask_b32_e64 v20, 0, 1, s18
	s_and_b32 s18, s15, s23
	s_and_b32 s14, s14, s25
	v_cndmask_b32_e64 v38, 0, 1, s18
	s_and_b32 s18, s16, s26
	v_cndmask_b32_e64 v45, 0, 1, s14
	v_cndmask_b32_e64 v39, 0, 1, s18
	s_and_b32 s18, s17, s27
	s_and_b32 s14, s15, s24
	v_cndmask_b32_e64 v40, 0, 1, s18
	s_and_b32 s18, s16, s28
	v_cndmask_b32_e64 v46, 0, 1, s14
	;; [unrolled: 6-line block ×3, first 2 shown]
	v_cndmask_b32_e64 v43, 0, 1, s18
	s_and_b32 s18, s17, s31
	s_and_b32 s14, s17, s33
	v_cndmask_b32_e64 v44, 0, 1, s18
	v_cndmask_b32_e64 v48, 0, 1, s14
	v_cmp_ne_u32_e64 s14, 0, v2
	v_cmp_ne_u32_e64 s16, 0, v4
	;; [unrolled: 1-line block ×12, first 2 shown]
	s_bcnt1_i32_b32 s14, s14
	s_bcnt1_i32_b32 s16, s16
	;; [unrolled: 1-line block ×4, first 2 shown]
	v_cmp_ne_u32_e64 s21, 0, v40
	v_cmp_ne_u32_e64 s23, 0, v42
	;; [unrolled: 1-line block ×4, first 2 shown]
	s_bcnt1_i32_b32 s15, s15
	s_bcnt1_i32_b32 s17, s17
	s_bcnt1_i32_b32 s19, s19
	s_bcnt1_i32_b32 s27, s27
	s_add_co_i32 s14, s14, s68
	s_add_co_i32 s16, s16, s69
	s_add_co_i32 s18, s18, s70
	s_add_co_i32 s26, s26, s71
	s_bcnt1_i32_b32 s20, s20
	s_bcnt1_i32_b32 s22, s22
	s_bcnt1_i32_b32 s24, s24
	s_bcnt1_i32_b32 s28, s28
	s_add_co_i32 s16, s16, s17
	s_add_co_i32 s14, s14, s15
	s_add_co_i32 s15, s26, s27
	s_add_co_i32 s17, s18, s19
	;; [unrolled: 8-line block ×3, first 2 shown]
	s_add_co_i32 s69, s16, s23
	s_add_co_i32 s68, s14, s21
	;; [unrolled: 1-line block ×4, first 2 shown]
	v_mov_b64_e32 v[2:3], s[68:69]
	v_mov_b64_e32 v[4:5], s[70:71]
	s_or_b32 vcc_hi, vcc_lo, vcc_hi
	s_delay_alu instid0(SALU_CYCLE_1)
	s_and_not1_b32 exec_lo, exec_lo, vcc_hi
	s_cbranch_execnz .LBB88_78
; %bb.79:                               ;   in Loop: Header=BB88_6 Depth=1
	s_or_b32 exec_lo, exec_lo, vcc_hi
.LBB88_80:                              ;   in Loop: Header=BB88_6 Depth=1
	s_delay_alu instid0(SALU_CYCLE_1) | instskip(SKIP_2) | instid1(VALU_DEP_1)
	s_or_b32 exec_lo, exec_lo, s104
	v_add_nc_u32_e32 v12, s103, v0
	s_mov_b32 s19, exec_lo
	v_cmpx_gt_u32_e64 s38, v12
	s_cbranch_execz .LBB88_84
; %bb.81:                               ;   in Loop: Header=BB88_6 Depth=1
	v_lshlrev_b32_e32 v19, 2, v12
	s_mov_b32 s20, 0
.LBB88_82:                              ;   Parent Loop BB88_6 Depth=1
                                        ; =>  This Inner Loop Header: Depth=2
	ds_load_b32 v20, v19
	v_dual_add_nc_u32 v12, s47, v12 :: v_dual_add_nc_u32 v19, s73, v19
	s_delay_alu instid0(VALU_DEP_1) | instskip(SKIP_2) | instid1(VALU_DEP_1)
	v_cmp_le_u32_e32 vcc_lo, s38, v12
	s_wait_dscnt 0x0
	v_cmp_lt_i32_e64 s14, -1, v20
	v_cndmask_b32_e64 v38, -1, 0x80000000, s14
	v_cmp_o_f32_e64 s14, v20, v20
	s_delay_alu instid0(VALU_DEP_2) | instskip(NEXT) | instid1(VALU_DEP_1)
	v_xor_b32_e32 v38, v38, v20
	v_cndmask_b32_e64 v20, -1, v38, s14
	s_delay_alu instid0(VALU_DEP_1) | instskip(SKIP_1) | instid1(VALU_DEP_2)
	v_and_b32_e32 v38, v20, v36
	v_bfe_u32 v20, v20, s44, 2
	v_cmp_eq_u32_e64 s14, v38, v27
	s_delay_alu instid0(VALU_DEP_2) | instskip(SKIP_4) | instid1(SALU_CYCLE_1)
	v_cmp_eq_u32_e64 s15, 0, v20
	v_cmp_eq_u32_e64 s16, 1, v20
	;; [unrolled: 1-line block ×4, first 2 shown]
	s_and_b32 s15, s14, s15
	v_cndmask_b32_e64 v20, 0, 1, s15
	s_and_b32 s15, s14, s16
	s_delay_alu instid0(SALU_CYCLE_1)
	v_cndmask_b32_e64 v38, 0, 1, s15
	s_and_b32 s15, s14, s17
	s_and_b32 s14, s14, s18
	v_cndmask_b32_e64 v39, 0, 1, s15
	v_cndmask_b32_e64 v40, 0, 1, s14
	v_cmp_ne_u32_e64 s14, 0, v20
	v_cmp_ne_u32_e64 s15, 0, v38
	s_delay_alu instid0(VALU_DEP_4) | instskip(NEXT) | instid1(VALU_DEP_4)
	v_cmp_ne_u32_e64 s16, 0, v39
	v_cmp_ne_u32_e64 s17, 0, v40
	s_bcnt1_i32_b32 s14, s14
	s_bcnt1_i32_b32 s15, s15
	v_add_nc_u32_e32 v2, s14, v2
	s_bcnt1_i32_b32 s16, s16
	s_bcnt1_i32_b32 s17, s17
	s_delay_alu instid0(SALU_CYCLE_1) | instskip(SKIP_2) | instid1(SALU_CYCLE_1)
	v_dual_add_nc_u32 v3, s15, v3 :: v_dual_add_nc_u32 v5, s17, v5
	v_add_nc_u32_e32 v4, s16, v4
	s_or_b32 s20, vcc_lo, s20
	s_and_not1_b32 exec_lo, exec_lo, s20
	s_cbranch_execnz .LBB88_82
; %bb.83:                               ;   in Loop: Header=BB88_6 Depth=1
	s_or_b32 exec_lo, exec_lo, s20
.LBB88_84:                              ;   in Loop: Header=BB88_6 Depth=1
	s_delay_alu instid0(SALU_CYCLE_1)
	s_or_b32 exec_lo, exec_lo, s19
	s_lshl_b32 s16, s93, 7
	s_and_saveexec_b32 s14, s2
	s_cbranch_execnz .LBB88_55
	s_branch .LBB88_56
.LBB88_85:                              ;   in Loop: Header=BB88_6 Depth=1
	v_mov_b32_e32 v2, 0
	s_mov_b32 s14, 0
	s_cbranch_execz .LBB88_88
.LBB88_86:                              ;   in Loop: Header=BB88_6 Depth=1
	s_lshl_b32 s15, s93, 9
	s_lshl_b32 s18, s14, 4
	s_sub_co_i32 s14, s77, s14
	v_add3_u32 v3, s15, s18, v35
.LBB88_87:                              ;   Parent Loop BB88_6 Depth=1
                                        ; =>  This Inner Loop Header: Depth=2
	ds_load_b32 v5, v3
	v_add_nc_u32_e32 v3, 16, v3
	s_add_co_i32 s14, s14, -1
	s_delay_alu instid0(SALU_CYCLE_1)
	s_cmp_eq_u32 s14, 0
	s_wait_dscnt 0x0
	v_add_nc_u32_e32 v2, v5, v2
	s_cbranch_scc0 .LBB88_87
.LBB88_88:                              ;   in Loop: Header=BB88_6 Depth=1
	s_delay_alu instid0(VALU_DEP_1)
	v_lshlrev_b32_e32 v3, 2, v4
	ds_store_b32 v3, v2 offset:3072
.LBB88_89:                              ;   in Loop: Header=BB88_6 Depth=1
	s_or_b32 exec_lo, exec_lo, s17
	s_lshl_b32 s14, s16, 2
	s_wait_dscnt 0x0
	v_mov_b32_e32 v2, s14
	s_barrier_signal -1
	s_barrier_wait -1
	v_cmp_eq_u32_e64 s14, 1, v37
	ds_load_b128 v[2:5], v2 offset:3072
	s_lshl_b32 s18, 3, s44
	s_mov_b32 s26, -1
	s_not_b32 s19, s18
	s_mov_b32 s16, 0
	s_and_not1_b32 vcc_lo, exec_lo, s55
	s_mov_b32 s23, 0
	s_mov_b32 s15, 0
                                        ; implicit-def: $sgpr24
                                        ; implicit-def: $sgpr25
                                        ; implicit-def: $vgpr38
                                        ; implicit-def: $vgpr12
	s_wait_dscnt 0x0
	v_readfirstlane_b32 s17, v2
	v_readfirstlane_b32 s20, v3
	v_readfirstlane_b32 s21, v4
	v_readfirstlane_b32 s22, v5
                                        ; implicit-def: $vgpr4
                                        ; implicit-def: $vgpr5
                                        ; implicit-def: $vgpr3
	s_cbranch_vccnz .LBB88_256
; %bb.90:                               ;   in Loop: Header=BB88_6 Depth=1
	s_cmp_eq_u32 s17, 1
	v_dual_mov_b32 v5, v27 :: v_dual_mov_b32 v12, v36
	v_mov_b32_e32 v3, v21
	s_cselect_b32 s15, -1, 0
	s_mov_b32 s29, -1
	s_and_b32 s28, s15, s14
                                        ; implicit-def: $sgpr25
                                        ; implicit-def: $sgpr24
	s_delay_alu instid0(SALU_CYCLE_1)
	s_and_saveexec_b32 s15, s28
	s_cbranch_execz .LBB88_119
; %bb.91:                               ;   in Loop: Header=BB88_6 Depth=1
	ds_load_b32 v2, v13 offset:4096
	s_wait_dscnt 0x0
	s_barrier_signal -1
	s_barrier_wait -1
	v_readfirstlane_b32 s26, v2
	s_and_saveexec_b32 s23, s6
; %bb.92:                               ;   in Loop: Header=BB88_6 Depth=1
	ds_store_b32 v22, v13
; %bb.93:                               ;   in Loop: Header=BB88_6 Depth=1
	s_or_b32 exec_lo, exec_lo, s23
	v_and_b32_e32 v5, s19, v27
	v_or_b32_e32 v12, s18, v36
	s_mov_b32 s24, -1
	s_mov_b32 s25, 0
	s_cmp_eq_u32 s26, 0
	s_mov_b32 s23, 0
	s_mov_b32 s27, -1
	s_wait_dscnt 0x0
	s_barrier_signal -1
	s_barrier_wait -1
                                        ; implicit-def: $vgpr3
	s_cbranch_scc1 .LBB88_105
; %bb.94:                               ;   in Loop: Header=BB88_6 Depth=1
	s_add_co_i32 s38, s26, s76
	s_mov_b32 s29, exec_lo
	s_mul_u64 s[30:31], s[38:39], s[64:65]
                                        ; implicit-def: $vgpr3
	s_delay_alu instid0(SALU_CYCLE_1) | instskip(NEXT) | instid1(SALU_CYCLE_1)
	s_mul_i32 s23, s31, s47
	s_sub_co_i32 s23, s38, s23
	s_delay_alu instid0(SALU_CYCLE_1) | instskip(SKIP_2) | instid1(SALU_CYCLE_1)
	s_sub_co_i32 s27, s23, s47
	s_cmp_ge_u32 s23, s47
	s_cselect_b32 s23, s27, s23
	s_sub_co_i32 s27, s23, s47
	s_cmp_ge_u32 s23, s47
	s_cselect_b32 s23, s27, s23
	s_mov_b32 s27, 0
	s_sub_co_i32 s30, s38, s23
	s_mov_b32 s23, 0
	v_cmpx_gt_u32_e64 s30, v0
	s_cbranch_execz .LBB88_104
; %bb.95:                               ;   in Loop: Header=BB88_6 Depth=1
	v_dual_mov_b32 v4, v1 :: v_dual_mov_b32 v20, v0
                                        ; implicit-def: $sgpr31
	s_branch .LBB88_99
.LBB88_96:                              ;   in Loop: Header=BB88_99 Depth=2
	s_or_b32 exec_lo, exec_lo, s33
	s_wait_dscnt 0x0
	s_barrier_signal -1
	s_barrier_wait -1
	ds_load_b64 v[2:3], v13 offset:3072
	s_wait_dscnt 0x0
	s_barrier_signal -1
	s_barrier_wait -1
	v_cmp_neq_f32_e32 vcc_lo, 0, v2
	s_cbranch_vccnz .LBB88_102
; %bb.97:                               ;   in Loop: Header=BB88_99 Depth=2
	v_add_nc_u32_e32 v20, s47, v20
	v_add_nc_u32_e32 v4, s73, v4
	s_mov_b32 s33, 0
	s_delay_alu instid0(VALU_DEP_2)
	v_cmp_le_u32_e32 vcc_lo, s30, v20
	s_or_not1_b32 s34, vcc_lo, exec_lo
.LBB88_98:                              ;   in Loop: Header=BB88_99 Depth=2
	s_delay_alu instid0(SALU_CYCLE_1) | instskip(NEXT) | instid1(SALU_CYCLE_1)
	s_and_b32 s34, exec_lo, s34
	s_or_b32 s23, s34, s23
	s_and_not1_b32 s31, s31, exec_lo
	s_and_b32 s33, s33, exec_lo
	s_delay_alu instid0(SALU_CYCLE_1)
	s_or_b32 s31, s31, s33
	s_and_not1_b32 exec_lo, exec_lo, s23
	s_cbranch_execz .LBB88_103
.LBB88_99:                              ;   Parent Loop BB88_6 Depth=1
                                        ; =>  This Inner Loop Header: Depth=2
	s_mov_b32 s33, exec_lo
	s_delay_alu instid0(VALU_DEP_1)
	v_cmpx_gt_u32_e64 s26, v20
	s_cbranch_execz .LBB88_96
; %bb.100:                              ;   in Loop: Header=BB88_99 Depth=2
	ds_load_b32 v19, v4
	s_wait_dscnt 0x0
	v_cmp_lt_i32_e32 vcc_lo, -1, v19
	v_cndmask_b32_e64 v2, -1, 0x80000000, vcc_lo
	v_cmp_o_f32_e32 vcc_lo, v19, v19
	s_delay_alu instid0(VALU_DEP_2) | instskip(NEXT) | instid1(VALU_DEP_1)
	v_xor_b32_e32 v2, v2, v19
	v_cndmask_b32_e32 v2, -1, v2, vcc_lo
	s_delay_alu instid0(VALU_DEP_1) | instskip(NEXT) | instid1(VALU_DEP_1)
	v_and_b32_e32 v2, v2, v12
	v_cmp_eq_u32_e32 vcc_lo, v2, v5
	s_and_b32 exec_lo, exec_lo, vcc_lo
	s_cbranch_execz .LBB88_96
; %bb.101:                              ;   in Loop: Header=BB88_99 Depth=2
	ds_store_b64 v13, v[18:19] offset:3072
	s_branch .LBB88_96
.LBB88_102:                             ;   in Loop: Header=BB88_99 Depth=2
	s_mov_b32 s34, -1
	s_mov_b32 s33, -1
                                        ; implicit-def: $vgpr20
                                        ; implicit-def: $vgpr4
	s_branch .LBB88_98
.LBB88_103:                             ;   in Loop: Header=BB88_6 Depth=1
	s_or_b32 exec_lo, exec_lo, s23
	s_delay_alu instid0(SALU_CYCLE_1)
	s_and_b32 s23, s31, exec_lo
.LBB88_104:                             ;   in Loop: Header=BB88_6 Depth=1
	s_or_b32 exec_lo, exec_lo, s29
.LBB88_105:                             ;   in Loop: Header=BB88_6 Depth=1
	s_delay_alu instid0(SALU_CYCLE_1)
	s_and_b32 vcc_lo, exec_lo, s27
	s_cbranch_vccz .LBB88_118
; %bb.106:                              ;   in Loop: Header=BB88_6 Depth=1
                                        ; implicit-def: $vgpr3
	s_and_saveexec_b32 s24, s13
	s_cbranch_execz .LBB88_117
; %bb.107:                              ;   in Loop: Header=BB88_6 Depth=1
	v_dual_mov_b32 v4, v14 :: v_dual_mov_b32 v20, v0
	s_mov_b32 s25, 0
                                        ; implicit-def: $sgpr26
	s_branch .LBB88_111
.LBB88_108:                             ;   in Loop: Header=BB88_111 Depth=2
	s_or_b32 exec_lo, exec_lo, s27
	s_wait_dscnt 0x0
	s_barrier_signal -1
	s_barrier_wait -1
	ds_load_b64 v[2:3], v13 offset:3072
	s_wait_dscnt 0x0
	s_barrier_signal -1
	s_barrier_wait -1
	v_cmp_neq_f32_e32 vcc_lo, 0, v2
	s_cbranch_vccnz .LBB88_114
; %bb.109:                              ;   in Loop: Header=BB88_111 Depth=2
	v_add_nc_u32_e32 v20, s47, v20
	v_add_nc_u32_e32 v4, s51, v4
	s_mov_b32 s27, 0
	s_delay_alu instid0(VALU_DEP_2)
	v_cmp_le_u32_e32 vcc_lo, s87, v20
	s_or_not1_b32 s29, vcc_lo, exec_lo
.LBB88_110:                             ;   in Loop: Header=BB88_111 Depth=2
	s_delay_alu instid0(SALU_CYCLE_1) | instskip(NEXT) | instid1(SALU_CYCLE_1)
	s_and_b32 s29, exec_lo, s29
	s_or_b32 s25, s29, s25
	s_and_not1_b32 s26, s26, exec_lo
	s_and_b32 s27, s27, exec_lo
	s_delay_alu instid0(SALU_CYCLE_1)
	s_or_b32 s26, s26, s27
	s_and_not1_b32 exec_lo, exec_lo, s25
	s_cbranch_execz .LBB88_116
.LBB88_111:                             ;   Parent Loop BB88_6 Depth=1
                                        ; =>  This Inner Loop Header: Depth=2
	s_mov_b32 s27, exec_lo
	s_delay_alu instid0(VALU_DEP_1)
	v_cmpx_gt_u32_e64 s36, v20
	s_cbranch_execz .LBB88_108
; %bb.112:                              ;   in Loop: Header=BB88_111 Depth=2
	v_readfirstlane_b32 s30, v6
	v_readfirstlane_b32 s31, v7
	global_load_b32 v19, v4, s[30:31] scale_offset
	s_wait_loadcnt 0x0
	v_cmp_lt_i32_e32 vcc_lo, -1, v19
	v_cndmask_b32_e64 v2, -1, 0x80000000, vcc_lo
	v_cmp_o_f32_e32 vcc_lo, v19, v19
	s_delay_alu instid0(VALU_DEP_2) | instskip(NEXT) | instid1(VALU_DEP_1)
	v_xor_b32_e32 v2, v2, v19
	v_cndmask_b32_e32 v2, -1, v2, vcc_lo
	s_delay_alu instid0(VALU_DEP_1) | instskip(NEXT) | instid1(VALU_DEP_1)
	v_and_b32_e32 v2, v2, v12
	v_cmp_eq_u32_e32 vcc_lo, v2, v5
	s_and_b32 exec_lo, exec_lo, vcc_lo
	s_cbranch_execz .LBB88_108
; %bb.113:                              ;   in Loop: Header=BB88_111 Depth=2
	ds_store_b64 v13, v[18:19] offset:3072
	s_branch .LBB88_108
.LBB88_114:                             ;   in Loop: Header=BB88_111 Depth=2
	s_mov_b32 s29, -1
	s_mov_b32 s27, -1
                                        ; implicit-def: $vgpr20
                                        ; implicit-def: $vgpr4
	s_branch .LBB88_110
.LBB88_115:                             ;   in Loop: Header=BB88_6 Depth=1
	s_mov_b64 s[14:15], 0x100000000
	v_mov_b64_e32 v[2:3], 0
	s_and_not1_b32 vcc_lo, exec_lo, s83
	s_mov_b32 s18, s80
	s_cbranch_vccz .LBB88_63
	s_branch .LBB88_64
.LBB88_116:                             ;   in Loop: Header=BB88_6 Depth=1
	s_or_b32 exec_lo, exec_lo, s25
	s_delay_alu instid0(SALU_CYCLE_1) | instskip(SKIP_1) | instid1(SALU_CYCLE_1)
	s_and_not1_b32 s23, s23, exec_lo
	s_and_b32 s25, s26, exec_lo
	s_or_b32 s23, s23, s25
.LBB88_117:                             ;   in Loop: Header=BB88_6 Depth=1
	s_or_b32 exec_lo, exec_lo, s24
	s_mov_b32 s24, 0
	s_mov_b32 s25, -1
.LBB88_118:                             ;   in Loop: Header=BB88_6 Depth=1
	s_or_not1_b32 s29, s23, exec_lo
.LBB88_119:                             ;   in Loop: Header=BB88_6 Depth=1
	s_or_b32 exec_lo, exec_lo, s15
	s_mov_b32 s26, 0
	s_mov_b32 s23, 0
	;; [unrolled: 1-line block ×3, first 2 shown]
                                        ; implicit-def: $vgpr38
                                        ; implicit-def: $vgpr4
	s_and_saveexec_b32 s27, s29
	s_cbranch_execz .LBB88_255
; %bb.120:                              ;   in Loop: Header=BB88_6 Depth=1
	v_dual_mov_b32 v38, 1 :: v_dual_mov_b32 v4, 1
	s_xor_b32 s23, s28, -1
	s_mov_b32 s30, 0
	s_and_saveexec_b32 s15, s23
	s_cbranch_execz .LBB88_129
; %bb.121:                              ;   in Loop: Header=BB88_6 Depth=1
	s_mov_b32 s23, exec_lo
	v_cmpx_ge_u32_e64 s17, v37
	s_xor_b32 s23, exec_lo, s23
	s_cbranch_execz .LBB88_126
; %bb.122:                              ;   in Loop: Header=BB88_6 Depth=1
	ds_load_b32 v2, v13 offset:4096
	v_and_b32_e32 v5, s19, v5
	v_or_b32_e32 v12, s18, v12
	s_wait_dscnt 0x0
	v_cmp_ne_u32_e32 vcc_lo, 0, v2
	s_cbranch_vccnz .LBB88_126
; %bb.123:                              ;   in Loop: Header=BB88_6 Depth=1
	s_and_saveexec_b32 s28, s5
; %bb.124:                              ;   in Loop: Header=BB88_6 Depth=1
	v_mov_b32_e32 v2, s17
	ds_store_b32 v13, v2 offset:4100
; %bb.125:                              ;   in Loop: Header=BB88_6 Depth=1
	s_or_b32 exec_lo, exec_lo, s28
	s_wait_dscnt 0x0
	s_barrier_signal -1
	s_barrier_wait -1
.LBB88_126:                             ;   in Loop: Header=BB88_6 Depth=1
	s_or_saveexec_b32 s23, s23
	v_dual_mov_b32 v4, 8 :: v_dual_mov_b32 v38, v37
	s_mov_b32 s28, 0
	s_xor_b32 exec_lo, exec_lo, s23
; %bb.127:                              ;   in Loop: Header=BB88_6 Depth=1
	v_subrev_nc_u32_e32 v38, s17, v37
	v_mov_b32_e32 v4, 0
	s_mov_b32 s28, exec_lo
; %bb.128:                              ;   in Loop: Header=BB88_6 Depth=1
	s_or_b32 exec_lo, exec_lo, s23
	s_delay_alu instid0(SALU_CYCLE_1)
	s_and_b32 s30, s28, exec_lo
.LBB88_129:                             ;   in Loop: Header=BB88_6 Depth=1
	s_or_b32 exec_lo, exec_lo, s15
	s_mov_b32 s29, -1
                                        ; implicit-def: $sgpr23
                                        ; implicit-def: $sgpr28
	s_and_saveexec_b32 s15, s30
	s_delay_alu instid0(SALU_CYCLE_1)
	s_xor_b32 s15, exec_lo, s15
	s_cbranch_execz .LBB88_252
; %bb.130:                              ;   in Loop: Header=BB88_6 Depth=1
	v_cmp_eq_u32_e32 vcc_lo, 1, v38
	s_cmp_eq_u32 s20, 1
	s_mov_b32 s31, -1
	s_cselect_b32 s23, -1, 0
                                        ; implicit-def: $sgpr28
	s_delay_alu instid0(SALU_CYCLE_1) | instskip(NEXT) | instid1(SALU_CYCLE_1)
	s_and_b32 s30, s23, vcc_lo
                                        ; implicit-def: $sgpr23
	s_and_saveexec_b32 s29, s30
	s_cbranch_execz .LBB88_158
; %bb.131:                              ;   in Loop: Header=BB88_6 Depth=1
	ds_load_b32 v2, v13 offset:4096
	s_wait_dscnt 0x0
	s_barrier_signal -1
	s_barrier_wait -1
	v_readfirstlane_b32 s33, v2
	s_and_saveexec_b32 s23, s6
; %bb.132:                              ;   in Loop: Header=BB88_6 Depth=1
	ds_store_b32 v22, v13
; %bb.133:                              ;   in Loop: Header=BB88_6 Depth=1
	s_or_b32 exec_lo, exec_lo, s23
	s_lshl_b32 s23, 1, s44
	v_or_b32_e32 v12, s18, v12
	v_and_or_b32 v5, v5, s19, s23
	s_mov_b32 s23, -1
	s_mov_b32 s28, 0
	s_cmp_eq_u32 s33, 0
	s_mov_b32 s31, 0
	s_mov_b32 s34, -1
	s_wait_dscnt 0x0
	s_barrier_signal -1
	s_barrier_wait -1
                                        ; implicit-def: $vgpr3
	s_cbranch_scc1 .LBB88_145
; %bb.134:                              ;   in Loop: Header=BB88_6 Depth=1
	s_add_co_i32 s38, s33, s76
                                        ; implicit-def: $vgpr3
	s_delay_alu instid0(SALU_CYCLE_1) | instskip(NEXT) | instid1(SALU_CYCLE_1)
	s_mul_u64 s[56:57], s[38:39], s[64:65]
	s_mul_i32 s31, s57, s47
	s_delay_alu instid0(SALU_CYCLE_1) | instskip(NEXT) | instid1(SALU_CYCLE_1)
	s_sub_co_i32 s31, s38, s31
	s_sub_co_i32 s34, s31, s47
	s_cmp_ge_u32 s31, s47
	s_cselect_b32 s31, s34, s31
	s_delay_alu instid0(SALU_CYCLE_1)
	s_sub_co_i32 s34, s31, s47
	s_cmp_ge_u32 s31, s47
	s_cselect_b32 s31, s34, s31
	s_mov_b32 s34, 0
	s_sub_co_i32 s45, s38, s31
	s_mov_b32 s31, 0
	s_mov_b32 s38, exec_lo
	v_cmpx_gt_u32_e64 s45, v0
	s_cbranch_execz .LBB88_144
; %bb.135:                              ;   in Loop: Header=BB88_6 Depth=1
	v_dual_mov_b32 v20, v1 :: v_dual_mov_b32 v39, v0
                                        ; implicit-def: $sgpr46
	s_branch .LBB88_139
.LBB88_136:                             ;   in Loop: Header=BB88_139 Depth=2
	s_or_b32 exec_lo, exec_lo, s68
	s_wait_dscnt 0x0
	s_barrier_signal -1
	s_barrier_wait -1
	ds_load_b64 v[2:3], v13 offset:3072
	s_wait_dscnt 0x0
	s_barrier_signal -1
	s_barrier_wait -1
	v_cmp_neq_f32_e32 vcc_lo, 0, v2
	s_cbranch_vccnz .LBB88_142
; %bb.137:                              ;   in Loop: Header=BB88_139 Depth=2
	v_dual_add_nc_u32 v39, s47, v39 :: v_dual_add_nc_u32 v20, s73, v20
	s_mov_b32 s56, 0
	s_delay_alu instid0(VALU_DEP_1)
	v_cmp_le_u32_e32 vcc_lo, s45, v39
	s_or_not1_b32 s57, vcc_lo, exec_lo
.LBB88_138:                             ;   in Loop: Header=BB88_139 Depth=2
	s_delay_alu instid0(SALU_CYCLE_1) | instskip(NEXT) | instid1(SALU_CYCLE_1)
	s_and_b32 s57, exec_lo, s57
	s_or_b32 s31, s57, s31
	s_and_not1_b32 s46, s46, exec_lo
	s_and_b32 s56, s56, exec_lo
	s_delay_alu instid0(SALU_CYCLE_1)
	s_or_b32 s46, s46, s56
	s_and_not1_b32 exec_lo, exec_lo, s31
	s_cbranch_execz .LBB88_143
.LBB88_139:                             ;   Parent Loop BB88_6 Depth=1
                                        ; =>  This Inner Loop Header: Depth=2
	s_mov_b32 s68, exec_lo
	s_delay_alu instid0(VALU_DEP_1)
	v_cmpx_gt_u32_e64 s33, v39
	s_cbranch_execz .LBB88_136
; %bb.140:                              ;   in Loop: Header=BB88_139 Depth=2
	ds_load_b32 v19, v20
	s_wait_dscnt 0x0
	v_cmp_lt_i32_e32 vcc_lo, -1, v19
	v_cndmask_b32_e64 v2, -1, 0x80000000, vcc_lo
	v_cmp_o_f32_e32 vcc_lo, v19, v19
	s_delay_alu instid0(VALU_DEP_2) | instskip(NEXT) | instid1(VALU_DEP_1)
	v_xor_b32_e32 v2, v2, v19
	v_cndmask_b32_e32 v2, -1, v2, vcc_lo
	s_delay_alu instid0(VALU_DEP_1) | instskip(NEXT) | instid1(VALU_DEP_1)
	v_and_b32_e32 v2, v2, v12
	v_cmp_eq_u32_e32 vcc_lo, v2, v5
	s_and_b32 exec_lo, exec_lo, vcc_lo
	s_cbranch_execz .LBB88_136
; %bb.141:                              ;   in Loop: Header=BB88_139 Depth=2
	ds_store_b64 v13, v[18:19] offset:3072
	s_branch .LBB88_136
.LBB88_142:                             ;   in Loop: Header=BB88_139 Depth=2
	s_mov_b32 s57, -1
	s_mov_b32 s56, -1
                                        ; implicit-def: $vgpr39
                                        ; implicit-def: $vgpr20
	s_branch .LBB88_138
.LBB88_143:                             ;   in Loop: Header=BB88_6 Depth=1
	s_or_b32 exec_lo, exec_lo, s31
	s_delay_alu instid0(SALU_CYCLE_1)
	s_and_b32 s31, s46, exec_lo
.LBB88_144:                             ;   in Loop: Header=BB88_6 Depth=1
	s_or_b32 exec_lo, exec_lo, s38
.LBB88_145:                             ;   in Loop: Header=BB88_6 Depth=1
	s_delay_alu instid0(SALU_CYCLE_1)
	s_and_b32 vcc_lo, exec_lo, s34
	s_cbranch_vccz .LBB88_157
; %bb.146:                              ;   in Loop: Header=BB88_6 Depth=1
                                        ; implicit-def: $vgpr3
	s_and_saveexec_b32 s23, s13
	s_cbranch_execz .LBB88_156
; %bb.147:                              ;   in Loop: Header=BB88_6 Depth=1
	v_dual_mov_b32 v20, v14 :: v_dual_mov_b32 v39, v0
	s_mov_b32 s28, 0
                                        ; implicit-def: $sgpr33
	s_branch .LBB88_151
.LBB88_148:                             ;   in Loop: Header=BB88_151 Depth=2
	s_or_b32 exec_lo, exec_lo, s34
	s_wait_dscnt 0x0
	s_barrier_signal -1
	s_barrier_wait -1
	ds_load_b64 v[2:3], v13 offset:3072
	s_wait_dscnt 0x0
	s_barrier_signal -1
	s_barrier_wait -1
	v_cmp_eq_f32_e32 vcc_lo, 0, v2
	s_cbranch_vccz .LBB88_154
; %bb.149:                              ;   in Loop: Header=BB88_151 Depth=2
	v_dual_add_nc_u32 v39, s47, v39 :: v_dual_add_nc_u32 v20, s51, v20
	s_mov_b32 s34, 0
	s_delay_alu instid0(VALU_DEP_1)
	v_cmp_le_u32_e32 vcc_lo, s87, v39
	s_or_not1_b32 s38, vcc_lo, exec_lo
.LBB88_150:                             ;   in Loop: Header=BB88_151 Depth=2
	s_delay_alu instid0(SALU_CYCLE_1) | instskip(NEXT) | instid1(SALU_CYCLE_1)
	s_and_b32 s38, exec_lo, s38
	s_or_b32 s28, s38, s28
	s_and_not1_b32 s33, s33, exec_lo
	s_and_b32 s34, s34, exec_lo
	s_delay_alu instid0(SALU_CYCLE_1)
	s_or_b32 s33, s33, s34
	s_and_not1_b32 exec_lo, exec_lo, s28
	s_cbranch_execz .LBB88_155
.LBB88_151:                             ;   Parent Loop BB88_6 Depth=1
                                        ; =>  This Inner Loop Header: Depth=2
	s_mov_b32 s34, exec_lo
	s_delay_alu instid0(VALU_DEP_1)
	v_cmpx_gt_u32_e64 s36, v39
	s_cbranch_execz .LBB88_148
; %bb.152:                              ;   in Loop: Header=BB88_151 Depth=2
	v_readfirstlane_b32 s56, v6
	v_readfirstlane_b32 s57, v7
	global_load_b32 v19, v20, s[56:57] scale_offset
	s_wait_loadcnt 0x0
	v_cmp_lt_i32_e32 vcc_lo, -1, v19
	v_cndmask_b32_e64 v2, -1, 0x80000000, vcc_lo
	v_cmp_o_f32_e32 vcc_lo, v19, v19
	s_delay_alu instid0(VALU_DEP_2) | instskip(NEXT) | instid1(VALU_DEP_1)
	v_xor_b32_e32 v2, v2, v19
	v_cndmask_b32_e32 v2, -1, v2, vcc_lo
	s_delay_alu instid0(VALU_DEP_1) | instskip(NEXT) | instid1(VALU_DEP_1)
	v_and_b32_e32 v2, v2, v12
	v_cmp_eq_u32_e32 vcc_lo, v2, v5
	s_and_b32 exec_lo, exec_lo, vcc_lo
	s_cbranch_execz .LBB88_148
; %bb.153:                              ;   in Loop: Header=BB88_151 Depth=2
	ds_store_b64 v13, v[18:19] offset:3072
	s_branch .LBB88_148
.LBB88_154:                             ;   in Loop: Header=BB88_151 Depth=2
	s_mov_b32 s38, -1
	s_mov_b32 s34, -1
                                        ; implicit-def: $vgpr39
                                        ; implicit-def: $vgpr20
	s_branch .LBB88_150
.LBB88_155:                             ;   in Loop: Header=BB88_6 Depth=1
	s_or_b32 exec_lo, exec_lo, s28
	s_delay_alu instid0(SALU_CYCLE_1) | instskip(SKIP_1) | instid1(SALU_CYCLE_1)
	s_and_not1_b32 s28, s31, exec_lo
	s_and_b32 s31, s33, exec_lo
	s_or_b32 s31, s28, s31
.LBB88_156:                             ;   in Loop: Header=BB88_6 Depth=1
	s_or_b32 exec_lo, exec_lo, s23
	s_mov_b32 s23, 0
	s_mov_b32 s28, -1
.LBB88_157:                             ;   in Loop: Header=BB88_6 Depth=1
	s_or_not1_b32 s31, s31, exec_lo
.LBB88_158:                             ;   in Loop: Header=BB88_6 Depth=1
	s_or_b32 exec_lo, exec_lo, s29
	s_mov_b32 s33, 0
	s_and_saveexec_b32 s29, s31
	s_cbranch_execz .LBB88_251
; %bb.159:                              ;   in Loop: Header=BB88_6 Depth=1
	v_dual_mov_b32 v20, 1 :: v_dual_mov_b32 v4, 1
	s_xor_b32 s31, s30, -1
	s_mov_b32 s38, 0
	s_and_saveexec_b32 s30, s31
	s_cbranch_execz .LBB88_168
; %bb.160:                              ;   in Loop: Header=BB88_6 Depth=1
	s_mov_b32 s31, exec_lo
	v_cmpx_ge_u32_e64 s20, v38
	s_xor_b32 s31, exec_lo, s31
	s_cbranch_execz .LBB88_165
; %bb.161:                              ;   in Loop: Header=BB88_6 Depth=1
	ds_load_b32 v2, v13 offset:4096
	s_lshl_b32 s33, 1, s44
	v_or_b32_e32 v12, s18, v12
	v_and_or_b32 v5, v5, s19, s33
	s_wait_dscnt 0x0
	v_cmp_ne_u32_e32 vcc_lo, 0, v2
	s_cbranch_vccnz .LBB88_165
; %bb.162:                              ;   in Loop: Header=BB88_6 Depth=1
	s_and_saveexec_b32 s33, s5
; %bb.163:                              ;   in Loop: Header=BB88_6 Depth=1
	v_mov_b32_e32 v2, s20
	ds_store_b32 v13, v2 offset:4100
; %bb.164:                              ;   in Loop: Header=BB88_6 Depth=1
	s_or_b32 exec_lo, exec_lo, s33
	s_wait_dscnt 0x0
	s_barrier_signal -1
	s_barrier_wait -1
.LBB88_165:                             ;   in Loop: Header=BB88_6 Depth=1
	s_or_saveexec_b32 s31, s31
	v_mov_b32_e32 v4, 8
	s_mov_b32 s33, 0
	s_xor_b32 exec_lo, exec_lo, s31
; %bb.166:                              ;   in Loop: Header=BB88_6 Depth=1
	v_subrev_nc_u32_e32 v38, s20, v38
	v_mov_b32_e32 v4, 0
	s_mov_b32 s33, exec_lo
; %bb.167:                              ;   in Loop: Header=BB88_6 Depth=1
	s_or_b32 exec_lo, exec_lo, s31
	s_delay_alu instid0(VALU_DEP_2)
	v_mov_b32_e32 v20, v38
	s_and_b32 s38, s33, exec_lo
.LBB88_168:                             ;   in Loop: Header=BB88_6 Depth=1
	s_or_b32 exec_lo, exec_lo, s30
	s_mov_b32 s34, -1
                                        ; implicit-def: $sgpr31
                                        ; implicit-def: $sgpr33
	s_and_saveexec_b32 s30, s38
	s_cbranch_execz .LBB88_250
; %bb.169:                              ;   in Loop: Header=BB88_6 Depth=1
	v_cmp_eq_u32_e32 vcc_lo, 1, v20
	s_cmp_eq_u32 s21, 1
	s_mov_b32 s38, -1
	s_cselect_b32 s31, -1, 0
                                        ; implicit-def: $sgpr33
	s_delay_alu instid0(SALU_CYCLE_1) | instskip(NEXT) | instid1(SALU_CYCLE_1)
	s_and_b32 s68, s31, vcc_lo
                                        ; implicit-def: $sgpr31
	s_and_saveexec_b32 s34, s68
	s_cbranch_execz .LBB88_197
; %bb.170:                              ;   in Loop: Header=BB88_6 Depth=1
	ds_load_b32 v2, v13 offset:4096
	s_wait_dscnt 0x0
	s_barrier_signal -1
	s_barrier_wait -1
	v_readfirstlane_b32 s45, v2
	s_and_saveexec_b32 s31, s6
; %bb.171:                              ;   in Loop: Header=BB88_6 Depth=1
	ds_store_b32 v22, v13
; %bb.172:                              ;   in Loop: Header=BB88_6 Depth=1
	s_or_b32 exec_lo, exec_lo, s31
	s_lshl_b32 s31, 2, s44
	v_or_b32_e32 v12, s18, v12
	v_and_or_b32 v5, v5, s19, s31
	s_mov_b32 s31, -1
	s_mov_b32 s33, 0
	s_cmp_eq_u32 s45, 0
	s_mov_b32 s38, 0
	s_mov_b32 s46, -1
	s_wait_dscnt 0x0
	s_barrier_signal -1
	s_barrier_wait -1
                                        ; implicit-def: $vgpr3
	s_cbranch_scc1 .LBB88_184
; %bb.173:                              ;   in Loop: Header=BB88_6 Depth=1
	s_add_co_i32 s38, s45, s76
	s_mov_b32 s69, exec_lo
	s_mul_u64 s[56:57], s[38:39], s[64:65]
                                        ; implicit-def: $vgpr3
	s_delay_alu instid0(SALU_CYCLE_1) | instskip(NEXT) | instid1(SALU_CYCLE_1)
	s_mul_i32 s46, s57, s47
	s_sub_co_i32 s46, s38, s46
	s_delay_alu instid0(SALU_CYCLE_1) | instskip(SKIP_2) | instid1(SALU_CYCLE_1)
	s_sub_co_i32 s56, s46, s47
	s_cmp_ge_u32 s46, s47
	s_cselect_b32 s46, s56, s46
	s_sub_co_i32 s56, s46, s47
	s_cmp_ge_u32 s46, s47
	s_cselect_b32 s46, s56, s46
	s_delay_alu instid0(SALU_CYCLE_1)
	s_sub_co_i32 s70, s38, s46
	s_mov_b32 s46, 0
	s_mov_b32 s38, 0
	v_cmpx_gt_u32_e64 s70, v0
	s_cbranch_execz .LBB88_183
; %bb.174:                              ;   in Loop: Header=BB88_6 Depth=1
	v_dual_mov_b32 v38, v1 :: v_dual_mov_b32 v39, v0
                                        ; implicit-def: $sgpr71
	s_branch .LBB88_178
.LBB88_175:                             ;   in Loop: Header=BB88_178 Depth=2
	s_or_b32 exec_lo, exec_lo, s90
	s_wait_dscnt 0x0
	s_barrier_signal -1
	s_barrier_wait -1
	ds_load_b64 v[2:3], v13 offset:3072
	s_wait_dscnt 0x0
	s_barrier_signal -1
	s_barrier_wait -1
	v_cmp_neq_f32_e32 vcc_lo, 0, v2
	s_cbranch_vccnz .LBB88_181
; %bb.176:                              ;   in Loop: Header=BB88_178 Depth=2
	v_dual_add_nc_u32 v39, s47, v39 :: v_dual_add_nc_u32 v38, s73, v38
	s_mov_b32 s56, 0
	s_delay_alu instid0(VALU_DEP_1)
	v_cmp_le_u32_e32 vcc_lo, s70, v39
	s_or_not1_b32 s57, vcc_lo, exec_lo
.LBB88_177:                             ;   in Loop: Header=BB88_178 Depth=2
	s_delay_alu instid0(SALU_CYCLE_1) | instskip(NEXT) | instid1(SALU_CYCLE_1)
	s_and_b32 s57, exec_lo, s57
	s_or_b32 s38, s57, s38
	s_and_not1_b32 s57, s71, exec_lo
	s_and_b32 s56, s56, exec_lo
	s_delay_alu instid0(SALU_CYCLE_1)
	s_or_b32 s71, s57, s56
	s_and_not1_b32 exec_lo, exec_lo, s38
	s_cbranch_execz .LBB88_182
.LBB88_178:                             ;   Parent Loop BB88_6 Depth=1
                                        ; =>  This Inner Loop Header: Depth=2
	s_mov_b32 s90, exec_lo
	s_delay_alu instid0(VALU_DEP_1)
	v_cmpx_gt_u32_e64 s45, v39
	s_cbranch_execz .LBB88_175
; %bb.179:                              ;   in Loop: Header=BB88_178 Depth=2
	ds_load_b32 v19, v38
	s_wait_dscnt 0x0
	v_cmp_lt_i32_e32 vcc_lo, -1, v19
	v_cndmask_b32_e64 v2, -1, 0x80000000, vcc_lo
	v_cmp_o_f32_e32 vcc_lo, v19, v19
	s_delay_alu instid0(VALU_DEP_2) | instskip(NEXT) | instid1(VALU_DEP_1)
	v_xor_b32_e32 v2, v2, v19
	v_cndmask_b32_e32 v2, -1, v2, vcc_lo
	s_delay_alu instid0(VALU_DEP_1) | instskip(NEXT) | instid1(VALU_DEP_1)
	v_and_b32_e32 v2, v2, v12
	v_cmp_eq_u32_e32 vcc_lo, v2, v5
	s_and_b32 exec_lo, exec_lo, vcc_lo
	s_cbranch_execz .LBB88_175
; %bb.180:                              ;   in Loop: Header=BB88_178 Depth=2
	ds_store_b64 v13, v[18:19] offset:3072
	s_branch .LBB88_175
.LBB88_181:                             ;   in Loop: Header=BB88_178 Depth=2
	s_mov_b32 s57, -1
	s_mov_b32 s56, -1
                                        ; implicit-def: $vgpr39
                                        ; implicit-def: $vgpr38
	s_branch .LBB88_177
.LBB88_182:                             ;   in Loop: Header=BB88_6 Depth=1
	s_or_b32 exec_lo, exec_lo, s38
	s_delay_alu instid0(SALU_CYCLE_1)
	s_and_b32 s38, s71, exec_lo
.LBB88_183:                             ;   in Loop: Header=BB88_6 Depth=1
	s_or_b32 exec_lo, exec_lo, s69
.LBB88_184:                             ;   in Loop: Header=BB88_6 Depth=1
	s_delay_alu instid0(SALU_CYCLE_1)
	s_and_b32 vcc_lo, exec_lo, s46
	s_cbranch_vccz .LBB88_196
; %bb.185:                              ;   in Loop: Header=BB88_6 Depth=1
                                        ; implicit-def: $vgpr3
	s_and_saveexec_b32 s31, s13
	s_cbranch_execz .LBB88_195
; %bb.186:                              ;   in Loop: Header=BB88_6 Depth=1
	v_dual_mov_b32 v38, v14 :: v_dual_mov_b32 v39, v0
	s_mov_b32 s33, 0
                                        ; implicit-def: $sgpr45
	s_branch .LBB88_190
.LBB88_187:                             ;   in Loop: Header=BB88_190 Depth=2
	s_or_b32 exec_lo, exec_lo, s46
	s_wait_dscnt 0x0
	s_barrier_signal -1
	s_barrier_wait -1
	ds_load_b64 v[2:3], v13 offset:3072
	s_wait_dscnt 0x0
	s_barrier_signal -1
	s_barrier_wait -1
	v_cmp_eq_f32_e32 vcc_lo, 0, v2
	s_cbranch_vccz .LBB88_193
; %bb.188:                              ;   in Loop: Header=BB88_190 Depth=2
	v_dual_add_nc_u32 v39, s47, v39 :: v_dual_add_nc_u32 v38, s51, v38
	s_mov_b32 s46, 0
	s_delay_alu instid0(VALU_DEP_1)
	v_cmp_le_u32_e32 vcc_lo, s87, v39
	s_or_not1_b32 s56, vcc_lo, exec_lo
.LBB88_189:                             ;   in Loop: Header=BB88_190 Depth=2
	s_delay_alu instid0(SALU_CYCLE_1) | instskip(NEXT) | instid1(SALU_CYCLE_1)
	s_and_b32 s56, exec_lo, s56
	s_or_b32 s33, s56, s33
	s_and_not1_b32 s45, s45, exec_lo
	s_and_b32 s46, s46, exec_lo
	s_delay_alu instid0(SALU_CYCLE_1)
	s_or_b32 s45, s45, s46
	s_and_not1_b32 exec_lo, exec_lo, s33
	s_cbranch_execz .LBB88_194
.LBB88_190:                             ;   Parent Loop BB88_6 Depth=1
                                        ; =>  This Inner Loop Header: Depth=2
	s_mov_b32 s46, exec_lo
	s_delay_alu instid0(VALU_DEP_1)
	v_cmpx_gt_u32_e64 s36, v39
	s_cbranch_execz .LBB88_187
; %bb.191:                              ;   in Loop: Header=BB88_190 Depth=2
	v_readfirstlane_b32 s56, v6
	v_readfirstlane_b32 s57, v7
	global_load_b32 v19, v38, s[56:57] scale_offset
	s_wait_loadcnt 0x0
	v_cmp_lt_i32_e32 vcc_lo, -1, v19
	v_cndmask_b32_e64 v2, -1, 0x80000000, vcc_lo
	v_cmp_o_f32_e32 vcc_lo, v19, v19
	s_delay_alu instid0(VALU_DEP_2) | instskip(NEXT) | instid1(VALU_DEP_1)
	v_xor_b32_e32 v2, v2, v19
	v_cndmask_b32_e32 v2, -1, v2, vcc_lo
	s_delay_alu instid0(VALU_DEP_1) | instskip(NEXT) | instid1(VALU_DEP_1)
	v_and_b32_e32 v2, v2, v12
	v_cmp_eq_u32_e32 vcc_lo, v2, v5
	s_and_b32 exec_lo, exec_lo, vcc_lo
	s_cbranch_execz .LBB88_187
; %bb.192:                              ;   in Loop: Header=BB88_190 Depth=2
	ds_store_b64 v13, v[18:19] offset:3072
	s_branch .LBB88_187
.LBB88_193:                             ;   in Loop: Header=BB88_190 Depth=2
	s_mov_b32 s56, -1
	s_mov_b32 s46, -1
                                        ; implicit-def: $vgpr39
                                        ; implicit-def: $vgpr38
	s_branch .LBB88_189
.LBB88_194:                             ;   in Loop: Header=BB88_6 Depth=1
	s_or_b32 exec_lo, exec_lo, s33
	s_delay_alu instid0(SALU_CYCLE_1) | instskip(SKIP_1) | instid1(SALU_CYCLE_1)
	s_and_not1_b32 s33, s38, exec_lo
	s_and_b32 s38, s45, exec_lo
	s_or_b32 s38, s33, s38
.LBB88_195:                             ;   in Loop: Header=BB88_6 Depth=1
	s_or_b32 exec_lo, exec_lo, s31
	s_mov_b32 s31, 0
	s_mov_b32 s33, -1
.LBB88_196:                             ;   in Loop: Header=BB88_6 Depth=1
	s_or_not1_b32 s38, s38, exec_lo
.LBB88_197:                             ;   in Loop: Header=BB88_6 Depth=1
	s_or_b32 exec_lo, exec_lo, s34
	s_mov_b32 s45, 0
	s_and_saveexec_b32 s34, s38
	s_cbranch_execz .LBB88_249
; %bb.198:                              ;   in Loop: Header=BB88_6 Depth=1
	v_dual_mov_b32 v38, 1 :: v_dual_mov_b32 v4, 1
	s_xor_b32 s45, s68, -1
	s_mov_b32 s69, 0
	s_and_saveexec_b32 s38, s45
	s_cbranch_execz .LBB88_207
; %bb.199:                              ;   in Loop: Header=BB88_6 Depth=1
	s_mov_b32 s45, exec_lo
	v_cmpx_ge_u32_e64 s21, v20
	s_xor_b32 s45, exec_lo, s45
	s_cbranch_execz .LBB88_204
; %bb.200:                              ;   in Loop: Header=BB88_6 Depth=1
	ds_load_b32 v2, v13 offset:4096
	s_lshl_b32 s46, 2, s44
	v_or_b32_e32 v12, s18, v12
	v_and_or_b32 v5, v5, s19, s46
	s_wait_dscnt 0x0
	v_cmp_ne_u32_e32 vcc_lo, 0, v2
	s_cbranch_vccnz .LBB88_204
; %bb.201:                              ;   in Loop: Header=BB88_6 Depth=1
	s_and_saveexec_b32 s46, s5
; %bb.202:                              ;   in Loop: Header=BB88_6 Depth=1
	v_mov_b32_e32 v2, s21
	ds_store_b32 v13, v2 offset:4100
; %bb.203:                              ;   in Loop: Header=BB88_6 Depth=1
	s_or_b32 exec_lo, exec_lo, s46
	s_wait_dscnt 0x0
	s_barrier_signal -1
	s_barrier_wait -1
.LBB88_204:                             ;   in Loop: Header=BB88_6 Depth=1
	s_or_saveexec_b32 s45, s45
	v_mov_b32_e32 v4, 8
	s_mov_b32 s46, 0
	s_xor_b32 exec_lo, exec_lo, s45
; %bb.205:                              ;   in Loop: Header=BB88_6 Depth=1
	v_subrev_nc_u32_e32 v20, s21, v20
	v_mov_b32_e32 v4, 0
	s_mov_b32 s46, exec_lo
; %bb.206:                              ;   in Loop: Header=BB88_6 Depth=1
	s_or_b32 exec_lo, exec_lo, s45
	s_delay_alu instid0(VALU_DEP_2)
	v_mov_b32_e32 v38, v20
	s_and_b32 s69, s46, exec_lo
.LBB88_207:                             ;   in Loop: Header=BB88_6 Depth=1
	s_or_b32 exec_lo, exec_lo, s38
	s_mov_b32 s38, -1
                                        ; implicit-def: $sgpr46
                                        ; implicit-def: $sgpr45
	s_and_saveexec_b32 s68, s69
	s_cbranch_execz .LBB88_248
; %bb.208:                              ;   in Loop: Header=BB88_6 Depth=1
	v_cmp_eq_u32_e32 vcc_lo, 1, v38
	s_cmp_eq_u32 s22, 1
	s_mov_b32 s71, -1
	s_cselect_b32 s38, -1, 0
                                        ; implicit-def: $sgpr46
                                        ; implicit-def: $sgpr45
	s_delay_alu instid0(SALU_CYCLE_1) | instskip(NEXT) | instid1(SALU_CYCLE_1)
	s_and_b32 s69, s38, vcc_lo
	s_and_saveexec_b32 s70, s69
	s_cbranch_execz .LBB88_236
; %bb.209:                              ;   in Loop: Header=BB88_6 Depth=1
	ds_load_b32 v2, v13 offset:4096
	s_wait_dscnt 0x0
	s_barrier_signal -1
	s_barrier_wait -1
	v_readfirstlane_b32 s71, v2
	s_and_saveexec_b32 s38, s6
; %bb.210:                              ;   in Loop: Header=BB88_6 Depth=1
	ds_store_b32 v22, v13
; %bb.211:                              ;   in Loop: Header=BB88_6 Depth=1
	s_or_b32 exec_lo, exec_lo, s38
	v_or_b32_e32 v5, s18, v5
	v_or_b32_e32 v12, s18, v12
	s_mov_b32 s45, -1
	s_mov_b32 s46, 0
	s_cmp_eq_u32 s71, 0
	s_mov_b32 s38, 0
	s_mov_b32 s90, -1
	s_wait_dscnt 0x0
	s_barrier_signal -1
	s_barrier_wait -1
                                        ; implicit-def: $vgpr3
	s_cbranch_scc1 .LBB88_223
; %bb.212:                              ;   in Loop: Header=BB88_6 Depth=1
	s_add_co_i32 s38, s71, s76
	s_mov_b32 s90, 0
	s_mul_u64 s[56:57], s[38:39], s[64:65]
	s_mov_b32 s103, exec_lo
	s_mul_i32 s56, s57, s47
                                        ; implicit-def: $vgpr3
	s_delay_alu instid0(SALU_CYCLE_1) | instskip(NEXT) | instid1(SALU_CYCLE_1)
	s_sub_co_i32 s56, s38, s56
	s_sub_co_i32 s57, s56, s47
	s_cmp_ge_u32 s56, s47
	s_cselect_b32 s56, s57, s56
	s_delay_alu instid0(SALU_CYCLE_1) | instskip(SKIP_2) | instid1(SALU_CYCLE_1)
	s_sub_co_i32 s57, s56, s47
	s_cmp_ge_u32 s56, s47
	s_cselect_b32 s56, s57, s56
	s_sub_co_i32 s104, s38, s56
	s_mov_b32 s38, 0
	v_cmpx_gt_u32_e64 s104, v0
	s_cbranch_execz .LBB88_222
; %bb.213:                              ;   in Loop: Header=BB88_6 Depth=1
	v_dual_mov_b32 v20, v1 :: v_dual_mov_b32 v39, v0
                                        ; implicit-def: $vcc_hi
	s_branch .LBB88_217
.LBB88_214:                             ;   in Loop: Header=BB88_217 Depth=2
	s_or_b32 exec_lo, exec_lo, s56
	s_wait_dscnt 0x0
	s_barrier_signal -1
	s_barrier_wait -1
	ds_load_b64 v[2:3], v13 offset:3072
	s_wait_dscnt 0x0
	s_barrier_signal -1
	s_barrier_wait -1
	v_cmp_neq_f32_e32 vcc_lo, 0, v2
	s_cbranch_vccnz .LBB88_220
; %bb.215:                              ;   in Loop: Header=BB88_217 Depth=2
	v_dual_add_nc_u32 v39, s47, v39 :: v_dual_add_nc_u32 v20, s73, v20
	s_mov_b32 s56, 0
	s_delay_alu instid0(VALU_DEP_1)
	v_cmp_le_u32_e32 vcc_lo, s104, v39
	s_or_not1_b32 s57, vcc_lo, exec_lo
.LBB88_216:                             ;   in Loop: Header=BB88_217 Depth=2
	s_delay_alu instid0(SALU_CYCLE_1) | instskip(NEXT) | instid1(SALU_CYCLE_1)
	s_and_b32 s57, exec_lo, s57
	s_or_b32 s38, s57, s38
	s_and_not1_b32 s57, vcc_hi, exec_lo
	s_and_b32 s56, s56, exec_lo
	s_delay_alu instid0(SALU_CYCLE_1)
	s_or_b32 vcc_hi, s57, s56
	s_and_not1_b32 exec_lo, exec_lo, s38
	s_cbranch_execz .LBB88_221
.LBB88_217:                             ;   Parent Loop BB88_6 Depth=1
                                        ; =>  This Inner Loop Header: Depth=2
	s_mov_b32 s56, exec_lo
	s_delay_alu instid0(VALU_DEP_1)
	v_cmpx_gt_u32_e64 s71, v39
	s_cbranch_execz .LBB88_214
; %bb.218:                              ;   in Loop: Header=BB88_217 Depth=2
	ds_load_b32 v19, v20
	s_wait_dscnt 0x0
	v_cmp_lt_i32_e32 vcc_lo, -1, v19
	v_cndmask_b32_e64 v2, -1, 0x80000000, vcc_lo
	v_cmp_o_f32_e32 vcc_lo, v19, v19
	s_delay_alu instid0(VALU_DEP_2) | instskip(NEXT) | instid1(VALU_DEP_1)
	v_xor_b32_e32 v2, v2, v19
	v_cndmask_b32_e32 v2, -1, v2, vcc_lo
	s_delay_alu instid0(VALU_DEP_1) | instskip(NEXT) | instid1(VALU_DEP_1)
	v_and_b32_e32 v2, v2, v12
	v_cmp_eq_u32_e32 vcc_lo, v2, v5
	s_and_b32 exec_lo, exec_lo, vcc_lo
	s_cbranch_execz .LBB88_214
; %bb.219:                              ;   in Loop: Header=BB88_217 Depth=2
	ds_store_b64 v13, v[18:19] offset:3072
	s_branch .LBB88_214
.LBB88_220:                             ;   in Loop: Header=BB88_217 Depth=2
	s_mov_b32 s57, -1
	s_mov_b32 s56, -1
                                        ; implicit-def: $vgpr39
                                        ; implicit-def: $vgpr20
	s_branch .LBB88_216
.LBB88_221:                             ;   in Loop: Header=BB88_6 Depth=1
	s_or_b32 exec_lo, exec_lo, s38
	s_delay_alu instid0(SALU_CYCLE_1)
	s_and_b32 s38, vcc_hi, exec_lo
.LBB88_222:                             ;   in Loop: Header=BB88_6 Depth=1
	s_or_b32 exec_lo, exec_lo, s103
.LBB88_223:                             ;   in Loop: Header=BB88_6 Depth=1
	s_delay_alu instid0(SALU_CYCLE_1)
	s_and_b32 vcc_lo, exec_lo, s90
	s_cbranch_vccz .LBB88_235
; %bb.224:                              ;   in Loop: Header=BB88_6 Depth=1
                                        ; implicit-def: $vgpr3
	s_and_saveexec_b32 s45, s13
	s_cbranch_execz .LBB88_234
; %bb.225:                              ;   in Loop: Header=BB88_6 Depth=1
	v_dual_mov_b32 v20, v14 :: v_dual_mov_b32 v39, v0
	s_mov_b32 s46, 0
                                        ; implicit-def: $sgpr71
	s_branch .LBB88_229
.LBB88_226:                             ;   in Loop: Header=BB88_229 Depth=2
	s_or_b32 exec_lo, exec_lo, s90
	s_wait_dscnt 0x0
	s_barrier_signal -1
	s_barrier_wait -1
	ds_load_b64 v[2:3], v13 offset:3072
	s_wait_dscnt 0x0
	s_barrier_signal -1
	s_barrier_wait -1
	v_cmp_eq_f32_e32 vcc_lo, 0, v2
	s_cbranch_vccz .LBB88_232
; %bb.227:                              ;   in Loop: Header=BB88_229 Depth=2
	v_dual_add_nc_u32 v39, s47, v39 :: v_dual_add_nc_u32 v20, s51, v20
	s_mov_b32 s56, 0
	s_delay_alu instid0(VALU_DEP_1)
	v_cmp_le_u32_e32 vcc_lo, s87, v39
	s_or_not1_b32 s57, vcc_lo, exec_lo
.LBB88_228:                             ;   in Loop: Header=BB88_229 Depth=2
	s_delay_alu instid0(SALU_CYCLE_1) | instskip(NEXT) | instid1(SALU_CYCLE_1)
	s_and_b32 s57, exec_lo, s57
	s_or_b32 s46, s57, s46
	s_and_not1_b32 s57, s71, exec_lo
	s_and_b32 s56, s56, exec_lo
	s_delay_alu instid0(SALU_CYCLE_1)
	s_or_b32 s71, s57, s56
	s_and_not1_b32 exec_lo, exec_lo, s46
	s_cbranch_execz .LBB88_233
.LBB88_229:                             ;   Parent Loop BB88_6 Depth=1
                                        ; =>  This Inner Loop Header: Depth=2
	s_mov_b32 s90, exec_lo
	s_delay_alu instid0(VALU_DEP_1)
	v_cmpx_gt_u32_e64 s36, v39
	s_cbranch_execz .LBB88_226
; %bb.230:                              ;   in Loop: Header=BB88_229 Depth=2
	v_readfirstlane_b32 s56, v6
	v_readfirstlane_b32 s57, v7
	global_load_b32 v19, v20, s[56:57] scale_offset
	s_wait_loadcnt 0x0
	v_cmp_lt_i32_e32 vcc_lo, -1, v19
	v_cndmask_b32_e64 v2, -1, 0x80000000, vcc_lo
	v_cmp_o_f32_e32 vcc_lo, v19, v19
	s_delay_alu instid0(VALU_DEP_2) | instskip(NEXT) | instid1(VALU_DEP_1)
	v_xor_b32_e32 v2, v2, v19
	v_cndmask_b32_e32 v2, -1, v2, vcc_lo
	s_delay_alu instid0(VALU_DEP_1) | instskip(NEXT) | instid1(VALU_DEP_1)
	v_and_b32_e32 v2, v2, v12
	v_cmp_eq_u32_e32 vcc_lo, v2, v5
	s_and_b32 exec_lo, exec_lo, vcc_lo
	s_cbranch_execz .LBB88_226
; %bb.231:                              ;   in Loop: Header=BB88_229 Depth=2
	ds_store_b64 v13, v[18:19] offset:3072
	s_branch .LBB88_226
.LBB88_232:                             ;   in Loop: Header=BB88_229 Depth=2
	s_mov_b32 s57, -1
	s_mov_b32 s56, -1
                                        ; implicit-def: $vgpr39
                                        ; implicit-def: $vgpr20
	s_branch .LBB88_228
.LBB88_233:                             ;   in Loop: Header=BB88_6 Depth=1
	s_or_b32 exec_lo, exec_lo, s46
	s_delay_alu instid0(SALU_CYCLE_1) | instskip(SKIP_1) | instid1(SALU_CYCLE_1)
	s_and_not1_b32 s38, s38, exec_lo
	s_and_b32 s46, s71, exec_lo
	s_or_b32 s38, s38, s46
.LBB88_234:                             ;   in Loop: Header=BB88_6 Depth=1
	s_or_b32 exec_lo, exec_lo, s45
	s_mov_b32 s45, 0
	s_mov_b32 s46, -1
.LBB88_235:                             ;   in Loop: Header=BB88_6 Depth=1
	s_or_not1_b32 s71, s38, exec_lo
.LBB88_236:                             ;   in Loop: Header=BB88_6 Depth=1
	s_or_b32 exec_lo, exec_lo, s70
	s_mov_b32 s56, 0
	s_and_saveexec_b32 s38, s71
	s_cbranch_execz .LBB88_247
; %bb.237:                              ;   in Loop: Header=BB88_6 Depth=1
	v_dual_mov_b32 v4, 1 :: v_dual_mov_b32 v2, 1
	s_xor_b32 s56, s69, -1
	s_delay_alu instid0(SALU_CYCLE_1)
	s_and_saveexec_b32 s69, s56
	s_cbranch_execz .LBB88_246
; %bb.238:                              ;   in Loop: Header=BB88_6 Depth=1
	s_mov_b32 s56, exec_lo
	v_cmpx_ge_u32_e64 s22, v38
	s_xor_b32 s70, exec_lo, s56
	s_cbranch_execz .LBB88_243
; %bb.239:                              ;   in Loop: Header=BB88_6 Depth=1
	ds_load_b32 v2, v13 offset:4096
	v_or_b32_e32 v5, s18, v5
	v_or_b32_e32 v12, s18, v12
	s_wait_dscnt 0x0
	v_cmp_ne_u32_e32 vcc_lo, 0, v2
	s_cbranch_vccnz .LBB88_243
; %bb.240:                              ;   in Loop: Header=BB88_6 Depth=1
	s_and_saveexec_b32 s56, s5
; %bb.241:                              ;   in Loop: Header=BB88_6 Depth=1
	v_mov_b32_e32 v2, s22
	ds_store_b32 v13, v2 offset:4100
; %bb.242:                              ;   in Loop: Header=BB88_6 Depth=1
	s_or_b32 exec_lo, exec_lo, s56
	s_wait_dscnt 0x0
	s_barrier_signal -1
	s_barrier_wait -1
.LBB88_243:                             ;   in Loop: Header=BB88_6 Depth=1
	s_and_not1_saveexec_b32 s56, s70
; %bb.244:                              ;   in Loop: Header=BB88_6 Depth=1
	v_subrev_nc_u32_e32 v38, s22, v38
; %bb.245:                              ;   in Loop: Header=BB88_6 Depth=1
	s_or_b32 exec_lo, exec_lo, s56
	s_delay_alu instid0(VALU_DEP_1)
	v_dual_mov_b32 v4, 8 :: v_dual_mov_b32 v2, v38
.LBB88_246:                             ;   in Loop: Header=BB88_6 Depth=1
	s_or_b32 exec_lo, exec_lo, s69
	s_delay_alu instid0(VALU_DEP_1)
	v_mov_b32_e32 v38, v2
	s_mov_b32 s56, exec_lo
.LBB88_247:                             ;   in Loop: Header=BB88_6 Depth=1
	s_or_b32 exec_lo, exec_lo, s38
	s_delay_alu instid0(SALU_CYCLE_1)
	s_or_not1_b32 s38, s56, exec_lo
.LBB88_248:                             ;   in Loop: Header=BB88_6 Depth=1
	s_or_b32 exec_lo, exec_lo, s68
	v_mov_b32_e32 v20, v38
	s_and_not1_b32 s33, s33, exec_lo
	s_and_b32 s46, s46, exec_lo
	s_and_not1_b32 s31, s31, exec_lo
	s_and_b32 s45, s45, exec_lo
	s_or_b32 s33, s33, s46
	s_or_b32 s31, s31, s45
	s_and_b32 s45, s38, exec_lo
.LBB88_249:                             ;   in Loop: Header=BB88_6 Depth=1
	s_or_b32 exec_lo, exec_lo, s34
	s_delay_alu instid0(SALU_CYCLE_1)
	s_or_not1_b32 s34, s45, exec_lo
.LBB88_250:                             ;   in Loop: Header=BB88_6 Depth=1
	s_or_b32 exec_lo, exec_lo, s30
	v_mov_b32_e32 v38, v20
	s_and_not1_b32 s28, s28, exec_lo
	s_and_b32 s30, s33, exec_lo
	s_and_not1_b32 s23, s23, exec_lo
	s_and_b32 s31, s31, exec_lo
	s_or_b32 s28, s28, s30
	s_or_b32 s23, s23, s31
	s_and_b32 s33, s34, exec_lo
.LBB88_251:                             ;   in Loop: Header=BB88_6 Depth=1
	s_or_b32 exec_lo, exec_lo, s29
	s_delay_alu instid0(SALU_CYCLE_1)
	s_or_not1_b32 s29, s33, exec_lo
.LBB88_252:                             ;   in Loop: Header=BB88_6 Depth=1
	s_or_b32 exec_lo, exec_lo, s15
	s_mov_b32 s30, 0
	s_mov_b32 s31, 0
	s_and_saveexec_b32 s15, s29
	s_delay_alu instid0(SALU_CYCLE_1)
	s_xor_b32 s29, exec_lo, s15
; %bb.253:                              ;   in Loop: Header=BB88_6 Depth=1
	v_cmp_ne_u32_e32 vcc_lo, 8, v4
	v_cmp_eq_u32_e64 s15, 8, v4
	s_and_b32 s31, vcc_lo, exec_lo
	s_and_b32 s30, s15, exec_lo
; %bb.254:                              ;   in Loop: Header=BB88_6 Depth=1
	s_or_b32 exec_lo, exec_lo, s29
	s_delay_alu instid0(SALU_CYCLE_1)
	s_and_not1_b32 s15, s25, exec_lo
	s_and_b32 s25, s28, exec_lo
	s_and_not1_b32 s24, s24, exec_lo
	s_and_b32 s23, s23, exec_lo
	s_or_b32 s25, s15, s25
	s_or_b32 s24, s24, s23
	s_and_b32 s15, s31, exec_lo
	s_and_b32 s23, s30, exec_lo
.LBB88_255:                             ;   in Loop: Header=BB88_6 Depth=1
	s_or_b32 exec_lo, exec_lo, s27
.LBB88_256:                             ;   in Loop: Header=BB88_6 Depth=1
	s_delay_alu instid0(SALU_CYCLE_1)
	s_and_b32 vcc_lo, exec_lo, s26
	s_cbranch_vccz .LBB88_270
; %bb.257:                              ;   in Loop: Header=BB88_6 Depth=1
	s_cmp_eq_u32 s22, 1
	s_mov_b32 s25, -1
	s_cselect_b32 s16, -1, 0
                                        ; implicit-def: $sgpr26
	s_delay_alu instid0(SALU_CYCLE_1) | instskip(NEXT) | instid1(SALU_CYCLE_1)
	s_and_b32 s14, s16, s14
                                        ; implicit-def: $sgpr16
	s_and_saveexec_b32 s24, s14
	s_cbranch_execz .LBB88_286
; %bb.258:                              ;   in Loop: Header=BB88_6 Depth=1
	ds_load_b32 v2, v13 offset:4096
	s_wait_dscnt 0x0
	s_barrier_signal -1
	s_barrier_wait -1
	v_readfirstlane_b32 s27, v2
	s_and_saveexec_b32 s16, s6
; %bb.259:                              ;   in Loop: Header=BB88_6 Depth=1
	ds_store_b32 v22, v13
; %bb.260:                              ;   in Loop: Header=BB88_6 Depth=1
	s_or_b32 exec_lo, exec_lo, s16
	v_or_b32_e32 v27, s18, v27
	v_or_b32_e32 v36, s18, v36
	s_mov_b32 s16, -1
	s_mov_b32 s26, 0
	s_cmp_eq_u32 s27, 0
	s_mov_b32 s25, 0
	s_mov_b32 s28, -1
	s_wait_dscnt 0x0
	s_barrier_signal -1
	s_barrier_wait -1
                                        ; implicit-def: $vgpr21
	s_cbranch_scc1 .LBB88_273
; %bb.261:                              ;   in Loop: Header=BB88_6 Depth=1
	s_add_co_i32 s38, s27, s76
                                        ; implicit-def: $vgpr21
	s_delay_alu instid0(SALU_CYCLE_1) | instskip(NEXT) | instid1(SALU_CYCLE_1)
	s_mul_u64 s[28:29], s[38:39], s[64:65]
	s_mul_i32 s25, s29, s47
	s_mov_b32 s29, exec_lo
	s_sub_co_i32 s25, s38, s25
	s_delay_alu instid0(SALU_CYCLE_1) | instskip(SKIP_2) | instid1(SALU_CYCLE_1)
	s_sub_co_i32 s28, s25, s47
	s_cmp_ge_u32 s25, s47
	s_cselect_b32 s25, s28, s25
	s_sub_co_i32 s28, s25, s47
	s_cmp_ge_u32 s25, s47
	s_cselect_b32 s25, s28, s25
	s_mov_b32 s28, 0
	s_sub_co_i32 s30, s38, s25
	s_mov_b32 s25, 0
	v_cmpx_gt_u32_e64 s30, v0
	s_cbranch_execz .LBB88_272
; %bb.262:                              ;   in Loop: Header=BB88_6 Depth=1
	v_dual_mov_b32 v2, v1 :: v_dual_mov_b32 v3, v0
                                        ; implicit-def: $sgpr31
	s_branch .LBB88_266
.LBB88_263:                             ;   in Loop: Header=BB88_266 Depth=2
	s_or_b32 exec_lo, exec_lo, s33
	s_wait_dscnt 0x0
	s_barrier_signal -1
	s_barrier_wait -1
	ds_load_b64 v[20:21], v13 offset:3072
	s_wait_dscnt 0x0
	s_barrier_signal -1
	s_barrier_wait -1
	v_cmp_neq_f32_e32 vcc_lo, 0, v20
	s_cbranch_vccnz .LBB88_269
; %bb.264:                              ;   in Loop: Header=BB88_266 Depth=2
	v_dual_add_nc_u32 v3, s47, v3 :: v_dual_add_nc_u32 v2, s73, v2
	s_mov_b32 s33, 0
	s_delay_alu instid0(VALU_DEP_1)
	v_cmp_le_u32_e32 vcc_lo, s30, v3
	s_or_not1_b32 s34, vcc_lo, exec_lo
.LBB88_265:                             ;   in Loop: Header=BB88_266 Depth=2
	s_delay_alu instid0(SALU_CYCLE_1) | instskip(NEXT) | instid1(SALU_CYCLE_1)
	s_and_b32 s34, exec_lo, s34
	s_or_b32 s25, s34, s25
	s_and_not1_b32 s31, s31, exec_lo
	s_and_b32 s33, s33, exec_lo
	s_delay_alu instid0(SALU_CYCLE_1)
	s_or_b32 s31, s31, s33
	s_and_not1_b32 exec_lo, exec_lo, s25
	s_cbranch_execz .LBB88_271
.LBB88_266:                             ;   Parent Loop BB88_6 Depth=1
                                        ; =>  This Inner Loop Header: Depth=2
	s_mov_b32 s33, exec_lo
	s_delay_alu instid0(VALU_DEP_1)
	v_cmpx_gt_u32_e64 s27, v3
	s_cbranch_execz .LBB88_263
; %bb.267:                              ;   in Loop: Header=BB88_266 Depth=2
	ds_load_b32 v19, v2
	s_wait_dscnt 0x0
	v_cmp_lt_i32_e32 vcc_lo, -1, v19
	v_cndmask_b32_e64 v4, -1, 0x80000000, vcc_lo
	v_cmp_o_f32_e32 vcc_lo, v19, v19
	s_delay_alu instid0(VALU_DEP_2) | instskip(NEXT) | instid1(VALU_DEP_1)
	v_xor_b32_e32 v4, v4, v19
	v_cndmask_b32_e32 v4, -1, v4, vcc_lo
	s_delay_alu instid0(VALU_DEP_1) | instskip(NEXT) | instid1(VALU_DEP_1)
	v_and_b32_e32 v4, v4, v36
	v_cmp_eq_u32_e32 vcc_lo, v4, v27
	s_and_b32 exec_lo, exec_lo, vcc_lo
	s_cbranch_execz .LBB88_263
; %bb.268:                              ;   in Loop: Header=BB88_266 Depth=2
	ds_store_b64 v13, v[18:19] offset:3072
	s_branch .LBB88_263
.LBB88_269:                             ;   in Loop: Header=BB88_266 Depth=2
	s_mov_b32 s34, -1
	s_mov_b32 s33, -1
                                        ; implicit-def: $vgpr3
                                        ; implicit-def: $vgpr2
	s_branch .LBB88_265
.LBB88_270:                             ;   in Loop: Header=BB88_6 Depth=1
	v_dual_mov_b32 v27, v5 :: v_dual_mov_b32 v36, v12
	v_mov_b32_e32 v21, v3
	s_mov_b32 s26, 0
	s_and_saveexec_b32 s14, s23
	s_cbranch_execnz .LBB88_423
	s_branch .LBB88_424
.LBB88_271:                             ;   in Loop: Header=BB88_6 Depth=1
	s_or_b32 exec_lo, exec_lo, s25
	s_delay_alu instid0(SALU_CYCLE_1)
	s_and_b32 s25, s31, exec_lo
.LBB88_272:                             ;   in Loop: Header=BB88_6 Depth=1
	s_or_b32 exec_lo, exec_lo, s29
.LBB88_273:                             ;   in Loop: Header=BB88_6 Depth=1
	s_delay_alu instid0(SALU_CYCLE_1)
	s_and_b32 vcc_lo, exec_lo, s28
	s_cbranch_vccz .LBB88_285
; %bb.274:                              ;   in Loop: Header=BB88_6 Depth=1
                                        ; implicit-def: $vgpr21
	s_and_saveexec_b32 s16, s13
	s_cbranch_execz .LBB88_284
; %bb.275:                              ;   in Loop: Header=BB88_6 Depth=1
	v_dual_mov_b32 v2, v14 :: v_dual_mov_b32 v3, v0
	s_mov_b32 s26, 0
                                        ; implicit-def: $sgpr27
	s_branch .LBB88_279
.LBB88_276:                             ;   in Loop: Header=BB88_279 Depth=2
	s_or_b32 exec_lo, exec_lo, s28
	s_wait_dscnt 0x0
	s_barrier_signal -1
	s_barrier_wait -1
	ds_load_b64 v[20:21], v13 offset:3072
	s_wait_dscnt 0x0
	s_barrier_signal -1
	s_barrier_wait -1
	v_cmp_neq_f32_e32 vcc_lo, 0, v20
	s_cbranch_vccnz .LBB88_282
; %bb.277:                              ;   in Loop: Header=BB88_279 Depth=2
	v_dual_add_nc_u32 v3, s47, v3 :: v_dual_add_nc_u32 v2, s51, v2
	s_mov_b32 s28, 0
	s_delay_alu instid0(VALU_DEP_1)
	v_cmp_le_u32_e32 vcc_lo, s87, v3
	s_or_not1_b32 s29, vcc_lo, exec_lo
.LBB88_278:                             ;   in Loop: Header=BB88_279 Depth=2
	s_delay_alu instid0(SALU_CYCLE_1) | instskip(NEXT) | instid1(SALU_CYCLE_1)
	s_and_b32 s29, exec_lo, s29
	s_or_b32 s26, s29, s26
	s_and_not1_b32 s27, s27, exec_lo
	s_and_b32 s28, s28, exec_lo
	s_delay_alu instid0(SALU_CYCLE_1)
	s_or_b32 s27, s27, s28
	s_and_not1_b32 exec_lo, exec_lo, s26
	s_cbranch_execz .LBB88_283
.LBB88_279:                             ;   Parent Loop BB88_6 Depth=1
                                        ; =>  This Inner Loop Header: Depth=2
	s_mov_b32 s28, exec_lo
	s_delay_alu instid0(VALU_DEP_1)
	v_cmpx_gt_u32_e64 s36, v3
	s_cbranch_execz .LBB88_276
; %bb.280:                              ;   in Loop: Header=BB88_279 Depth=2
	v_readfirstlane_b32 s30, v6
	v_readfirstlane_b32 s31, v7
	global_load_b32 v19, v2, s[30:31] scale_offset
	s_wait_loadcnt 0x0
	v_cmp_lt_i32_e32 vcc_lo, -1, v19
	v_cndmask_b32_e64 v4, -1, 0x80000000, vcc_lo
	v_cmp_o_f32_e32 vcc_lo, v19, v19
	s_delay_alu instid0(VALU_DEP_2) | instskip(NEXT) | instid1(VALU_DEP_1)
	v_xor_b32_e32 v4, v4, v19
	v_cndmask_b32_e32 v4, -1, v4, vcc_lo
	s_delay_alu instid0(VALU_DEP_1) | instskip(NEXT) | instid1(VALU_DEP_1)
	v_and_b32_e32 v4, v4, v36
	v_cmp_eq_u32_e32 vcc_lo, v4, v27
	s_and_b32 exec_lo, exec_lo, vcc_lo
	s_cbranch_execz .LBB88_276
; %bb.281:                              ;   in Loop: Header=BB88_279 Depth=2
	ds_store_b64 v13, v[18:19] offset:3072
	s_branch .LBB88_276
.LBB88_282:                             ;   in Loop: Header=BB88_279 Depth=2
	s_mov_b32 s29, -1
	s_mov_b32 s28, -1
                                        ; implicit-def: $vgpr3
                                        ; implicit-def: $vgpr2
	s_branch .LBB88_278
.LBB88_283:                             ;   in Loop: Header=BB88_6 Depth=1
	s_or_b32 exec_lo, exec_lo, s26
	s_delay_alu instid0(SALU_CYCLE_1) | instskip(SKIP_1) | instid1(SALU_CYCLE_1)
	s_and_not1_b32 s25, s25, exec_lo
	s_and_b32 s26, s27, exec_lo
	s_or_b32 s25, s25, s26
.LBB88_284:                             ;   in Loop: Header=BB88_6 Depth=1
	s_or_b32 exec_lo, exec_lo, s16
	s_mov_b32 s16, 0
	s_mov_b32 s26, -1
.LBB88_285:                             ;   in Loop: Header=BB88_6 Depth=1
	s_or_not1_b32 s25, s25, exec_lo
.LBB88_286:                             ;   in Loop: Header=BB88_6 Depth=1
	s_or_b32 exec_lo, exec_lo, s24
                                        ; implicit-def: $vgpr38
                                        ; implicit-def: $vgpr4
	s_and_saveexec_b32 s24, s25
	s_cbranch_execz .LBB88_422
; %bb.287:                              ;   in Loop: Header=BB88_6 Depth=1
	v_dual_mov_b32 v38, 1 :: v_dual_mov_b32 v4, 1
	s_xor_b32 s25, s14, -1
	s_mov_b32 s28, 0
	s_and_saveexec_b32 s14, s25
	s_cbranch_execz .LBB88_296
; %bb.288:                              ;   in Loop: Header=BB88_6 Depth=1
	s_mov_b32 s25, exec_lo
	v_cmpx_ge_u32_e64 s22, v37
	s_xor_b32 s25, exec_lo, s25
	s_cbranch_execz .LBB88_293
; %bb.289:                              ;   in Loop: Header=BB88_6 Depth=1
	ds_load_b32 v2, v13 offset:4096
	v_or_b32_e32 v27, s18, v27
	v_or_b32_e32 v36, s18, v36
	s_wait_dscnt 0x0
	v_cmp_ne_u32_e32 vcc_lo, 0, v2
	s_cbranch_vccnz .LBB88_293
; %bb.290:                              ;   in Loop: Header=BB88_6 Depth=1
	s_and_saveexec_b32 s27, s5
; %bb.291:                              ;   in Loop: Header=BB88_6 Depth=1
	v_mov_b32_e32 v2, s22
	ds_store_b32 v13, v2 offset:4100
; %bb.292:                              ;   in Loop: Header=BB88_6 Depth=1
	s_or_b32 exec_lo, exec_lo, s27
	s_wait_dscnt 0x0
	s_barrier_signal -1
	s_barrier_wait -1
.LBB88_293:                             ;   in Loop: Header=BB88_6 Depth=1
	s_or_saveexec_b32 s25, s25
	v_mov_b32_e32 v4, 5
	s_mov_b32 s27, 0
	s_xor_b32 exec_lo, exec_lo, s25
; %bb.294:                              ;   in Loop: Header=BB88_6 Depth=1
	v_subrev_nc_u32_e32 v37, s22, v37
	v_mov_b32_e32 v4, 0
	s_mov_b32 s27, exec_lo
; %bb.295:                              ;   in Loop: Header=BB88_6 Depth=1
	s_or_b32 exec_lo, exec_lo, s25
	s_delay_alu instid0(VALU_DEP_2)
	v_mov_b32_e32 v38, v37
	s_and_b32 s28, s27, exec_lo
.LBB88_296:                             ;   in Loop: Header=BB88_6 Depth=1
	s_or_b32 exec_lo, exec_lo, s14
	s_mov_b32 s27, -1
                                        ; implicit-def: $sgpr22
                                        ; implicit-def: $sgpr25
	s_and_saveexec_b32 s14, s28
	s_delay_alu instid0(SALU_CYCLE_1)
	s_xor_b32 s14, exec_lo, s14
	s_cbranch_execz .LBB88_419
; %bb.297:                              ;   in Loop: Header=BB88_6 Depth=1
	v_cmp_eq_u32_e32 vcc_lo, 1, v38
	s_cmp_eq_u32 s21, 1
	s_mov_b32 s29, -1
	s_cselect_b32 s22, -1, 0
                                        ; implicit-def: $sgpr25
	s_delay_alu instid0(SALU_CYCLE_1) | instskip(NEXT) | instid1(SALU_CYCLE_1)
	s_and_b32 s28, s22, vcc_lo
                                        ; implicit-def: $sgpr22
	s_and_saveexec_b32 s27, s28
	s_cbranch_execz .LBB88_325
; %bb.298:                              ;   in Loop: Header=BB88_6 Depth=1
	ds_load_b32 v2, v13 offset:4096
	s_wait_dscnt 0x0
	s_barrier_signal -1
	s_barrier_wait -1
	v_readfirstlane_b32 s30, v2
	s_and_saveexec_b32 s22, s6
; %bb.299:                              ;   in Loop: Header=BB88_6 Depth=1
	ds_store_b32 v22, v13
; %bb.300:                              ;   in Loop: Header=BB88_6 Depth=1
	s_or_b32 exec_lo, exec_lo, s22
	s_lshl_b32 s22, 2, s44
	v_or_b32_e32 v36, s18, v36
	v_and_or_b32 v27, v27, s19, s22
	s_mov_b32 s22, -1
	s_mov_b32 s25, 0
	s_cmp_eq_u32 s30, 0
	s_mov_b32 s29, 0
	s_mov_b32 s31, -1
	s_wait_dscnt 0x0
	s_barrier_signal -1
	s_barrier_wait -1
                                        ; implicit-def: $vgpr21
	s_cbranch_scc1 .LBB88_312
; %bb.301:                              ;   in Loop: Header=BB88_6 Depth=1
	s_add_co_i32 s38, s30, s76
	s_mov_b32 s33, exec_lo
	s_mul_u64 s[56:57], s[38:39], s[64:65]
                                        ; implicit-def: $vgpr21
	s_delay_alu instid0(SALU_CYCLE_1) | instskip(NEXT) | instid1(SALU_CYCLE_1)
	s_mul_i32 s29, s57, s47
	s_sub_co_i32 s29, s38, s29
	s_delay_alu instid0(SALU_CYCLE_1) | instskip(SKIP_2) | instid1(SALU_CYCLE_1)
	s_sub_co_i32 s31, s29, s47
	s_cmp_ge_u32 s29, s47
	s_cselect_b32 s29, s31, s29
	s_sub_co_i32 s31, s29, s47
	s_cmp_ge_u32 s29, s47
	s_cselect_b32 s29, s31, s29
	s_mov_b32 s31, 0
	s_sub_co_i32 s34, s38, s29
	s_mov_b32 s29, 0
	v_cmpx_gt_u32_e64 s34, v0
	s_cbranch_execz .LBB88_311
; %bb.302:                              ;   in Loop: Header=BB88_6 Depth=1
	v_dual_mov_b32 v2, v1 :: v_dual_mov_b32 v3, v0
                                        ; implicit-def: $sgpr38
	s_branch .LBB88_306
.LBB88_303:                             ;   in Loop: Header=BB88_306 Depth=2
	s_or_b32 exec_lo, exec_lo, s45
	s_wait_dscnt 0x0
	s_barrier_signal -1
	s_barrier_wait -1
	ds_load_b64 v[20:21], v13 offset:3072
	s_wait_dscnt 0x0
	s_barrier_signal -1
	s_barrier_wait -1
	v_cmp_neq_f32_e32 vcc_lo, 0, v20
	s_cbranch_vccnz .LBB88_309
; %bb.304:                              ;   in Loop: Header=BB88_306 Depth=2
	v_dual_add_nc_u32 v3, s47, v3 :: v_dual_add_nc_u32 v2, s73, v2
	s_mov_b32 s45, 0
	s_delay_alu instid0(VALU_DEP_1)
	v_cmp_le_u32_e32 vcc_lo, s34, v3
	s_or_not1_b32 s46, vcc_lo, exec_lo
.LBB88_305:                             ;   in Loop: Header=BB88_306 Depth=2
	s_delay_alu instid0(SALU_CYCLE_1) | instskip(NEXT) | instid1(SALU_CYCLE_1)
	s_and_b32 s46, exec_lo, s46
	s_or_b32 s29, s46, s29
	s_and_not1_b32 s38, s38, exec_lo
	s_and_b32 s45, s45, exec_lo
	s_delay_alu instid0(SALU_CYCLE_1)
	s_or_b32 s38, s38, s45
	s_and_not1_b32 exec_lo, exec_lo, s29
	s_cbranch_execz .LBB88_310
.LBB88_306:                             ;   Parent Loop BB88_6 Depth=1
                                        ; =>  This Inner Loop Header: Depth=2
	s_mov_b32 s45, exec_lo
	s_delay_alu instid0(VALU_DEP_1)
	v_cmpx_gt_u32_e64 s30, v3
	s_cbranch_execz .LBB88_303
; %bb.307:                              ;   in Loop: Header=BB88_306 Depth=2
	ds_load_b32 v19, v2
	s_wait_dscnt 0x0
	v_cmp_lt_i32_e32 vcc_lo, -1, v19
	v_cndmask_b32_e64 v5, -1, 0x80000000, vcc_lo
	v_cmp_o_f32_e32 vcc_lo, v19, v19
	s_delay_alu instid0(VALU_DEP_2) | instskip(NEXT) | instid1(VALU_DEP_1)
	v_xor_b32_e32 v5, v5, v19
	v_cndmask_b32_e32 v5, -1, v5, vcc_lo
	s_delay_alu instid0(VALU_DEP_1) | instskip(NEXT) | instid1(VALU_DEP_1)
	v_and_b32_e32 v5, v5, v36
	v_cmp_eq_u32_e32 vcc_lo, v5, v27
	s_and_b32 exec_lo, exec_lo, vcc_lo
	s_cbranch_execz .LBB88_303
; %bb.308:                              ;   in Loop: Header=BB88_306 Depth=2
	ds_store_b64 v13, v[18:19] offset:3072
	s_branch .LBB88_303
.LBB88_309:                             ;   in Loop: Header=BB88_306 Depth=2
	s_mov_b32 s46, -1
	s_mov_b32 s45, -1
                                        ; implicit-def: $vgpr3
                                        ; implicit-def: $vgpr2
	s_branch .LBB88_305
.LBB88_310:                             ;   in Loop: Header=BB88_6 Depth=1
	s_or_b32 exec_lo, exec_lo, s29
	s_delay_alu instid0(SALU_CYCLE_1)
	s_and_b32 s29, s38, exec_lo
.LBB88_311:                             ;   in Loop: Header=BB88_6 Depth=1
	s_or_b32 exec_lo, exec_lo, s33
.LBB88_312:                             ;   in Loop: Header=BB88_6 Depth=1
	s_delay_alu instid0(SALU_CYCLE_1)
	s_and_b32 vcc_lo, exec_lo, s31
	s_cbranch_vccz .LBB88_324
; %bb.313:                              ;   in Loop: Header=BB88_6 Depth=1
                                        ; implicit-def: $vgpr21
	s_and_saveexec_b32 s22, s13
	s_cbranch_execz .LBB88_323
; %bb.314:                              ;   in Loop: Header=BB88_6 Depth=1
	v_dual_mov_b32 v2, v14 :: v_dual_mov_b32 v3, v0
	s_mov_b32 s25, 0
                                        ; implicit-def: $sgpr30
	s_branch .LBB88_318
.LBB88_315:                             ;   in Loop: Header=BB88_318 Depth=2
	s_or_b32 exec_lo, exec_lo, s31
	s_wait_dscnt 0x0
	s_barrier_signal -1
	s_barrier_wait -1
	ds_load_b64 v[20:21], v13 offset:3072
	s_wait_dscnt 0x0
	s_barrier_signal -1
	s_barrier_wait -1
	v_cmp_eq_f32_e32 vcc_lo, 0, v20
	s_cbranch_vccz .LBB88_321
; %bb.316:                              ;   in Loop: Header=BB88_318 Depth=2
	v_dual_add_nc_u32 v3, s47, v3 :: v_dual_add_nc_u32 v2, s51, v2
	s_mov_b32 s31, 0
	s_delay_alu instid0(VALU_DEP_1)
	v_cmp_le_u32_e32 vcc_lo, s87, v3
	s_or_not1_b32 s33, vcc_lo, exec_lo
.LBB88_317:                             ;   in Loop: Header=BB88_318 Depth=2
	s_delay_alu instid0(SALU_CYCLE_1) | instskip(NEXT) | instid1(SALU_CYCLE_1)
	s_and_b32 s33, exec_lo, s33
	s_or_b32 s25, s33, s25
	s_and_not1_b32 s30, s30, exec_lo
	s_and_b32 s31, s31, exec_lo
	s_delay_alu instid0(SALU_CYCLE_1)
	s_or_b32 s30, s30, s31
	s_and_not1_b32 exec_lo, exec_lo, s25
	s_cbranch_execz .LBB88_322
.LBB88_318:                             ;   Parent Loop BB88_6 Depth=1
                                        ; =>  This Inner Loop Header: Depth=2
	s_mov_b32 s31, exec_lo
	s_delay_alu instid0(VALU_DEP_1)
	v_cmpx_gt_u32_e64 s36, v3
	s_cbranch_execz .LBB88_315
; %bb.319:                              ;   in Loop: Header=BB88_318 Depth=2
	v_readfirstlane_b32 s56, v6
	v_readfirstlane_b32 s57, v7
	global_load_b32 v19, v2, s[56:57] scale_offset
	s_wait_loadcnt 0x0
	v_cmp_lt_i32_e32 vcc_lo, -1, v19
	v_cndmask_b32_e64 v5, -1, 0x80000000, vcc_lo
	v_cmp_o_f32_e32 vcc_lo, v19, v19
	s_delay_alu instid0(VALU_DEP_2) | instskip(NEXT) | instid1(VALU_DEP_1)
	v_xor_b32_e32 v5, v5, v19
	v_cndmask_b32_e32 v5, -1, v5, vcc_lo
	s_delay_alu instid0(VALU_DEP_1) | instskip(NEXT) | instid1(VALU_DEP_1)
	v_and_b32_e32 v5, v5, v36
	v_cmp_eq_u32_e32 vcc_lo, v5, v27
	s_and_b32 exec_lo, exec_lo, vcc_lo
	s_cbranch_execz .LBB88_315
; %bb.320:                              ;   in Loop: Header=BB88_318 Depth=2
	ds_store_b64 v13, v[18:19] offset:3072
	s_branch .LBB88_315
.LBB88_321:                             ;   in Loop: Header=BB88_318 Depth=2
	s_mov_b32 s33, -1
	s_mov_b32 s31, -1
                                        ; implicit-def: $vgpr3
                                        ; implicit-def: $vgpr2
	s_branch .LBB88_317
.LBB88_322:                             ;   in Loop: Header=BB88_6 Depth=1
	s_or_b32 exec_lo, exec_lo, s25
	s_delay_alu instid0(SALU_CYCLE_1) | instskip(SKIP_1) | instid1(SALU_CYCLE_1)
	s_and_not1_b32 s25, s29, exec_lo
	s_and_b32 s29, s30, exec_lo
	s_or_b32 s29, s25, s29
.LBB88_323:                             ;   in Loop: Header=BB88_6 Depth=1
	s_or_b32 exec_lo, exec_lo, s22
	s_mov_b32 s22, 0
	s_mov_b32 s25, -1
.LBB88_324:                             ;   in Loop: Header=BB88_6 Depth=1
	s_or_not1_b32 s29, s29, exec_lo
.LBB88_325:                             ;   in Loop: Header=BB88_6 Depth=1
	s_or_b32 exec_lo, exec_lo, s27
	s_mov_b32 s30, 0
	s_and_saveexec_b32 s27, s29
	s_cbranch_execz .LBB88_418
; %bb.326:                              ;   in Loop: Header=BB88_6 Depth=1
	v_dual_mov_b32 v2, 1 :: v_dual_mov_b32 v4, 1
	s_xor_b32 s29, s28, -1
	s_mov_b32 s31, 0
	s_and_saveexec_b32 s28, s29
	s_cbranch_execz .LBB88_335
; %bb.327:                              ;   in Loop: Header=BB88_6 Depth=1
	s_mov_b32 s29, exec_lo
	v_cmpx_ge_u32_e64 s21, v38
	s_xor_b32 s29, exec_lo, s29
	s_cbranch_execz .LBB88_332
; %bb.328:                              ;   in Loop: Header=BB88_6 Depth=1
	ds_load_b32 v2, v13 offset:4096
	s_lshl_b32 s30, 2, s44
	v_or_b32_e32 v36, s18, v36
	v_and_or_b32 v27, v27, s19, s30
	s_wait_dscnt 0x0
	v_cmp_ne_u32_e32 vcc_lo, 0, v2
	s_cbranch_vccnz .LBB88_332
; %bb.329:                              ;   in Loop: Header=BB88_6 Depth=1
	s_and_saveexec_b32 s30, s5
; %bb.330:                              ;   in Loop: Header=BB88_6 Depth=1
	v_mov_b32_e32 v2, s21
	ds_store_b32 v13, v2 offset:4100
; %bb.331:                              ;   in Loop: Header=BB88_6 Depth=1
	s_or_b32 exec_lo, exec_lo, s30
	s_wait_dscnt 0x0
	s_barrier_signal -1
	s_barrier_wait -1
.LBB88_332:                             ;   in Loop: Header=BB88_6 Depth=1
	s_or_saveexec_b32 s29, s29
	v_mov_b32_e32 v4, 5
	s_mov_b32 s30, 0
	s_xor_b32 exec_lo, exec_lo, s29
; %bb.333:                              ;   in Loop: Header=BB88_6 Depth=1
	v_subrev_nc_u32_e32 v38, s21, v38
	v_mov_b32_e32 v4, 0
	s_mov_b32 s30, exec_lo
; %bb.334:                              ;   in Loop: Header=BB88_6 Depth=1
	s_or_b32 exec_lo, exec_lo, s29
	s_delay_alu instid0(VALU_DEP_2)
	v_mov_b32_e32 v2, v38
	s_and_b32 s31, s30, exec_lo
.LBB88_335:                             ;   in Loop: Header=BB88_6 Depth=1
	s_or_b32 exec_lo, exec_lo, s28
	s_mov_b32 s30, -1
                                        ; implicit-def: $sgpr28
                                        ; implicit-def: $sgpr29
	s_and_saveexec_b32 s21, s31
	s_cbranch_execz .LBB88_417
; %bb.336:                              ;   in Loop: Header=BB88_6 Depth=1
	v_cmp_eq_u32_e32 vcc_lo, 1, v2
	s_cmp_eq_u32 s20, 1
	s_mov_b32 s33, -1
	s_cselect_b32 s28, -1, 0
                                        ; implicit-def: $sgpr29
	s_delay_alu instid0(SALU_CYCLE_1) | instskip(NEXT) | instid1(SALU_CYCLE_1)
	s_and_b32 s31, s28, vcc_lo
                                        ; implicit-def: $sgpr28
	s_and_saveexec_b32 s30, s31
	s_cbranch_execz .LBB88_364
; %bb.337:                              ;   in Loop: Header=BB88_6 Depth=1
	ds_load_b32 v3, v13 offset:4096
	s_wait_dscnt 0x0
	s_barrier_signal -1
	s_barrier_wait -1
	v_readfirstlane_b32 s34, v3
	s_and_saveexec_b32 s28, s6
; %bb.338:                              ;   in Loop: Header=BB88_6 Depth=1
	ds_store_b32 v22, v13
; %bb.339:                              ;   in Loop: Header=BB88_6 Depth=1
	s_or_b32 exec_lo, exec_lo, s28
	s_lshl_b32 s28, 1, s44
	v_or_b32_e32 v36, s18, v36
	v_and_or_b32 v27, v27, s19, s28
	s_mov_b32 s28, -1
	s_mov_b32 s29, 0
	s_cmp_eq_u32 s34, 0
	s_mov_b32 s33, 0
	s_mov_b32 s38, -1
	s_wait_dscnt 0x0
	s_barrier_signal -1
	s_barrier_wait -1
                                        ; implicit-def: $vgpr21
	s_cbranch_scc1 .LBB88_351
; %bb.340:                              ;   in Loop: Header=BB88_6 Depth=1
	s_add_co_i32 s38, s34, s76
                                        ; implicit-def: $vgpr21
	s_delay_alu instid0(SALU_CYCLE_1) | instskip(NEXT) | instid1(SALU_CYCLE_1)
	s_mul_u64 s[56:57], s[38:39], s[64:65]
	s_mul_i32 s33, s57, s47
	s_delay_alu instid0(SALU_CYCLE_1) | instskip(NEXT) | instid1(SALU_CYCLE_1)
	s_sub_co_i32 s33, s38, s33
	s_sub_co_i32 s45, s33, s47
	s_cmp_ge_u32 s33, s47
	s_cselect_b32 s33, s45, s33
	s_delay_alu instid0(SALU_CYCLE_1)
	s_sub_co_i32 s45, s33, s47
	s_cmp_ge_u32 s33, s47
	s_cselect_b32 s33, s45, s33
	s_mov_b32 s45, exec_lo
	s_sub_co_i32 s46, s38, s33
	s_mov_b32 s38, 0
	s_mov_b32 s33, 0
	v_cmpx_gt_u32_e64 s46, v0
	s_cbranch_execz .LBB88_350
; %bb.341:                              ;   in Loop: Header=BB88_6 Depth=1
	v_dual_mov_b32 v3, v1 :: v_dual_mov_b32 v5, v0
                                        ; implicit-def: $sgpr68
	s_branch .LBB88_345
.LBB88_342:                             ;   in Loop: Header=BB88_345 Depth=2
	s_or_b32 exec_lo, exec_lo, s69
	s_wait_dscnt 0x0
	s_barrier_signal -1
	s_barrier_wait -1
	ds_load_b64 v[20:21], v13 offset:3072
	s_wait_dscnt 0x0
	s_barrier_signal -1
	s_barrier_wait -1
	v_cmp_neq_f32_e32 vcc_lo, 0, v20
	s_cbranch_vccnz .LBB88_348
; %bb.343:                              ;   in Loop: Header=BB88_345 Depth=2
	v_dual_add_nc_u32 v5, s47, v5 :: v_dual_add_nc_u32 v3, s73, v3
	s_mov_b32 s56, 0
	s_delay_alu instid0(VALU_DEP_1)
	v_cmp_le_u32_e32 vcc_lo, s46, v5
	s_or_not1_b32 s57, vcc_lo, exec_lo
.LBB88_344:                             ;   in Loop: Header=BB88_345 Depth=2
	s_delay_alu instid0(SALU_CYCLE_1) | instskip(NEXT) | instid1(SALU_CYCLE_1)
	s_and_b32 s57, exec_lo, s57
	s_or_b32 s33, s57, s33
	s_and_not1_b32 s57, s68, exec_lo
	s_and_b32 s56, s56, exec_lo
	s_delay_alu instid0(SALU_CYCLE_1)
	s_or_b32 s68, s57, s56
	s_and_not1_b32 exec_lo, exec_lo, s33
	s_cbranch_execz .LBB88_349
.LBB88_345:                             ;   Parent Loop BB88_6 Depth=1
                                        ; =>  This Inner Loop Header: Depth=2
	s_mov_b32 s69, exec_lo
	s_delay_alu instid0(VALU_DEP_1)
	v_cmpx_gt_u32_e64 s34, v5
	s_cbranch_execz .LBB88_342
; %bb.346:                              ;   in Loop: Header=BB88_345 Depth=2
	ds_load_b32 v19, v3
	s_wait_dscnt 0x0
	v_cmp_lt_i32_e32 vcc_lo, -1, v19
	v_cndmask_b32_e64 v12, -1, 0x80000000, vcc_lo
	v_cmp_o_f32_e32 vcc_lo, v19, v19
	s_delay_alu instid0(VALU_DEP_2) | instskip(NEXT) | instid1(VALU_DEP_1)
	v_xor_b32_e32 v12, v12, v19
	v_cndmask_b32_e32 v12, -1, v12, vcc_lo
	s_delay_alu instid0(VALU_DEP_1) | instskip(NEXT) | instid1(VALU_DEP_1)
	v_and_b32_e32 v12, v12, v36
	v_cmp_eq_u32_e32 vcc_lo, v12, v27
	s_and_b32 exec_lo, exec_lo, vcc_lo
	s_cbranch_execz .LBB88_342
; %bb.347:                              ;   in Loop: Header=BB88_345 Depth=2
	ds_store_b64 v13, v[18:19] offset:3072
	s_branch .LBB88_342
.LBB88_348:                             ;   in Loop: Header=BB88_345 Depth=2
	s_mov_b32 s57, -1
	s_mov_b32 s56, -1
                                        ; implicit-def: $vgpr5
                                        ; implicit-def: $vgpr3
	s_branch .LBB88_344
.LBB88_349:                             ;   in Loop: Header=BB88_6 Depth=1
	s_or_b32 exec_lo, exec_lo, s33
	s_delay_alu instid0(SALU_CYCLE_1)
	s_and_b32 s33, s68, exec_lo
.LBB88_350:                             ;   in Loop: Header=BB88_6 Depth=1
	s_or_b32 exec_lo, exec_lo, s45
.LBB88_351:                             ;   in Loop: Header=BB88_6 Depth=1
	s_delay_alu instid0(SALU_CYCLE_1)
	s_and_b32 vcc_lo, exec_lo, s38
	s_cbranch_vccz .LBB88_363
; %bb.352:                              ;   in Loop: Header=BB88_6 Depth=1
                                        ; implicit-def: $vgpr21
	s_and_saveexec_b32 s28, s13
	s_cbranch_execz .LBB88_362
; %bb.353:                              ;   in Loop: Header=BB88_6 Depth=1
	v_dual_mov_b32 v3, v14 :: v_dual_mov_b32 v5, v0
	s_mov_b32 s29, 0
                                        ; implicit-def: $sgpr34
	s_branch .LBB88_357
.LBB88_354:                             ;   in Loop: Header=BB88_357 Depth=2
	s_or_b32 exec_lo, exec_lo, s38
	s_wait_dscnt 0x0
	s_barrier_signal -1
	s_barrier_wait -1
	ds_load_b64 v[20:21], v13 offset:3072
	s_wait_dscnt 0x0
	s_barrier_signal -1
	s_barrier_wait -1
	v_cmp_eq_f32_e32 vcc_lo, 0, v20
	s_cbranch_vccz .LBB88_360
; %bb.355:                              ;   in Loop: Header=BB88_357 Depth=2
	v_dual_add_nc_u32 v5, s47, v5 :: v_dual_add_nc_u32 v3, s51, v3
	s_mov_b32 s38, 0
	s_delay_alu instid0(VALU_DEP_1)
	v_cmp_le_u32_e32 vcc_lo, s87, v5
	s_or_not1_b32 s45, vcc_lo, exec_lo
.LBB88_356:                             ;   in Loop: Header=BB88_357 Depth=2
	s_delay_alu instid0(SALU_CYCLE_1) | instskip(NEXT) | instid1(SALU_CYCLE_1)
	s_and_b32 s45, exec_lo, s45
	s_or_b32 s29, s45, s29
	s_and_not1_b32 s34, s34, exec_lo
	s_and_b32 s38, s38, exec_lo
	s_delay_alu instid0(SALU_CYCLE_1)
	s_or_b32 s34, s34, s38
	s_and_not1_b32 exec_lo, exec_lo, s29
	s_cbranch_execz .LBB88_361
.LBB88_357:                             ;   Parent Loop BB88_6 Depth=1
                                        ; =>  This Inner Loop Header: Depth=2
	s_mov_b32 s38, exec_lo
	s_delay_alu instid0(VALU_DEP_1)
	v_cmpx_gt_u32_e64 s36, v5
	s_cbranch_execz .LBB88_354
; %bb.358:                              ;   in Loop: Header=BB88_357 Depth=2
	v_readfirstlane_b32 s56, v6
	v_readfirstlane_b32 s57, v7
	global_load_b32 v19, v3, s[56:57] scale_offset
	s_wait_loadcnt 0x0
	v_cmp_lt_i32_e32 vcc_lo, -1, v19
	v_cndmask_b32_e64 v12, -1, 0x80000000, vcc_lo
	v_cmp_o_f32_e32 vcc_lo, v19, v19
	s_delay_alu instid0(VALU_DEP_2) | instskip(NEXT) | instid1(VALU_DEP_1)
	v_xor_b32_e32 v12, v12, v19
	v_cndmask_b32_e32 v12, -1, v12, vcc_lo
	s_delay_alu instid0(VALU_DEP_1) | instskip(NEXT) | instid1(VALU_DEP_1)
	v_and_b32_e32 v12, v12, v36
	v_cmp_eq_u32_e32 vcc_lo, v12, v27
	s_and_b32 exec_lo, exec_lo, vcc_lo
	s_cbranch_execz .LBB88_354
; %bb.359:                              ;   in Loop: Header=BB88_357 Depth=2
	ds_store_b64 v13, v[18:19] offset:3072
	s_branch .LBB88_354
.LBB88_360:                             ;   in Loop: Header=BB88_357 Depth=2
	s_mov_b32 s45, -1
	s_mov_b32 s38, -1
                                        ; implicit-def: $vgpr5
                                        ; implicit-def: $vgpr3
	s_branch .LBB88_356
.LBB88_361:                             ;   in Loop: Header=BB88_6 Depth=1
	s_or_b32 exec_lo, exec_lo, s29
	s_delay_alu instid0(SALU_CYCLE_1) | instskip(SKIP_1) | instid1(SALU_CYCLE_1)
	s_and_not1_b32 s29, s33, exec_lo
	s_and_b32 s33, s34, exec_lo
	s_or_b32 s33, s29, s33
.LBB88_362:                             ;   in Loop: Header=BB88_6 Depth=1
	s_or_b32 exec_lo, exec_lo, s28
	s_mov_b32 s28, 0
	s_mov_b32 s29, -1
.LBB88_363:                             ;   in Loop: Header=BB88_6 Depth=1
	s_or_not1_b32 s33, s33, exec_lo
.LBB88_364:                             ;   in Loop: Header=BB88_6 Depth=1
	s_or_b32 exec_lo, exec_lo, s30
	s_mov_b32 s34, 0
	s_and_saveexec_b32 s30, s33
	s_cbranch_execz .LBB88_416
; %bb.365:                              ;   in Loop: Header=BB88_6 Depth=1
	v_dual_mov_b32 v3, 1 :: v_dual_mov_b32 v4, 1
	s_xor_b32 s33, s31, -1
	s_mov_b32 s38, 0
	s_and_saveexec_b32 s31, s33
	s_cbranch_execz .LBB88_374
; %bb.366:                              ;   in Loop: Header=BB88_6 Depth=1
	s_mov_b32 s33, exec_lo
	v_cmpx_ge_u32_e64 s20, v2
	s_xor_b32 s33, exec_lo, s33
	s_cbranch_execz .LBB88_371
; %bb.367:                              ;   in Loop: Header=BB88_6 Depth=1
	ds_load_b32 v3, v13 offset:4096
	s_lshl_b32 s34, 1, s44
	v_or_b32_e32 v36, s18, v36
	v_and_or_b32 v27, v27, s19, s34
	s_wait_dscnt 0x0
	v_cmp_ne_u32_e32 vcc_lo, 0, v3
	s_cbranch_vccnz .LBB88_371
; %bb.368:                              ;   in Loop: Header=BB88_6 Depth=1
	s_and_saveexec_b32 s34, s5
; %bb.369:                              ;   in Loop: Header=BB88_6 Depth=1
	v_mov_b32_e32 v3, s20
	ds_store_b32 v13, v3 offset:4100
; %bb.370:                              ;   in Loop: Header=BB88_6 Depth=1
	s_or_b32 exec_lo, exec_lo, s34
	s_wait_dscnt 0x0
	s_barrier_signal -1
	s_barrier_wait -1
.LBB88_371:                             ;   in Loop: Header=BB88_6 Depth=1
	s_or_saveexec_b32 s33, s33
	v_mov_b32_e32 v4, 5
	s_mov_b32 s34, 0
	s_xor_b32 exec_lo, exec_lo, s33
; %bb.372:                              ;   in Loop: Header=BB88_6 Depth=1
	v_subrev_nc_u32_e32 v2, s20, v2
	v_mov_b32_e32 v4, 0
	s_mov_b32 s34, exec_lo
; %bb.373:                              ;   in Loop: Header=BB88_6 Depth=1
	s_or_b32 exec_lo, exec_lo, s33
	s_delay_alu instid0(VALU_DEP_2)
	v_mov_b32_e32 v3, v2
	s_and_b32 s38, s34, exec_lo
.LBB88_374:                             ;   in Loop: Header=BB88_6 Depth=1
	s_or_b32 exec_lo, exec_lo, s31
	s_mov_b32 s31, -1
                                        ; implicit-def: $sgpr34
                                        ; implicit-def: $sgpr33
	s_and_saveexec_b32 s20, s38
	s_cbranch_execz .LBB88_415
; %bb.375:                              ;   in Loop: Header=BB88_6 Depth=1
	v_cmp_eq_u32_e32 vcc_lo, 1, v3
	s_cmp_eq_u32 s17, 1
	s_mov_b32 s46, -1
	s_cselect_b32 s31, -1, 0
                                        ; implicit-def: $sgpr34
                                        ; implicit-def: $sgpr33
	s_delay_alu instid0(SALU_CYCLE_1) | instskip(NEXT) | instid1(SALU_CYCLE_1)
	s_and_b32 s31, s31, vcc_lo
	s_and_saveexec_b32 s45, s31
	s_cbranch_execz .LBB88_403
; %bb.376:                              ;   in Loop: Header=BB88_6 Depth=1
	ds_load_b32 v2, v13 offset:4096
	s_wait_dscnt 0x0
	s_barrier_signal -1
	s_barrier_wait -1
	v_readfirstlane_b32 s46, v2
	s_and_saveexec_b32 s33, s6
; %bb.377:                              ;   in Loop: Header=BB88_6 Depth=1
	ds_store_b32 v22, v13
; %bb.378:                              ;   in Loop: Header=BB88_6 Depth=1
	s_or_b32 exec_lo, exec_lo, s33
	v_and_b32_e32 v27, s19, v27
	v_or_b32_e32 v36, s18, v36
	s_mov_b32 s33, -1
	s_mov_b32 s34, 0
	s_cmp_eq_u32 s46, 0
	s_mov_b32 s38, 0
	s_mov_b32 s68, -1
	s_wait_dscnt 0x0
	s_barrier_signal -1
	s_barrier_wait -1
                                        ; implicit-def: $vgpr21
	s_cbranch_scc1 .LBB88_390
; %bb.379:                              ;   in Loop: Header=BB88_6 Depth=1
	s_add_co_i32 s38, s46, s76
	s_mov_b32 s68, 0
	s_mul_u64 s[56:57], s[38:39], s[64:65]
	s_mov_b32 s69, exec_lo
	s_mul_i32 s56, s57, s47
                                        ; implicit-def: $vgpr21
	s_delay_alu instid0(SALU_CYCLE_1) | instskip(NEXT) | instid1(SALU_CYCLE_1)
	s_sub_co_i32 s56, s38, s56
	s_sub_co_i32 s57, s56, s47
	s_cmp_ge_u32 s56, s47
	s_cselect_b32 s56, s57, s56
	s_delay_alu instid0(SALU_CYCLE_1) | instskip(SKIP_2) | instid1(SALU_CYCLE_1)
	s_sub_co_i32 s57, s56, s47
	s_cmp_ge_u32 s56, s47
	s_cselect_b32 s56, s57, s56
	s_sub_co_i32 s70, s38, s56
	s_mov_b32 s38, 0
	v_cmpx_gt_u32_e64 s70, v0
	s_cbranch_execz .LBB88_389
; %bb.380:                              ;   in Loop: Header=BB88_6 Depth=1
	v_dual_mov_b32 v2, v1 :: v_dual_mov_b32 v5, v0
                                        ; implicit-def: $sgpr71
	s_branch .LBB88_384
.LBB88_381:                             ;   in Loop: Header=BB88_384 Depth=2
	s_or_b32 exec_lo, exec_lo, s90
	s_wait_dscnt 0x0
	s_barrier_signal -1
	s_barrier_wait -1
	ds_load_b64 v[20:21], v13 offset:3072
	s_wait_dscnt 0x0
	s_barrier_signal -1
	s_barrier_wait -1
	v_cmp_neq_f32_e32 vcc_lo, 0, v20
	s_cbranch_vccnz .LBB88_387
; %bb.382:                              ;   in Loop: Header=BB88_384 Depth=2
	v_dual_add_nc_u32 v5, s47, v5 :: v_dual_add_nc_u32 v2, s73, v2
	s_mov_b32 s56, 0
	s_delay_alu instid0(VALU_DEP_1)
	v_cmp_le_u32_e32 vcc_lo, s70, v5
	s_or_not1_b32 s57, vcc_lo, exec_lo
.LBB88_383:                             ;   in Loop: Header=BB88_384 Depth=2
	s_delay_alu instid0(SALU_CYCLE_1) | instskip(NEXT) | instid1(SALU_CYCLE_1)
	s_and_b32 s57, exec_lo, s57
	s_or_b32 s38, s57, s38
	s_and_not1_b32 s57, s71, exec_lo
	s_and_b32 s56, s56, exec_lo
	s_delay_alu instid0(SALU_CYCLE_1)
	s_or_b32 s71, s57, s56
	s_and_not1_b32 exec_lo, exec_lo, s38
	s_cbranch_execz .LBB88_388
.LBB88_384:                             ;   Parent Loop BB88_6 Depth=1
                                        ; =>  This Inner Loop Header: Depth=2
	s_mov_b32 s90, exec_lo
	s_delay_alu instid0(VALU_DEP_1)
	v_cmpx_gt_u32_e64 s46, v5
	s_cbranch_execz .LBB88_381
; %bb.385:                              ;   in Loop: Header=BB88_384 Depth=2
	ds_load_b32 v19, v2
	s_wait_dscnt 0x0
	v_cmp_lt_i32_e32 vcc_lo, -1, v19
	v_cndmask_b32_e64 v12, -1, 0x80000000, vcc_lo
	v_cmp_o_f32_e32 vcc_lo, v19, v19
	s_delay_alu instid0(VALU_DEP_2) | instskip(NEXT) | instid1(VALU_DEP_1)
	v_xor_b32_e32 v12, v12, v19
	v_cndmask_b32_e32 v12, -1, v12, vcc_lo
	s_delay_alu instid0(VALU_DEP_1) | instskip(NEXT) | instid1(VALU_DEP_1)
	v_and_b32_e32 v12, v12, v36
	v_cmp_eq_u32_e32 vcc_lo, v12, v27
	s_and_b32 exec_lo, exec_lo, vcc_lo
	s_cbranch_execz .LBB88_381
; %bb.386:                              ;   in Loop: Header=BB88_384 Depth=2
	ds_store_b64 v13, v[18:19] offset:3072
	s_branch .LBB88_381
.LBB88_387:                             ;   in Loop: Header=BB88_384 Depth=2
	s_mov_b32 s57, -1
	s_mov_b32 s56, -1
                                        ; implicit-def: $vgpr5
                                        ; implicit-def: $vgpr2
	s_branch .LBB88_383
.LBB88_388:                             ;   in Loop: Header=BB88_6 Depth=1
	s_or_b32 exec_lo, exec_lo, s38
	s_delay_alu instid0(SALU_CYCLE_1)
	s_and_b32 s38, s71, exec_lo
.LBB88_389:                             ;   in Loop: Header=BB88_6 Depth=1
	s_or_b32 exec_lo, exec_lo, s69
.LBB88_390:                             ;   in Loop: Header=BB88_6 Depth=1
	s_delay_alu instid0(SALU_CYCLE_1)
	s_and_b32 vcc_lo, exec_lo, s68
	s_cbranch_vccz .LBB88_402
; %bb.391:                              ;   in Loop: Header=BB88_6 Depth=1
                                        ; implicit-def: $vgpr21
	s_and_saveexec_b32 s33, s13
	s_cbranch_execz .LBB88_401
; %bb.392:                              ;   in Loop: Header=BB88_6 Depth=1
	v_dual_mov_b32 v2, v14 :: v_dual_mov_b32 v5, v0
	s_mov_b32 s34, 0
                                        ; implicit-def: $sgpr46
	s_branch .LBB88_396
.LBB88_393:                             ;   in Loop: Header=BB88_396 Depth=2
	s_or_b32 exec_lo, exec_lo, s68
	s_wait_dscnt 0x0
	s_barrier_signal -1
	s_barrier_wait -1
	ds_load_b64 v[20:21], v13 offset:3072
	s_wait_dscnt 0x0
	s_barrier_signal -1
	s_barrier_wait -1
	v_cmp_eq_f32_e32 vcc_lo, 0, v20
	s_cbranch_vccz .LBB88_399
; %bb.394:                              ;   in Loop: Header=BB88_396 Depth=2
	v_dual_add_nc_u32 v5, s47, v5 :: v_dual_add_nc_u32 v2, s51, v2
	s_mov_b32 s56, 0
	s_delay_alu instid0(VALU_DEP_1)
	v_cmp_le_u32_e32 vcc_lo, s87, v5
	s_or_not1_b32 s57, vcc_lo, exec_lo
.LBB88_395:                             ;   in Loop: Header=BB88_396 Depth=2
	s_delay_alu instid0(SALU_CYCLE_1) | instskip(NEXT) | instid1(SALU_CYCLE_1)
	s_and_b32 s57, exec_lo, s57
	s_or_b32 s34, s57, s34
	s_and_not1_b32 s46, s46, exec_lo
	s_and_b32 s56, s56, exec_lo
	s_delay_alu instid0(SALU_CYCLE_1)
	s_or_b32 s46, s46, s56
	s_and_not1_b32 exec_lo, exec_lo, s34
	s_cbranch_execz .LBB88_400
.LBB88_396:                             ;   Parent Loop BB88_6 Depth=1
                                        ; =>  This Inner Loop Header: Depth=2
	s_mov_b32 s68, exec_lo
	s_delay_alu instid0(VALU_DEP_1)
	v_cmpx_gt_u32_e64 s36, v5
	s_cbranch_execz .LBB88_393
; %bb.397:                              ;   in Loop: Header=BB88_396 Depth=2
	v_readfirstlane_b32 s56, v6
	v_readfirstlane_b32 s57, v7
	global_load_b32 v19, v2, s[56:57] scale_offset
	s_wait_loadcnt 0x0
	v_cmp_lt_i32_e32 vcc_lo, -1, v19
	v_cndmask_b32_e64 v12, -1, 0x80000000, vcc_lo
	v_cmp_o_f32_e32 vcc_lo, v19, v19
	s_delay_alu instid0(VALU_DEP_2) | instskip(NEXT) | instid1(VALU_DEP_1)
	v_xor_b32_e32 v12, v12, v19
	v_cndmask_b32_e32 v12, -1, v12, vcc_lo
	s_delay_alu instid0(VALU_DEP_1) | instskip(NEXT) | instid1(VALU_DEP_1)
	v_and_b32_e32 v12, v12, v36
	v_cmp_eq_u32_e32 vcc_lo, v12, v27
	s_and_b32 exec_lo, exec_lo, vcc_lo
	s_cbranch_execz .LBB88_393
; %bb.398:                              ;   in Loop: Header=BB88_396 Depth=2
	ds_store_b64 v13, v[18:19] offset:3072
	s_branch .LBB88_393
.LBB88_399:                             ;   in Loop: Header=BB88_396 Depth=2
	s_mov_b32 s57, -1
	s_mov_b32 s56, -1
                                        ; implicit-def: $vgpr5
                                        ; implicit-def: $vgpr2
	s_branch .LBB88_395
.LBB88_400:                             ;   in Loop: Header=BB88_6 Depth=1
	s_or_b32 exec_lo, exec_lo, s34
	s_delay_alu instid0(SALU_CYCLE_1) | instskip(SKIP_1) | instid1(SALU_CYCLE_1)
	s_and_not1_b32 s34, s38, exec_lo
	s_and_b32 s38, s46, exec_lo
	s_or_b32 s38, s34, s38
.LBB88_401:                             ;   in Loop: Header=BB88_6 Depth=1
	s_or_b32 exec_lo, exec_lo, s33
	s_mov_b32 s33, 0
	s_mov_b32 s34, -1
.LBB88_402:                             ;   in Loop: Header=BB88_6 Depth=1
	s_or_not1_b32 s46, s38, exec_lo
.LBB88_403:                             ;   in Loop: Header=BB88_6 Depth=1
	s_or_b32 exec_lo, exec_lo, s45
	s_mov_b32 s45, 0
	s_and_saveexec_b32 s38, s46
	s_cbranch_execz .LBB88_414
; %bb.404:                              ;   in Loop: Header=BB88_6 Depth=1
	v_dual_mov_b32 v4, 1 :: v_dual_mov_b32 v2, 1
	s_xor_b32 s45, s31, -1
	s_delay_alu instid0(SALU_CYCLE_1)
	s_and_saveexec_b32 s31, s45
	s_cbranch_execz .LBB88_413
; %bb.405:                              ;   in Loop: Header=BB88_6 Depth=1
	s_mov_b32 s45, exec_lo
	v_cmpx_ge_u32_e64 s17, v3
	s_xor_b32 s45, exec_lo, s45
	s_cbranch_execz .LBB88_410
; %bb.406:                              ;   in Loop: Header=BB88_6 Depth=1
	ds_load_b32 v2, v13 offset:4096
	v_and_b32_e32 v27, s19, v27
	v_or_b32_e32 v36, s18, v36
	s_wait_dscnt 0x0
	v_cmp_ne_u32_e32 vcc_lo, 0, v2
	s_cbranch_vccnz .LBB88_410
; %bb.407:                              ;   in Loop: Header=BB88_6 Depth=1
	s_and_saveexec_b32 s18, s5
; %bb.408:                              ;   in Loop: Header=BB88_6 Depth=1
	v_mov_b32_e32 v2, s17
	ds_store_b32 v13, v2 offset:4100
; %bb.409:                              ;   in Loop: Header=BB88_6 Depth=1
	s_or_b32 exec_lo, exec_lo, s18
	s_wait_dscnt 0x0
	s_barrier_signal -1
	s_barrier_wait -1
.LBB88_410:                             ;   in Loop: Header=BB88_6 Depth=1
	s_and_not1_saveexec_b32 s18, s45
; %bb.411:                              ;   in Loop: Header=BB88_6 Depth=1
	v_subrev_nc_u32_e32 v3, s17, v3
; %bb.412:                              ;   in Loop: Header=BB88_6 Depth=1
	s_or_b32 exec_lo, exec_lo, s18
	s_delay_alu instid0(VALU_DEP_1)
	v_dual_mov_b32 v4, 5 :: v_dual_mov_b32 v2, v3
.LBB88_413:                             ;   in Loop: Header=BB88_6 Depth=1
	s_or_b32 exec_lo, exec_lo, s31
	s_delay_alu instid0(VALU_DEP_1)
	v_mov_b32_e32 v3, v2
	s_mov_b32 s45, exec_lo
.LBB88_414:                             ;   in Loop: Header=BB88_6 Depth=1
	s_or_b32 exec_lo, exec_lo, s38
	s_delay_alu instid0(SALU_CYCLE_1)
	s_or_not1_b32 s31, s45, exec_lo
.LBB88_415:                             ;   in Loop: Header=BB88_6 Depth=1
	s_or_b32 exec_lo, exec_lo, s20
	s_delay_alu instid0(SALU_CYCLE_1)
	s_and_not1_b32 s17, s29, exec_lo
	s_and_b32 s18, s34, exec_lo
	s_and_not1_b32 s19, s28, exec_lo
	s_and_b32 s20, s33, exec_lo
	v_mov_b32_e32 v2, v3
	s_or_b32 s29, s17, s18
	s_or_b32 s28, s19, s20
	s_and_b32 s34, s31, exec_lo
.LBB88_416:                             ;   in Loop: Header=BB88_6 Depth=1
	s_or_b32 exec_lo, exec_lo, s30
	s_delay_alu instid0(SALU_CYCLE_1)
	s_or_not1_b32 s30, s34, exec_lo
.LBB88_417:                             ;   in Loop: Header=BB88_6 Depth=1
	s_or_b32 exec_lo, exec_lo, s21
	s_delay_alu instid0(SALU_CYCLE_1)
	s_and_not1_b32 s17, s25, exec_lo
	s_and_b32 s18, s29, exec_lo
	s_and_not1_b32 s19, s22, exec_lo
	s_and_b32 s20, s28, exec_lo
	v_mov_b32_e32 v38, v2
	s_or_b32 s25, s17, s18
	s_or_b32 s22, s19, s20
	s_and_b32 s30, s30, exec_lo
.LBB88_418:                             ;   in Loop: Header=BB88_6 Depth=1
	s_or_b32 exec_lo, exec_lo, s27
	s_delay_alu instid0(SALU_CYCLE_1)
	s_or_not1_b32 s27, s30, exec_lo
.LBB88_419:                             ;   in Loop: Header=BB88_6 Depth=1
	s_or_b32 exec_lo, exec_lo, s14
	s_mov_b32 s14, s23
	s_mov_b32 s17, s15
	s_and_saveexec_b32 s18, s27
; %bb.420:                              ;   in Loop: Header=BB88_6 Depth=1
	v_cmp_ne_u32_e32 vcc_lo, 5, v4
	v_cmp_eq_u32_e64 s14, 5, v4
	s_and_not1_b32 s17, s15, exec_lo
	s_and_not1_b32 s19, s23, exec_lo
	s_and_b32 s20, vcc_lo, exec_lo
	s_and_b32 s14, s14, exec_lo
	s_or_b32 s17, s17, s20
	s_or_b32 s14, s19, s14
; %bb.421:                              ;   in Loop: Header=BB88_6 Depth=1
	s_or_b32 exec_lo, exec_lo, s18
	s_delay_alu instid0(SALU_CYCLE_1)
	s_and_not1_b32 s18, s26, exec_lo
	s_and_b32 s19, s25, exec_lo
	s_and_not1_b32 s16, s16, exec_lo
	s_and_b32 s20, s22, exec_lo
	s_or_b32 s26, s18, s19
	s_and_not1_b32 s15, s15, exec_lo
	s_and_b32 s17, s17, exec_lo
	s_and_not1_b32 s18, s23, exec_lo
	s_and_b32 s14, s14, exec_lo
	s_or_b32 s16, s16, s20
	s_or_b32 s15, s15, s17
	;; [unrolled: 1-line block ×3, first 2 shown]
.LBB88_422:                             ;   in Loop: Header=BB88_6 Depth=1
	s_or_b32 exec_lo, exec_lo, s24
	s_mov_b32 s24, 0
	s_mov_b32 s25, 0
	s_and_saveexec_b32 s14, s23
.LBB88_423:                             ;   in Loop: Header=BB88_6 Depth=1
	v_mov_b32_e32 v4, 0
	s_or_b32 s15, s15, exec_lo
.LBB88_424:                             ;   in Loop: Header=BB88_6 Depth=1
	s_or_b32 exec_lo, exec_lo, s14
	s_delay_alu instid0(SALU_CYCLE_1)
	s_and_not1_b32 s14, s100, exec_lo
	s_and_b32 s18, s26, exec_lo
	s_and_not1_b32 s19, s98, exec_lo
	s_and_b32 s16, s16, exec_lo
	v_mov_b32_e32 v37, v38
	s_or_b32 s100, s14, s18
	s_or_b32 s98, s19, s16
	s_and_not1_b32 s14, s102, exec_lo
	s_and_b32 s16, s25, exec_lo
	s_and_not1_b32 s18, s101, exec_lo
	s_and_b32 s19, s24, exec_lo
	s_mov_b32 s17, -1
	s_and_not1_b32 s99, s99, exec_lo
	s_or_b32 s102, s14, s16
	s_or_b32 s101, s18, s19
	s_and_saveexec_b32 s14, s15
	s_delay_alu instid0(SALU_CYCLE_1)
	s_xor_b32 s14, exec_lo, s14
	s_cbranch_execz .LBB88_5
; %bb.425:                              ;   in Loop: Header=BB88_6 Depth=1
	s_mov_b32 s15, -1
	s_mov_b32 s16, -1
	s_mov_b32 s17, exec_lo
	v_cmpx_eq_u32_e32 0, v4
	s_cbranch_execz .LBB88_4
; %bb.426:                              ;   in Loop: Header=BB88_6 Depth=1
	s_xor_b32 s93, s93, 1
	s_add_co_i32 s18, s44, -2
	s_cmp_eq_u32 s44, 0
	s_mov_b32 s44, s18
	s_cselect_b32 s15, -1, 0
	s_xor_b32 s16, exec_lo, -1
	s_or_not1_b32 s15, s15, exec_lo
	s_branch .LBB88_4
.LBB88_427:
	s_or_b32 exec_lo, exec_lo, s91
	s_xor_b32 s7, s97, -1
	s_xor_b32 s9, s95, -1
	;; [unrolled: 1-line block ×5, first 2 shown]
	s_mov_b32 s8, 0
	s_and_saveexec_b32 s12, s11
	s_delay_alu instid0(SALU_CYCLE_1)
	s_xor_b32 s12, exec_lo, s12
	s_cbranch_execnz .LBB88_432
; %bb.428:
	s_wait_xcnt 0x0
	s_and_not1_saveexec_b32 s0, s12
	s_cbranch_execnz .LBB88_451
.LBB88_429:
	s_or_b32 exec_lo, exec_lo, s0
	s_and_saveexec_b32 s0, s8
.LBB88_430:
	; divergent unreachable
.LBB88_431:
	s_sendmsg sendmsg(MSG_DEALLOC_VGPRS)
	s_endpgm
.LBB88_432:
	s_and_saveexec_b32 s11, s10
	s_delay_alu instid0(SALU_CYCLE_1)
	s_xor_b32 s13, exec_lo, s11
	s_cbranch_execz .LBB88_449
; %bb.433:
	s_and_saveexec_b32 s10, s9
	s_delay_alu instid0(SALU_CYCLE_1)
	s_xor_b32 s14, exec_lo, s10
	s_cbranch_execz .LBB88_447
; %bb.434:
	;; [unrolled: 5-line block ×3, first 2 shown]
	s_and_saveexec_b32 s7, s6
	s_delay_alu instid0(SALU_CYCLE_1)
	s_xor_b32 s6, exec_lo, s7
; %bb.436:
	v_cmp_lt_i32_e32 vcc_lo, -1, v27
	v_cndmask_b32_e64 v1, 0x80000000, -1, vcc_lo
	s_delay_alu instid0(VALU_DEP_1)
	v_xor_b32_e32 v21, v1, v27
; %bb.437:
	s_or_b32 exec_lo, exec_lo, s6
	s_and_saveexec_b32 s6, s5
; %bb.438:
	v_mov_b32_e32 v1, 0
	ds_store_b32 v1, v1 offset:4108
; %bb.439:
	s_or_b32 exec_lo, exec_lo, s6
	v_mov_b32_e32 v1, 0
	s_wait_dscnt 0x0
	s_barrier_signal -1
	s_barrier_wait -1
	s_and_saveexec_b32 s5, s3
	s_cbranch_execz .LBB88_441
; %bb.440:
	global_load_b32 v1, v[10:11], off
.LBB88_441:
	s_wait_xcnt 0x0
	s_or_b32 exec_lo, exec_lo, s5
	s_load_b96 s[16:18], s[0:1], 0x15c
	s_mul_i32 s7, s61, s52
	s_add_co_i32 s5, s36, 31
	s_mul_i32 s6, s50, s53
	s_sub_co_i32 s7, s50, s7
	s_and_not1_b32 s5, s5, 31
	s_sub_co_i32 s6, s72, s6
	s_add_co_i32 s8, s61, 1
	s_sub_co_i32 s9, s7, s52
	s_cmp_ge_u32 s7, s52
	v_cmp_lt_i32_e32 vcc_lo, -1, v21
	s_cselect_b32 s8, s8, s61
	s_cselect_b32 s7, s9, s7
	s_add_co_i32 s9, s8, 1
	s_cmp_ge_u32 s7, s52
	v_cndmask_b32_e64 v2, -1, 0x80000000, vcc_lo
	s_cselect_b32 s7, s9, s8
	s_mul_i32 s9, s54, s49
	s_mul_i32 s8, s7, s52
	v_cmp_o_f32_e32 vcc_lo, v21, v21
	s_sub_co_i32 s8, s50, s8
	s_wait_kmcnt 0x0
	s_mul_i32 s6, s6, s18
	s_mul_i32 s8, s8, s17
	;; [unrolled: 1-line block ×3, first 2 shown]
	s_add_co_i32 s6, s8, s6
	s_mul_i32 s8, s35, s48
	s_add_co_i32 s10, s6, s7
	s_sub_co_i32 s7, s54, s8
	s_sub_co_i32 s6, s72, s9
	s_add_co_i32 s8, s35, 1
	s_sub_co_i32 s9, s7, s48
	s_cmp_ge_u32 s7, s48
	s_clause 0x1
	s_load_b32 s16, s[0:1], 0x1c8
	s_load_b32 s17, s[0:1], 0x2a8
	s_cselect_b32 s8, s8, s35
	s_cselect_b32 s7, s9, s7
	s_add_co_i32 s9, s8, 1
	s_cmp_ge_u32 s7, s48
	v_xor_b32_e32 v2, v2, v21
	s_cselect_b32 s7, s9, s8
	s_mul_i32 s6, s6, s42
	s_wait_xcnt 0x0
	s_mul_i32 s0, s7, s48
	s_mul_i32 s7, s7, s40
	s_sub_co_i32 s0, s54, s0
	s_mov_b32 s11, 0
	s_mul_i32 s0, s0, s41
	v_readlane_b32 s8, v68, 0
	s_add_co_i32 s0, s0, s6
	v_readlane_b32 s9, v68, 1
	s_add_co_i32 s0, s0, s7
	s_mov_b32 s1, s11
	v_cndmask_b32_e32 v4, -1, v2, vcc_lo
	v_cmp_gt_u32_e32 vcc_lo, s5, v0
	s_lshl_b64 s[6:7], s[10:11], 2
	s_lshl_b64 s[0:1], s[0:1], 3
	s_mov_b32 s18, -1
	s_add_nc_u64 s[6:7], s[58:59], s[6:7]
	s_add_nc_u64 s[8:9], s[8:9], s[0:1]
	s_mov_b32 s1, 0
	s_and_saveexec_b32 s10, vcc_lo
	s_cbranch_execnz .LBB88_452
; %bb.442:
	s_or_b32 exec_lo, exec_lo, s10
	s_and_saveexec_b32 s4, s18
	s_cbranch_execnz .LBB88_469
.LBB88_443:
	s_or_b32 exec_lo, exec_lo, s4
	s_and_saveexec_b32 s0, s1
	s_delay_alu instid0(SALU_CYCLE_1)
	s_xor_b32 s0, exec_lo, s0
	s_cbranch_execnz .LBB88_492
.LBB88_444:
	s_or_b32 exec_lo, exec_lo, s0
	s_delay_alu instid0(SALU_CYCLE_1)
	s_and_b32 s8, s11, exec_lo
.LBB88_445:
	s_wait_xcnt 0x0
	s_and_not1_saveexec_b32 s0, s15
	s_cbranch_execnz .LBB88_494
.LBB88_446:
	s_or_b32 exec_lo, exec_lo, s0
	s_delay_alu instid0(SALU_CYCLE_1)
	s_and_b32 s8, s8, exec_lo
.LBB88_447:
	s_wait_xcnt 0x0
	s_and_not1_saveexec_b32 s0, s14
	s_cbranch_execnz .LBB88_493
.LBB88_448:
	s_or_b32 exec_lo, exec_lo, s0
	s_delay_alu instid0(SALU_CYCLE_1)
	s_and_b32 s8, s8, exec_lo
.LBB88_449:
	s_wait_xcnt 0x0
	s_and_not1_saveexec_b32 s0, s13
	s_cbranch_execnz .LBB88_488
.LBB88_450:
	s_or_b32 exec_lo, exec_lo, s0
	s_delay_alu instid0(SALU_CYCLE_1)
	s_and_b32 s8, s8, exec_lo
	s_and_not1_saveexec_b32 s0, s12
	s_cbranch_execz .LBB88_429
.LBB88_451:
	s_or_b32 s8, s8, exec_lo
	s_trap 2
	s_or_b32 exec_lo, exec_lo, s0
	s_and_saveexec_b32 s0, s8
	s_cbranch_execnz .LBB88_430
	s_branch .LBB88_431
.LBB88_452:
	v_dual_mov_b32 v3, 0 :: v_dual_add_nc_u32 v2, s47, v0
	s_mov_b32 s18, 0
                                        ; implicit-def: $sgpr19
                                        ; implicit-def: $vgpr12
	s_delay_alu instid0(VALU_DEP_1)
	v_mul_lo_u32 v5, s43, v2
	v_mov_b32_e32 v2, v0
	s_branch .LBB88_454
.LBB88_453:                             ;   in Loop: Header=BB88_454 Depth=1
	s_or_b32 exec_lo, exec_lo, s21
	s_xor_b32 s0, s20, -1
	s_and_b32 s1, exec_lo, s1
	s_wait_loadcnt 0x0
	v_dual_mov_b32 v1, v13 :: v_dual_mov_b32 v2, v9
	s_or_b32 s18, s1, s18
	s_and_not1_b32 s1, s19, exec_lo
	s_and_b32 s0, s0, exec_lo
	s_delay_alu instid0(SALU_CYCLE_1)
	s_or_b32 s19, s1, s0
	s_and_not1_b32 exec_lo, exec_lo, s18
	s_cbranch_execz .LBB88_468
.LBB88_454:                             ; =>This Inner Loop Header: Depth=1
	s_delay_alu instid0(VALU_DEP_1) | instskip(SKIP_1) | instid1(VALU_DEP_1)
	v_dual_add_nc_u32 v9, s47, v2 :: v_dual_mov_b32 v13, 0
	s_mov_b32 s1, exec_lo
	v_cmpx_gt_u32_e64 s36, v9
	s_cbranch_execz .LBB88_456
; %bb.455:                              ;   in Loop: Header=BB88_454 Depth=1
	v_readfirstlane_b32 s20, v6
	v_readfirstlane_b32 s21, v7
	global_load_b32 v13, v5, s[20:21] scale_offset
.LBB88_456:                             ;   in Loop: Header=BB88_454 Depth=1
	s_wait_xcnt 0x0
	s_or_b32 exec_lo, exec_lo, s1
	s_mov_b32 s20, 0
	s_mov_b32 s1, exec_lo
	v_cmpx_gt_u32_e64 s36, v2
	s_cbranch_execz .LBB88_458
; %bb.457:                              ;   in Loop: Header=BB88_454 Depth=1
	s_wait_loadcnt 0x0
	v_cmp_lt_i32_e64 s0, -1, v1
	s_delay_alu instid0(VALU_DEP_1) | instskip(SKIP_1) | instid1(VALU_DEP_2)
	v_cndmask_b32_e64 v14, -1, 0x80000000, s0
	v_cmp_o_f32_e64 s0, v1, v1
	v_xor_b32_e32 v14, v14, v1
	s_delay_alu instid0(VALU_DEP_1) | instskip(NEXT) | instid1(VALU_DEP_1)
	v_cndmask_b32_e64 v14, -1, v14, s0
	v_cmp_gt_u32_e64 s0, v14, v4
	s_delay_alu instid0(VALU_DEP_1) | instskip(SKIP_1) | instid1(VALU_DEP_1)
	v_cndmask_b32_e64 v15, 0, 1, s0
	v_cmp_lt_u32_e64 s0, v14, v4
	v_cndmask_b32_e64 v14, 0, 1, s0
	s_delay_alu instid0(VALU_DEP_1) | instskip(NEXT) | instid1(VALU_DEP_1)
	v_cndmask_b32_e64 v14, v14, v15, s4
	v_and_b32_e32 v14, 1, v14
	s_delay_alu instid0(VALU_DEP_1)
	v_cmp_eq_u32_e64 s0, 1, v14
	s_and_b32 s20, s0, exec_lo
.LBB88_458:                             ;   in Loop: Header=BB88_454 Depth=1
	s_or_b32 exec_lo, exec_lo, s1
	v_cndmask_b32_e64 v14, 0, 1, s20
	s_delay_alu instid0(VALU_DEP_1) | instskip(SKIP_2) | instid1(SALU_CYCLE_1)
	v_cmp_ne_u32_e64 s0, 0, v14
	s_cmp_lg_u32 s0, 0
	s_cselect_b32 s1, -1, 0
	s_and_b32 s1, s2, s1
	s_delay_alu instid0(SALU_CYCLE_1)
	s_and_saveexec_b32 s21, s1
	s_cbranch_execz .LBB88_462
; %bb.459:                              ;   in Loop: Header=BB88_454 Depth=1
	s_mov_b32 s24, exec_lo
	s_bcnt1_i32_b32 s22, s0
	s_wait_dscnt 0x0
	v_mbcnt_lo_u32_b32 v12, s24, 0
	s_mov_b32 s23, exec_lo
                                        ; implicit-def: $vgpr14
	s_delay_alu instid0(VALU_DEP_1)
	v_cmpx_eq_u32_e32 0, v12
; %bb.460:                              ;   in Loop: Header=BB88_454 Depth=1
	s_bcnt1_i32_b32 s1, s24
	s_delay_alu instid0(SALU_CYCLE_1) | instskip(NEXT) | instid1(SALU_CYCLE_1)
	s_mul_i32 s1, s22, s1
	v_mov_b32_e32 v14, s1
	ds_add_rtn_u32 v14, v3, v14 offset:4108
; %bb.461:                              ;   in Loop: Header=BB88_454 Depth=1
	s_or_b32 exec_lo, exec_lo, s23
	s_wait_dscnt 0x0
	v_readfirstlane_b32 s1, v14
	s_delay_alu instid0(VALU_DEP_1)
	v_mad_u32_u24 v12, s22, v12, s1
.LBB88_462:                             ;   in Loop: Header=BB88_454 Depth=1
	s_or_b32 exec_lo, exec_lo, s21
	s_wait_dscnt 0x0
	ds_bpermute_b32 v12, v3, v12
	s_mov_b32 s1, -1
	s_mov_b32 s22, -1
	s_and_saveexec_b32 s21, s20
	s_cbranch_execz .LBB88_466
; %bb.463:                              ;   in Loop: Header=BB88_454 Depth=1
	v_and_b32_e32 v14, s0, v8
	s_mov_b32 s20, 0
	s_mov_b32 s22, exec_lo
	s_wait_dscnt 0x0
	s_delay_alu instid0(VALU_DEP_1) | instskip(NEXT) | instid1(VALU_DEP_1)
	v_bcnt_u32_b32 v14, v14, v12
	v_cmpx_gt_u32_e64 s37, v14
	s_cbranch_execz .LBB88_465
; %bb.464:                              ;   in Loop: Header=BB88_454 Depth=1
	s_wait_kmcnt 0x0
	v_mul_lo_u32 v15, v14, s16
	v_mul_lo_u32 v14, v14, s17
	s_mov_b32 s20, exec_lo
	s_wait_loadcnt 0x0
	global_store_b32 v15, v1, s[6:7] scale_offset
	global_store_b64 v14, v[2:3], s[8:9] scale_offset
.LBB88_465:                             ;   in Loop: Header=BB88_454 Depth=1
	s_wait_xcnt 0x0
	s_or_b32 exec_lo, exec_lo, s22
	s_delay_alu instid0(SALU_CYCLE_1)
	s_or_not1_b32 s22, s20, exec_lo
.LBB88_466:                             ;   in Loop: Header=BB88_454 Depth=1
	s_or_b32 exec_lo, exec_lo, s21
	s_mov_b32 s20, -1
	s_and_saveexec_b32 s21, s22
	s_cbranch_execz .LBB88_453
; %bb.467:                              ;   in Loop: Header=BB88_454 Depth=1
	v_cmp_le_u32_e64 s0, s5, v9
	v_add_nc_u32_e32 v5, s51, v5
	s_xor_b32 s20, exec_lo, -1
	s_or_not1_b32 s1, s0, exec_lo
	s_branch .LBB88_453
.LBB88_468:
	s_or_b32 exec_lo, exec_lo, s18
	s_delay_alu instid0(SALU_CYCLE_1)
	s_mov_b32 s1, exec_lo
	s_or_not1_b32 s18, s19, exec_lo
	s_or_b32 exec_lo, exec_lo, s10
	s_and_saveexec_b32 s4, s18
	s_cbranch_execz .LBB88_443
.LBB88_469:
	s_wait_dscnt 0x0
	v_mov_b32_e32 v12, 0
	s_wait_loadcnt 0x0
	s_wait_storecnt 0x0
	s_barrier_signal -1
	s_barrier_wait -1
	s_and_saveexec_b32 s0, s3
	s_cbranch_execz .LBB88_471
; %bb.470:
	global_load_b32 v12, v[10:11], off
.LBB88_471:
	s_wait_xcnt 0x0
	s_or_b32 exec_lo, exec_lo, s0
	s_mov_b32 s0, 0
	s_and_saveexec_b32 s3, vcc_lo
	s_cbranch_execz .LBB88_491
; %bb.472:
	v_add_nc_u32_e32 v1, s47, v0
	s_mov_b32 s10, 0
                                        ; implicit-def: $sgpr11
                                        ; implicit-def: $vgpr9
	s_delay_alu instid0(VALU_DEP_1)
	v_mul_lo_u32 v2, s43, v1
	v_mov_b32_e32 v1, 0
	s_branch .LBB88_475
.LBB88_473:                             ;   in Loop: Header=BB88_475 Depth=1
	s_or_b32 exec_lo, exec_lo, s20
	s_delay_alu instid0(SALU_CYCLE_1)
	s_or_not1_b32 s20, s18, exec_lo
	s_or_not1_b32 s19, s19, exec_lo
.LBB88_474:                             ;   in Loop: Header=BB88_475 Depth=1
	s_or_b32 exec_lo, exec_lo, s0
	s_xor_b32 s0, s20, -1
	s_and_b32 s18, exec_lo, s19
	v_dual_mov_b32 v0, v3 :: v_dual_mov_b32 v12, v5
	s_or_b32 s10, s18, s10
	s_and_not1_b32 s11, s11, exec_lo
	s_and_b32 s0, s0, exec_lo
	s_delay_alu instid0(SALU_CYCLE_1)
	s_or_b32 s11, s11, s0
	s_and_not1_b32 exec_lo, exec_lo, s10
	s_cbranch_execz .LBB88_489
.LBB88_475:                             ; =>This Inner Loop Header: Depth=1
	v_dual_add_nc_u32 v3, s47, v0 :: v_dual_mov_b32 v5, 0
	s_mov_b32 s0, exec_lo
	s_delay_alu instid0(VALU_DEP_1)
	v_cmpx_gt_u32_e64 s36, v3
	s_cbranch_execz .LBB88_477
; %bb.476:                              ;   in Loop: Header=BB88_475 Depth=1
	v_readfirstlane_b32 s18, v6
	v_readfirstlane_b32 s19, v7
	global_load_b32 v5, v2, s[18:19] scale_offset
.LBB88_477:                             ;   in Loop: Header=BB88_475 Depth=1
	s_wait_xcnt 0x0
	s_or_b32 exec_lo, exec_lo, s0
	s_wait_loadcnt 0x0
	v_cmp_lt_i32_e32 vcc_lo, -1, v12
	v_cndmask_b32_e64 v10, -1, 0x80000000, vcc_lo
	v_cmp_o_f32_e32 vcc_lo, v12, v12
	s_delay_alu instid0(VALU_DEP_2) | instskip(NEXT) | instid1(VALU_DEP_1)
	v_xor_b32_e32 v10, v10, v12
	v_cndmask_b32_e32 v10, -1, v10, vcc_lo
	v_cmp_gt_u32_e32 vcc_lo, s36, v0
	s_delay_alu instid0(VALU_DEP_2) | instskip(SKIP_1) | instid1(SALU_CYCLE_1)
	v_cmp_eq_u32_e64 s0, v10, v4
	s_and_b32 s18, vcc_lo, s0
	v_cndmask_b32_e64 v10, 0, 1, s18
	s_delay_alu instid0(VALU_DEP_1) | instskip(SKIP_2) | instid1(SALU_CYCLE_1)
	v_cmp_ne_u32_e32 vcc_lo, 0, v10
	s_cmp_lg_u32 vcc_lo, 0
	s_cselect_b32 s0, -1, 0
	s_and_b32 s0, s2, s0
	s_delay_alu instid0(SALU_CYCLE_1)
	s_and_saveexec_b32 s19, s0
	s_cbranch_execz .LBB88_481
; %bb.478:                              ;   in Loop: Header=BB88_475 Depth=1
	s_mov_b32 s22, exec_lo
	s_bcnt1_i32_b32 s20, vcc_lo
	v_mbcnt_lo_u32_b32 v9, s22, 0
	s_mov_b32 s21, exec_lo
                                        ; implicit-def: $vgpr10
	s_delay_alu instid0(VALU_DEP_1)
	v_cmpx_eq_u32_e32 0, v9
; %bb.479:                              ;   in Loop: Header=BB88_475 Depth=1
	s_bcnt1_i32_b32 s0, s22
	s_delay_alu instid0(SALU_CYCLE_1) | instskip(NEXT) | instid1(SALU_CYCLE_1)
	s_mul_i32 s0, s20, s0
	v_mov_b32_e32 v10, s0
	ds_add_rtn_u32 v10, v1, v10 offset:4108
; %bb.480:                              ;   in Loop: Header=BB88_475 Depth=1
	s_or_b32 exec_lo, exec_lo, s21
	s_wait_dscnt 0x0
	v_readfirstlane_b32 s0, v10
	s_delay_alu instid0(VALU_DEP_1)
	v_mad_u32_u24 v9, s20, v9, s0
.LBB88_481:                             ;   in Loop: Header=BB88_475 Depth=1
	s_or_b32 exec_lo, exec_lo, s19
	ds_bpermute_b32 v9, v1, v9
	s_cmp_eq_u32 vcc_lo, 0
	s_mov_b32 s19, -1
	s_cselect_b32 s20, -1, 0
	s_wait_dscnt 0x0
	v_cmp_gt_u32_e64 s0, s37, v9
	s_or_b32 s21, s20, s0
	s_mov_b32 s20, -1
	s_and_saveexec_b32 s0, s21
	s_cbranch_execz .LBB88_474
; %bb.482:                              ;   in Loop: Header=BB88_475 Depth=1
	v_dual_sub_nc_u32 v11, s37, v9 :: v_dual_bitop2_b32 v10, vcc_lo, v8 bitop3:0x40
	s_mov_b32 s21, -1
	s_delay_alu instid0(VALU_DEP_1) | instskip(NEXT) | instid1(VALU_DEP_1)
	v_bcnt_u32_b32 v10, v10, 0
	v_bcnt_u32_b32 v10, 0, v10
	s_delay_alu instid0(VALU_DEP_1)
	v_cmp_gt_u32_e32 vcc_lo, v11, v10
	s_and_b32 s22, s18, vcc_lo
	s_mov_b32 s18, -1
	s_and_saveexec_b32 s20, s22
	s_cbranch_execz .LBB88_486
; %bb.483:                              ;   in Loop: Header=BB88_475 Depth=1
	v_add_nc_u32_e32 v10, v9, v10
	s_mov_b32 s21, 0
	s_mov_b32 s18, exec_lo
	s_delay_alu instid0(VALU_DEP_1)
	v_cmpx_gt_u32_e64 s37, v10
	s_cbranch_execz .LBB88_485
; %bb.484:                              ;   in Loop: Header=BB88_475 Depth=1
	s_wait_kmcnt 0x0
	v_mul_lo_u32 v11, v10, s16
	v_mul_lo_u32 v10, v10, s17
	s_mov_b32 s21, exec_lo
	global_store_b32 v11, v12, s[6:7] scale_offset
	global_store_b64 v10, v[0:1], s[8:9] scale_offset
.LBB88_485:                             ;   in Loop: Header=BB88_475 Depth=1
	s_wait_xcnt 0x0
	s_or_b32 exec_lo, exec_lo, s18
	s_delay_alu instid0(SALU_CYCLE_1)
	s_xor_b32 s18, exec_lo, -1
	s_or_not1_b32 s21, s21, exec_lo
.LBB88_486:                             ;   in Loop: Header=BB88_475 Depth=1
	s_or_b32 exec_lo, exec_lo, s20
	s_and_saveexec_b32 s20, s21
	s_cbranch_execz .LBB88_473
; %bb.487:                              ;   in Loop: Header=BB88_475 Depth=1
	v_cmp_le_u32_e32 vcc_lo, s5, v3
	v_add_nc_u32_e32 v2, s51, v2
	s_or_b32 s18, s18, exec_lo
	s_or_not1_b32 s19, vcc_lo, exec_lo
	s_branch .LBB88_473
.LBB88_488:
	s_or_b32 s8, s8, exec_lo
	s_trap 2
	s_branch .LBB88_450
.LBB88_489:
	s_or_b32 exec_lo, exec_lo, s10
	s_mov_b32 s0, 0
	s_and_saveexec_b32 s2, s11
	s_delay_alu instid0(SALU_CYCLE_1)
	s_xor_b32 s2, exec_lo, s2
	s_cbranch_execnz .LBB88_495
.LBB88_490:
	s_or_b32 exec_lo, exec_lo, s2
	s_delay_alu instid0(SALU_CYCLE_1)
	s_and_b32 s0, s0, exec_lo
.LBB88_491:
	s_or_b32 exec_lo, exec_lo, s3
	s_delay_alu instid0(SALU_CYCLE_1) | instskip(SKIP_3) | instid1(SALU_CYCLE_1)
	s_and_b32 s11, s0, exec_lo
	s_and_not1_b32 s1, s1, exec_lo
	s_or_b32 exec_lo, exec_lo, s4
	s_and_saveexec_b32 s0, s1
	s_xor_b32 s0, exec_lo, s0
	s_cbranch_execz .LBB88_444
.LBB88_492:
	s_or_b32 s11, s11, exec_lo
	s_trap 2
	s_branch .LBB88_444
.LBB88_493:
	s_or_b32 s8, s8, exec_lo
	s_trap 2
	s_branch .LBB88_448
.LBB88_494:
	s_or_b32 s8, s8, exec_lo
	s_trap 2
	s_branch .LBB88_446
.LBB88_495:
	s_mov_b32 s0, exec_lo
	s_trap 2
	s_branch .LBB88_490
	.section	.rodata,"a",@progbits
	.p2align	6, 0x0
	.amdhsa_kernel _ZN2at6native6sbtopk10gatherTopKIfjLi3ELb0EEEvNS_4cuda6detail10TensorInfoIKT_T0_EES8_S8_bS8_S8_NS5_IS6_S8_EES8_NS5_IlS8_EES8_PS6_
		.amdhsa_group_segment_fixed_size 4112
		.amdhsa_private_segment_fixed_size 0
		.amdhsa_kernarg_size 952
		.amdhsa_user_sgpr_count 2
		.amdhsa_user_sgpr_dispatch_ptr 0
		.amdhsa_user_sgpr_queue_ptr 0
		.amdhsa_user_sgpr_kernarg_segment_ptr 1
		.amdhsa_user_sgpr_dispatch_id 0
		.amdhsa_user_sgpr_kernarg_preload_length 0
		.amdhsa_user_sgpr_kernarg_preload_offset 0
		.amdhsa_user_sgpr_private_segment_size 0
		.amdhsa_wavefront_size32 1
		.amdhsa_uses_dynamic_stack 0
		.amdhsa_enable_private_segment 0
		.amdhsa_system_sgpr_workgroup_id_x 1
		.amdhsa_system_sgpr_workgroup_id_y 1
		.amdhsa_system_sgpr_workgroup_id_z 1
		.amdhsa_system_sgpr_workgroup_info 0
		.amdhsa_system_vgpr_workitem_id 0
		.amdhsa_next_free_vgpr 69
		.amdhsa_next_free_sgpr 105
		.amdhsa_named_barrier_count 0
		.amdhsa_reserve_vcc 1
		.amdhsa_float_round_mode_32 0
		.amdhsa_float_round_mode_16_64 0
		.amdhsa_float_denorm_mode_32 3
		.amdhsa_float_denorm_mode_16_64 3
		.amdhsa_fp16_overflow 0
		.amdhsa_memory_ordered 1
		.amdhsa_forward_progress 1
		.amdhsa_inst_pref_size 137
		.amdhsa_round_robin_scheduling 0
		.amdhsa_exception_fp_ieee_invalid_op 0
		.amdhsa_exception_fp_denorm_src 0
		.amdhsa_exception_fp_ieee_div_zero 0
		.amdhsa_exception_fp_ieee_overflow 0
		.amdhsa_exception_fp_ieee_underflow 0
		.amdhsa_exception_fp_ieee_inexact 0
		.amdhsa_exception_int_div_zero 0
	.end_amdhsa_kernel
	.section	.text._ZN2at6native6sbtopk10gatherTopKIfjLi3ELb0EEEvNS_4cuda6detail10TensorInfoIKT_T0_EES8_S8_bS8_S8_NS5_IS6_S8_EES8_NS5_IlS8_EES8_PS6_,"axG",@progbits,_ZN2at6native6sbtopk10gatherTopKIfjLi3ELb0EEEvNS_4cuda6detail10TensorInfoIKT_T0_EES8_S8_bS8_S8_NS5_IS6_S8_EES8_NS5_IlS8_EES8_PS6_,comdat
.Lfunc_end88:
	.size	_ZN2at6native6sbtopk10gatherTopKIfjLi3ELb0EEEvNS_4cuda6detail10TensorInfoIKT_T0_EES8_S8_bS8_S8_NS5_IS6_S8_EES8_NS5_IlS8_EES8_PS6_, .Lfunc_end88-_ZN2at6native6sbtopk10gatherTopKIfjLi3ELb0EEEvNS_4cuda6detail10TensorInfoIKT_T0_EES8_S8_bS8_S8_NS5_IS6_S8_EES8_NS5_IlS8_EES8_PS6_
                                        ; -- End function
	.set _ZN2at6native6sbtopk10gatherTopKIfjLi3ELb0EEEvNS_4cuda6detail10TensorInfoIKT_T0_EES8_S8_bS8_S8_NS5_IS6_S8_EES8_NS5_IlS8_EES8_PS6_.num_vgpr, 69
	.set _ZN2at6native6sbtopk10gatherTopKIfjLi3ELb0EEEvNS_4cuda6detail10TensorInfoIKT_T0_EES8_S8_bS8_S8_NS5_IS6_S8_EES8_NS5_IlS8_EES8_PS6_.num_agpr, 0
	.set _ZN2at6native6sbtopk10gatherTopKIfjLi3ELb0EEEvNS_4cuda6detail10TensorInfoIKT_T0_EES8_S8_bS8_S8_NS5_IS6_S8_EES8_NS5_IlS8_EES8_PS6_.numbered_sgpr, 105
	.set _ZN2at6native6sbtopk10gatherTopKIfjLi3ELb0EEEvNS_4cuda6detail10TensorInfoIKT_T0_EES8_S8_bS8_S8_NS5_IS6_S8_EES8_NS5_IlS8_EES8_PS6_.num_named_barrier, 0
	.set _ZN2at6native6sbtopk10gatherTopKIfjLi3ELb0EEEvNS_4cuda6detail10TensorInfoIKT_T0_EES8_S8_bS8_S8_NS5_IS6_S8_EES8_NS5_IlS8_EES8_PS6_.private_seg_size, 0
	.set _ZN2at6native6sbtopk10gatherTopKIfjLi3ELb0EEEvNS_4cuda6detail10TensorInfoIKT_T0_EES8_S8_bS8_S8_NS5_IS6_S8_EES8_NS5_IlS8_EES8_PS6_.uses_vcc, 1
	.set _ZN2at6native6sbtopk10gatherTopKIfjLi3ELb0EEEvNS_4cuda6detail10TensorInfoIKT_T0_EES8_S8_bS8_S8_NS5_IS6_S8_EES8_NS5_IlS8_EES8_PS6_.uses_flat_scratch, 0
	.set _ZN2at6native6sbtopk10gatherTopKIfjLi3ELb0EEEvNS_4cuda6detail10TensorInfoIKT_T0_EES8_S8_bS8_S8_NS5_IS6_S8_EES8_NS5_IlS8_EES8_PS6_.has_dyn_sized_stack, 0
	.set _ZN2at6native6sbtopk10gatherTopKIfjLi3ELb0EEEvNS_4cuda6detail10TensorInfoIKT_T0_EES8_S8_bS8_S8_NS5_IS6_S8_EES8_NS5_IlS8_EES8_PS6_.has_recursion, 0
	.set _ZN2at6native6sbtopk10gatherTopKIfjLi3ELb0EEEvNS_4cuda6detail10TensorInfoIKT_T0_EES8_S8_bS8_S8_NS5_IS6_S8_EES8_NS5_IlS8_EES8_PS6_.has_indirect_call, 0
	.section	.AMDGPU.csdata,"",@progbits
; Kernel info:
; codeLenInByte = 17484
; TotalNumSgprs: 107
; NumVgprs: 69
; ScratchSize: 0
; MemoryBound: 0
; FloatMode: 240
; IeeeMode: 1
; LDSByteSize: 4112 bytes/workgroup (compile time only)
; SGPRBlocks: 0
; VGPRBlocks: 4
; NumSGPRsForWavesPerEU: 107
; NumVGPRsForWavesPerEU: 69
; NamedBarCnt: 0
; Occupancy: 12
; WaveLimiterHint : 1
; COMPUTE_PGM_RSRC2:SCRATCH_EN: 0
; COMPUTE_PGM_RSRC2:USER_SGPR: 2
; COMPUTE_PGM_RSRC2:TRAP_HANDLER: 0
; COMPUTE_PGM_RSRC2:TGID_X_EN: 1
; COMPUTE_PGM_RSRC2:TGID_Y_EN: 1
; COMPUTE_PGM_RSRC2:TGID_Z_EN: 1
; COMPUTE_PGM_RSRC2:TIDIG_COMP_CNT: 0
	.section	.text._ZN2at6native6mbtopk23computeBlockDigitCountsIfjjLin1EEEvNS_4cuda6detail10TensorInfoIKT_T0_EEjPjjS8_iijT1_PSB_Ps,"axG",@progbits,_ZN2at6native6mbtopk23computeBlockDigitCountsIfjjLin1EEEvNS_4cuda6detail10TensorInfoIKT_T0_EEjPjjS8_iijT1_PSB_Ps,comdat
	.protected	_ZN2at6native6mbtopk23computeBlockDigitCountsIfjjLin1EEEvNS_4cuda6detail10TensorInfoIKT_T0_EEjPjjS8_iijT1_PSB_Ps ; -- Begin function _ZN2at6native6mbtopk23computeBlockDigitCountsIfjjLin1EEEvNS_4cuda6detail10TensorInfoIKT_T0_EEjPjjS8_iijT1_PSB_Ps
	.globl	_ZN2at6native6mbtopk23computeBlockDigitCountsIfjjLin1EEEvNS_4cuda6detail10TensorInfoIKT_T0_EEjPjjS8_iijT1_PSB_Ps
	.p2align	8
	.type	_ZN2at6native6mbtopk23computeBlockDigitCountsIfjjLin1EEEvNS_4cuda6detail10TensorInfoIKT_T0_EEjPjjS8_iijT1_PSB_Ps,@function
_ZN2at6native6mbtopk23computeBlockDigitCountsIfjjLin1EEEvNS_4cuda6detail10TensorInfoIKT_T0_EEjPjjS8_iijT1_PSB_Ps: ; @_ZN2at6native6mbtopk23computeBlockDigitCountsIfjjLin1EEEvNS_4cuda6detail10TensorInfoIKT_T0_EEjPjjS8_iijT1_PSB_Ps
; %bb.0:
	s_load_b64 s[2:3], s[0:1], 0xf8
	s_bfe_u32 s4, ttmp6, 0x40010
	s_and_b32 s6, ttmp7, 0xffff
	s_add_co_i32 s7, s4, 1
	s_bfe_u32 s8, ttmp6, 0x40004
	s_mul_i32 s7, s6, s7
	s_load_b64 s[4:5], s[0:1], 0x110
	s_add_co_i32 s7, s8, s7
	s_bfe_u32 s9, ttmp6, 0x4000c
	s_bfe_u32 s11, ttmp6, 0x40014
	s_add_co_i32 s9, s9, 1
	s_and_b32 s10, ttmp6, 15
	s_mul_i32 s9, ttmp9, s9
	s_add_co_i32 s11, s11, 1
	s_add_co_i32 s12, s10, s9
	s_bfe_u32 s10, ttmp6, 0x40008
	s_mov_b32 s15, 0
	s_wait_kmcnt 0x0
	s_cvt_f32_u32 s8, s2
	s_delay_alu instid0(SALU_CYCLE_3) | instskip(SKIP_1) | instid1(SALU_CYCLE_1)
	v_rcp_iflag_f32_e32 v1, s8
	s_lshr_b32 s8, ttmp7, 16
	s_mul_i32 s9, s8, s11
	s_getreg_b32 s11, hwreg(HW_REG_IB_STS2, 6, 4)
	s_add_co_i32 s10, s10, s9
	s_cmp_eq_u32 s11, 0
	v_nop
	v_readfirstlane_b32 s13, v1
	s_cselect_b32 s14, s8, s10
	s_load_b128 s[8:11], s[0:1], 0xe8
	s_mul_i32 s5, s5, s14
	s_cselect_b32 s12, ttmp9, s12
	s_mul_f32 s13, s13, 0x4f7ffffe
	s_cselect_b32 s6, s6, s7
	s_sub_co_i32 s7, 0, s2
	s_add_co_i32 s5, s5, s6
	s_cvt_u32_f32 s13, s13
	s_mul_i32 s16, s5, s4
	s_delay_alu instid0(SALU_CYCLE_1) | instskip(NEXT) | instid1(SALU_CYCLE_1)
	s_add_co_i32 s16, s16, s12
	s_mul_i32 s7, s7, s13
	s_delay_alu instid0(SALU_CYCLE_1) | instskip(NEXT) | instid1(SALU_CYCLE_1)
	s_mul_hi_u32 s4, s13, s7
	s_add_co_i32 s13, s13, s4
	s_delay_alu instid0(SALU_CYCLE_1) | instskip(NEXT) | instid1(SALU_CYCLE_1)
	s_mul_hi_u32 s4, s16, s13
	s_mul_i32 s5, s4, s2
	s_add_co_i32 s6, s4, 1
	s_sub_co_i32 s5, s16, s5
	s_delay_alu instid0(SALU_CYCLE_1)
	s_sub_co_i32 s7, s5, s2
	s_cmp_ge_u32 s5, s2
	s_cselect_b32 s4, s6, s4
	s_cselect_b32 s5, s7, s5
	s_add_co_i32 s6, s4, 1
	s_cmp_ge_u32 s5, s2
	s_cselect_b32 s17, s6, s4
	s_wait_kmcnt 0x0
	s_cmp_ge_u32 s17, s8
	s_cbranch_scc1 .LBB89_30
; %bb.1:
	s_clause 0x1
	s_load_b32 s8, s[0:1], 0xd0
	s_load_b128 s[4:7], s[0:1], 0x100
	s_mov_b32 s18, s17
	s_wait_kmcnt 0x0
	s_cmp_lt_i32 s8, 2
	s_cbranch_scc1 .LBB89_4
; %bb.2:
	s_add_co_i32 s14, s8, -1
	s_add_co_i32 s8, s8, 1
	s_lshl_b64 s[12:13], s[14:15], 2
	s_mov_b32 s18, s17
	s_add_nc_u64 s[12:13], s[0:1], s[12:13]
	s_delay_alu instid0(SALU_CYCLE_1)
	s_add_nc_u64 s[12:13], s[12:13], 8
.LBB89_3:                               ; =>This Inner Loop Header: Depth=1
	s_clause 0x1
	s_load_b32 s14, s[12:13], 0x0
	s_load_b32 s19, s[12:13], 0x64
	s_mov_b32 s22, s18
	s_wait_xcnt 0x0
	s_add_nc_u64 s[12:13], s[12:13], -4
	s_wait_kmcnt 0x0
	s_cvt_f32_u32 s20, s14
	s_sub_co_i32 s21, 0, s14
	s_delay_alu instid0(SALU_CYCLE_2) | instskip(SKIP_1) | instid1(TRANS32_DEP_1)
	v_rcp_iflag_f32_e32 v1, s20
	v_nop
	v_readfirstlane_b32 s20, v1
	s_mul_f32 s20, s20, 0x4f7ffffe
	s_delay_alu instid0(SALU_CYCLE_3) | instskip(NEXT) | instid1(SALU_CYCLE_3)
	s_cvt_u32_f32 s20, s20
	s_mul_i32 s21, s21, s20
	s_delay_alu instid0(SALU_CYCLE_1) | instskip(NEXT) | instid1(SALU_CYCLE_1)
	s_mul_hi_u32 s21, s20, s21
	s_add_co_i32 s20, s20, s21
	s_delay_alu instid0(SALU_CYCLE_1) | instskip(NEXT) | instid1(SALU_CYCLE_1)
	s_mul_hi_u32 s18, s18, s20
	s_mul_i32 s20, s18, s14
	s_add_co_i32 s21, s18, 1
	s_sub_co_i32 s20, s22, s20
	s_delay_alu instid0(SALU_CYCLE_1)
	s_sub_co_i32 s23, s20, s14
	s_cmp_ge_u32 s20, s14
	s_cselect_b32 s18, s21, s18
	s_cselect_b32 s20, s23, s20
	s_add_co_i32 s21, s18, 1
	s_cmp_ge_u32 s20, s14
	s_cselect_b32 s18, s21, s18
	s_add_co_i32 s8, s8, -1
	s_mul_i32 s14, s18, s14
	s_delay_alu instid0(SALU_CYCLE_1) | instskip(NEXT) | instid1(SALU_CYCLE_1)
	s_sub_co_i32 s14, s22, s14
	s_mul_i32 s14, s19, s14
	s_delay_alu instid0(SALU_CYCLE_1)
	s_add_co_i32 s15, s14, s15
	s_cmp_gt_u32 s8, 2
	s_cbranch_scc1 .LBB89_3
.LBB89_4:
	s_load_b32 s8, s[4:5], s17 offset:0x0 scale_offset
	v_cmp_gt_u32_e32 vcc_lo, 0x100, v0
	v_lshlrev_b32_e32 v1, 2, v0
	s_wait_xcnt 0x0
	s_and_saveexec_b32 s4, vcc_lo
; %bb.5:
	v_mov_b32_e32 v2, 0
	ds_store_b32 v1, v2
; %bb.6:
	s_or_b32 exec_lo, exec_lo, s4
	s_load_b32 s14, s[0:1], 0xd8
	s_mul_i32 s17, s17, s2
	s_mov_b32 s13, 0
	s_sub_co_i32 s19, s16, s17
	s_wait_dscnt 0x0
	s_mul_i32 s4, s11, s19
	s_add_co_i32 s19, s19, 1
	s_lshl_b32 s17, s4, 8
	s_barrier_signal -1
	s_barrier_wait -1
	s_wait_kmcnt 0x0
	s_sub_co_i32 s12, s14, s17
	s_delay_alu instid0(SALU_CYCLE_1) | instskip(NEXT) | instid1(SALU_CYCLE_1)
	s_add_nc_u64 s[4:5], s[12:13], 0xff
	s_lshr_b64 s[4:5], s[4:5], 8
	s_cmp_lt_u32 s19, s2
	s_cselect_b32 s2, s11, s4
	s_delay_alu instid0(SALU_CYCLE_1)
	s_cmp_lt_i32 s2, 1
	s_cbranch_scc1 .LBB89_28
; %bb.7:
	s_clause 0x1
	s_load_b32 s11, s[0:1], 0x6c
	s_load_b64 s[4:5], s[0:1], 0x0
	s_wait_xcnt 0x0
	s_and_b32 s1, s10, 0xff
	s_wait_kmcnt 0x0
	s_mul_i32 s0, s11, s18
	s_delay_alu instid0(SALU_CYCLE_1) | instskip(NEXT) | instid1(SALU_CYCLE_1)
	s_add_co_i32 s12, s0, s15
	s_lshl_b64 s[18:19], s[12:13], 2
	s_cmp_lt_u32 s2, 4
	s_add_nc_u64 s[4:5], s[4:5], s[18:19]
	s_cbranch_scc1 .LBB89_22
; %bb.8:
	v_dual_mov_b32 v7, 1 :: v_dual_add_nc_u32 v6, s17, v0
	s_and_b32 s13, s2, 0x7ffffffc
	s_lshl_b32 s10, s9, 10
	s_mov_b32 s11, 0
	s_delay_alu instid0(VALU_DEP_1)
	v_add_nc_u32_e32 v2, 0x300, v6
	v_add_nc_u32_e32 v4, 0x200, v6
	;; [unrolled: 1-line block ×3, first 2 shown]
	v_mul_lo_u32 v6, s9, v6
	s_mov_b32 s12, 0
	v_mul_lo_u32 v3, s9, v2
	v_mul_lo_u32 v4, s9, v4
	;; [unrolled: 1-line block ×3, first 2 shown]
	s_branch .LBB89_10
.LBB89_9:                               ;   in Loop: Header=BB89_10 Depth=1
	s_or_b32 exec_lo, exec_lo, s15
	v_add_nc_u32_e32 v2, 0x400, v2
	s_add_co_i32 s12, s12, 4
	s_add_co_i32 s11, s11, s10
	s_cmp_eq_u32 s13, s12
	s_cbranch_scc1 .LBB89_22
.LBB89_10:                              ; =>This Inner Loop Header: Depth=1
	v_add_nc_u32_e32 v8, 0xfffffd00, v2
	s_mov_b32 s15, exec_lo
	s_delay_alu instid0(VALU_DEP_1)
	v_cmpx_gt_u32_e64 s14, v8
	s_cbranch_execz .LBB89_13
; %bb.11:                               ;   in Loop: Header=BB89_10 Depth=1
	v_add_nc_u32_e32 v8, s11, v6
	global_load_b32 v8, v8, s[4:5] scale_offset
	s_wait_loadcnt 0x0
	v_cmp_lt_i32_e64 s0, -1, v8
	s_delay_alu instid0(VALU_DEP_1) | instskip(SKIP_1) | instid1(VALU_DEP_2)
	v_cndmask_b32_e64 v9, -1, 0x80000000, s0
	v_cmp_o_f32_e64 s0, v8, v8
	v_xor_b32_e32 v9, v9, v8
	s_wait_xcnt 0x0
	s_delay_alu instid0(VALU_DEP_1) | instskip(NEXT) | instid1(VALU_DEP_1)
	v_cndmask_b32_e64 v8, -1, v9, s0
	v_bitop3_b32 v9, v8, s3, s8 bitop3:0x48
	s_delay_alu instid0(VALU_DEP_1)
	v_cmp_eq_u32_e64 s0, 0, v9
	s_and_b32 exec_lo, exec_lo, s0
; %bb.12:                               ;   in Loop: Header=BB89_10 Depth=1
	v_bfe_u32 v8, v8, s1, 8
	s_delay_alu instid0(VALU_DEP_1)
	v_lshlrev_b32_e32 v8, 2, v8
	ds_add_u32 v8, v7
.LBB89_13:                              ;   in Loop: Header=BB89_10 Depth=1
	s_or_b32 exec_lo, exec_lo, s15
	v_add_nc_u32_e32 v8, 0xfffffe00, v2
	s_mov_b32 s15, exec_lo
	s_delay_alu instid0(VALU_DEP_1)
	v_cmpx_gt_u32_e64 s14, v8
	s_cbranch_execz .LBB89_16
; %bb.14:                               ;   in Loop: Header=BB89_10 Depth=1
	v_add_nc_u32_e32 v8, s11, v5
	global_load_b32 v8, v8, s[4:5] scale_offset
	s_wait_loadcnt 0x0
	v_cmp_lt_i32_e64 s0, -1, v8
	s_delay_alu instid0(VALU_DEP_1) | instskip(SKIP_1) | instid1(VALU_DEP_2)
	v_cndmask_b32_e64 v9, -1, 0x80000000, s0
	v_cmp_o_f32_e64 s0, v8, v8
	v_xor_b32_e32 v9, v9, v8
	s_delay_alu instid0(VALU_DEP_1) | instskip(NEXT) | instid1(VALU_DEP_1)
	v_cndmask_b32_e64 v8, -1, v9, s0
	v_bitop3_b32 v9, v8, s3, s8 bitop3:0x48
	s_delay_alu instid0(VALU_DEP_1)
	v_cmp_eq_u32_e64 s0, 0, v9
	s_and_b32 exec_lo, exec_lo, s0
; %bb.15:                               ;   in Loop: Header=BB89_10 Depth=1
	v_bfe_u32 v8, v8, s1, 8
	s_delay_alu instid0(VALU_DEP_1)
	v_lshlrev_b32_e32 v8, 2, v8
	ds_add_u32 v8, v7
.LBB89_16:                              ;   in Loop: Header=BB89_10 Depth=1
	s_or_b32 exec_lo, exec_lo, s15
	v_add_nc_u32_e32 v8, 0xffffff00, v2
	s_mov_b32 s15, exec_lo
	s_delay_alu instid0(VALU_DEP_1)
	v_cmpx_gt_u32_e64 s14, v8
	s_cbranch_execz .LBB89_19
; %bb.17:                               ;   in Loop: Header=BB89_10 Depth=1
	v_add_nc_u32_e32 v8, s11, v4
	global_load_b32 v8, v8, s[4:5] scale_offset
	s_wait_loadcnt 0x0
	v_cmp_lt_i32_e64 s0, -1, v8
	s_delay_alu instid0(VALU_DEP_1) | instskip(SKIP_1) | instid1(VALU_DEP_2)
	v_cndmask_b32_e64 v9, -1, 0x80000000, s0
	v_cmp_o_f32_e64 s0, v8, v8
	v_xor_b32_e32 v9, v9, v8
	s_delay_alu instid0(VALU_DEP_1) | instskip(NEXT) | instid1(VALU_DEP_1)
	v_cndmask_b32_e64 v8, -1, v9, s0
	v_bitop3_b32 v9, v8, s3, s8 bitop3:0x48
	s_delay_alu instid0(VALU_DEP_1)
	v_cmp_eq_u32_e64 s0, 0, v9
	s_and_b32 exec_lo, exec_lo, s0
; %bb.18:                               ;   in Loop: Header=BB89_10 Depth=1
	v_bfe_u32 v8, v8, s1, 8
	s_delay_alu instid0(VALU_DEP_1)
	v_lshlrev_b32_e32 v8, 2, v8
	ds_add_u32 v8, v7
.LBB89_19:                              ;   in Loop: Header=BB89_10 Depth=1
	s_or_b32 exec_lo, exec_lo, s15
	s_delay_alu instid0(SALU_CYCLE_1)
	s_mov_b32 s15, exec_lo
	v_cmpx_gt_u32_e64 s14, v2
	s_cbranch_execz .LBB89_9
; %bb.20:                               ;   in Loop: Header=BB89_10 Depth=1
	v_add_nc_u32_e32 v8, s11, v3
	global_load_b32 v8, v8, s[4:5] scale_offset
	s_wait_loadcnt 0x0
	v_cmp_lt_i32_e64 s0, -1, v8
	s_delay_alu instid0(VALU_DEP_1) | instskip(SKIP_1) | instid1(VALU_DEP_2)
	v_cndmask_b32_e64 v9, -1, 0x80000000, s0
	v_cmp_o_f32_e64 s0, v8, v8
	v_xor_b32_e32 v9, v9, v8
	s_delay_alu instid0(VALU_DEP_1) | instskip(NEXT) | instid1(VALU_DEP_1)
	v_cndmask_b32_e64 v8, -1, v9, s0
	v_bitop3_b32 v9, v8, s3, s8 bitop3:0x48
	s_delay_alu instid0(VALU_DEP_1)
	v_cmp_eq_u32_e64 s0, 0, v9
	s_and_b32 exec_lo, exec_lo, s0
	s_cbranch_execz .LBB89_9
; %bb.21:                               ;   in Loop: Header=BB89_10 Depth=1
	v_bfe_u32 v8, v8, s1, 8
	s_delay_alu instid0(VALU_DEP_1)
	v_lshlrev_b32_e32 v8, 2, v8
	ds_add_u32 v8, v7
	s_branch .LBB89_9
.LBB89_22:
	s_and_b32 s2, s2, 3
	s_delay_alu instid0(SALU_CYCLE_1)
	s_cmp_eq_u32 s2, 0
	s_cbranch_scc1 .LBB89_28
; %bb.23:
	s_lshl_b32 s0, s13, 8
	v_mov_b32_e32 v4, 1
	v_add3_u32 v2, s0, s17, v0
	s_delay_alu instid0(VALU_DEP_1)
	v_mul_lo_u32 v3, s9, v2
	s_lshl_b32 s9, s9, 8
	s_branch .LBB89_25
.LBB89_24:                              ;   in Loop: Header=BB89_25 Depth=1
	s_or_b32 exec_lo, exec_lo, s10
	s_delay_alu instid0(VALU_DEP_2) | instskip(SKIP_2) | instid1(SALU_CYCLE_1)
	v_add_nc_u32_e32 v3, s9, v3
	v_add_nc_u32_e32 v2, 0x100, v2
	s_add_co_i32 s2, s2, -1
	s_cmp_lg_u32 s2, 0
	s_cbranch_scc0 .LBB89_28
.LBB89_25:                              ; =>This Inner Loop Header: Depth=1
	s_mov_b32 s10, exec_lo
	v_cmpx_gt_u32_e64 s14, v2
	s_cbranch_execz .LBB89_24
; %bb.26:                               ;   in Loop: Header=BB89_25 Depth=1
	global_load_b32 v5, v3, s[4:5] scale_offset
	s_wait_loadcnt 0x0
	v_cmp_lt_i32_e64 s0, -1, v5
	s_delay_alu instid0(VALU_DEP_1) | instskip(SKIP_1) | instid1(VALU_DEP_2)
	v_cndmask_b32_e64 v6, -1, 0x80000000, s0
	v_cmp_o_f32_e64 s0, v5, v5
	v_xor_b32_e32 v6, v6, v5
	s_delay_alu instid0(VALU_DEP_1) | instskip(NEXT) | instid1(VALU_DEP_1)
	v_cndmask_b32_e64 v5, -1, v6, s0
	v_bitop3_b32 v6, v5, s3, s8 bitop3:0x48
	s_delay_alu instid0(VALU_DEP_1)
	v_cmp_eq_u32_e64 s0, 0, v6
	s_and_b32 exec_lo, exec_lo, s0
	s_cbranch_execz .LBB89_24
; %bb.27:                               ;   in Loop: Header=BB89_25 Depth=1
	v_bfe_u32 v5, v5, s1, 8
	s_delay_alu instid0(VALU_DEP_1)
	v_lshlrev_b32_e32 v5, 2, v5
	ds_add_u32 v5, v4
	s_branch .LBB89_24
.LBB89_28:
	s_wait_dscnt 0x0
	s_barrier_signal -1
	s_barrier_wait -1
	s_and_saveexec_b32 s0, vcc_lo
	s_cbranch_execz .LBB89_30
; %bb.29:
	ds_load_b32 v1, v1
	v_lshl_or_b32 v0, s16, 8, v0
	s_wait_dscnt 0x0
	global_store_b16 v0, v1, s[6:7] scale_offset
.LBB89_30:
	s_endpgm
	.section	.rodata,"a",@progbits
	.p2align	6, 0x0
	.amdhsa_kernel _ZN2at6native6mbtopk23computeBlockDigitCountsIfjjLin1EEEvNS_4cuda6detail10TensorInfoIKT_T0_EEjPjjS8_iijT1_PSB_Ps
		.amdhsa_group_segment_fixed_size 1024
		.amdhsa_private_segment_fixed_size 0
		.amdhsa_kernarg_size 528
		.amdhsa_user_sgpr_count 2
		.amdhsa_user_sgpr_dispatch_ptr 0
		.amdhsa_user_sgpr_queue_ptr 0
		.amdhsa_user_sgpr_kernarg_segment_ptr 1
		.amdhsa_user_sgpr_dispatch_id 0
		.amdhsa_user_sgpr_kernarg_preload_length 0
		.amdhsa_user_sgpr_kernarg_preload_offset 0
		.amdhsa_user_sgpr_private_segment_size 0
		.amdhsa_wavefront_size32 1
		.amdhsa_uses_dynamic_stack 0
		.amdhsa_enable_private_segment 0
		.amdhsa_system_sgpr_workgroup_id_x 1
		.amdhsa_system_sgpr_workgroup_id_y 1
		.amdhsa_system_sgpr_workgroup_id_z 1
		.amdhsa_system_sgpr_workgroup_info 0
		.amdhsa_system_vgpr_workitem_id 0
		.amdhsa_next_free_vgpr 10
		.amdhsa_next_free_sgpr 24
		.amdhsa_named_barrier_count 0
		.amdhsa_reserve_vcc 1
		.amdhsa_float_round_mode_32 0
		.amdhsa_float_round_mode_16_64 0
		.amdhsa_float_denorm_mode_32 3
		.amdhsa_float_denorm_mode_16_64 3
		.amdhsa_fp16_overflow 0
		.amdhsa_memory_ordered 1
		.amdhsa_forward_progress 1
		.amdhsa_inst_pref_size 14
		.amdhsa_round_robin_scheduling 0
		.amdhsa_exception_fp_ieee_invalid_op 0
		.amdhsa_exception_fp_denorm_src 0
		.amdhsa_exception_fp_ieee_div_zero 0
		.amdhsa_exception_fp_ieee_overflow 0
		.amdhsa_exception_fp_ieee_underflow 0
		.amdhsa_exception_fp_ieee_inexact 0
		.amdhsa_exception_int_div_zero 0
	.end_amdhsa_kernel
	.section	.text._ZN2at6native6mbtopk23computeBlockDigitCountsIfjjLin1EEEvNS_4cuda6detail10TensorInfoIKT_T0_EEjPjjS8_iijT1_PSB_Ps,"axG",@progbits,_ZN2at6native6mbtopk23computeBlockDigitCountsIfjjLin1EEEvNS_4cuda6detail10TensorInfoIKT_T0_EEjPjjS8_iijT1_PSB_Ps,comdat
.Lfunc_end89:
	.size	_ZN2at6native6mbtopk23computeBlockDigitCountsIfjjLin1EEEvNS_4cuda6detail10TensorInfoIKT_T0_EEjPjjS8_iijT1_PSB_Ps, .Lfunc_end89-_ZN2at6native6mbtopk23computeBlockDigitCountsIfjjLin1EEEvNS_4cuda6detail10TensorInfoIKT_T0_EEjPjjS8_iijT1_PSB_Ps
                                        ; -- End function
	.set _ZN2at6native6mbtopk23computeBlockDigitCountsIfjjLin1EEEvNS_4cuda6detail10TensorInfoIKT_T0_EEjPjjS8_iijT1_PSB_Ps.num_vgpr, 10
	.set _ZN2at6native6mbtopk23computeBlockDigitCountsIfjjLin1EEEvNS_4cuda6detail10TensorInfoIKT_T0_EEjPjjS8_iijT1_PSB_Ps.num_agpr, 0
	.set _ZN2at6native6mbtopk23computeBlockDigitCountsIfjjLin1EEEvNS_4cuda6detail10TensorInfoIKT_T0_EEjPjjS8_iijT1_PSB_Ps.numbered_sgpr, 24
	.set _ZN2at6native6mbtopk23computeBlockDigitCountsIfjjLin1EEEvNS_4cuda6detail10TensorInfoIKT_T0_EEjPjjS8_iijT1_PSB_Ps.num_named_barrier, 0
	.set _ZN2at6native6mbtopk23computeBlockDigitCountsIfjjLin1EEEvNS_4cuda6detail10TensorInfoIKT_T0_EEjPjjS8_iijT1_PSB_Ps.private_seg_size, 0
	.set _ZN2at6native6mbtopk23computeBlockDigitCountsIfjjLin1EEEvNS_4cuda6detail10TensorInfoIKT_T0_EEjPjjS8_iijT1_PSB_Ps.uses_vcc, 1
	.set _ZN2at6native6mbtopk23computeBlockDigitCountsIfjjLin1EEEvNS_4cuda6detail10TensorInfoIKT_T0_EEjPjjS8_iijT1_PSB_Ps.uses_flat_scratch, 0
	.set _ZN2at6native6mbtopk23computeBlockDigitCountsIfjjLin1EEEvNS_4cuda6detail10TensorInfoIKT_T0_EEjPjjS8_iijT1_PSB_Ps.has_dyn_sized_stack, 0
	.set _ZN2at6native6mbtopk23computeBlockDigitCountsIfjjLin1EEEvNS_4cuda6detail10TensorInfoIKT_T0_EEjPjjS8_iijT1_PSB_Ps.has_recursion, 0
	.set _ZN2at6native6mbtopk23computeBlockDigitCountsIfjjLin1EEEvNS_4cuda6detail10TensorInfoIKT_T0_EEjPjjS8_iijT1_PSB_Ps.has_indirect_call, 0
	.section	.AMDGPU.csdata,"",@progbits
; Kernel info:
; codeLenInByte = 1708
; TotalNumSgprs: 26
; NumVgprs: 10
; ScratchSize: 0
; MemoryBound: 0
; FloatMode: 240
; IeeeMode: 1
; LDSByteSize: 1024 bytes/workgroup (compile time only)
; SGPRBlocks: 0
; VGPRBlocks: 0
; NumSGPRsForWavesPerEU: 26
; NumVGPRsForWavesPerEU: 10
; NamedBarCnt: 0
; Occupancy: 16
; WaveLimiterHint : 1
; COMPUTE_PGM_RSRC2:SCRATCH_EN: 0
; COMPUTE_PGM_RSRC2:USER_SGPR: 2
; COMPUTE_PGM_RSRC2:TRAP_HANDLER: 0
; COMPUTE_PGM_RSRC2:TGID_X_EN: 1
; COMPUTE_PGM_RSRC2:TGID_Y_EN: 1
; COMPUTE_PGM_RSRC2:TGID_Z_EN: 1
; COMPUTE_PGM_RSRC2:TIDIG_COMP_CNT: 0
	.section	.text._ZN2at6native6mbtopk10gatherTopKIfjLin1EEEvNS_4cuda6detail10TensorInfoIKT_T0_EES8_S8_bjS8_NS5_IS6_S8_EES8_NS5_IlS8_EES8_jjPS6_PjSD_j,"axG",@progbits,_ZN2at6native6mbtopk10gatherTopKIfjLin1EEEvNS_4cuda6detail10TensorInfoIKT_T0_EES8_S8_bjS8_NS5_IS6_S8_EES8_NS5_IlS8_EES8_jjPS6_PjSD_j,comdat
	.protected	_ZN2at6native6mbtopk10gatherTopKIfjLin1EEEvNS_4cuda6detail10TensorInfoIKT_T0_EES8_S8_bjS8_NS5_IS6_S8_EES8_NS5_IlS8_EES8_jjPS6_PjSD_j ; -- Begin function _ZN2at6native6mbtopk10gatherTopKIfjLin1EEEvNS_4cuda6detail10TensorInfoIKT_T0_EES8_S8_bjS8_NS5_IS6_S8_EES8_NS5_IlS8_EES8_jjPS6_PjSD_j
	.globl	_ZN2at6native6mbtopk10gatherTopKIfjLin1EEEvNS_4cuda6detail10TensorInfoIKT_T0_EES8_S8_bjS8_NS5_IS6_S8_EES8_NS5_IlS8_EES8_jjPS6_PjSD_j
	.p2align	8
	.type	_ZN2at6native6mbtopk10gatherTopKIfjLin1EEEvNS_4cuda6detail10TensorInfoIKT_T0_EES8_S8_bjS8_NS5_IS6_S8_EES8_NS5_IlS8_EES8_jjPS6_PjSD_j,@function
_ZN2at6native6mbtopk10gatherTopKIfjLin1EEEvNS_4cuda6detail10TensorInfoIKT_T0_EES8_S8_bjS8_NS5_IS6_S8_EES8_NS5_IlS8_EES8_jjPS6_PjSD_j: ; @_ZN2at6native6mbtopk10gatherTopKIfjLin1EEEvNS_4cuda6detail10TensorInfoIKT_T0_EES8_S8_bjS8_NS5_IS6_S8_EES8_NS5_IlS8_EES8_jjPS6_PjSD_j
; %bb.0:
	s_bfe_u32 s2, ttmp6, 0x40010
	s_and_b32 s4, ttmp7, 0xffff
	s_add_co_i32 s5, s2, 1
	s_clause 0x1
	s_load_b32 s6, s[0:1], 0x2d0
	s_load_b64 s[2:3], s[0:1], 0x2d8
	s_bfe_u32 s8, ttmp6, 0x4000c
	s_mul_i32 s5, s4, s5
	s_bfe_u32 s7, ttmp6, 0x40004
	s_add_co_i32 s8, s8, 1
	s_bfe_u32 s9, ttmp6, 0x40014
	s_add_co_i32 s7, s7, s5
	s_and_b32 s5, ttmp6, 15
	s_mul_i32 s8, ttmp9, s8
	s_lshr_b32 s10, ttmp7, 16
	s_add_co_i32 s9, s9, 1
	s_add_co_i32 s5, s5, s8
	s_mul_i32 s8, s10, s9
	s_bfe_u32 s9, ttmp6, 0x40008
	s_getreg_b32 s11, hwreg(HW_REG_IB_STS2, 6, 4)
	s_add_co_i32 s9, s9, s8
	s_cmp_eq_u32 s11, 0
	s_mov_b32 s17, 0
	s_cselect_b32 s8, s10, s9
	s_cselect_b32 s4, s4, s7
	s_wait_kmcnt 0x0
	s_mul_i32 s3, s3, s8
	s_cselect_b32 s5, ttmp9, s5
	s_add_co_i32 s3, s3, s4
	s_delay_alu instid0(SALU_CYCLE_1) | instskip(NEXT) | instid1(SALU_CYCLE_1)
	s_mul_i32 s8, s3, s2
	s_add_co_i32 s8, s8, s5
	s_delay_alu instid0(SALU_CYCLE_1)
	s_cmp_ge_u32 s8, s6
	s_cbranch_scc1 .LBB90_49
; %bb.1:
	s_clause 0x1
	s_load_b96 s[12:14], s[0:1], 0x2a8
	s_load_b32 s2, s[0:1], 0xd0
	s_wait_kmcnt 0x0
	s_cvt_f32_u32 s3, s14
	s_sub_co_i32 s4, 0, s14
	s_delay_alu instid0(SALU_CYCLE_2) | instskip(SKIP_1) | instid1(TRANS32_DEP_1)
	v_rcp_iflag_f32_e32 v1, s3
	v_nop
	v_readfirstlane_b32 s3, v1
	s_mul_f32 s3, s3, 0x4f7ffffe
	s_delay_alu instid0(SALU_CYCLE_3) | instskip(NEXT) | instid1(SALU_CYCLE_3)
	s_cvt_u32_f32 s3, s3
	s_mul_i32 s4, s4, s3
	s_delay_alu instid0(SALU_CYCLE_1) | instskip(NEXT) | instid1(SALU_CYCLE_1)
	s_mul_hi_u32 s4, s3, s4
	s_add_co_i32 s3, s3, s4
	s_delay_alu instid0(SALU_CYCLE_1) | instskip(NEXT) | instid1(SALU_CYCLE_1)
	s_mul_hi_u32 s3, s8, s3
	s_mul_i32 s4, s3, s14
	s_add_co_i32 s5, s3, 1
	s_sub_co_i32 s4, s8, s4
	s_delay_alu instid0(SALU_CYCLE_1)
	s_sub_co_i32 s6, s4, s14
	s_cmp_ge_u32 s4, s14
	s_cselect_b32 s3, s5, s3
	s_cselect_b32 s4, s6, s4
	s_add_co_i32 s5, s3, 1
	s_cmp_ge_u32 s4, s14
	s_cselect_b32 s9, s5, s3
	s_cmp_lt_i32 s2, 2
	s_mov_b32 s15, s9
	s_cbranch_scc1 .LBB90_4
; %bb.2:
	s_add_co_i32 s16, s2, -1
	s_mov_b32 s15, s9
	s_lshl_b64 s[4:5], s[16:17], 2
	s_delay_alu instid0(SALU_CYCLE_1)
	s_add_nc_u64 s[6:7], s[0:1], s[4:5]
	s_add_co_i32 s4, s2, 1
	s_add_nc_u64 s[2:3], s[6:7], 8
.LBB90_3:                               ; =>This Inner Loop Header: Depth=1
	s_clause 0x1
	s_load_b32 s5, s[2:3], 0x0
	s_load_b32 s6, s[2:3], 0x64
	s_mov_b32 s11, s15
	s_wait_xcnt 0x0
	s_add_nc_u64 s[2:3], s[2:3], -4
	s_wait_kmcnt 0x0
	s_cvt_f32_u32 s7, s5
	s_sub_co_i32 s10, 0, s5
	s_delay_alu instid0(SALU_CYCLE_2) | instskip(SKIP_1) | instid1(TRANS32_DEP_1)
	v_rcp_iflag_f32_e32 v1, s7
	v_nop
	v_readfirstlane_b32 s7, v1
	s_mul_f32 s7, s7, 0x4f7ffffe
	s_delay_alu instid0(SALU_CYCLE_3) | instskip(NEXT) | instid1(SALU_CYCLE_3)
	s_cvt_u32_f32 s7, s7
	s_mul_i32 s10, s10, s7
	s_delay_alu instid0(SALU_CYCLE_1) | instskip(NEXT) | instid1(SALU_CYCLE_1)
	s_mul_hi_u32 s10, s7, s10
	s_add_co_i32 s7, s7, s10
	s_delay_alu instid0(SALU_CYCLE_1) | instskip(NEXT) | instid1(SALU_CYCLE_1)
	s_mul_hi_u32 s7, s15, s7
	s_mul_i32 s10, s7, s5
	s_delay_alu instid0(SALU_CYCLE_1)
	s_sub_co_i32 s10, s15, s10
	s_add_co_i32 s15, s7, 1
	s_sub_co_i32 s16, s10, s5
	s_cmp_ge_u32 s10, s5
	s_cselect_b32 s7, s15, s7
	s_cselect_b32 s10, s16, s10
	s_add_co_i32 s15, s7, 1
	s_cmp_ge_u32 s10, s5
	s_cselect_b32 s15, s15, s7
	s_add_co_i32 s4, s4, -1
	s_mul_i32 s5, s15, s5
	s_delay_alu instid0(SALU_CYCLE_1) | instskip(NEXT) | instid1(SALU_CYCLE_1)
	s_sub_co_i32 s5, s11, s5
	s_mul_i32 s5, s6, s5
	s_delay_alu instid0(SALU_CYCLE_1)
	s_add_co_i32 s17, s5, s17
	s_cmp_gt_u32 s4, 2
	s_cbranch_scc1 .LBB90_3
.LBB90_4:
	s_load_b32 s4, s[0:1], 0x1c0
	s_add_nc_u64 s[2:3], s[0:1], 0xf0
	s_mov_b32 s19, 0
	s_mov_b32 s16, s9
	s_wait_kmcnt 0x0
	s_cmp_lt_i32 s4, 2
	s_cbranch_scc1 .LBB90_7
; %bb.5:
	s_add_co_i32 s18, s4, -1
	s_mov_b32 s16, s9
	s_lshl_b64 s[6:7], s[18:19], 2
	s_delay_alu instid0(SALU_CYCLE_1)
	s_add_nc_u64 s[10:11], s[2:3], s[6:7]
	s_add_co_i32 s6, s4, 1
	s_add_nc_u64 s[4:5], s[10:11], 8
.LBB90_6:                               ; =>This Inner Loop Header: Depth=1
	s_clause 0x1
	s_load_b32 s7, s[4:5], 0x0
	s_load_b32 s10, s[4:5], 0x64
	s_mov_b32 s20, s16
	s_wait_xcnt 0x0
	s_add_nc_u64 s[4:5], s[4:5], -4
	s_wait_kmcnt 0x0
	s_cvt_f32_u32 s11, s7
	s_sub_co_i32 s18, 0, s7
	s_delay_alu instid0(SALU_CYCLE_2) | instskip(SKIP_1) | instid1(TRANS32_DEP_1)
	v_rcp_iflag_f32_e32 v1, s11
	v_nop
	v_readfirstlane_b32 s11, v1
	s_mul_f32 s11, s11, 0x4f7ffffe
	s_delay_alu instid0(SALU_CYCLE_3) | instskip(NEXT) | instid1(SALU_CYCLE_3)
	s_cvt_u32_f32 s11, s11
	s_mul_i32 s18, s18, s11
	s_delay_alu instid0(SALU_CYCLE_1) | instskip(NEXT) | instid1(SALU_CYCLE_1)
	s_mul_hi_u32 s18, s11, s18
	s_add_co_i32 s11, s11, s18
	s_delay_alu instid0(SALU_CYCLE_1) | instskip(NEXT) | instid1(SALU_CYCLE_1)
	s_mul_hi_u32 s11, s16, s11
	s_mul_i32 s16, s11, s7
	s_add_co_i32 s18, s11, 1
	s_sub_co_i32 s16, s20, s16
	s_delay_alu instid0(SALU_CYCLE_1)
	s_sub_co_i32 s21, s16, s7
	s_cmp_ge_u32 s16, s7
	s_cselect_b32 s11, s18, s11
	s_cselect_b32 s16, s21, s16
	s_add_co_i32 s18, s11, 1
	s_cmp_ge_u32 s16, s7
	s_cselect_b32 s16, s18, s11
	s_add_co_i32 s6, s6, -1
	s_mul_i32 s7, s16, s7
	s_delay_alu instid0(SALU_CYCLE_1) | instskip(NEXT) | instid1(SALU_CYCLE_1)
	s_sub_co_i32 s7, s20, s7
	s_mul_i32 s7, s10, s7
	s_delay_alu instid0(SALU_CYCLE_1)
	s_add_co_i32 s19, s7, s19
	s_cmp_gt_u32 s6, 2
	s_cbranch_scc1 .LBB90_6
.LBB90_7:
	s_clause 0x1
	s_load_b32 s18, s[0:1], 0x6c
	s_load_b32 s4, s[0:1], 0x2a0
	s_mov_b32 s21, 0
	s_mov_b32 s20, s9
	s_wait_kmcnt 0x0
	s_cmp_lt_i32 s4, 2
	s_cbranch_scc1 .LBB90_10
; %bb.8:
	s_add_co_i32 s20, s4, -1
	s_add_nc_u64 s[6:7], s[0:1], 0x1d0
	s_lshl_b64 s[10:11], s[20:21], 2
	s_mov_b32 s20, s9
	s_add_nc_u64 s[10:11], s[6:7], s[10:11]
	s_add_co_i32 s6, s4, 1
	s_add_nc_u64 s[4:5], s[10:11], 8
.LBB90_9:                               ; =>This Inner Loop Header: Depth=1
	s_clause 0x1
	s_load_b32 s7, s[4:5], 0x0
	s_load_b32 s10, s[4:5], 0x64
	s_mov_b32 s23, s20
	s_wait_xcnt 0x0
	s_add_nc_u64 s[4:5], s[4:5], -4
	s_wait_kmcnt 0x0
	s_cvt_f32_u32 s11, s7
	s_sub_co_i32 s22, 0, s7
	s_delay_alu instid0(SALU_CYCLE_2) | instskip(SKIP_1) | instid1(TRANS32_DEP_1)
	v_rcp_iflag_f32_e32 v1, s11
	v_nop
	v_readfirstlane_b32 s11, v1
	s_mul_f32 s11, s11, 0x4f7ffffe
	s_delay_alu instid0(SALU_CYCLE_3) | instskip(NEXT) | instid1(SALU_CYCLE_3)
	s_cvt_u32_f32 s11, s11
	s_mul_i32 s22, s22, s11
	s_delay_alu instid0(SALU_CYCLE_1) | instskip(NEXT) | instid1(SALU_CYCLE_1)
	s_mul_hi_u32 s22, s11, s22
	s_add_co_i32 s11, s11, s22
	s_delay_alu instid0(SALU_CYCLE_1) | instskip(NEXT) | instid1(SALU_CYCLE_1)
	s_mul_hi_u32 s11, s20, s11
	s_mul_i32 s20, s11, s7
	s_add_co_i32 s22, s11, 1
	s_sub_co_i32 s20, s23, s20
	s_delay_alu instid0(SALU_CYCLE_1)
	s_sub_co_i32 s24, s20, s7
	s_cmp_ge_u32 s20, s7
	s_cselect_b32 s11, s22, s11
	s_cselect_b32 s20, s24, s20
	s_add_co_i32 s22, s11, 1
	s_cmp_ge_u32 s20, s7
	s_cselect_b32 s20, s22, s11
	s_add_co_i32 s6, s6, -1
	s_mul_i32 s7, s20, s7
	s_delay_alu instid0(SALU_CYCLE_1) | instskip(NEXT) | instid1(SALU_CYCLE_1)
	s_sub_co_i32 s7, s23, s7
	s_mul_i32 s7, s10, s7
	s_delay_alu instid0(SALU_CYCLE_1)
	s_add_co_i32 s21, s7, s21
	s_cmp_gt_u32 s6, 2
	s_cbranch_scc1 .LBB90_9
.LBB90_10:
	s_clause 0x1
	s_load_b32 s31, s[2:3], 0x6c
	s_load_b128 s[4:7], s[0:1], 0x2b8
	s_wait_xcnt 0x0
	v_cmp_ne_u32_e64 s2, 0, v0
	v_cmp_eq_u32_e64 s3, 0, v0
	s_wait_kmcnt 0x0
	s_load_b32 s30, s[4:5], s9 offset:0x0 scale_offset
	s_wait_xcnt 0x0
	s_mul_i32 s4, s9, s14
	s_mov_b32 s5, 0
	s_sub_co_i32 s33, s8, s4
	s_and_saveexec_b32 s34, s3
	s_cbranch_execz .LBB90_26
; %bb.11:
	s_load_b64 s[24:25], s[0:1], 0x2c8
	s_lshl_b64 s[26:27], s[4:5], 2
	s_cmp_lt_u32 s14, 4
	s_cbranch_scc1 .LBB90_23
; %bb.12:
	s_mov_b64 s[22:23], 0
	s_mov_b32 s4, 0
.LBB90_13:                              ; =>This Inner Loop Header: Depth=1
	s_add_nc_u64 s[28:29], s[6:7], s[26:27]
	s_cmp_ge_u32 s4, s33
	s_load_b128 s[8:11], s[28:29], 0x0
	s_wait_kmcnt 0x0
	s_add_nc_u64 s[28:29], s[24:25], s[26:27]
	s_cbranch_scc0 .LBB90_20
; %bb.14:                               ;   in Loop: Header=BB90_13 Depth=1
	s_add_co_i32 s35, s4, 1
	s_delay_alu instid0(SALU_CYCLE_1)
	s_cmp_ge_u32 s35, s33
	s_cbranch_scc0 .LBB90_21
.LBB90_15:                              ;   in Loop: Header=BB90_13 Depth=1
	s_add_co_i32 s35, s35, 1
	s_delay_alu instid0(SALU_CYCLE_1)
	s_cmp_ge_u32 s35, s33
	s_cbranch_scc0 .LBB90_22
.LBB90_16:                              ;   in Loop: Header=BB90_13 Depth=1
	s_add_co_i32 s35, s35, 1
	s_delay_alu instid0(SALU_CYCLE_1)
	s_cmp_ge_u32 s35, s33
	s_cbranch_scc1 .LBB90_18
.LBB90_17:                              ;   in Loop: Header=BB90_13 Depth=1
	s_load_b32 s28, s[28:29], 0xc
	s_add_co_i32 s23, s11, s23
	s_wait_kmcnt 0x0
	s_add_co_i32 s22, s28, s22
.LBB90_18:                              ;   in Loop: Header=BB90_13 Depth=1
	s_add_co_i32 s5, s8, s5
	s_add_co_i32 s8, s35, 1
	;; [unrolled: 1-line block ×5, first 2 shown]
	s_add_nc_u64 s[6:7], s[6:7], 16
	s_add_co_i32 s5, s5, s11
	s_cmp_ge_u32 s9, s14
	s_add_nc_u64 s[24:25], s[24:25], 16
	s_cbranch_scc1 .LBB90_24
; %bb.19:                               ;   in Loop: Header=BB90_13 Depth=1
	s_mov_b32 s4, s8
	s_branch .LBB90_13
.LBB90_20:                              ;   in Loop: Header=BB90_13 Depth=1
	s_load_b32 s35, s[28:29], 0x0
	s_add_co_i32 s23, s8, s23
	s_wait_kmcnt 0x0
	s_add_co_i32 s22, s35, s22
	s_add_co_i32 s35, s4, 1
	s_delay_alu instid0(SALU_CYCLE_1)
	s_cmp_ge_u32 s35, s33
	s_cbranch_scc1 .LBB90_15
.LBB90_21:                              ;   in Loop: Header=BB90_13 Depth=1
	s_load_b32 s36, s[28:29], 0x4
	s_add_co_i32 s23, s9, s23
	s_wait_kmcnt 0x0
	s_add_co_i32 s22, s36, s22
	s_add_co_i32 s35, s35, 1
	s_delay_alu instid0(SALU_CYCLE_1)
	s_cmp_ge_u32 s35, s33
	s_cbranch_scc1 .LBB90_16
.LBB90_22:                              ;   in Loop: Header=BB90_13 Depth=1
	s_load_b32 s36, s[28:29], 0x8
	s_add_co_i32 s23, s10, s23
	s_wait_kmcnt 0x0
	s_add_co_i32 s22, s36, s22
	s_add_co_i32 s35, s35, 1
	s_delay_alu instid0(SALU_CYCLE_1)
	s_cmp_ge_u32 s35, s33
	s_cbranch_scc0 .LBB90_17
	s_branch .LBB90_18
.LBB90_23:
	s_mov_b64 s[22:23], 0
	s_add_nc_u64 s[6:7], s[6:7], s[26:27]
	s_wait_kmcnt 0x0
	s_add_nc_u64 s[8:9], s[24:25], s[26:27]
	s_mov_b32 s4, 0
	s_delay_alu instid0(SALU_CYCLE_1)
	s_cmp_ge_u32 s4, s14
	s_cbranch_scc0 .LBB90_47
	s_branch .LBB90_25
.LBB90_24:
	s_add_co_i32 s4, s4, 4
	s_add_nc_u64 s[8:9], s[24:25], s[26:27]
	s_add_nc_u64 s[6:7], s[6:7], s[26:27]
	s_cmp_ge_u32 s4, s14
	s_cbranch_scc0 .LBB90_47
.LBB90_25:
	v_dual_mov_b32 v2, s22 :: v_dual_mov_b32 v3, s5
	v_dual_mov_b32 v4, s23 :: v_dual_mov_b32 v1, 0
	ds_store_b96 v1, v[2:4] offset:1056
.LBB90_26:
	s_or_b32 exec_lo, exec_lo, s34
	s_clause 0x4
	s_load_b32 s26, s[0:1], 0x23c
	s_load_b64 s[8:9], s[0:1], 0x0
	s_load_b64 s[10:11], s[0:1], 0xf0
	;; [unrolled: 1-line block ×3, first 2 shown]
	s_load_b96 s[4:6], s[0:1], 0xd8
	s_mul_i32 s7, s13, s33
	s_mov_b32 s25, 0
	s_lshl_b32 s7, s7, 8
	s_add_co_i32 s33, s33, 1
	s_wait_dscnt 0x0
	s_barrier_signal -1
	s_barrier_wait -1
	s_wait_kmcnt 0x0
	s_sub_co_i32 s24, s4, s7
	s_delay_alu instid0(SALU_CYCLE_1) | instskip(NEXT) | instid1(SALU_CYCLE_1)
	s_add_nc_u64 s[28:29], s[24:25], 0xff
	s_lshr_b64 s[28:29], s[28:29], 8
	s_cmp_lt_u32 s33, s14
	s_cselect_b32 s13, s13, s28
	s_delay_alu instid0(SALU_CYCLE_1)
	s_cmp_eq_u32 s13, 0
	s_cbranch_scc1 .LBB90_49
; %bb.27:
	v_dual_mov_b32 v7, 0 :: v_dual_lshrrev_b32 v1, 3, v0
	s_mul_i32 s14, s31, s16
	s_mul_i32 s16, s26, s20
	;; [unrolled: 1-line block ×3, first 2 shown]
	s_add_co_i32 s16, s16, s21
	ds_load_b96 v[2:4], v7 offset:1056
	s_load_b32 s21, s[0:1], 0xe8
	s_add_co_i32 s14, s14, s19
	s_add_co_i32 s24, s15, s17
	s_mov_b32 s15, s25
	v_dual_add_nc_u32 v8, -1, v0 :: v_dual_bitop2_b32 v5, 28, v1 bitop3:0x40
	s_lshl_b64 s[14:15], s[14:15], 2
	s_mov_b32 s17, s25
	s_add_nc_u64 s[10:11], s[10:11], s[14:15]
	s_load_b32 s15, s[0:1], 0x1c8
	v_dual_add_nc_u32 v6, s7, v0 :: v_dual_lshlrev_b32 v11, 5, v0
	v_lshrrev_b32_e32 v9, 3, v8
	s_lshl_b64 s[18:19], s[24:25], 2
	s_lshl_b64 s[16:17], s[16:17], 3
	s_cmp_gt_i32 s30, -1
	v_and_b32_e32 v10, 0xfc, v0
	s_cselect_b32 s20, 0x80000000, -1
	s_wait_xcnt 0x0
	v_cmp_gt_u32_e64 s0, 32, v0
	s_wait_dscnt 0x0
	v_add_nc_u32_e32 v1, v2, v3
	v_lshl_add_u32 v2, v0, 2, v5
	s_wait_kmcnt 0x0
	v_mul_lo_u32 v5, s21, v6
	v_and_b32_e32 v9, 0x1ffffffc, v9
	v_mbcnt_lo_u32_b32 v3, -1, 0
	s_xor_b32 s20, s20, s30
	s_cmp_o_f32 s30, s30
	s_add_nc_u64 s[8:9], s[8:9], s[18:19]
	v_lshl_add_u32 v0, v8, 2, v9
	v_add_nc_u32_e32 v8, v10, v11
	v_dual_add_nc_u32 v11, -1, v3 :: v_dual_bitop2_b32 v9, 15, v3 bitop3:0x40
	v_bfe_i32 v10, v3, 4, 1
	s_cselect_b32 s14, s20, -1
	s_bitcmp1_b32 s6, 0
	s_add_nc_u64 s[6:7], s[22:23], s[16:17]
	s_cselect_b32 s1, -1, 0
	s_lshl_b32 s16, s21, 8
                                        ; implicit-def: $vgpr12
	s_branch .LBB90_30
.LBB90_28:                              ;   in Loop: Header=BB90_30 Depth=1
	s_wait_xcnt 0x0
	s_or_b32 exec_lo, exec_lo, s17
	v_add_nc_u32_e32 v1, v15, v1
.LBB90_29:                              ;   in Loop: Header=BB90_30 Depth=1
	v_dual_add_nc_u32 v4, v14, v4 :: v_dual_add_nc_u32 v5, s16, v5
	v_add_nc_u32_e32 v6, 0x100, v6
	s_add_co_i32 s13, s13, -1
	s_delay_alu instid0(SALU_CYCLE_1)
	s_cmp_lg_u32 s13, 0
	s_cbranch_scc0 .LBB90_49
.LBB90_30:                              ; =>This Inner Loop Header: Depth=1
	v_dual_mov_b32 v15, 0 :: v_dual_mov_b32 v13, 0
	s_mov_b32 s17, exec_lo
	v_cmpx_gt_u32_e64 s4, v6
	s_cbranch_execz .LBB90_32
; %bb.31:                               ;   in Loop: Header=BB90_30 Depth=1
	global_load_b32 v12, v5, s[8:9] scale_offset
	s_wait_loadcnt 0x0
	v_cmp_lt_i32_e32 vcc_lo, -1, v12
	v_cndmask_b32_e64 v13, -1, 0x80000000, vcc_lo
	v_cmp_o_f32_e32 vcc_lo, v12, v12
	s_delay_alu instid0(VALU_DEP_2) | instskip(NEXT) | instid1(VALU_DEP_1)
	v_xor_b32_e32 v13, v13, v12
	v_cndmask_b32_e32 v13, -1, v13, vcc_lo
	s_delay_alu instid0(VALU_DEP_1) | instskip(SKIP_3) | instid1(VALU_DEP_1)
	v_cmp_lt_u32_e32 vcc_lo, s14, v13
	v_cndmask_b32_e64 v14, 0, 1, vcc_lo
	v_cmp_gt_u32_e32 vcc_lo, s14, v13
	v_cndmask_b32_e64 v15, 0, 1, vcc_lo
	v_cndmask_b32_e64 v14, v15, v14, s1
	s_delay_alu instid0(VALU_DEP_1)
	v_and_b32_e32 v15, 1, v14
	v_cmp_eq_u32_e32 vcc_lo, s14, v13
	v_cndmask_b32_e64 v13, 0, 1, vcc_lo
.LBB90_32:                              ;   in Loop: Header=BB90_30 Depth=1
	s_wait_xcnt 0x0
	s_or_b32 exec_lo, exec_lo, s17
	ds_store_b32 v2, v15
	s_wait_dscnt 0x0
	s_barrier_signal -1
	s_barrier_wait -1
	s_and_saveexec_b32 s17, s0
	s_cbranch_execz .LBB90_34
; %bb.33:                               ;   in Loop: Header=BB90_30 Depth=1
	ds_load_2addr_b32 v[16:17], v8 offset1:1
	ds_load_2addr_b32 v[18:19], v8 offset0:2 offset1:3
	ds_load_2addr_b32 v[20:21], v8 offset0:4 offset1:5
	;; [unrolled: 1-line block ×3, first 2 shown]
	v_cmp_ne_u32_e32 vcc_lo, 0, v9
	; wave barrier
	s_wait_dscnt 0x3
	v_add_nc_u32_e32 v14, v17, v16
	s_wait_dscnt 0x2
	s_delay_alu instid0(VALU_DEP_1) | instskip(SKIP_1) | instid1(VALU_DEP_1)
	v_add3_u32 v14, v14, v18, v19
	s_wait_dscnt 0x1
	v_add3_u32 v14, v14, v20, v21
	s_wait_dscnt 0x0
	s_delay_alu instid0(VALU_DEP_1) | instskip(NEXT) | instid1(VALU_DEP_1)
	v_add3_u32 v14, v14, v22, v23
	v_mov_b32_dpp v17, v14 row_shr:1 row_mask:0xf bank_mask:0xf
	s_delay_alu instid0(VALU_DEP_1) | instskip(SKIP_1) | instid1(VALU_DEP_2)
	v_cndmask_b32_e32 v17, 0, v17, vcc_lo
	v_cmp_lt_u32_e32 vcc_lo, 1, v9
	v_add_nc_u32_e32 v14, v17, v14
	s_delay_alu instid0(VALU_DEP_1) | instskip(NEXT) | instid1(VALU_DEP_1)
	v_mov_b32_dpp v17, v14 row_shr:2 row_mask:0xf bank_mask:0xf
	v_cndmask_b32_e32 v17, 0, v17, vcc_lo
	v_cmp_lt_u32_e32 vcc_lo, 3, v9
	s_delay_alu instid0(VALU_DEP_2) | instskip(NEXT) | instid1(VALU_DEP_1)
	v_add_nc_u32_e32 v14, v14, v17
	v_mov_b32_dpp v17, v14 row_shr:4 row_mask:0xf bank_mask:0xf
	s_delay_alu instid0(VALU_DEP_1) | instskip(SKIP_1) | instid1(VALU_DEP_2)
	v_cndmask_b32_e32 v17, 0, v17, vcc_lo
	v_cmp_lt_u32_e32 vcc_lo, 7, v9
	v_add_nc_u32_e32 v14, v14, v17
	s_delay_alu instid0(VALU_DEP_1) | instskip(NEXT) | instid1(VALU_DEP_1)
	v_mov_b32_dpp v17, v14 row_shr:8 row_mask:0xf bank_mask:0xf
	v_cndmask_b32_e32 v17, 0, v17, vcc_lo
	v_cmp_gt_i32_e32 vcc_lo, 0, v11
	s_delay_alu instid0(VALU_DEP_2) | instskip(SKIP_3) | instid1(VALU_DEP_1)
	v_dual_add_nc_u32 v14, v14, v17 :: v_dual_cndmask_b32 v18, v11, v3, vcc_lo
	ds_swizzle_b32 v17, v14 offset:swizzle(BROADCAST,32,15)
	s_wait_dscnt 0x0
	v_dual_lshlrev_b32 v18, 2, v18 :: v_dual_bitop2_b32 v17, v10, v17 bitop3:0x40
	v_add_nc_u32_e32 v14, v14, v17
	ds_bpermute_b32 v14, v18, v14
	s_wait_dscnt 0x0
	v_add_nc_u32_e32 v14, v14, v16
	s_delay_alu instid0(VALU_DEP_1)
	v_cndmask_b32_e64 v14, v14, v15, s3
	ds_store_b32 v8, v14
	; wave barrier
	ds_load_2addr_b32 v[16:17], v8 offset0:1 offset1:2
	ds_load_2addr_b32 v[18:19], v8 offset0:3 offset1:4
	;; [unrolled: 1-line block ×3, first 2 shown]
	ds_load_b32 v22, v8 offset:28
	s_wait_dscnt 0x3
	v_add_nc_u32_e32 v14, v16, v14
	s_delay_alu instid0(VALU_DEP_1) | instskip(SKIP_1) | instid1(VALU_DEP_1)
	v_add_nc_u32_e32 v16, v17, v14
	s_wait_dscnt 0x2
	v_add_nc_u32_e32 v17, v18, v16
	s_delay_alu instid0(VALU_DEP_1) | instskip(SKIP_1) | instid1(VALU_DEP_1)
	v_add_nc_u32_e32 v18, v19, v17
	;; [unrolled: 4-line block ×3, first 2 shown]
	s_wait_dscnt 0x0
	v_add_nc_u32_e32 v21, v22, v20
	ds_store_2addr_b32 v8, v14, v16 offset0:1 offset1:2
	ds_store_2addr_b32 v8, v17, v18 offset0:3 offset1:4
	;; [unrolled: 1-line block ×3, first 2 shown]
	ds_store_b32 v8, v21 offset:28
.LBB90_34:                              ;   in Loop: Header=BB90_30 Depth=1
	s_or_b32 exec_lo, exec_lo, s17
	v_mov_b32_e32 v16, 0
	s_wait_dscnt 0x0
	s_barrier_signal -1
	s_barrier_wait -1
	s_and_saveexec_b32 s17, s2
; %bb.35:                               ;   in Loop: Header=BB90_30 Depth=1
	ds_load_b32 v16, v0
; %bb.36:                               ;   in Loop: Header=BB90_30 Depth=1
	s_or_b32 exec_lo, exec_lo, s17
	ds_load_b32 v14, v7 offset:1048
	s_mov_b32 s17, exec_lo
	s_wait_dscnt 0x0
	s_barrier_signal -1
	s_barrier_wait -1
	v_cmpx_ne_u32_e32 0, v15
	s_cbranch_execz .LBB90_38
; %bb.37:                               ;   in Loop: Header=BB90_30 Depth=1
	v_add_nc_u32_e32 v15, v16, v4
	s_delay_alu instid0(VALU_DEP_1)
	v_mul_lo_u32 v16, v15, s15
	v_mul_lo_u32 v15, v15, s12
	global_store_b32 v16, v12, s[10:11] scale_offset
	global_store_b64 v15, v[6:7], s[6:7] scale_offset
.LBB90_38:                              ;   in Loop: Header=BB90_30 Depth=1
	s_wait_xcnt 0x0
	s_or_b32 exec_lo, exec_lo, s17
	v_cmp_le_u32_e32 vcc_lo, s5, v1
	s_cbranch_vccnz .LBB90_29
; %bb.39:                               ;   in Loop: Header=BB90_30 Depth=1
	ds_store_b32 v2, v13
	s_wait_storecnt_dscnt 0x0
	s_barrier_signal -1
	s_barrier_wait -1
	s_and_saveexec_b32 s17, s0
	s_cbranch_execz .LBB90_41
; %bb.40:                               ;   in Loop: Header=BB90_30 Depth=1
	ds_load_2addr_b32 v[16:17], v8 offset1:1
	ds_load_2addr_b32 v[18:19], v8 offset0:2 offset1:3
	ds_load_2addr_b32 v[20:21], v8 offset0:4 offset1:5
	;; [unrolled: 1-line block ×3, first 2 shown]
	v_cmp_ne_u32_e32 vcc_lo, 0, v9
	; wave barrier
	s_wait_dscnt 0x3
	v_add_nc_u32_e32 v15, v17, v16
	s_wait_dscnt 0x2
	s_delay_alu instid0(VALU_DEP_1) | instskip(SKIP_1) | instid1(VALU_DEP_1)
	v_add3_u32 v15, v15, v18, v19
	s_wait_dscnt 0x1
	v_add3_u32 v15, v15, v20, v21
	s_wait_dscnt 0x0
	s_delay_alu instid0(VALU_DEP_1) | instskip(NEXT) | instid1(VALU_DEP_1)
	v_add3_u32 v15, v15, v22, v23
	v_mov_b32_dpp v17, v15 row_shr:1 row_mask:0xf bank_mask:0xf
	s_delay_alu instid0(VALU_DEP_1) | instskip(SKIP_1) | instid1(VALU_DEP_2)
	v_cndmask_b32_e32 v17, 0, v17, vcc_lo
	v_cmp_lt_u32_e32 vcc_lo, 1, v9
	v_add_nc_u32_e32 v15, v17, v15
	s_delay_alu instid0(VALU_DEP_1) | instskip(NEXT) | instid1(VALU_DEP_1)
	v_mov_b32_dpp v17, v15 row_shr:2 row_mask:0xf bank_mask:0xf
	v_cndmask_b32_e32 v17, 0, v17, vcc_lo
	v_cmp_lt_u32_e32 vcc_lo, 3, v9
	s_delay_alu instid0(VALU_DEP_2) | instskip(NEXT) | instid1(VALU_DEP_1)
	v_add_nc_u32_e32 v15, v15, v17
	v_mov_b32_dpp v17, v15 row_shr:4 row_mask:0xf bank_mask:0xf
	s_delay_alu instid0(VALU_DEP_1) | instskip(SKIP_1) | instid1(VALU_DEP_2)
	v_cndmask_b32_e32 v17, 0, v17, vcc_lo
	v_cmp_lt_u32_e32 vcc_lo, 7, v9
	v_add_nc_u32_e32 v15, v15, v17
	s_delay_alu instid0(VALU_DEP_1) | instskip(NEXT) | instid1(VALU_DEP_1)
	v_mov_b32_dpp v17, v15 row_shr:8 row_mask:0xf bank_mask:0xf
	v_cndmask_b32_e32 v17, 0, v17, vcc_lo
	v_cmp_gt_i32_e32 vcc_lo, 0, v11
	s_delay_alu instid0(VALU_DEP_2) | instskip(SKIP_4) | instid1(VALU_DEP_1)
	v_add_nc_u32_e32 v15, v15, v17
	v_cndmask_b32_e32 v18, v11, v3, vcc_lo
	ds_swizzle_b32 v17, v15 offset:swizzle(BROADCAST,32,15)
	s_wait_dscnt 0x0
	v_dual_lshlrev_b32 v18, 2, v18 :: v_dual_bitop2_b32 v17, v10, v17 bitop3:0x40
	v_add_nc_u32_e32 v15, v15, v17
	ds_bpermute_b32 v15, v18, v15
	s_wait_dscnt 0x0
	v_add_nc_u32_e32 v15, v15, v16
	s_delay_alu instid0(VALU_DEP_1)
	v_cndmask_b32_e64 v15, v15, v13, s3
	ds_store_b32 v8, v15
	; wave barrier
	ds_load_2addr_b32 v[16:17], v8 offset0:1 offset1:2
	ds_load_2addr_b32 v[18:19], v8 offset0:3 offset1:4
	ds_load_2addr_b32 v[20:21], v8 offset0:5 offset1:6
	ds_load_b32 v22, v8 offset:28
	s_wait_dscnt 0x3
	v_add_nc_u32_e32 v15, v16, v15
	s_delay_alu instid0(VALU_DEP_1) | instskip(SKIP_1) | instid1(VALU_DEP_1)
	v_add_nc_u32_e32 v16, v17, v15
	s_wait_dscnt 0x2
	v_add_nc_u32_e32 v17, v18, v16
	s_delay_alu instid0(VALU_DEP_1) | instskip(SKIP_1) | instid1(VALU_DEP_1)
	v_add_nc_u32_e32 v18, v19, v17
	;; [unrolled: 4-line block ×3, first 2 shown]
	s_wait_dscnt 0x0
	v_add_nc_u32_e32 v21, v22, v20
	ds_store_2addr_b32 v8, v15, v16 offset0:1 offset1:2
	ds_store_2addr_b32 v8, v17, v18 offset0:3 offset1:4
	;; [unrolled: 1-line block ×3, first 2 shown]
	ds_store_b32 v8, v21 offset:28
.LBB90_41:                              ;   in Loop: Header=BB90_30 Depth=1
	s_or_b32 exec_lo, exec_lo, s17
	v_mov_b32_e32 v16, 0
	s_wait_dscnt 0x0
	s_barrier_signal -1
	s_barrier_wait -1
	s_and_saveexec_b32 s17, s2
; %bb.42:                               ;   in Loop: Header=BB90_30 Depth=1
	ds_load_b32 v16, v0
; %bb.43:                               ;   in Loop: Header=BB90_30 Depth=1
	s_or_b32 exec_lo, exec_lo, s17
	ds_load_b32 v15, v7 offset:1048
	s_mov_b32 s17, exec_lo
	s_wait_dscnt 0x0
	s_barrier_signal -1
	s_barrier_wait -1
	v_cmpx_ne_u32_e32 0, v13
	s_cbranch_execz .LBB90_28
; %bb.44:                               ;   in Loop: Header=BB90_30 Depth=1
	v_add_nc_u32_e32 v13, v16, v1
	s_delay_alu instid0(VALU_DEP_1)
	v_cmp_gt_u32_e32 vcc_lo, s5, v13
	s_and_b32 exec_lo, exec_lo, vcc_lo
	s_cbranch_execz .LBB90_28
; %bb.45:                               ;   in Loop: Header=BB90_30 Depth=1
	v_mul_lo_u32 v16, v13, s15
	v_mul_lo_u32 v13, v13, s12
	global_store_b32 v16, v12, s[10:11] scale_offset
	global_store_b64 v13, v[6:7], s[6:7] scale_offset
	s_branch .LBB90_28
.LBB90_46:                              ;   in Loop: Header=BB90_47 Depth=1
	s_add_co_i32 s4, s4, 1
	s_wait_kmcnt 0x0
	s_add_co_i32 s5, s10, s5
	s_add_nc_u64 s[6:7], s[6:7], 4
	s_cmp_lt_u32 s4, s14
	s_add_nc_u64 s[8:9], s[8:9], 4
	s_cbranch_scc0 .LBB90_25
.LBB90_47:                              ; =>This Inner Loop Header: Depth=1
	s_load_b32 s10, s[6:7], 0x0
	s_cmp_ge_u32 s4, s33
	s_cbranch_scc1 .LBB90_46
; %bb.48:                               ;   in Loop: Header=BB90_47 Depth=1
	s_load_b32 s11, s[8:9], 0x0
	s_wait_kmcnt 0x0
	s_add_co_i32 s23, s10, s23
	s_add_co_i32 s22, s11, s22
	s_branch .LBB90_46
.LBB90_49:
	s_endpgm
	.section	.rodata,"a",@progbits
	.p2align	6, 0x0
	.amdhsa_kernel _ZN2at6native6mbtopk10gatherTopKIfjLin1EEEvNS_4cuda6detail10TensorInfoIKT_T0_EES8_S8_bjS8_NS5_IS6_S8_EES8_NS5_IlS8_EES8_jjPS6_PjSD_j
		.amdhsa_group_segment_fixed_size 1068
		.amdhsa_private_segment_fixed_size 0
		.amdhsa_kernarg_size 984
		.amdhsa_user_sgpr_count 2
		.amdhsa_user_sgpr_dispatch_ptr 0
		.amdhsa_user_sgpr_queue_ptr 0
		.amdhsa_user_sgpr_kernarg_segment_ptr 1
		.amdhsa_user_sgpr_dispatch_id 0
		.amdhsa_user_sgpr_kernarg_preload_length 0
		.amdhsa_user_sgpr_kernarg_preload_offset 0
		.amdhsa_user_sgpr_private_segment_size 0
		.amdhsa_wavefront_size32 1
		.amdhsa_uses_dynamic_stack 0
		.amdhsa_enable_private_segment 0
		.amdhsa_system_sgpr_workgroup_id_x 1
		.amdhsa_system_sgpr_workgroup_id_y 1
		.amdhsa_system_sgpr_workgroup_id_z 1
		.amdhsa_system_sgpr_workgroup_info 0
		.amdhsa_system_vgpr_workitem_id 0
		.amdhsa_next_free_vgpr 24
		.amdhsa_next_free_sgpr 37
		.amdhsa_named_barrier_count 0
		.amdhsa_reserve_vcc 1
		.amdhsa_float_round_mode_32 0
		.amdhsa_float_round_mode_16_64 0
		.amdhsa_float_denorm_mode_32 3
		.amdhsa_float_denorm_mode_16_64 3
		.amdhsa_fp16_overflow 0
		.amdhsa_memory_ordered 1
		.amdhsa_forward_progress 1
		.amdhsa_inst_pref_size 25
		.amdhsa_round_robin_scheduling 0
		.amdhsa_exception_fp_ieee_invalid_op 0
		.amdhsa_exception_fp_denorm_src 0
		.amdhsa_exception_fp_ieee_div_zero 0
		.amdhsa_exception_fp_ieee_overflow 0
		.amdhsa_exception_fp_ieee_underflow 0
		.amdhsa_exception_fp_ieee_inexact 0
		.amdhsa_exception_int_div_zero 0
	.end_amdhsa_kernel
	.section	.text._ZN2at6native6mbtopk10gatherTopKIfjLin1EEEvNS_4cuda6detail10TensorInfoIKT_T0_EES8_S8_bjS8_NS5_IS6_S8_EES8_NS5_IlS8_EES8_jjPS6_PjSD_j,"axG",@progbits,_ZN2at6native6mbtopk10gatherTopKIfjLin1EEEvNS_4cuda6detail10TensorInfoIKT_T0_EES8_S8_bjS8_NS5_IS6_S8_EES8_NS5_IlS8_EES8_jjPS6_PjSD_j,comdat
.Lfunc_end90:
	.size	_ZN2at6native6mbtopk10gatherTopKIfjLin1EEEvNS_4cuda6detail10TensorInfoIKT_T0_EES8_S8_bjS8_NS5_IS6_S8_EES8_NS5_IlS8_EES8_jjPS6_PjSD_j, .Lfunc_end90-_ZN2at6native6mbtopk10gatherTopKIfjLin1EEEvNS_4cuda6detail10TensorInfoIKT_T0_EES8_S8_bjS8_NS5_IS6_S8_EES8_NS5_IlS8_EES8_jjPS6_PjSD_j
                                        ; -- End function
	.set _ZN2at6native6mbtopk10gatherTopKIfjLin1EEEvNS_4cuda6detail10TensorInfoIKT_T0_EES8_S8_bjS8_NS5_IS6_S8_EES8_NS5_IlS8_EES8_jjPS6_PjSD_j.num_vgpr, 24
	.set _ZN2at6native6mbtopk10gatherTopKIfjLin1EEEvNS_4cuda6detail10TensorInfoIKT_T0_EES8_S8_bjS8_NS5_IS6_S8_EES8_NS5_IlS8_EES8_jjPS6_PjSD_j.num_agpr, 0
	.set _ZN2at6native6mbtopk10gatherTopKIfjLin1EEEvNS_4cuda6detail10TensorInfoIKT_T0_EES8_S8_bjS8_NS5_IS6_S8_EES8_NS5_IlS8_EES8_jjPS6_PjSD_j.numbered_sgpr, 37
	.set _ZN2at6native6mbtopk10gatherTopKIfjLin1EEEvNS_4cuda6detail10TensorInfoIKT_T0_EES8_S8_bjS8_NS5_IS6_S8_EES8_NS5_IlS8_EES8_jjPS6_PjSD_j.num_named_barrier, 0
	.set _ZN2at6native6mbtopk10gatherTopKIfjLin1EEEvNS_4cuda6detail10TensorInfoIKT_T0_EES8_S8_bjS8_NS5_IS6_S8_EES8_NS5_IlS8_EES8_jjPS6_PjSD_j.private_seg_size, 0
	.set _ZN2at6native6mbtopk10gatherTopKIfjLin1EEEvNS_4cuda6detail10TensorInfoIKT_T0_EES8_S8_bjS8_NS5_IS6_S8_EES8_NS5_IlS8_EES8_jjPS6_PjSD_j.uses_vcc, 1
	.set _ZN2at6native6mbtopk10gatherTopKIfjLin1EEEvNS_4cuda6detail10TensorInfoIKT_T0_EES8_S8_bjS8_NS5_IS6_S8_EES8_NS5_IlS8_EES8_jjPS6_PjSD_j.uses_flat_scratch, 0
	.set _ZN2at6native6mbtopk10gatherTopKIfjLin1EEEvNS_4cuda6detail10TensorInfoIKT_T0_EES8_S8_bjS8_NS5_IS6_S8_EES8_NS5_IlS8_EES8_jjPS6_PjSD_j.has_dyn_sized_stack, 0
	.set _ZN2at6native6mbtopk10gatherTopKIfjLin1EEEvNS_4cuda6detail10TensorInfoIKT_T0_EES8_S8_bjS8_NS5_IS6_S8_EES8_NS5_IlS8_EES8_jjPS6_PjSD_j.has_recursion, 0
	.set _ZN2at6native6mbtopk10gatherTopKIfjLin1EEEvNS_4cuda6detail10TensorInfoIKT_T0_EES8_S8_bjS8_NS5_IS6_S8_EES8_NS5_IlS8_EES8_jjPS6_PjSD_j.has_indirect_call, 0
	.section	.AMDGPU.csdata,"",@progbits
; Kernel info:
; codeLenInByte = 3180
; TotalNumSgprs: 39
; NumVgprs: 24
; ScratchSize: 0
; MemoryBound: 0
; FloatMode: 240
; IeeeMode: 1
; LDSByteSize: 1068 bytes/workgroup (compile time only)
; SGPRBlocks: 0
; VGPRBlocks: 1
; NumSGPRsForWavesPerEU: 39
; NumVGPRsForWavesPerEU: 24
; NamedBarCnt: 0
; Occupancy: 16
; WaveLimiterHint : 1
; COMPUTE_PGM_RSRC2:SCRATCH_EN: 0
; COMPUTE_PGM_RSRC2:USER_SGPR: 2
; COMPUTE_PGM_RSRC2:TRAP_HANDLER: 0
; COMPUTE_PGM_RSRC2:TGID_X_EN: 1
; COMPUTE_PGM_RSRC2:TGID_Y_EN: 1
; COMPUTE_PGM_RSRC2:TGID_Z_EN: 1
; COMPUTE_PGM_RSRC2:TIDIG_COMP_CNT: 0
	.section	.text._ZN2at6native6sbtopk10gatherTopKIfjLin1ELb0EEEvNS_4cuda6detail10TensorInfoIKT_T0_EES8_S8_bS8_S8_NS5_IS6_S8_EES8_NS5_IlS8_EES8_PS6_,"axG",@progbits,_ZN2at6native6sbtopk10gatherTopKIfjLin1ELb0EEEvNS_4cuda6detail10TensorInfoIKT_T0_EES8_S8_bS8_S8_NS5_IS6_S8_EES8_NS5_IlS8_EES8_PS6_,comdat
	.protected	_ZN2at6native6sbtopk10gatherTopKIfjLin1ELb0EEEvNS_4cuda6detail10TensorInfoIKT_T0_EES8_S8_bS8_S8_NS5_IS6_S8_EES8_NS5_IlS8_EES8_PS6_ ; -- Begin function _ZN2at6native6sbtopk10gatherTopKIfjLin1ELb0EEEvNS_4cuda6detail10TensorInfoIKT_T0_EES8_S8_bS8_S8_NS5_IS6_S8_EES8_NS5_IlS8_EES8_PS6_
	.globl	_ZN2at6native6sbtopk10gatherTopKIfjLin1ELb0EEEvNS_4cuda6detail10TensorInfoIKT_T0_EES8_S8_bS8_S8_NS5_IS6_S8_EES8_NS5_IlS8_EES8_PS6_
	.p2align	8
	.type	_ZN2at6native6sbtopk10gatherTopKIfjLin1ELb0EEEvNS_4cuda6detail10TensorInfoIKT_T0_EES8_S8_bS8_S8_NS5_IS6_S8_EES8_NS5_IlS8_EES8_PS6_,@function
_ZN2at6native6sbtopk10gatherTopKIfjLin1ELb0EEEvNS_4cuda6detail10TensorInfoIKT_T0_EES8_S8_bS8_S8_NS5_IS6_S8_EES8_NS5_IlS8_EES8_PS6_: ; @_ZN2at6native6sbtopk10gatherTopKIfjLin1ELb0EEEvNS_4cuda6detail10TensorInfoIKT_T0_EES8_S8_bS8_S8_NS5_IS6_S8_EES8_NS5_IlS8_EES8_PS6_
; %bb.0:
	s_clause 0x1
	s_load_b128 s[36:39], s[0:1], 0xd8
	s_load_b64 s[8:9], s[0:1], 0x2b8
	s_bfe_u32 s2, ttmp6, 0x40010
	s_and_b32 s3, ttmp7, 0xffff
	s_add_co_i32 s2, s2, 1
	s_bfe_u32 s5, ttmp6, 0x4000c
	s_mul_i32 s2, s3, s2
	s_bfe_u32 s4, ttmp6, 0x40004
	s_add_co_i32 s5, s5, 1
	s_bfe_u32 s6, ttmp6, 0x40014
	s_add_co_i32 s4, s4, s2
	s_and_b32 s2, ttmp6, 15
	s_mul_i32 s5, ttmp9, s5
	s_lshr_b32 s7, ttmp7, 16
	s_add_co_i32 s6, s6, 1
	s_add_co_i32 s2, s2, s5
	s_mul_i32 s5, s7, s6
	s_bfe_u32 s6, ttmp6, 0x40008
	s_getreg_b32 s10, hwreg(HW_REG_IB_STS2, 6, 4)
	s_add_co_i32 s6, s6, s5
	s_cmp_eq_u32 s10, 0
	s_cselect_b32 s5, s7, s6
	s_cselect_b32 s3, s3, s4
	s_wait_kmcnt 0x0
	s_mul_i32 s5, s9, s5
	s_cselect_b32 s9, ttmp9, s2
	s_add_co_i32 s2, s5, s3
	s_mov_b32 s3, 0
	s_mul_i32 s2, s2, s8
	s_delay_alu instid0(SALU_CYCLE_1) | instskip(NEXT) | instid1(SALU_CYCLE_1)
	s_add_co_i32 s59, s2, s9
	s_cmp_ge_u32 s59, s39
	s_cbranch_scc1 .LBB91_440
; %bb.1:
	s_clause 0x1
	s_load_b32 s4, s[0:1], 0xd0
	s_load_b32 s58, s[0:1], 0xe8
	s_mov_b32 s2, s59
	s_wait_kmcnt 0x0
	s_cmp_lt_i32 s4, 2
	s_cbranch_scc1 .LBB91_4
; %bb.2:
	s_add_co_i32 s2, s4, -1
	s_delay_alu instid0(SALU_CYCLE_1)
	s_lshl_b64 s[6:7], s[2:3], 2
	s_mov_b32 s2, s59
	s_add_nc_u64 s[10:11], s[0:1], s[6:7]
	s_add_co_i32 s6, s4, 1
	s_add_nc_u64 s[4:5], s[10:11], 8
.LBB91_3:                               ; =>This Inner Loop Header: Depth=1
	s_clause 0x1
	s_load_b32 s7, s[4:5], 0x0
	s_load_b32 s10, s[4:5], 0x64
	s_mov_b32 s13, s2
	s_wait_xcnt 0x0
	s_add_nc_u64 s[4:5], s[4:5], -4
	s_wait_kmcnt 0x0
	s_cvt_f32_u32 s11, s7
	s_sub_co_i32 s12, 0, s7
	s_delay_alu instid0(SALU_CYCLE_2) | instskip(SKIP_1) | instid1(TRANS32_DEP_1)
	v_rcp_iflag_f32_e32 v1, s11
	v_nop
	v_readfirstlane_b32 s11, v1
	s_mul_f32 s11, s11, 0x4f7ffffe
	s_delay_alu instid0(SALU_CYCLE_3) | instskip(NEXT) | instid1(SALU_CYCLE_3)
	s_cvt_u32_f32 s11, s11
	s_mul_i32 s12, s12, s11
	s_delay_alu instid0(SALU_CYCLE_1) | instskip(NEXT) | instid1(SALU_CYCLE_1)
	s_mul_hi_u32 s12, s11, s12
	s_add_co_i32 s11, s11, s12
	s_delay_alu instid0(SALU_CYCLE_1) | instskip(NEXT) | instid1(SALU_CYCLE_1)
	s_mul_hi_u32 s2, s2, s11
	s_mul_i32 s11, s2, s7
	s_add_co_i32 s12, s2, 1
	s_sub_co_i32 s11, s13, s11
	s_delay_alu instid0(SALU_CYCLE_1)
	s_sub_co_i32 s14, s11, s7
	s_cmp_ge_u32 s11, s7
	s_cselect_b32 s2, s12, s2
	s_cselect_b32 s11, s14, s11
	s_add_co_i32 s12, s2, 1
	s_cmp_ge_u32 s11, s7
	s_cselect_b32 s2, s12, s2
	s_add_co_i32 s6, s6, -1
	s_mul_i32 s7, s2, s7
	s_delay_alu instid0(SALU_CYCLE_1) | instskip(NEXT) | instid1(SALU_CYCLE_1)
	s_sub_co_i32 s7, s13, s7
	s_mul_i32 s7, s10, s7
	s_delay_alu instid0(SALU_CYCLE_1)
	s_add_co_i32 s3, s7, s3
	s_cmp_gt_u32 s6, 2
	s_cbranch_scc1 .LBB91_3
.LBB91_4:
	s_load_b32 s6, s[0:1], 0x1c0
	s_add_nc_u64 s[14:15], s[0:1], 0x2b8
	s_add_nc_u64 s[4:5], s[0:1], 0xf0
	s_mov_b32 s35, 0
	s_mov_b32 s61, s59
	s_wait_kmcnt 0x0
	s_cmp_lt_i32 s6, 2
	s_cbranch_scc1 .LBB91_7
; %bb.5:
	s_add_co_i32 s34, s6, -1
	s_mov_b32 s61, s59
	s_lshl_b64 s[10:11], s[34:35], 2
	s_delay_alu instid0(SALU_CYCLE_1)
	s_add_nc_u64 s[12:13], s[4:5], s[10:11]
	s_add_co_i32 s10, s6, 1
	s_add_nc_u64 s[6:7], s[12:13], 8
.LBB91_6:                               ; =>This Inner Loop Header: Depth=1
	s_clause 0x1
	s_load_b32 s11, s[6:7], 0x0
	s_load_b32 s12, s[6:7], 0x64
	s_mov_b32 s17, s61
	s_wait_xcnt 0x0
	s_add_nc_u64 s[6:7], s[6:7], -4
	s_wait_kmcnt 0x0
	s_cvt_f32_u32 s13, s11
	s_sub_co_i32 s16, 0, s11
	s_delay_alu instid0(SALU_CYCLE_2) | instskip(SKIP_1) | instid1(TRANS32_DEP_1)
	v_rcp_iflag_f32_e32 v1, s13
	v_nop
	v_readfirstlane_b32 s13, v1
	s_mul_f32 s13, s13, 0x4f7ffffe
	s_delay_alu instid0(SALU_CYCLE_3) | instskip(NEXT) | instid1(SALU_CYCLE_3)
	s_cvt_u32_f32 s13, s13
	s_mul_i32 s16, s16, s13
	s_delay_alu instid0(SALU_CYCLE_1) | instskip(NEXT) | instid1(SALU_CYCLE_1)
	s_mul_hi_u32 s16, s13, s16
	s_add_co_i32 s13, s13, s16
	s_delay_alu instid0(SALU_CYCLE_1) | instskip(NEXT) | instid1(SALU_CYCLE_1)
	s_mul_hi_u32 s13, s61, s13
	s_mul_i32 s16, s13, s11
	s_add_co_i32 s18, s13, 1
	s_sub_co_i32 s16, s61, s16
	s_delay_alu instid0(SALU_CYCLE_1)
	s_sub_co_i32 s19, s16, s11
	s_cmp_ge_u32 s16, s11
	s_cselect_b32 s13, s18, s13
	s_cselect_b32 s16, s19, s16
	s_add_co_i32 s18, s13, 1
	s_cmp_ge_u32 s16, s11
	s_cselect_b32 s61, s18, s13
	s_add_co_i32 s10, s10, -1
	s_mul_i32 s11, s61, s11
	s_delay_alu instid0(SALU_CYCLE_1) | instskip(NEXT) | instid1(SALU_CYCLE_1)
	s_sub_co_i32 s11, s17, s11
	s_mul_i32 s11, s12, s11
	s_delay_alu instid0(SALU_CYCLE_1)
	s_add_co_i32 s35, s11, s35
	s_cmp_gt_u32 s10, 2
	s_cbranch_scc1 .LBB91_6
.LBB91_7:
	s_clause 0x1
	s_load_b32 s10, s[0:1], 0x6c
	s_load_b32 s6, s[0:1], 0x2a0
	s_mov_b32 s41, 0
	s_wait_kmcnt 0x0
	s_cmp_lt_i32 s6, 2
	s_cbranch_scc1 .LBB91_10
; %bb.8:
	s_add_co_i32 s40, s6, -1
	s_add_nc_u64 s[12:13], s[0:1], 0x1d0
	s_lshl_b64 s[16:17], s[40:41], 2
	s_add_co_i32 s11, s6, 1
	s_add_nc_u64 s[12:13], s[12:13], s[16:17]
	s_delay_alu instid0(SALU_CYCLE_1)
	s_add_nc_u64 s[6:7], s[12:13], 8
.LBB91_9:                               ; =>This Inner Loop Header: Depth=1
	s_clause 0x1
	s_load_b32 s12, s[6:7], 0x0
	s_load_b32 s13, s[6:7], 0x64
	s_mov_b32 s18, s59
	s_wait_xcnt 0x0
	s_add_nc_u64 s[6:7], s[6:7], -4
	s_wait_kmcnt 0x0
	s_cvt_f32_u32 s16, s12
	s_sub_co_i32 s17, 0, s12
	s_delay_alu instid0(SALU_CYCLE_2) | instskip(SKIP_1) | instid1(TRANS32_DEP_1)
	v_rcp_iflag_f32_e32 v1, s16
	v_nop
	v_readfirstlane_b32 s16, v1
	s_mul_f32 s16, s16, 0x4f7ffffe
	s_delay_alu instid0(SALU_CYCLE_3) | instskip(NEXT) | instid1(SALU_CYCLE_3)
	s_cvt_u32_f32 s16, s16
	s_mul_i32 s17, s17, s16
	s_delay_alu instid0(SALU_CYCLE_1) | instskip(NEXT) | instid1(SALU_CYCLE_1)
	s_mul_hi_u32 s17, s16, s17
	s_add_co_i32 s16, s16, s17
	s_delay_alu instid0(SALU_CYCLE_1) | instskip(NEXT) | instid1(SALU_CYCLE_1)
	s_mul_hi_u32 s16, s59, s16
	s_mul_i32 s17, s16, s12
	s_add_co_i32 s19, s16, 1
	s_sub_co_i32 s17, s59, s17
	s_delay_alu instid0(SALU_CYCLE_1)
	s_sub_co_i32 s20, s17, s12
	s_cmp_ge_u32 s17, s12
	s_cselect_b32 s16, s19, s16
	s_cselect_b32 s17, s20, s17
	s_add_co_i32 s19, s16, 1
	s_cmp_ge_u32 s17, s12
	s_cselect_b32 s59, s19, s16
	s_add_co_i32 s11, s11, -1
	s_mul_i32 s12, s59, s12
	s_delay_alu instid0(SALU_CYCLE_1) | instskip(NEXT) | instid1(SALU_CYCLE_1)
	s_sub_co_i32 s12, s18, s12
	s_mul_i32 s12, s13, s12
	s_delay_alu instid0(SALU_CYCLE_1)
	s_add_co_i32 s41, s12, s41
	s_cmp_gt_u32 s11, 2
	s_cbranch_scc1 .LBB91_9
.LBB91_10:
	s_clause 0x1
	s_load_b32 s62, s[4:5], 0x6c
	s_load_b64 s[6:7], s[0:1], 0x0
	s_wait_xcnt 0x0
	v_cmp_eq_u32_e64 s5, 0, v0
	s_mov_b32 s47, 0
	s_and_saveexec_b32 s4, s5
; %bb.11:
	v_dual_mov_b32 v2, 0 :: v_dual_mov_b32 v3, s36
	s_delay_alu instid0(VALU_DEP_1)
	v_mov_b32_e32 v4, v2
	ds_store_b96 v2, v[2:4] offset:4096
; %bb.12:
	s_or_b32 exec_lo, exec_lo, s4
	s_wait_dscnt 0x0
	s_barrier_signal -1
	s_barrier_wait -1
	s_load_b32 s12, s[14:15], 0xc
	s_clause 0x2
	s_load_b32 s63, s[0:1], 0x23c
	s_load_b64 s[42:43], s[0:1], 0xf0
	s_load_b64 s[44:45], s[0:1], 0x1d0
	v_mbcnt_lo_u32_b32 v7, -1, 0
	s_mul_i32 s2, s10, s2
	v_cmp_gt_u32_e32 vcc_lo, 32, v0
	s_add_co_i32 s46, s2, s3
	v_dual_lshlrev_b32 v1, 2, v0 :: v_dual_mov_b32 v13, 0
	s_lshl_b64 s[10:11], s[46:47], 2
	v_cmp_gt_i32_e64 s3, 4, v7
	s_bitcmp1_b32 s38, 0
	s_wait_kmcnt 0x0
	s_add_nc_u64 s[38:39], s[6:7], s[10:11]
	s_cselect_b32 s4, -1, 0
	v_lshlrev_b64_e64 v[2:3], v7, -1
	s_xor_b32 s64, s4, -1
	s_and_b32 s66, vcc_lo, s3
	v_add_max_u32_e64 v4, v0, 2, s36
	v_mov_b32_e32 v11, v13
	s_and_b32 s40, s12, 0xffff
	s_movk_i32 s10, 0x1f0
	s_lshl_b32 s65, s40, 2
	s_cmp_gt_u32 s36, 0x300
	v_not_b32_e32 v6, v2
	s_cselect_b32 s67, -1, 0
	s_cmp_gt_u32 s40, 31
	v_lshrrev_b32_e32 v2, 1, v0
	s_cselect_b32 s68, -1, 0
	s_add_co_i32 s69, s40, -1
	v_mul_lo_u32 v10, s58, v0
	s_add_co_i32 s13, s69, s36
	s_cmp_lt_u32 s9, s8
	s_cvt_f32_u32 s8, s65
	s_cselect_b32 s46, 12, 18
	s_bfe_u32 s70, s12, 0xb0005
	v_and_or_b32 v20, v2, s10, 0xc00
	s_add_co_i32 s7, s70, -2
	v_rcp_iflag_f32_e32 v3, s8
	s_lshr_b32 s9, s7, 1
	v_mad_u32 v26, s58, v1, s58
	s_add_co_i32 s9, s9, 1
	s_cmp_gt_u32 s40, 63
	v_cmp_eq_u32_e64 s2, 0, v7
	s_cselect_b32 s71, -1, 0
	s_and_b32 s72, s70, 0x7fe
	s_and_b32 s73, s9, 7
	s_cmp_gt_u32 s7, 13
	v_readfirstlane_b32 s7, v3
	s_cselect_b32 s74, -1, 0
	s_and_b32 s75, s9, -8
	s_cmp_lg_u32 s73, 0
	s_cvt_f32_u32 s9, s40
	s_mul_f32 s7, s7, 0x4f7ffffe
	s_cselect_b32 s76, -1, 0
	s_cmp_lg_u32 s72, s70
	v_rcp_iflag_f32_e32 v5, s9
	s_cvt_u32_f32 s7, s7
	s_cselect_b32 s77, -1, 0
	s_sub_co_i32 s8, 0, s65
	v_xad_u32 v3, v0, -1, v4
	s_mul_i32 s8, s8, s7
	v_cmp_gt_u32_e64 s3, s36, v0
	s_mul_hi_u32 s8, s7, s8
	v_readfirstlane_b32 s9, v5
	s_add_co_i32 s48, s7, s8
	v_dual_add_nc_u32 v4, -2, v3 :: v_dual_bitop2_b32 v21, -2, v3 bitop3:0x40
	s_mul_hi_u32 s7, s36, s48
	s_mul_f32 s9, s9, 0x4f7ffffe
	s_mul_i32 s8, s7, s65
	s_delay_alu instid0(VALU_DEP_1)
	v_lshrrev_b32_e32 v2, 1, v4
	s_sub_co_i32 s8, s36, s8
	s_cvt_u32_f32 s9, s9
	s_sub_co_i32 s10, s8, s65
	s_cmp_ge_u32 s8, s65
	v_cmp_lt_u32_e64 s7, 31, v3
	s_cselect_b32 s8, s10, s8
	v_mov_b32_e32 v19, 0
	s_sub_co_i32 s10, s8, s65
	s_cmp_ge_u32 s8, s65
	v_lshl_add_u64 v[8:9], v[10:11], 2, s[38:39]
	s_cselect_b32 s16, s10, s8
	s_sub_co_i32 s10, 0, s40
	s_sub_co_i32 s79, s36, s16
	s_mul_i32 s10, s10, s9
	v_dual_add_nc_u32 v2, 1, v2 :: v_dual_add_nc_u32 v22, s79, v0
	s_mul_hi_u32 s10, s9, s10
	v_cmp_lt_u32_e64 s8, 13, v4
	s_add_co_i32 s50, s9, s10
	v_dual_lshlrev_b32 v31, 4, v0 :: v_dual_bitop2_b32 v5, 7, v2 bitop3:0x40
	s_mul_hi_u32 s10, s13, s50
	v_dual_mov_b32 v16, 1.0 :: v_dual_bitop2_b32 v23, -8, v2 bitop3:0x40
	s_mul_i32 s10, s10, s40
	v_add3_u32 v2, s40, s36, v0
	s_sub_co_i32 s11, s13, s10
	v_mul_lo_u32 v12, v22, s58
	s_sub_co_i32 s12, s11, s40
	v_cmp_ne_u32_e64 s10, v3, v21
	s_cmp_ge_u32 s11, s40
	v_dual_lshlrev_b32 v29, 2, v10 :: v_dual_bitop2_b32 v3, 2, v1 bitop3:0x54
	v_or_b32_e32 v4, 3, v1
	v_subrev_nc_u32_e32 v2, s16, v2
	s_cselect_b32 s17, s12, s11
	s_delay_alu instid0(VALU_DEP_3)
	v_mul_lo_u32 v27, s58, v3
	s_sub_co_i32 s18, s17, s40
	s_cmp_ge_u32 s17, s40
	v_mul_lo_u32 v28, s58, v4
	v_mul_lo_u32 v30, s58, v2
	s_cselect_b32 s17, s18, s17
	v_cmp_gt_u32_e64 s6, 2, v0
	s_sub_co_i32 s80, s13, s17
	v_dual_mov_b32 v34, s37 :: v_dual_add_nc_u32 v11, 0xc00, v1
	v_cmp_ne_u32_e64 s9, 0, v5
	v_cmp_gt_u32_e64 s11, s79, v1
	v_cmp_gt_u32_e64 s12, s36, v22
	v_lshl_add_u64 v[14:15], v[12:13], 2, s[38:39]
	v_cmp_gt_u32_e64 s13, s80, v0
	v_lshlrev_b32_e32 v25, 3, v5
	v_lshl_or_b32 v32, v7, 2, 0xc00
	v_dual_mov_b32 v24, 0 :: v_dual_mov_b32 v33, 0
	s_mul_i32 s60, s58, s40
	s_mov_b32 s78, s58
	s_mov_b32 s49, s47
	;; [unrolled: 1-line block ×3, first 2 shown]
	s_lshl_b32 s81, s60, 2
	s_lshl_b32 s82, s40, 4
	s_mov_b32 s83, 30
	s_add_nc_u64 s[52:53], s[14:15], s[46:47]
	s_mov_b32 s84, 0
	s_mov_b32 s86, 0
                                        ; implicit-def: $sgpr85
                                        ; implicit-def: $sgpr89
                                        ; implicit-def: $sgpr88
                                        ; implicit-def: $sgpr90
                                        ; implicit-def: $sgpr87
                                        ; implicit-def: $sgpr94
                                        ; implicit-def: $sgpr95
                                        ; implicit-def: $sgpr91
                                        ; implicit-def: $sgpr93
                                        ; implicit-def: $sgpr92
	s_branch .LBB91_15
.LBB91_13:                              ;   in Loop: Header=BB91_15 Depth=1
	s_or_b32 exec_lo, exec_lo, s17
	v_mov_b32_e32 v34, v35
	s_and_not1_b32 s17, s92, exec_lo
	s_and_b32 s16, s16, exec_lo
	s_and_not1_b32 s93, s93, exec_lo
	s_or_b32 s92, s17, s16
	s_and_not1_b32 s91, s91, exec_lo
	s_and_not1_b32 s95, s95, exec_lo
	;; [unrolled: 1-line block ×3, first 2 shown]
	s_or_not1_b32 s17, s15, exec_lo
.LBB91_14:                              ;   in Loop: Header=BB91_15 Depth=1
	s_or_b32 exec_lo, exec_lo, s14
	s_delay_alu instid0(SALU_CYCLE_1) | instskip(NEXT) | instid1(SALU_CYCLE_1)
	s_and_b32 s14, exec_lo, s17
	s_or_b32 s84, s14, s84
	s_and_not1_b32 s14, s87, exec_lo
	s_and_b32 s15, s92, exec_lo
	s_and_not1_b32 s16, s90, exec_lo
	s_or_b32 s87, s14, s15
	s_and_b32 s14, s93, exec_lo
	s_and_not1_b32 s15, s88, exec_lo
	s_and_b32 s17, s91, exec_lo
	s_or_b32 s90, s16, s14
	s_or_b32 s88, s15, s17
	s_and_not1_b32 s14, s89, exec_lo
	s_and_b32 s15, s95, exec_lo
	s_and_not1_b32 s16, s85, exec_lo
	s_and_b32 s17, s94, exec_lo
	s_or_b32 s89, s14, s15
	s_or_b32 s85, s16, s17
	s_and_not1_b32 exec_lo, exec_lo, s84
	s_cbranch_execz .LBB91_436
.LBB91_15:                              ; =>This Loop Header: Depth=1
                                        ;     Child Loop BB91_21 Depth 2
                                        ;     Child Loop BB91_42 Depth 2
	;; [unrolled: 1-line block ×27, first 2 shown]
	ds_load_b64 v[2:3], v13 offset:4096
	s_wait_dscnt 0x0
	v_readfirstlane_b32 s46, v2
	s_cmp_lg_u32 s46, 0
	s_cbranch_scc1 .LBB91_61
; %bb.16:                               ;   in Loop: Header=BB91_15 Depth=1
	s_and_b32 vcc_lo, exec_lo, s67
	s_cbranch_vccz .LBB91_29
; %bb.17:                               ;   in Loop: Header=BB91_15 Depth=1
	v_cmp_gt_u32_e32 vcc_lo, 0x301, v3
	s_mov_b32 s16, 0
	s_mov_b32 s14, 0
	s_cbranch_vccz .LBB91_30
; %bb.18:                               ;   in Loop: Header=BB91_15 Depth=1
	s_and_saveexec_b32 s17, s3
	s_cbranch_execz .LBB91_36
; %bb.19:                               ;   in Loop: Header=BB91_15 Depth=1
	global_load_b32 v3, v[8:9], off
	s_load_u16 s18, s[52:53], 0x0
	s_mov_b32 s20, 0
	s_wait_kmcnt 0x0
	v_dual_mov_b32 v4, v0 :: v_dual_add_nc_u32 v2, s18, v0
	s_mul_i32 s19, s58, s18
	s_delay_alu instid0(VALU_DEP_1)
	v_mul_lo_u32 v2, s58, v2
	s_branch .LBB91_21
.LBB91_20:                              ;   in Loop: Header=BB91_21 Depth=2
	s_or_b32 exec_lo, exec_lo, s15
	v_dual_mov_b32 v3, v5 :: v_dual_add_nc_u32 v2, s19, v2
	s_and_not1_b32 exec_lo, exec_lo, s20
	s_cbranch_execz .LBB91_36
.LBB91_21:                              ;   Parent Loop BB91_15 Depth=1
                                        ; =>  This Inner Loop Header: Depth=2
	s_wait_dscnt 0x0
	v_dual_add_nc_u32 v4, s18, v4 :: v_dual_mov_b32 v12, 0
	v_mov_b32_e32 v5, 0
	s_mov_b32 s15, exec_lo
	s_delay_alu instid0(VALU_DEP_2)
	v_cmp_le_u32_e32 vcc_lo, s36, v4
	v_cmpx_gt_u32_e64 s36, v4
	s_cbranch_execz .LBB91_23
; %bb.22:                               ;   in Loop: Header=BB91_21 Depth=2
	global_load_b32 v5, v2, s[38:39] scale_offset
.LBB91_23:                              ;   in Loop: Header=BB91_21 Depth=2
	s_wait_xcnt 0x0
	s_or_b32 exec_lo, exec_lo, s15
	s_wait_loadcnt 0x0
	v_cmp_lt_i32_e64 s14, -1, v3
	s_delay_alu instid0(VALU_DEP_1) | instskip(SKIP_1) | instid1(VALU_DEP_2)
	v_cndmask_b32_e64 v17, -1, 0x80000000, s14
	v_cmp_o_f32_e64 s14, v3, v3
	v_xor_b32_e32 v17, v17, v3
	s_delay_alu instid0(VALU_DEP_1) | instskip(NEXT) | instid1(VALU_DEP_1)
	v_cndmask_b32_e64 v17, -1, v17, s14
	v_and_b32_e32 v17, v17, v33
	s_delay_alu instid0(VALU_DEP_1) | instskip(SKIP_2) | instid1(SALU_CYCLE_1)
	v_cmp_eq_u32_e64 s14, v17, v24
	s_cmp_lg_u32 s14, 0
	s_cselect_b32 s15, -1, 0
	s_and_b32 s15, s2, s15
	s_delay_alu instid0(SALU_CYCLE_1)
	s_and_saveexec_b32 s21, s15
	s_cbranch_execz .LBB91_27
; %bb.24:                               ;   in Loop: Header=BB91_21 Depth=2
	s_mov_b32 s24, exec_lo
	s_bcnt1_i32_b32 s22, s14
	v_mbcnt_lo_u32_b32 v12, s24, 0
	s_mov_b32 s23, exec_lo
                                        ; implicit-def: $vgpr17
	s_delay_alu instid0(VALU_DEP_1)
	v_cmpx_eq_u32_e32 0, v12
; %bb.25:                               ;   in Loop: Header=BB91_21 Depth=2
	s_bcnt1_i32_b32 s15, s24
	s_delay_alu instid0(SALU_CYCLE_1) | instskip(NEXT) | instid1(SALU_CYCLE_1)
	s_mul_i32 s15, s22, s15
	v_mov_b32_e32 v17, s15
	ds_add_rtn_u32 v17, v13, v17 offset:4104
; %bb.26:                               ;   in Loop: Header=BB91_21 Depth=2
	s_or_b32 exec_lo, exec_lo, s23
	s_wait_dscnt 0x0
	v_readfirstlane_b32 s15, v17
	s_delay_alu instid0(VALU_DEP_1)
	v_mad_u32_u24 v12, s22, v12, s15
.LBB91_27:                              ;   in Loop: Header=BB91_21 Depth=2
	s_or_b32 exec_lo, exec_lo, s21
	ds_bpermute_b32 v12, v13, v12
	s_and_b32 s15, exec_lo, vcc_lo
	s_delay_alu instid0(SALU_CYCLE_1)
	s_or_b32 s20, s15, s20
	s_and_saveexec_b32 s15, s14
	s_cbranch_execz .LBB91_20
; %bb.28:                               ;   in Loop: Header=BB91_21 Depth=2
	v_and_b32_e32 v17, s14, v6
	s_delay_alu instid0(VALU_DEP_1) | instskip(NEXT) | instid1(VALU_DEP_1)
	v_bcnt_u32_b32 v17, v17, 0
	v_lshlrev_b32_e32 v17, 2, v17
	s_wait_dscnt 0x0
	s_delay_alu instid0(VALU_DEP_1)
	v_lshl_add_u32 v12, v12, 2, v17
	ds_store_b32 v12, v3
	s_branch .LBB91_20
.LBB91_29:                              ;   in Loop: Header=BB91_15 Depth=1
	s_mov_b32 s16, -1
	s_mov_b32 s14, 0
.LBB91_30:                              ;   in Loop: Header=BB91_15 Depth=1
	s_and_b32 vcc_lo, exec_lo, s16
	s_cbranch_vccz .LBB91_59
.LBB91_31:                              ;   in Loop: Header=BB91_15 Depth=1
	s_and_saveexec_b32 s15, s3
	s_cbranch_execz .LBB91_56
; %bb.32:                               ;   in Loop: Header=BB91_15 Depth=1
	global_load_b32 v17, v[8:9], off
	s_load_u16 s17, s[52:53], 0x0
	s_mov_b32 s16, exec_lo
	s_wait_kmcnt 0x0
	v_dual_mov_b32 v3, v0 :: v_dual_add_nc_u32 v2, s17, v0
	s_delay_alu instid0(VALU_DEP_1)
	v_cmpx_gt_u32_e64 s36, v2
	s_cbranch_execz .LBB91_55
; %bb.33:                               ;   in Loop: Header=BB91_15 Depth=1
	s_mov_b32 s14, 0
	s_mul_i32 s18, s58, s17
                                        ; implicit-def: $vgpr3
                                        ; implicit-def: $vgpr12
                                        ; implicit-def: $vgpr4
                                        ; implicit-def: $vgpr5
	s_and_saveexec_b32 s19, s7
	s_delay_alu instid0(SALU_CYCLE_1)
	s_xor_b32 s19, exec_lo, s19
	s_cbranch_execnz .LBB91_39
; %bb.34:                               ;   in Loop: Header=BB91_15 Depth=1
	s_and_not1_saveexec_b32 s19, s19
	s_cbranch_execnz .LBB91_50
.LBB91_35:                              ;   in Loop: Header=BB91_15 Depth=1
	s_or_b32 exec_lo, exec_lo, s19
	s_and_saveexec_b32 s18, s14
	s_cbranch_execnz .LBB91_51
	s_branch .LBB91_54
.LBB91_36:                              ;   in Loop: Header=BB91_15 Depth=1
	s_or_b32 exec_lo, exec_lo, s17
	s_wait_dscnt 0x0
	s_barrier_signal -1
	s_barrier_wait -1
	s_and_saveexec_b32 s14, s5
	s_cbranch_execz .LBB91_38
; %bb.37:                               ;   in Loop: Header=BB91_15 Depth=1
	ds_load_b32 v2, v13 offset:4104
	s_wait_dscnt 0x0
	ds_store_b32 v13, v2 offset:4096
.LBB91_38:                              ;   in Loop: Header=BB91_15 Depth=1
	s_or_b32 exec_lo, exec_lo, s14
	s_wait_dscnt 0x0
	s_barrier_signal -1
	s_mov_b32 s14, -1
	s_barrier_wait -1
	s_and_b32 vcc_lo, exec_lo, s16
	s_cbranch_vccnz .LBB91_31
	s_branch .LBB91_59
.LBB91_39:                              ;   in Loop: Header=BB91_15 Depth=1
	s_cvt_f32_u32 s14, s17
	v_add_max_u32_e64 v3, v2, s17, s36
	s_delay_alu instid0(SALU_CYCLE_2) | instskip(SKIP_1) | instid1(VALU_DEP_1)
	v_rcp_iflag_f32_e32 v4, s14
	s_lshl_b32 s14, s17, 1
	v_sub_nc_u32_e32 v3, v3, v0
	s_delay_alu instid0(VALU_DEP_1) | instskip(NEXT) | instid1(TRANS32_DEP_1)
	v_cmp_ne_u32_e32 vcc_lo, s14, v3
	v_readfirstlane_b32 s20, v4
	v_cndmask_b32_e64 v4, 0, 1, vcc_lo
	s_mul_f32 s20, s20, 0x4f7ffffe
	s_delay_alu instid0(VALU_DEP_1) | instskip(NEXT) | instid1(SALU_CYCLE_2)
	v_or_b32_e32 v4, s14, v4
	s_cvt_u32_f32 s14, s20
	s_sub_co_i32 s20, 0, s17
	s_delay_alu instid0(SALU_CYCLE_2) | instskip(NEXT) | instid1(VALU_DEP_1)
	s_mul_i32 s20, s20, s14
	v_sub_nc_u32_e32 v3, v3, v4
	s_mul_hi_u32 s20, s14, s20
	s_delay_alu instid0(SALU_CYCLE_1)
	s_add_co_i32 s14, s14, s20
	s_delay_alu instid0(VALU_DEP_1) | instid1(SALU_CYCLE_1)
	v_mul_hi_u32 v4, v3, s14
	s_delay_alu instid0(VALU_DEP_1) | instskip(NEXT) | instid1(VALU_DEP_1)
	v_mul_lo_u32 v5, v4, s17
	v_dual_sub_nc_u32 v3, v3, v5 :: v_dual_add_nc_u32 v5, 1, v4
	s_delay_alu instid0(VALU_DEP_1) | instskip(SKIP_1) | instid1(VALU_DEP_1)
	v_subrev_nc_u32_e32 v12, s17, v3
	v_cmp_le_u32_e64 s14, s17, v3
	v_dual_cndmask_b32 v4, v4, v5, s14 :: v_dual_cndmask_b32 v3, v3, v12, s14
	s_delay_alu instid0(VALU_DEP_1) | instskip(NEXT) | instid1(VALU_DEP_2)
	v_add_nc_u32_e32 v5, 1, v4
	v_cmp_le_u32_e64 s14, s17, v3
	s_delay_alu instid0(VALU_DEP_1) | instskip(SKIP_2) | instid1(VALU_DEP_2)
	v_cndmask_b32_e64 v3, v4, v5, s14
	v_mul_lo_u32 v4, s58, v2
	s_abs_i32 s14, s18
	v_add_co_ci_u32_e64 v3, null, 0, v3, vcc_lo
	s_delay_alu instid0(VALU_DEP_1) | instskip(SKIP_2) | instid1(SALU_CYCLE_1)
	v_mul_hi_u32 v5, s14, v3
	v_mul_lo_u32 v3, s14, v3
	s_not_b32 s14, s18
	s_ashr_i32 s14, s14, 31
	s_cmp_eq_u32 s17, 1
	s_delay_alu instid0(VALU_DEP_4) | instskip(SKIP_1) | instid1(VALU_DEP_3)
	v_xor_b32_e32 v4, s14, v4
	s_cselect_b32 s20, -1, 0
	v_cmp_eq_u32_e32 vcc_lo, 0, v5
	s_delay_alu instid0(VALU_DEP_2) | instskip(SKIP_2) | instid1(SALU_CYCLE_1)
	v_cmp_le_u32_e64 s14, v3, v4
	v_mov_b32_e32 v4, v0
                                        ; implicit-def: $vgpr3
	s_and_b32 s20, vcc_lo, s20
	s_and_b32 s21, s20, s14
	s_mov_b32 s20, -1
	s_and_saveexec_b32 s14, s21
	s_cbranch_execz .LBB91_49
; %bb.40:                               ;   in Loop: Header=BB91_15 Depth=1
	v_dual_mov_b32 v12, 0 :: v_dual_add_nc_u32 v3, 1, v2
	s_delay_alu instid0(VALU_DEP_1)
	v_mov_b64_e32 v[4:5], v[2:3]
	s_and_saveexec_b32 s20, s8
	s_cbranch_execz .LBB91_44
; %bb.41:                               ;   in Loop: Header=BB91_15 Depth=1
	v_mov_b64_e32 v[4:5], v[2:3]
	v_dual_mov_b32 v18, v23 :: v_dual_mov_b32 v35, v1
	s_mov_b32 s21, 0
	s_mov_b32 s22, 0
.LBB91_42:                              ;   Parent Loop BB91_15 Depth=1
                                        ; =>  This Inner Loop Header: Depth=2
	s_delay_alu instid0(VALU_DEP_2) | instskip(NEXT) | instid1(VALU_DEP_3)
	v_mul_lo_u32 v12, v4, s58
	v_dual_add_nc_u32 v40, 4, v4 :: v_dual_add_nc_u32 v44, 4, v5
	v_dual_mov_b32 v41, v13 :: v_dual_add_nc_u32 v48, 6, v4
	v_dual_mov_b32 v49, v13 :: v_dual_add_nc_u32 v38, 2, v5
	;; [unrolled: 1-line block ×4, first 2 shown]
	v_mov_b32_e32 v51, v13
	v_lshl_add_u64 v[36:37], v[12:13], 2, s[38:39]
	v_dual_add_nc_u32 v12, 2, v4 :: v_dual_add_nc_u32 v62, 12, v4
	v_dual_add_nc_u32 v60, 12, v5 :: v_dual_add_nc_u32 v61, 14, v5
	v_mov_b32_e32 v57, v13
	global_load_b32 v3, v[36:37], off
	s_wait_xcnt 0x0
	v_mov_b32_e32 v37, v13
	v_mul_lo_u32 v12, v12, s58
	v_mul_lo_u32 v36, v5, s78
	;; [unrolled: 1-line block ×3, first 2 shown]
	v_dual_mov_b32 v55, v13 :: v_dual_add_nc_u32 v63, 14, v4
	v_add_nc_u32_e32 v18, -8, v18
	s_add_co_i32 s22, s22, 16
	v_dual_add_nc_u32 v54, 8, v5 :: v_dual_add_nc_u32 v5, 16, v5
	s_delay_alu instid0(VALU_DEP_2)
	v_cmp_eq_u32_e32 vcc_lo, 0, v18
	v_lshl_add_u64 v[42:43], v[12:13], 2, s[38:39]
	v_mul_lo_u32 v12, v40, s58
	v_add_nc_u32_e32 v40, 8, v4
	v_lshl_add_u64 v[36:37], v[36:37], 2, s[38:39]
	s_or_b32 s21, vcc_lo, s21
	s_delay_alu instid0(VALU_DEP_3) | instskip(SKIP_2) | instid1(VALU_DEP_2)
	v_lshl_add_u64 v[46:47], v[12:13], 2, s[38:39]
	v_mul_lo_u32 v12, v48, s58
	v_dual_add_nc_u32 v48, 10, v4 :: v_dual_add_nc_u32 v4, 16, v4
	v_lshl_add_u64 v[52:53], v[12:13], 2, s[38:39]
	v_mul_lo_u32 v12, v40, s58
	v_mul_lo_u32 v40, v44, s78
	;; [unrolled: 1-line block ×5, first 2 shown]
	v_lshl_add_u64 v[58:59], v[12:13], 2, s[38:39]
	v_mul_lo_u32 v12, v48, s58
	v_mul_lo_u32 v48, v54, s78
	;; [unrolled: 1-line block ×3, first 2 shown]
	s_delay_alu instid0(VALU_DEP_3)
	v_lshl_add_u64 v[60:61], v[12:13], 2, s[38:39]
	v_mul_lo_u32 v12, v62, s58
	global_load_b32 v62, v[36:37], off
	s_wait_xcnt 0x0
	v_lshl_add_u64 v[36:37], v[38:39], 2, s[38:39]
	v_lshl_add_u64 v[38:39], v[40:41], 2, s[38:39]
	;; [unrolled: 1-line block ×7, first 2 shown]
	s_clause 0x8
	global_load_b32 v42, v[42:43], off
	global_load_b32 v43, v[36:37], off
	;; [unrolled: 1-line block ×9, first 2 shown]
	v_lshl_add_u64 v[56:57], v[12:13], 2, s[38:39]
	v_mul_lo_u32 v12, v63, s58
	s_delay_alu instid0(VALU_DEP_1)
	v_lshl_add_u64 v[36:37], v[12:13], 2, s[38:39]
	s_clause 0x3
	global_load_b32 v47, v[48:49], off
	global_load_b32 v48, v[56:57], off
	;; [unrolled: 1-line block ×4, first 2 shown]
	v_mov_b32_e32 v12, s22
	s_wait_loadcnt 0xe
	ds_store_2addr_b32 v35, v17, v3 offset1:1
	global_load_b32 v17, v[54:55], off
	s_wait_loadcnt 0xd
	ds_store_2addr_b32 v35, v62, v42 offset0:2 offset1:3
	s_wait_loadcnt 0xb
	ds_store_2addr_b32 v35, v43, v46 offset0:4 offset1:5
	;; [unrolled: 2-line block ×7, first 2 shown]
	v_add_nc_u32_e32 v35, 64, v35
	s_wait_xcnt 0x0
	s_and_not1_b32 exec_lo, exec_lo, s21
	s_cbranch_execnz .LBB91_42
; %bb.43:                               ;   in Loop: Header=BB91_15 Depth=1
	s_or_b32 exec_lo, exec_lo, s21
.LBB91_44:                              ;   in Loop: Header=BB91_15 Depth=1
	s_delay_alu instid0(SALU_CYCLE_1)
	s_or_b32 exec_lo, exec_lo, s20
	s_and_saveexec_b32 s20, s9
	s_cbranch_execz .LBB91_48
; %bb.45:                               ;   in Loop: Header=BB91_15 Depth=1
	v_lshl_add_u32 v3, v12, 2, v1
	v_mov_b32_e32 v18, v25
	s_mov_b32 s21, 0
.LBB91_46:                              ;   Parent Loop BB91_15 Depth=1
                                        ; =>  This Inner Loop Header: Depth=2
	v_mul_lo_u32 v12, v4, s58
	v_mul_lo_u32 v36, v5, s78
	s_delay_alu instid0(VALU_DEP_3) | instskip(SKIP_1) | instid1(VALU_DEP_2)
	v_dual_mov_b32 v37, v13 :: v_dual_add_nc_u32 v18, -8, v18
	v_dual_add_nc_u32 v5, 2, v5 :: v_dual_add_nc_u32 v4, 2, v4
	v_cmp_eq_u32_e32 vcc_lo, 0, v18
	v_lshl_add_u64 v[38:39], v[12:13], 2, s[38:39]
	s_delay_alu instid0(VALU_DEP_4)
	v_lshl_add_u64 v[36:37], v[36:37], 2, s[38:39]
	s_or_b32 s21, vcc_lo, s21
	s_clause 0x1
	global_load_b32 v35, v[38:39], off
	global_load_b32 v12, v[36:37], off
	s_wait_loadcnt 0x1
	ds_store_2addr_b32 v3, v17, v35 offset1:1
	s_wait_loadcnt 0x0
	v_dual_add_nc_u32 v3, 8, v3 :: v_dual_mov_b32 v17, v12
	s_and_not1_b32 exec_lo, exec_lo, s21
	s_cbranch_execnz .LBB91_46
; %bb.47:                               ;   in Loop: Header=BB91_15 Depth=1
	s_or_b32 exec_lo, exec_lo, s21
	v_mov_b32_e32 v17, v12
.LBB91_48:                              ;   in Loop: Header=BB91_15 Depth=1
	s_or_b32 exec_lo, exec_lo, s20
	v_dual_add_nc_u32 v2, v2, v21 :: v_dual_add_nc_u32 v4, v0, v21
	s_or_not1_b32 s20, s10, exec_lo
	s_delay_alu instid0(VALU_DEP_1)
	v_add_nc_u32_e32 v3, -1, v2
.LBB91_49:                              ;   in Loop: Header=BB91_15 Depth=1
	s_or_b32 exec_lo, exec_lo, s14
	s_wait_loadcnt 0x0
	v_dual_mov_b32 v5, s18 :: v_dual_mov_b32 v12, v17
	s_and_b32 s14, s20, exec_lo
	s_and_not1_saveexec_b32 s19, s19
	s_cbranch_execz .LBB91_35
.LBB91_50:                              ;   in Loop: Header=BB91_15 Depth=1
	s_wait_loadcnt 0x0
	v_dual_mov_b32 v5, s18 :: v_dual_mov_b32 v12, v17
	v_mov_b32_e32 v4, v0
	s_or_b32 s14, s14, exec_lo
	s_or_b32 exec_lo, exec_lo, s19
	s_and_saveexec_b32 s18, s14
	s_cbranch_execz .LBB91_54
.LBB91_51:                              ;   in Loop: Header=BB91_15 Depth=1
	v_mul_lo_u32 v3, s58, v2
	s_mov_b32 s19, 0
	s_sub_co_i32 s14, 0, s17
.LBB91_52:                              ;   Parent Loop BB91_15 Depth=1
                                        ; =>  This Inner Loop Header: Depth=2
	s_wait_loadcnt 0x0
	global_load_b32 v17, v3, s[38:39] scale_offset
	v_dual_mov_b32 v18, v2 :: v_dual_lshlrev_b32 v4, 2, v4
	s_wait_xcnt 0x0
	s_delay_alu instid0(VALU_DEP_1)
	v_dual_add_nc_u32 v3, v3, v5 :: v_dual_add_nc_u32 v2, s17, v18
	ds_store_b32 v4, v12
	v_mov_b32_e32 v4, v18
	v_cmp_le_u32_e32 vcc_lo, s36, v2
	s_or_b32 s19, vcc_lo, s19
	s_wait_loadcnt 0x0
	v_mov_b32_e32 v12, v17
	s_and_not1_b32 exec_lo, exec_lo, s19
	s_cbranch_execnz .LBB91_52
; %bb.53:                               ;   in Loop: Header=BB91_15 Depth=1
	s_or_b32 exec_lo, exec_lo, s19
	v_add_nc_u32_e32 v3, s14, v2
.LBB91_54:                              ;   in Loop: Header=BB91_15 Depth=1
	s_or_b32 exec_lo, exec_lo, s18
.LBB91_55:                              ;   in Loop: Header=BB91_15 Depth=1
	s_delay_alu instid0(SALU_CYCLE_1) | instskip(NEXT) | instid1(VALU_DEP_1)
	s_or_b32 exec_lo, exec_lo, s16
	v_lshlrev_b32_e32 v2, 2, v3
	s_wait_loadcnt 0x0
	ds_store_b32 v2, v17
.LBB91_56:                              ;   in Loop: Header=BB91_15 Depth=1
	s_or_b32 exec_lo, exec_lo, s15
	s_wait_dscnt 0x0
	s_barrier_signal -1
	s_barrier_wait -1
	s_and_saveexec_b32 s14, s5
; %bb.57:                               ;   in Loop: Header=BB91_15 Depth=1
	v_mov_b32_e32 v2, s36
	ds_store_b32 v13, v2 offset:4096
; %bb.58:                               ;   in Loop: Header=BB91_15 Depth=1
	s_or_b32 exec_lo, exec_lo, s14
	s_mov_b32 s14, -1
	s_wait_dscnt 0x0
	s_barrier_signal -1
	s_barrier_wait -1
.LBB91_59:                              ;   in Loop: Header=BB91_15 Depth=1
	s_and_b32 vcc_lo, exec_lo, s14
	s_mov_b32 s46, 0
	s_cbranch_vccz .LBB91_61
; %bb.60:                               ;   in Loop: Header=BB91_15 Depth=1
	ds_load_b32 v2, v13 offset:4096
	s_wait_dscnt 0x0
	v_readfirstlane_b32 s46, v2
.LBB91_61:                              ;   in Loop: Header=BB91_15 Depth=1
	s_delay_alu instid0(VALU_DEP_1)
	s_cmp_lt_i32 s46, 1
	s_mov_b32 s14, -1
                                        ; implicit-def: $vgpr4_vgpr5
	s_cbranch_scc1 .LBB91_74
; %bb.62:                               ;   in Loop: Header=BB91_15 Depth=1
	s_and_b32 vcc_lo, exec_lo, s14
	s_cbranch_vccnz .LBB91_85
.LBB91_63:                              ;   in Loop: Header=BB91_15 Depth=1
	s_lshl_b32 s16, s86, 7
	s_and_saveexec_b32 s14, s2
.LBB91_64:                              ;   in Loop: Header=BB91_15 Depth=1
	v_lshl_add_u32 v12, s16, 2, v20
	ds_store_b128 v12, v[2:5]
.LBB91_65:                              ;   in Loop: Header=BB91_15 Depth=1
	s_or_b32 exec_lo, exec_lo, s14
	s_wait_dscnt 0x0
	s_barrier_signal -1
	s_barrier_wait -1
	s_and_saveexec_b32 s17, s66
	s_cbranch_execz .LBB91_98
; %bb.66:                               ;   in Loop: Header=BB91_15 Depth=1
	v_dual_add_nc_u32 v4, s16, v7 :: v_dual_mov_b32 v2, 0
	s_and_not1_b32 vcc_lo, exec_lo, s68
	s_cbranch_vccnz .LBB91_97
; %bb.67:                               ;   in Loop: Header=BB91_15 Depth=1
	s_and_not1_b32 vcc_lo, exec_lo, s71
	s_cbranch_vccnz .LBB91_94
; %bb.68:                               ;   in Loop: Header=BB91_15 Depth=1
	v_lshl_add_u32 v5, v4, 2, 0xc00
	s_and_not1_b32 vcc_lo, exec_lo, s74
	s_cbranch_vccnz .LBB91_124
; %bb.69:                               ;   in Loop: Header=BB91_15 Depth=1
	v_dual_mov_b32 v2, 0 :: v_dual_mov_b32 v3, 0
	s_mov_b32 s15, 1
	s_mov_b32 s14, 0
	;; [unrolled: 1-line block ×3, first 2 shown]
.LBB91_70:                              ;   Parent Loop BB91_15 Depth=1
                                        ; =>  This Inner Loop Header: Depth=2
	v_lshl_add_u32 v12, s15, 4, v5
	v_lshl_add_u32 v17, s14, 4, v5
	s_add_co_i32 s18, s18, -8
	s_add_co_i32 s15, s15, 16
	s_add_co_i32 s14, s14, 16
	ds_load_2addr_b32 v[36:37], v12 offset1:8
	ds_load_2addr_b32 v[38:39], v17 offset1:8
	ds_load_2addr_b32 v[40:41], v12 offset0:16 offset1:24
	ds_load_2addr_b32 v[42:43], v17 offset0:16 offset1:24
	;; [unrolled: 1-line block ×6, first 2 shown]
	s_cmp_lg_u32 s18, 0
	s_wait_dscnt 0x7
	v_add3_u32 v3, v36, v3, v37
	s_wait_dscnt 0x6
	v_add3_u32 v2, v38, v2, v39
	s_wait_dscnt 0x5
	s_delay_alu instid0(VALU_DEP_2) | instskip(SKIP_1) | instid1(VALU_DEP_2)
	v_add3_u32 v3, v40, v3, v41
	s_wait_dscnt 0x4
	v_add3_u32 v2, v42, v2, v43
	s_wait_dscnt 0x3
	s_delay_alu instid0(VALU_DEP_2) | instskip(SKIP_1) | instid1(VALU_DEP_2)
	;; [unrolled: 5-line block ×3, first 2 shown]
	v_add3_u32 v3, v48, v3, v49
	s_wait_dscnt 0x0
	v_add3_u32 v2, v50, v2, v51
	s_cbranch_scc1 .LBB91_70
; %bb.71:                               ;   in Loop: Header=BB91_15 Depth=1
	s_and_not1_b32 vcc_lo, exec_lo, s76
	s_mov_b32 s18, s73
	s_cbranch_vccnz .LBB91_73
.LBB91_72:                              ;   Parent Loop BB91_15 Depth=1
                                        ; =>  This Inner Loop Header: Depth=2
	v_lshl_add_u32 v12, s15, 4, v5
	v_lshl_add_u32 v17, s14, 4, v5
	s_add_co_i32 s18, s18, -1
	s_add_co_i32 s15, s15, 2
	s_add_co_i32 s14, s14, 2
	ds_load_b32 v12, v12
	ds_load_b32 v17, v17
	s_cmp_lg_u32 s18, 0
	s_wait_dscnt 0x0
	v_dual_add_nc_u32 v3, v12, v3 :: v_dual_add_nc_u32 v2, v17, v2
	s_cbranch_scc1 .LBB91_72
.LBB91_73:                              ;   in Loop: Header=BB91_15 Depth=1
	s_delay_alu instid0(VALU_DEP_1) | instskip(SKIP_2) | instid1(SALU_CYCLE_1)
	v_add_nc_u32_e32 v2, v2, v3
	s_mov_b32 s14, s72
	s_mov_b32 s15, s77
	s_and_b32 vcc_lo, exec_lo, s15
	s_cbranch_vccnz .LBB91_95
	s_branch .LBB91_97
.LBB91_74:                              ;   in Loop: Header=BB91_15 Depth=1
	v_mov_b64_e32 v[4:5], 0
	v_mov_b64_e32 v[2:3], 0
	s_and_saveexec_b32 s96, s11
	s_cbranch_execz .LBB91_78
; %bb.75:                               ;   in Loop: Header=BB91_15 Depth=1
	v_mov_b32_e32 v12, v1
	s_mov_b32 s97, 0
	s_mov_b32 s98, 0
	;; [unrolled: 1-line block ×6, first 2 shown]
.LBB91_76:                              ;   Parent Loop BB91_15 Depth=1
                                        ; =>  This Inner Loop Header: Depth=2
	v_dual_add_nc_u32 v2, s98, v29 :: v_dual_add_nc_u32 v3, s98, v26
	v_dual_add_nc_u32 v4, s98, v27 :: v_dual_add_nc_u32 v5, s98, v28
	s_add_co_i32 s98, s98, s81
	s_clause 0x3
	global_load_b32 v2, v2, s[38:39] scale_offset
	global_load_b32 v3, v3, s[38:39] scale_offset
	;; [unrolled: 1-line block ×4, first 2 shown]
	s_wait_loadcnt 0x3
	v_cmp_lt_i32_e64 s14, -1, v2
	v_cmp_o_f32_e64 s17, v2, v2
	s_wait_loadcnt 0x1
	v_cmp_o_f32_e64 s15, v4, v4
	s_wait_loadcnt 0x0
	v_cmp_o_f32_e64 s16, v5, v5
	v_cndmask_b32_e64 v17, -1, 0x80000000, s14
	v_cmp_lt_i32_e64 s14, -1, v3
	s_delay_alu instid0(VALU_DEP_2) | instskip(NEXT) | instid1(VALU_DEP_2)
	v_dual_add_nc_u32 v12, s65, v12 :: v_dual_bitop2_b32 v17, v17, v2 bitop3:0x14
	v_cndmask_b32_e64 v18, -1, 0x80000000, s14
	v_cmp_lt_i32_e64 s14, -1, v4
	s_delay_alu instid0(VALU_DEP_3) | instskip(NEXT) | instid1(VALU_DEP_3)
	v_cmp_le_u32_e32 vcc_lo, s79, v12
	v_dual_cndmask_b32 v2, -1, v17, s17 :: v_dual_bitop2_b32 v18, v18, v3 bitop3:0x14
	s_delay_alu instid0(VALU_DEP_3) | instskip(SKIP_1) | instid1(VALU_DEP_3)
	v_cndmask_b32_e64 v35, -1, 0x80000000, s14
	v_cmp_lt_i32_e64 s14, -1, v5
	v_and_b32_e32 v17, v2, v33
	v_bfe_u32 v2, v2, s83, 2
	s_delay_alu instid0(VALU_DEP_3) | instskip(SKIP_2) | instid1(VALU_DEP_4)
	v_cndmask_b32_e64 v36, -1, 0x80000000, s14
	v_cmp_o_f32_e64 s14, v3, v3
	v_xor_b32_e32 v3, v35, v4
	v_cmp_eq_u32_e64 s18, 0, v2
	v_cmp_eq_u32_e64 s22, 1, v2
	s_delay_alu instid0(VALU_DEP_4) | instskip(NEXT) | instid1(VALU_DEP_4)
	v_dual_cndmask_b32 v5, -1, v18, s14 :: v_dual_bitop2_b32 v4, v36, v5 bitop3:0x14
	v_cndmask_b32_e64 v3, -1, v3, s15
	v_cmp_eq_u32_e64 s14, v17, v24
	v_cmp_eq_u32_e64 s26, 2, v2
	s_delay_alu instid0(VALU_DEP_4) | instskip(SKIP_3) | instid1(VALU_DEP_4)
	v_dual_cndmask_b32 v4, -1, v4, s16 :: v_dual_bitop2_b32 v18, v5, v33 bitop3:0x40
	v_bfe_u32 v5, v5, s83, 2
	v_and_b32_e32 v35, v3, v33
	v_bfe_u32 v3, v3, s83, 2
	v_and_b32_e32 v36, v4, v33
	v_bfe_u32 v4, v4, s83, 2
	v_cmp_eq_u32_e64 s15, v18, v24
	v_cmp_eq_u32_e64 s19, 0, v5
	;; [unrolled: 1-line block ×4, first 2 shown]
	s_and_b32 s18, s14, s18
	v_cmp_eq_u32_e64 s17, v36, v24
	v_cmp_eq_u32_e64 s21, 0, v4
	;; [unrolled: 1-line block ×3, first 2 shown]
	v_cndmask_b32_e64 v2, 0, 1, s18
	s_and_b32 s18, s15, s19
	v_cmp_eq_u32_e64 s24, 1, v3
	v_cmp_eq_u32_e64 s28, 2, v3
	;; [unrolled: 1-line block ×3, first 2 shown]
	v_cndmask_b32_e64 v3, 0, 1, s18
	s_and_b32 s18, s16, s20
	v_cmp_eq_u32_e64 s23, 1, v5
	v_cmp_eq_u32_e64 s25, 1, v4
	v_cmp_eq_u32_e64 s29, 2, v4
	v_cmp_eq_u32_e64 s34, 3, v4
	v_cndmask_b32_e64 v4, 0, 1, s18
	s_and_b32 s18, s17, s21
	v_cmp_eq_u32_e64 s27, 2, v5
	v_cmp_eq_u32_e64 s31, 3, v5
	v_cndmask_b32_e64 v5, 0, 1, s18
	s_and_b32 s18, s14, s22
	s_delay_alu instid0(SALU_CYCLE_1) | instskip(SKIP_1) | instid1(SALU_CYCLE_1)
	v_cndmask_b32_e64 v17, 0, 1, s18
	s_and_b32 s18, s15, s23
	v_cndmask_b32_e64 v18, 0, 1, s18
	s_and_b32 s18, s16, s24
	s_delay_alu instid0(SALU_CYCLE_1) | instskip(SKIP_1) | instid1(VALU_DEP_2)
	v_cndmask_b32_e64 v35, 0, 1, s18
	s_and_b32 s18, s17, s25
	v_cmp_ne_u32_e64 s19, 0, v18
	v_cndmask_b32_e64 v36, 0, 1, s18
	s_and_b32 s18, s14, s26
	s_and_b32 s14, s14, s30
	v_cndmask_b32_e64 v37, 0, 1, s18
	s_and_b32 s18, s15, s27
	v_cndmask_b32_e64 v41, 0, 1, s14
	;; [unrolled: 2-line block ×7, first 2 shown]
	v_cndmask_b32_e64 v44, 0, 1, s14
	v_cmp_ne_u32_e64 s14, 0, v2
	v_cmp_ne_u32_e64 s18, 0, v17
	;; [unrolled: 1-line block ×11, first 2 shown]
	s_bcnt1_i32_b32 s14, s14
	s_bcnt1_i32_b32 s18, s18
	;; [unrolled: 1-line block ×4, first 2 shown]
	v_cmp_ne_u32_e64 s17, 0, v5
	v_cmp_ne_u32_e64 s21, 0, v36
	;; [unrolled: 1-line block ×4, first 2 shown]
	s_bcnt1_i32_b32 s15, s15
	s_bcnt1_i32_b32 s19, s19
	s_bcnt1_i32_b32 s23, s23
	s_bcnt1_i32_b32 s27, s27
	s_add_co_i32 s14, s14, s54
	s_add_co_i32 s18, s18, s55
	s_add_co_i32 s22, s22, s56
	s_add_co_i32 s26, s26, s57
	s_bcnt1_i32_b32 s16, s16
	s_bcnt1_i32_b32 s20, s20
	s_bcnt1_i32_b32 s24, s24
	s_bcnt1_i32_b32 s28, s28
	s_add_co_i32 s18, s18, s19
	s_add_co_i32 s14, s14, s15
	s_add_co_i32 s15, s26, s27
	s_add_co_i32 s19, s22, s23
	;; [unrolled: 8-line block ×3, first 2 shown]
	s_add_co_i32 s55, s16, s21
	s_add_co_i32 s54, s14, s17
	s_add_co_i32 s57, s15, s29
	s_add_co_i32 s56, s18, s25
	v_mov_b64_e32 v[2:3], s[54:55]
	v_mov_b64_e32 v[4:5], s[56:57]
	s_or_b32 s97, vcc_lo, s97
	s_delay_alu instid0(SALU_CYCLE_1)
	s_and_not1_b32 exec_lo, exec_lo, s97
	s_cbranch_execnz .LBB91_76
; %bb.77:                               ;   in Loop: Header=BB91_15 Depth=1
	s_or_b32 exec_lo, exec_lo, s97
.LBB91_78:                              ;   in Loop: Header=BB91_15 Depth=1
	s_delay_alu instid0(SALU_CYCLE_1)
	s_or_b32 exec_lo, exec_lo, s96
	s_and_saveexec_b32 s18, s12
	s_cbranch_execz .LBB91_84
; %bb.79:                               ;   in Loop: Header=BB91_15 Depth=1
	global_load_b32 v35, v[14:15], off
	v_dual_mov_b32 v12, v30 :: v_dual_mov_b32 v17, v22
	s_mov_b32 s19, 0
	s_branch .LBB91_81
.LBB91_80:                              ;   in Loop: Header=BB91_81 Depth=2
	s_wait_xcnt 0x0
	s_or_b32 exec_lo, exec_lo, s15
	s_wait_loadcnt 0x0
	v_cmp_lt_i32_e64 s14, -1, v35
	s_and_b32 s15, exec_lo, vcc_lo
	v_add_nc_u32_e32 v12, s60, v12
	s_or_b32 s19, s15, s19
	v_cndmask_b32_e64 v36, -1, 0x80000000, s14
	v_cmp_o_f32_e64 s14, v35, v35
	s_delay_alu instid0(VALU_DEP_2) | instskip(NEXT) | instid1(VALU_DEP_1)
	v_xor_b32_e32 v36, v36, v35
	v_cndmask_b32_e64 v35, -1, v36, s14
	s_delay_alu instid0(VALU_DEP_1) | instskip(SKIP_1) | instid1(VALU_DEP_2)
	v_and_b32_e32 v36, v35, v33
	v_bfe_u32 v35, v35, s83, 2
	v_cmp_eq_u32_e32 vcc_lo, v36, v24
	s_delay_alu instid0(VALU_DEP_2) | instskip(SKIP_4) | instid1(SALU_CYCLE_1)
	v_cmp_eq_u32_e64 s14, 0, v35
	v_cmp_eq_u32_e64 s15, 1, v35
	;; [unrolled: 1-line block ×4, first 2 shown]
	s_and_b32 s14, vcc_lo, s14
	v_cndmask_b32_e64 v35, 0, 1, s14
	s_and_b32 s14, vcc_lo, s15
	s_delay_alu instid0(SALU_CYCLE_1) | instskip(SKIP_1) | instid1(SALU_CYCLE_1)
	v_cndmask_b32_e64 v36, 0, 1, s14
	s_and_b32 s14, vcc_lo, s16
	v_cndmask_b32_e64 v37, 0, 1, s14
	s_and_b32 s14, vcc_lo, s17
	v_cmp_ne_u32_e32 vcc_lo, 0, v35
	v_cndmask_b32_e64 v38, 0, 1, s14
	v_cmp_ne_u32_e64 s14, 0, v36
	v_cmp_ne_u32_e64 s15, 0, v37
	v_mov_b32_e32 v35, v18
	s_bcnt1_i32_b32 s17, vcc_lo
	v_cmp_ne_u32_e64 s16, 0, v38
	s_bcnt1_i32_b32 s14, s14
	s_bcnt1_i32_b32 s15, s15
	v_dual_add_nc_u32 v3, s14, v3 :: v_dual_add_nc_u32 v2, s17, v2
	s_bcnt1_i32_b32 s16, s16
	s_delay_alu instid0(SALU_CYCLE_1)
	v_dual_add_nc_u32 v4, s15, v4 :: v_dual_add_nc_u32 v5, s16, v5
	s_and_not1_b32 exec_lo, exec_lo, s19
	s_cbranch_execz .LBB91_83
.LBB91_81:                              ;   Parent Loop BB91_15 Depth=1
                                        ; =>  This Inner Loop Header: Depth=2
	s_delay_alu instid0(VALU_DEP_1) | instskip(SKIP_1) | instid1(VALU_DEP_1)
	v_dual_mov_b32 v18, 0 :: v_dual_add_nc_u32 v17, s40, v17
	s_mov_b32 s15, exec_lo
	v_cmp_le_u32_e32 vcc_lo, s36, v17
	s_wait_xcnt 0x0
	v_cmpx_gt_u32_e64 s36, v17
	s_cbranch_execz .LBB91_80
; %bb.82:                               ;   in Loop: Header=BB91_81 Depth=2
	global_load_b32 v18, v12, s[38:39] scale_offset
	s_branch .LBB91_80
.LBB91_83:                              ;   in Loop: Header=BB91_15 Depth=1
	s_or_b32 exec_lo, exec_lo, s19
.LBB91_84:                              ;   in Loop: Header=BB91_15 Depth=1
	s_delay_alu instid0(SALU_CYCLE_1)
	s_or_b32 exec_lo, exec_lo, s18
	s_branch .LBB91_63
.LBB91_85:                              ;   in Loop: Header=BB91_15 Depth=1
	s_mul_u64 s[14:15], s[46:47], s[48:49]
	v_mov_b64_e32 v[4:5], 0
	s_mul_i32 s14, s15, s65
	v_mov_b64_e32 v[2:3], 0
	s_sub_co_i32 s14, s46, s14
	s_mov_b32 s97, exec_lo
	s_sub_co_i32 s15, s14, s65
	s_cmp_ge_u32 s14, s65
	s_cselect_b32 s14, s15, s14
	s_delay_alu instid0(SALU_CYCLE_1) | instskip(SKIP_2) | instid1(SALU_CYCLE_1)
	s_sub_co_i32 s15, s14, s65
	s_cmp_ge_u32 s14, s65
	s_cselect_b32 s14, s15, s14
	s_sub_co_i32 s96, s46, s14
	s_delay_alu instid0(SALU_CYCLE_1)
	v_cmpx_gt_u32_e64 s96, v1
	s_cbranch_execz .LBB91_89
; %bb.86:                               ;   in Loop: Header=BB91_15 Depth=1
	v_dual_mov_b32 v12, v31 :: v_dual_mov_b32 v17, v1
	s_mov_b32 s98, 0
	s_mov_b32 s99, s83
	;; [unrolled: 1-line block ×6, first 2 shown]
.LBB91_87:                              ;   Parent Loop BB91_15 Depth=1
                                        ; =>  This Inner Loop Header: Depth=2
	ds_load_b128 v[2:5], v12
	v_dual_add_nc_u32 v17, s65, v17 :: v_dual_add_nc_u32 v12, s82, v12
	s_delay_alu instid0(VALU_DEP_1)
	v_cmp_le_u32_e32 vcc_lo, s96, v17
	s_wait_dscnt 0x0
	v_cmp_lt_i32_e64 s14, -1, v3
	v_cmp_o_f32_e64 s15, v4, v4
	v_cmp_o_f32_e64 s16, v5, v5
	;; [unrolled: 1-line block ×3, first 2 shown]
	s_delay_alu instid0(VALU_DEP_4) | instskip(SKIP_1) | instid1(VALU_DEP_2)
	v_cndmask_b32_e64 v18, -1, 0x80000000, s14
	v_cmp_lt_i32_e64 s14, -1, v2
	v_xor_b32_e32 v18, v18, v3
	s_delay_alu instid0(VALU_DEP_2) | instskip(SKIP_1) | instid1(VALU_DEP_1)
	v_cndmask_b32_e64 v35, -1, 0x80000000, s14
	v_cmp_lt_i32_e64 s14, -1, v4
	v_cndmask_b32_e64 v36, -1, 0x80000000, s14
	v_cmp_lt_i32_e64 s14, -1, v5
	s_delay_alu instid0(VALU_DEP_1) | instskip(SKIP_3) | instid1(VALU_DEP_4)
	v_cndmask_b32_e64 v37, -1, 0x80000000, s14
	v_cmp_o_f32_e64 s14, v3, v3
	v_xor_b32_e32 v3, v35, v2
	v_xor_b32_e32 v35, v36, v4
	;; [unrolled: 1-line block ×3, first 2 shown]
	s_delay_alu instid0(VALU_DEP_1) | instskip(NEXT) | instid1(VALU_DEP_3)
	v_dual_cndmask_b32 v4, -1, v4, s16 :: v_dual_cndmask_b32 v2, -1, v3, s17
	v_dual_cndmask_b32 v3, -1, v18, s14 :: v_dual_cndmask_b32 v5, -1, v35, s15
	s_delay_alu instid0(VALU_DEP_2) | instskip(NEXT) | instid1(VALU_DEP_3)
	v_and_b32_e32 v37, v4, v33
	v_and_b32_e32 v18, v2, v33
	s_delay_alu instid0(VALU_DEP_3) | instskip(NEXT) | instid1(VALU_DEP_4)
	v_dual_lshrrev_b32 v2, s83, v2 :: v_dual_bitop2_b32 v35, v3, v33 bitop3:0x40
	v_dual_lshrrev_b32 v3, s99, v3 :: v_dual_bitop2_b32 v36, v5, v33 bitop3:0x40
	v_dual_lshrrev_b32 v4, s99, v4 :: v_dual_lshrrev_b32 v5, s83, v5
	s_delay_alu instid0(VALU_DEP_3) | instskip(NEXT) | instid1(VALU_DEP_3)
	v_and_b32_e32 v2, 3, v2
	v_and_b32_e32 v3, 3, v3
	v_cmp_eq_u32_e64 s14, v18, v24
	v_cmp_eq_u32_e64 s15, v35, v24
	v_and_b32_e32 v4, 3, v4
	v_cmp_eq_u32_e64 s18, 0, v2
	v_cmp_eq_u32_e64 s19, 0, v3
	;; [unrolled: 1-line block ×4, first 2 shown]
	v_and_b32_e32 v5, 3, v5
	s_and_b32 s18, s14, s18
	v_cmp_eq_u32_e64 s22, 2, v2
	v_cmp_eq_u32_e64 s25, 3, v2
	v_cndmask_b32_e64 v2, 0, 1, s18
	s_and_b32 s18, s15, s19
	v_cmp_eq_u32_e64 s23, 2, v3
	v_cmp_eq_u32_e64 s24, 3, v3
	v_cndmask_b32_e64 v3, 0, 1, s18
	s_and_b32 s18, s14, s20
	v_cmp_eq_u32_e64 s27, 0, v4
	v_cmp_eq_u32_e64 s29, 1, v4
	;; [unrolled: 1-line block ×4, first 2 shown]
	v_cndmask_b32_e64 v4, 0, 1, s18
	s_and_b32 s18, s15, s21
	v_cmp_eq_u32_e64 s16, v36, v24
	v_cmp_eq_u32_e64 s26, 0, v5
	;; [unrolled: 1-line block ×5, first 2 shown]
	v_cndmask_b32_e64 v5, 0, 1, s18
	s_and_b32 s18, s14, s22
	v_cmp_eq_u32_e64 s17, v37, v24
	v_cndmask_b32_e64 v18, 0, 1, s18
	s_and_b32 s18, s15, s23
	s_and_b32 s14, s14, s25
	v_cndmask_b32_e64 v35, 0, 1, s18
	s_and_b32 s18, s16, s26
	v_cndmask_b32_e64 v42, 0, 1, s14
	v_cndmask_b32_e64 v36, 0, 1, s18
	s_and_b32 s18, s17, s27
	s_and_b32 s14, s15, s24
	v_cndmask_b32_e64 v37, 0, 1, s18
	s_and_b32 s18, s16, s28
	v_cndmask_b32_e64 v43, 0, 1, s14
	;; [unrolled: 6-line block ×3, first 2 shown]
	v_cndmask_b32_e64 v40, 0, 1, s18
	s_and_b32 s18, s17, s31
	s_and_b32 s14, s17, s33
	v_cndmask_b32_e64 v41, 0, 1, s18
	v_cndmask_b32_e64 v45, 0, 1, s14
	v_cmp_ne_u32_e64 s14, 0, v2
	v_cmp_ne_u32_e64 s16, 0, v4
	;; [unrolled: 1-line block ×12, first 2 shown]
	s_bcnt1_i32_b32 s14, s14
	s_bcnt1_i32_b32 s16, s16
	s_bcnt1_i32_b32 s18, s18
	s_bcnt1_i32_b32 s26, s26
	v_cmp_ne_u32_e64 s21, 0, v37
	v_cmp_ne_u32_e64 s23, 0, v39
	;; [unrolled: 1-line block ×4, first 2 shown]
	s_bcnt1_i32_b32 s15, s15
	s_bcnt1_i32_b32 s17, s17
	s_bcnt1_i32_b32 s19, s19
	s_bcnt1_i32_b32 s27, s27
	s_add_co_i32 s14, s14, s54
	s_add_co_i32 s16, s16, s55
	s_add_co_i32 s18, s18, s56
	s_add_co_i32 s26, s26, s57
	s_bcnt1_i32_b32 s20, s20
	s_bcnt1_i32_b32 s22, s22
	s_bcnt1_i32_b32 s24, s24
	s_bcnt1_i32_b32 s28, s28
	s_add_co_i32 s16, s16, s17
	s_add_co_i32 s14, s14, s15
	s_add_co_i32 s15, s26, s27
	s_add_co_i32 s17, s18, s19
	;; [unrolled: 8-line block ×3, first 2 shown]
	s_add_co_i32 s55, s16, s23
	s_add_co_i32 s54, s14, s21
	;; [unrolled: 1-line block ×4, first 2 shown]
	v_mov_b64_e32 v[2:3], s[54:55]
	v_mov_b64_e32 v[4:5], s[56:57]
	s_or_b32 s98, vcc_lo, s98
	s_delay_alu instid0(SALU_CYCLE_1)
	s_and_not1_b32 exec_lo, exec_lo, s98
	s_cbranch_execnz .LBB91_87
; %bb.88:                               ;   in Loop: Header=BB91_15 Depth=1
	s_or_b32 exec_lo, exec_lo, s98
.LBB91_89:                              ;   in Loop: Header=BB91_15 Depth=1
	s_delay_alu instid0(SALU_CYCLE_1) | instskip(SKIP_2) | instid1(VALU_DEP_1)
	s_or_b32 exec_lo, exec_lo, s97
	v_add_nc_u32_e32 v12, s96, v0
	s_mov_b32 s19, exec_lo
	v_cmpx_gt_u32_e64 s46, v12
	s_cbranch_execz .LBB91_93
; %bb.90:                               ;   in Loop: Header=BB91_15 Depth=1
	v_lshlrev_b32_e32 v17, 2, v12
	s_mov_b32 s20, 0
.LBB91_91:                              ;   Parent Loop BB91_15 Depth=1
                                        ; =>  This Inner Loop Header: Depth=2
	ds_load_b32 v18, v17
	v_dual_add_nc_u32 v12, s40, v12 :: v_dual_add_nc_u32 v17, s65, v17
	s_delay_alu instid0(VALU_DEP_1) | instskip(SKIP_2) | instid1(VALU_DEP_1)
	v_cmp_le_u32_e32 vcc_lo, s46, v12
	s_wait_dscnt 0x0
	v_cmp_lt_i32_e64 s14, -1, v18
	v_cndmask_b32_e64 v35, -1, 0x80000000, s14
	v_cmp_o_f32_e64 s14, v18, v18
	s_delay_alu instid0(VALU_DEP_2) | instskip(NEXT) | instid1(VALU_DEP_1)
	v_xor_b32_e32 v35, v35, v18
	v_cndmask_b32_e64 v18, -1, v35, s14
	s_delay_alu instid0(VALU_DEP_1) | instskip(SKIP_1) | instid1(VALU_DEP_2)
	v_and_b32_e32 v35, v18, v33
	v_bfe_u32 v18, v18, s83, 2
	v_cmp_eq_u32_e64 s14, v35, v24
	s_delay_alu instid0(VALU_DEP_2) | instskip(SKIP_4) | instid1(SALU_CYCLE_1)
	v_cmp_eq_u32_e64 s15, 0, v18
	v_cmp_eq_u32_e64 s16, 1, v18
	;; [unrolled: 1-line block ×4, first 2 shown]
	s_and_b32 s15, s14, s15
	v_cndmask_b32_e64 v18, 0, 1, s15
	s_and_b32 s15, s14, s16
	s_delay_alu instid0(SALU_CYCLE_1)
	v_cndmask_b32_e64 v35, 0, 1, s15
	s_and_b32 s15, s14, s17
	s_and_b32 s14, s14, s18
	v_cndmask_b32_e64 v36, 0, 1, s15
	v_cndmask_b32_e64 v37, 0, 1, s14
	v_cmp_ne_u32_e64 s14, 0, v18
	v_cmp_ne_u32_e64 s15, 0, v35
	s_delay_alu instid0(VALU_DEP_4) | instskip(NEXT) | instid1(VALU_DEP_4)
	v_cmp_ne_u32_e64 s16, 0, v36
	v_cmp_ne_u32_e64 s17, 0, v37
	s_bcnt1_i32_b32 s14, s14
	s_bcnt1_i32_b32 s15, s15
	v_add_nc_u32_e32 v2, s14, v2
	s_bcnt1_i32_b32 s16, s16
	s_bcnt1_i32_b32 s17, s17
	s_delay_alu instid0(SALU_CYCLE_1) | instskip(SKIP_2) | instid1(SALU_CYCLE_1)
	v_dual_add_nc_u32 v3, s15, v3 :: v_dual_add_nc_u32 v5, s17, v5
	v_add_nc_u32_e32 v4, s16, v4
	s_or_b32 s20, vcc_lo, s20
	s_and_not1_b32 exec_lo, exec_lo, s20
	s_cbranch_execnz .LBB91_91
; %bb.92:                               ;   in Loop: Header=BB91_15 Depth=1
	s_or_b32 exec_lo, exec_lo, s20
.LBB91_93:                              ;   in Loop: Header=BB91_15 Depth=1
	s_delay_alu instid0(SALU_CYCLE_1)
	s_or_b32 exec_lo, exec_lo, s19
	s_lshl_b32 s16, s86, 7
	s_and_saveexec_b32 s14, s2
	s_cbranch_execnz .LBB91_64
	s_branch .LBB91_65
.LBB91_94:                              ;   in Loop: Header=BB91_15 Depth=1
	v_mov_b32_e32 v2, 0
	s_mov_b32 s14, 0
	s_cbranch_execz .LBB91_97
.LBB91_95:                              ;   in Loop: Header=BB91_15 Depth=1
	s_lshl_b32 s15, s86, 9
	s_lshl_b32 s18, s14, 4
	s_sub_co_i32 s14, s70, s14
	v_add3_u32 v3, s15, s18, v32
.LBB91_96:                              ;   Parent Loop BB91_15 Depth=1
                                        ; =>  This Inner Loop Header: Depth=2
	ds_load_b32 v5, v3
	v_add_nc_u32_e32 v3, 16, v3
	s_add_co_i32 s14, s14, -1
	s_delay_alu instid0(SALU_CYCLE_1)
	s_cmp_eq_u32 s14, 0
	s_wait_dscnt 0x0
	v_add_nc_u32_e32 v2, v5, v2
	s_cbranch_scc0 .LBB91_96
.LBB91_97:                              ;   in Loop: Header=BB91_15 Depth=1
	s_delay_alu instid0(VALU_DEP_1)
	v_lshlrev_b32_e32 v3, 2, v4
	ds_store_b32 v3, v2 offset:3072
.LBB91_98:                              ;   in Loop: Header=BB91_15 Depth=1
	s_or_b32 exec_lo, exec_lo, s17
	s_lshl_b32 s14, s16, 2
	s_wait_dscnt 0x0
	v_mov_b32_e32 v2, s14
	s_barrier_signal -1
	s_barrier_wait -1
	v_cmp_eq_u32_e64 s14, 1, v34
	ds_load_b128 v[2:5], v2 offset:3072
	s_lshl_b32 s18, 3, s83
	s_mov_b32 s26, -1
	s_not_b32 s19, s18
	s_mov_b32 s16, 0
	s_and_not1_b32 vcc_lo, exec_lo, s64
	s_mov_b32 s23, 0
	s_mov_b32 s15, 0
                                        ; implicit-def: $sgpr24
                                        ; implicit-def: $sgpr25
                                        ; implicit-def: $vgpr35
                                        ; implicit-def: $vgpr12
	s_wait_dscnt 0x0
	v_readfirstlane_b32 s17, v2
	v_readfirstlane_b32 s20, v3
	;; [unrolled: 1-line block ×4, first 2 shown]
                                        ; implicit-def: $vgpr4
                                        ; implicit-def: $vgpr5
                                        ; implicit-def: $vgpr3
	s_cbranch_vccnz .LBB91_265
; %bb.99:                               ;   in Loop: Header=BB91_15 Depth=1
	s_cmp_eq_u32 s17, 1
	v_dual_mov_b32 v5, v24 :: v_dual_mov_b32 v12, v33
	v_mov_b32_e32 v3, v19
	s_cselect_b32 s15, -1, 0
	s_mov_b32 s29, -1
	s_and_b32 s28, s15, s14
                                        ; implicit-def: $sgpr25
                                        ; implicit-def: $sgpr24
	s_delay_alu instid0(SALU_CYCLE_1)
	s_and_saveexec_b32 s15, s28
	s_cbranch_execz .LBB91_128
; %bb.100:                              ;   in Loop: Header=BB91_15 Depth=1
	ds_load_b32 v2, v13 offset:4096
	s_wait_dscnt 0x0
	s_barrier_signal -1
	s_barrier_wait -1
	v_readfirstlane_b32 s26, v2
	s_and_saveexec_b32 s23, s6
; %bb.101:                              ;   in Loop: Header=BB91_15 Depth=1
	ds_store_b32 v11, v13
; %bb.102:                              ;   in Loop: Header=BB91_15 Depth=1
	s_or_b32 exec_lo, exec_lo, s23
	v_and_b32_e32 v5, s19, v24
	v_or_b32_e32 v12, s18, v33
	s_mov_b32 s24, -1
	s_mov_b32 s25, 0
	s_cmp_eq_u32 s26, 0
	s_mov_b32 s23, 0
	s_mov_b32 s27, -1
	s_wait_dscnt 0x0
	s_barrier_signal -1
	s_barrier_wait -1
                                        ; implicit-def: $vgpr3
	s_cbranch_scc1 .LBB91_114
; %bb.103:                              ;   in Loop: Header=BB91_15 Depth=1
	s_add_co_i32 s46, s26, s69
	s_mov_b32 s29, exec_lo
	s_mul_u64 s[30:31], s[46:47], s[50:51]
                                        ; implicit-def: $vgpr3
	s_delay_alu instid0(SALU_CYCLE_1) | instskip(NEXT) | instid1(SALU_CYCLE_1)
	s_mul_i32 s23, s31, s40
	s_sub_co_i32 s23, s46, s23
	s_delay_alu instid0(SALU_CYCLE_1) | instskip(SKIP_2) | instid1(SALU_CYCLE_1)
	s_sub_co_i32 s27, s23, s40
	s_cmp_ge_u32 s23, s40
	s_cselect_b32 s23, s27, s23
	s_sub_co_i32 s27, s23, s40
	s_cmp_ge_u32 s23, s40
	s_cselect_b32 s23, s27, s23
	s_mov_b32 s27, 0
	s_sub_co_i32 s30, s46, s23
	s_mov_b32 s23, 0
	v_cmpx_gt_u32_e64 s30, v0
	s_cbranch_execz .LBB91_113
; %bb.104:                              ;   in Loop: Header=BB91_15 Depth=1
	v_dual_mov_b32 v4, v1 :: v_dual_mov_b32 v18, v0
                                        ; implicit-def: $sgpr31
	s_branch .LBB91_108
.LBB91_105:                             ;   in Loop: Header=BB91_108 Depth=2
	s_or_b32 exec_lo, exec_lo, s33
	s_wait_dscnt 0x0
	s_barrier_signal -1
	s_barrier_wait -1
	ds_load_b64 v[2:3], v13 offset:3072
	s_wait_dscnt 0x0
	s_barrier_signal -1
	s_barrier_wait -1
	v_cmp_neq_f32_e32 vcc_lo, 0, v2
	s_cbranch_vccnz .LBB91_111
; %bb.106:                              ;   in Loop: Header=BB91_108 Depth=2
	v_dual_add_nc_u32 v18, s40, v18 :: v_dual_add_nc_u32 v4, s65, v4
	s_mov_b32 s33, 0
	s_delay_alu instid0(VALU_DEP_1)
	v_cmp_le_u32_e32 vcc_lo, s30, v18
	s_or_not1_b32 s34, vcc_lo, exec_lo
.LBB91_107:                             ;   in Loop: Header=BB91_108 Depth=2
	s_delay_alu instid0(SALU_CYCLE_1) | instskip(NEXT) | instid1(SALU_CYCLE_1)
	s_and_b32 s34, exec_lo, s34
	s_or_b32 s23, s34, s23
	s_and_not1_b32 s31, s31, exec_lo
	s_and_b32 s33, s33, exec_lo
	s_delay_alu instid0(SALU_CYCLE_1)
	s_or_b32 s31, s31, s33
	s_and_not1_b32 exec_lo, exec_lo, s23
	s_cbranch_execz .LBB91_112
.LBB91_108:                             ;   Parent Loop BB91_15 Depth=1
                                        ; =>  This Inner Loop Header: Depth=2
	s_mov_b32 s33, exec_lo
	s_delay_alu instid0(VALU_DEP_1)
	v_cmpx_gt_u32_e64 s26, v18
	s_cbranch_execz .LBB91_105
; %bb.109:                              ;   in Loop: Header=BB91_108 Depth=2
	ds_load_b32 v17, v4
	s_wait_dscnt 0x0
	v_cmp_lt_i32_e32 vcc_lo, -1, v17
	v_cndmask_b32_e64 v2, -1, 0x80000000, vcc_lo
	v_cmp_o_f32_e32 vcc_lo, v17, v17
	s_delay_alu instid0(VALU_DEP_2) | instskip(NEXT) | instid1(VALU_DEP_1)
	v_xor_b32_e32 v2, v2, v17
	v_cndmask_b32_e32 v2, -1, v2, vcc_lo
	s_delay_alu instid0(VALU_DEP_1) | instskip(NEXT) | instid1(VALU_DEP_1)
	v_and_b32_e32 v2, v2, v12
	v_cmp_eq_u32_e32 vcc_lo, v2, v5
	s_and_b32 exec_lo, exec_lo, vcc_lo
	s_cbranch_execz .LBB91_105
; %bb.110:                              ;   in Loop: Header=BB91_108 Depth=2
	ds_store_b64 v13, v[16:17] offset:3072
	s_branch .LBB91_105
.LBB91_111:                             ;   in Loop: Header=BB91_108 Depth=2
	s_mov_b32 s34, -1
	s_mov_b32 s33, -1
                                        ; implicit-def: $vgpr18
                                        ; implicit-def: $vgpr4
	s_branch .LBB91_107
.LBB91_112:                             ;   in Loop: Header=BB91_15 Depth=1
	s_or_b32 exec_lo, exec_lo, s23
	s_delay_alu instid0(SALU_CYCLE_1)
	s_and_b32 s23, s31, exec_lo
.LBB91_113:                             ;   in Loop: Header=BB91_15 Depth=1
	s_or_b32 exec_lo, exec_lo, s29
.LBB91_114:                             ;   in Loop: Header=BB91_15 Depth=1
	s_delay_alu instid0(SALU_CYCLE_1)
	s_and_b32 vcc_lo, exec_lo, s27
	s_cbranch_vccz .LBB91_127
; %bb.115:                              ;   in Loop: Header=BB91_15 Depth=1
                                        ; implicit-def: $vgpr3
	s_and_saveexec_b32 s24, s13
	s_cbranch_execz .LBB91_126
; %bb.116:                              ;   in Loop: Header=BB91_15 Depth=1
	v_dual_mov_b32 v4, v10 :: v_dual_mov_b32 v18, v0
	s_mov_b32 s25, 0
                                        ; implicit-def: $sgpr26
	s_branch .LBB91_120
.LBB91_117:                             ;   in Loop: Header=BB91_120 Depth=2
	s_or_b32 exec_lo, exec_lo, s27
	s_wait_dscnt 0x0
	s_barrier_signal -1
	s_barrier_wait -1
	ds_load_b64 v[2:3], v13 offset:3072
	s_wait_dscnt 0x0
	s_barrier_signal -1
	s_barrier_wait -1
	v_cmp_neq_f32_e32 vcc_lo, 0, v2
	s_cbranch_vccnz .LBB91_123
; %bb.118:                              ;   in Loop: Header=BB91_120 Depth=2
	v_dual_add_nc_u32 v18, s40, v18 :: v_dual_add_nc_u32 v4, s60, v4
	s_mov_b32 s27, 0
	s_delay_alu instid0(VALU_DEP_1)
	v_cmp_le_u32_e32 vcc_lo, s80, v18
	s_or_not1_b32 s29, vcc_lo, exec_lo
.LBB91_119:                             ;   in Loop: Header=BB91_120 Depth=2
	s_delay_alu instid0(SALU_CYCLE_1) | instskip(NEXT) | instid1(SALU_CYCLE_1)
	s_and_b32 s29, exec_lo, s29
	s_or_b32 s25, s29, s25
	s_and_not1_b32 s26, s26, exec_lo
	s_and_b32 s27, s27, exec_lo
	s_delay_alu instid0(SALU_CYCLE_1)
	s_or_b32 s26, s26, s27
	s_and_not1_b32 exec_lo, exec_lo, s25
	s_cbranch_execz .LBB91_125
.LBB91_120:                             ;   Parent Loop BB91_15 Depth=1
                                        ; =>  This Inner Loop Header: Depth=2
	s_mov_b32 s27, exec_lo
	s_delay_alu instid0(VALU_DEP_1)
	v_cmpx_gt_u32_e64 s36, v18
	s_cbranch_execz .LBB91_117
; %bb.121:                              ;   in Loop: Header=BB91_120 Depth=2
	global_load_b32 v17, v4, s[38:39] scale_offset
	s_wait_loadcnt 0x0
	v_cmp_lt_i32_e32 vcc_lo, -1, v17
	v_cndmask_b32_e64 v2, -1, 0x80000000, vcc_lo
	v_cmp_o_f32_e32 vcc_lo, v17, v17
	s_delay_alu instid0(VALU_DEP_2) | instskip(NEXT) | instid1(VALU_DEP_1)
	v_xor_b32_e32 v2, v2, v17
	v_cndmask_b32_e32 v2, -1, v2, vcc_lo
	s_delay_alu instid0(VALU_DEP_1) | instskip(NEXT) | instid1(VALU_DEP_1)
	v_and_b32_e32 v2, v2, v12
	v_cmp_eq_u32_e32 vcc_lo, v2, v5
	s_and_b32 exec_lo, exec_lo, vcc_lo
	s_cbranch_execz .LBB91_117
; %bb.122:                              ;   in Loop: Header=BB91_120 Depth=2
	ds_store_b64 v13, v[16:17] offset:3072
	s_branch .LBB91_117
.LBB91_123:                             ;   in Loop: Header=BB91_120 Depth=2
	s_mov_b32 s29, -1
	s_mov_b32 s27, -1
                                        ; implicit-def: $vgpr18
                                        ; implicit-def: $vgpr4
	s_branch .LBB91_119
.LBB91_124:                             ;   in Loop: Header=BB91_15 Depth=1
	s_mov_b64 s[14:15], 0x100000000
	v_mov_b64_e32 v[2:3], 0
	s_and_not1_b32 vcc_lo, exec_lo, s76
	s_mov_b32 s18, s73
	s_cbranch_vccz .LBB91_72
	s_branch .LBB91_73
.LBB91_125:                             ;   in Loop: Header=BB91_15 Depth=1
	s_or_b32 exec_lo, exec_lo, s25
	s_delay_alu instid0(SALU_CYCLE_1) | instskip(SKIP_1) | instid1(SALU_CYCLE_1)
	s_and_not1_b32 s23, s23, exec_lo
	s_and_b32 s25, s26, exec_lo
	s_or_b32 s23, s23, s25
.LBB91_126:                             ;   in Loop: Header=BB91_15 Depth=1
	s_or_b32 exec_lo, exec_lo, s24
	s_mov_b32 s24, 0
	s_mov_b32 s25, -1
.LBB91_127:                             ;   in Loop: Header=BB91_15 Depth=1
	s_or_not1_b32 s29, s23, exec_lo
.LBB91_128:                             ;   in Loop: Header=BB91_15 Depth=1
	s_or_b32 exec_lo, exec_lo, s15
	s_mov_b32 s26, 0
	s_mov_b32 s23, 0
	;; [unrolled: 1-line block ×3, first 2 shown]
                                        ; implicit-def: $vgpr35
                                        ; implicit-def: $vgpr4
	s_and_saveexec_b32 s27, s29
	s_cbranch_execz .LBB91_264
; %bb.129:                              ;   in Loop: Header=BB91_15 Depth=1
	v_dual_mov_b32 v35, 1 :: v_dual_mov_b32 v4, 1
	s_xor_b32 s23, s28, -1
	s_mov_b32 s30, 0
	s_and_saveexec_b32 s15, s23
	s_cbranch_execz .LBB91_138
; %bb.130:                              ;   in Loop: Header=BB91_15 Depth=1
	s_mov_b32 s23, exec_lo
	v_cmpx_ge_u32_e64 s17, v34
	s_xor_b32 s23, exec_lo, s23
	s_cbranch_execz .LBB91_135
; %bb.131:                              ;   in Loop: Header=BB91_15 Depth=1
	ds_load_b32 v2, v13 offset:4096
	v_and_b32_e32 v5, s19, v5
	v_or_b32_e32 v12, s18, v12
	s_wait_dscnt 0x0
	v_cmp_ne_u32_e32 vcc_lo, 0, v2
	s_cbranch_vccnz .LBB91_135
; %bb.132:                              ;   in Loop: Header=BB91_15 Depth=1
	s_and_saveexec_b32 s28, s5
; %bb.133:                              ;   in Loop: Header=BB91_15 Depth=1
	v_mov_b32_e32 v2, s17
	ds_store_b32 v13, v2 offset:4100
; %bb.134:                              ;   in Loop: Header=BB91_15 Depth=1
	s_or_b32 exec_lo, exec_lo, s28
	s_wait_dscnt 0x0
	s_barrier_signal -1
	s_barrier_wait -1
.LBB91_135:                             ;   in Loop: Header=BB91_15 Depth=1
	s_or_saveexec_b32 s23, s23
	v_dual_mov_b32 v4, 8 :: v_dual_mov_b32 v35, v34
	s_mov_b32 s28, 0
	s_xor_b32 exec_lo, exec_lo, s23
; %bb.136:                              ;   in Loop: Header=BB91_15 Depth=1
	v_subrev_nc_u32_e32 v35, s17, v34
	v_mov_b32_e32 v4, 0
	s_mov_b32 s28, exec_lo
; %bb.137:                              ;   in Loop: Header=BB91_15 Depth=1
	s_or_b32 exec_lo, exec_lo, s23
	s_delay_alu instid0(SALU_CYCLE_1)
	s_and_b32 s30, s28, exec_lo
.LBB91_138:                             ;   in Loop: Header=BB91_15 Depth=1
	s_or_b32 exec_lo, exec_lo, s15
	s_mov_b32 s29, -1
                                        ; implicit-def: $sgpr23
                                        ; implicit-def: $sgpr28
	s_and_saveexec_b32 s15, s30
	s_delay_alu instid0(SALU_CYCLE_1)
	s_xor_b32 s15, exec_lo, s15
	s_cbranch_execz .LBB91_261
; %bb.139:                              ;   in Loop: Header=BB91_15 Depth=1
	v_cmp_eq_u32_e32 vcc_lo, 1, v35
	s_cmp_eq_u32 s20, 1
	s_mov_b32 s31, -1
	s_cselect_b32 s23, -1, 0
                                        ; implicit-def: $sgpr28
	s_delay_alu instid0(SALU_CYCLE_1) | instskip(NEXT) | instid1(SALU_CYCLE_1)
	s_and_b32 s30, s23, vcc_lo
                                        ; implicit-def: $sgpr23
	s_and_saveexec_b32 s29, s30
	s_cbranch_execz .LBB91_167
; %bb.140:                              ;   in Loop: Header=BB91_15 Depth=1
	ds_load_b32 v2, v13 offset:4096
	s_wait_dscnt 0x0
	s_barrier_signal -1
	s_barrier_wait -1
	v_readfirstlane_b32 s33, v2
	s_and_saveexec_b32 s23, s6
; %bb.141:                              ;   in Loop: Header=BB91_15 Depth=1
	ds_store_b32 v11, v13
; %bb.142:                              ;   in Loop: Header=BB91_15 Depth=1
	s_or_b32 exec_lo, exec_lo, s23
	s_lshl_b32 s23, 1, s83
	v_or_b32_e32 v12, s18, v12
	v_and_or_b32 v5, v5, s19, s23
	s_mov_b32 s23, -1
	s_mov_b32 s28, 0
	s_cmp_eq_u32 s33, 0
	s_mov_b32 s31, 0
	s_mov_b32 s34, -1
	s_wait_dscnt 0x0
	s_barrier_signal -1
	s_barrier_wait -1
                                        ; implicit-def: $vgpr3
	s_cbranch_scc1 .LBB91_154
; %bb.143:                              ;   in Loop: Header=BB91_15 Depth=1
	s_add_co_i32 s46, s33, s69
                                        ; implicit-def: $vgpr3
	s_delay_alu instid0(SALU_CYCLE_1) | instskip(NEXT) | instid1(SALU_CYCLE_1)
	s_mul_u64 s[54:55], s[46:47], s[50:51]
	s_mul_i32 s31, s55, s40
	s_delay_alu instid0(SALU_CYCLE_1) | instskip(NEXT) | instid1(SALU_CYCLE_1)
	s_sub_co_i32 s31, s46, s31
	s_sub_co_i32 s34, s31, s40
	s_cmp_ge_u32 s31, s40
	s_cselect_b32 s31, s34, s31
	s_delay_alu instid0(SALU_CYCLE_1)
	s_sub_co_i32 s34, s31, s40
	s_cmp_ge_u32 s31, s40
	s_cselect_b32 s31, s34, s31
	s_mov_b32 s34, 0
	s_sub_co_i32 s54, s46, s31
	s_mov_b32 s31, 0
	s_mov_b32 s46, exec_lo
	v_cmpx_gt_u32_e64 s54, v0
	s_cbranch_execz .LBB91_153
; %bb.144:                              ;   in Loop: Header=BB91_15 Depth=1
	v_dual_mov_b32 v18, v1 :: v_dual_mov_b32 v36, v0
                                        ; implicit-def: $sgpr55
	s_branch .LBB91_148
.LBB91_145:                             ;   in Loop: Header=BB91_148 Depth=2
	s_or_b32 exec_lo, exec_lo, s56
	s_wait_dscnt 0x0
	s_barrier_signal -1
	s_barrier_wait -1
	ds_load_b64 v[2:3], v13 offset:3072
	s_wait_dscnt 0x0
	s_barrier_signal -1
	s_barrier_wait -1
	v_cmp_neq_f32_e32 vcc_lo, 0, v2
	s_cbranch_vccnz .LBB91_151
; %bb.146:                              ;   in Loop: Header=BB91_148 Depth=2
	v_dual_add_nc_u32 v36, s40, v36 :: v_dual_add_nc_u32 v18, s65, v18
	s_mov_b32 s56, 0
	s_delay_alu instid0(VALU_DEP_1)
	v_cmp_le_u32_e32 vcc_lo, s54, v36
	s_or_not1_b32 s57, vcc_lo, exec_lo
.LBB91_147:                             ;   in Loop: Header=BB91_148 Depth=2
	s_delay_alu instid0(SALU_CYCLE_1) | instskip(NEXT) | instid1(SALU_CYCLE_1)
	s_and_b32 s57, exec_lo, s57
	s_or_b32 s31, s57, s31
	s_and_not1_b32 s55, s55, exec_lo
	s_and_b32 s56, s56, exec_lo
	s_delay_alu instid0(SALU_CYCLE_1)
	s_or_b32 s55, s55, s56
	s_and_not1_b32 exec_lo, exec_lo, s31
	s_cbranch_execz .LBB91_152
.LBB91_148:                             ;   Parent Loop BB91_15 Depth=1
                                        ; =>  This Inner Loop Header: Depth=2
	s_mov_b32 s56, exec_lo
	s_delay_alu instid0(VALU_DEP_1)
	v_cmpx_gt_u32_e64 s33, v36
	s_cbranch_execz .LBB91_145
; %bb.149:                              ;   in Loop: Header=BB91_148 Depth=2
	ds_load_b32 v17, v18
	s_wait_dscnt 0x0
	v_cmp_lt_i32_e32 vcc_lo, -1, v17
	v_cndmask_b32_e64 v2, -1, 0x80000000, vcc_lo
	v_cmp_o_f32_e32 vcc_lo, v17, v17
	s_delay_alu instid0(VALU_DEP_2) | instskip(NEXT) | instid1(VALU_DEP_1)
	v_xor_b32_e32 v2, v2, v17
	v_cndmask_b32_e32 v2, -1, v2, vcc_lo
	s_delay_alu instid0(VALU_DEP_1) | instskip(NEXT) | instid1(VALU_DEP_1)
	v_and_b32_e32 v2, v2, v12
	v_cmp_eq_u32_e32 vcc_lo, v2, v5
	s_and_b32 exec_lo, exec_lo, vcc_lo
	s_cbranch_execz .LBB91_145
; %bb.150:                              ;   in Loop: Header=BB91_148 Depth=2
	ds_store_b64 v13, v[16:17] offset:3072
	s_branch .LBB91_145
.LBB91_151:                             ;   in Loop: Header=BB91_148 Depth=2
	s_mov_b32 s57, -1
	s_mov_b32 s56, -1
                                        ; implicit-def: $vgpr36
                                        ; implicit-def: $vgpr18
	s_branch .LBB91_147
.LBB91_152:                             ;   in Loop: Header=BB91_15 Depth=1
	s_or_b32 exec_lo, exec_lo, s31
	s_delay_alu instid0(SALU_CYCLE_1)
	s_and_b32 s31, s55, exec_lo
.LBB91_153:                             ;   in Loop: Header=BB91_15 Depth=1
	s_or_b32 exec_lo, exec_lo, s46
.LBB91_154:                             ;   in Loop: Header=BB91_15 Depth=1
	s_delay_alu instid0(SALU_CYCLE_1)
	s_and_b32 vcc_lo, exec_lo, s34
	s_cbranch_vccz .LBB91_166
; %bb.155:                              ;   in Loop: Header=BB91_15 Depth=1
                                        ; implicit-def: $vgpr3
	s_and_saveexec_b32 s23, s13
	s_cbranch_execz .LBB91_165
; %bb.156:                              ;   in Loop: Header=BB91_15 Depth=1
	v_dual_mov_b32 v18, v10 :: v_dual_mov_b32 v36, v0
	s_mov_b32 s28, 0
                                        ; implicit-def: $sgpr33
	s_branch .LBB91_160
.LBB91_157:                             ;   in Loop: Header=BB91_160 Depth=2
	s_or_b32 exec_lo, exec_lo, s34
	s_wait_dscnt 0x0
	s_barrier_signal -1
	s_barrier_wait -1
	ds_load_b64 v[2:3], v13 offset:3072
	s_wait_dscnt 0x0
	s_barrier_signal -1
	s_barrier_wait -1
	v_cmp_eq_f32_e32 vcc_lo, 0, v2
	s_cbranch_vccz .LBB91_163
; %bb.158:                              ;   in Loop: Header=BB91_160 Depth=2
	v_dual_add_nc_u32 v36, s40, v36 :: v_dual_add_nc_u32 v18, s60, v18
	s_mov_b32 s34, 0
	s_delay_alu instid0(VALU_DEP_1)
	v_cmp_le_u32_e32 vcc_lo, s80, v36
	s_or_not1_b32 s46, vcc_lo, exec_lo
.LBB91_159:                             ;   in Loop: Header=BB91_160 Depth=2
	s_delay_alu instid0(SALU_CYCLE_1) | instskip(NEXT) | instid1(SALU_CYCLE_1)
	s_and_b32 s46, exec_lo, s46
	s_or_b32 s28, s46, s28
	s_and_not1_b32 s33, s33, exec_lo
	s_and_b32 s34, s34, exec_lo
	s_delay_alu instid0(SALU_CYCLE_1)
	s_or_b32 s33, s33, s34
	s_and_not1_b32 exec_lo, exec_lo, s28
	s_cbranch_execz .LBB91_164
.LBB91_160:                             ;   Parent Loop BB91_15 Depth=1
                                        ; =>  This Inner Loop Header: Depth=2
	s_mov_b32 s34, exec_lo
	s_delay_alu instid0(VALU_DEP_1)
	v_cmpx_gt_u32_e64 s36, v36
	s_cbranch_execz .LBB91_157
; %bb.161:                              ;   in Loop: Header=BB91_160 Depth=2
	global_load_b32 v17, v18, s[38:39] scale_offset
	s_wait_loadcnt 0x0
	v_cmp_lt_i32_e32 vcc_lo, -1, v17
	v_cndmask_b32_e64 v2, -1, 0x80000000, vcc_lo
	v_cmp_o_f32_e32 vcc_lo, v17, v17
	s_delay_alu instid0(VALU_DEP_2) | instskip(NEXT) | instid1(VALU_DEP_1)
	v_xor_b32_e32 v2, v2, v17
	v_cndmask_b32_e32 v2, -1, v2, vcc_lo
	s_delay_alu instid0(VALU_DEP_1) | instskip(NEXT) | instid1(VALU_DEP_1)
	v_and_b32_e32 v2, v2, v12
	v_cmp_eq_u32_e32 vcc_lo, v2, v5
	s_and_b32 exec_lo, exec_lo, vcc_lo
	s_cbranch_execz .LBB91_157
; %bb.162:                              ;   in Loop: Header=BB91_160 Depth=2
	ds_store_b64 v13, v[16:17] offset:3072
	s_branch .LBB91_157
.LBB91_163:                             ;   in Loop: Header=BB91_160 Depth=2
	s_mov_b32 s46, -1
	s_mov_b32 s34, -1
                                        ; implicit-def: $vgpr36
                                        ; implicit-def: $vgpr18
	s_branch .LBB91_159
.LBB91_164:                             ;   in Loop: Header=BB91_15 Depth=1
	s_or_b32 exec_lo, exec_lo, s28
	s_delay_alu instid0(SALU_CYCLE_1) | instskip(SKIP_1) | instid1(SALU_CYCLE_1)
	s_and_not1_b32 s28, s31, exec_lo
	s_and_b32 s31, s33, exec_lo
	s_or_b32 s31, s28, s31
.LBB91_165:                             ;   in Loop: Header=BB91_15 Depth=1
	s_or_b32 exec_lo, exec_lo, s23
	s_mov_b32 s23, 0
	s_mov_b32 s28, -1
.LBB91_166:                             ;   in Loop: Header=BB91_15 Depth=1
	s_or_not1_b32 s31, s31, exec_lo
.LBB91_167:                             ;   in Loop: Header=BB91_15 Depth=1
	s_or_b32 exec_lo, exec_lo, s29
	s_mov_b32 s33, 0
	s_and_saveexec_b32 s29, s31
	s_cbranch_execz .LBB91_260
; %bb.168:                              ;   in Loop: Header=BB91_15 Depth=1
	v_dual_mov_b32 v18, 1 :: v_dual_mov_b32 v4, 1
	s_xor_b32 s31, s30, -1
	s_mov_b32 s46, 0
	s_and_saveexec_b32 s30, s31
	s_cbranch_execz .LBB91_177
; %bb.169:                              ;   in Loop: Header=BB91_15 Depth=1
	s_mov_b32 s31, exec_lo
	v_cmpx_ge_u32_e64 s20, v35
	s_xor_b32 s31, exec_lo, s31
	s_cbranch_execz .LBB91_174
; %bb.170:                              ;   in Loop: Header=BB91_15 Depth=1
	ds_load_b32 v2, v13 offset:4096
	s_lshl_b32 s33, 1, s83
	v_or_b32_e32 v12, s18, v12
	v_and_or_b32 v5, v5, s19, s33
	s_wait_dscnt 0x0
	v_cmp_ne_u32_e32 vcc_lo, 0, v2
	s_cbranch_vccnz .LBB91_174
; %bb.171:                              ;   in Loop: Header=BB91_15 Depth=1
	s_and_saveexec_b32 s33, s5
; %bb.172:                              ;   in Loop: Header=BB91_15 Depth=1
	v_mov_b32_e32 v2, s20
	ds_store_b32 v13, v2 offset:4100
; %bb.173:                              ;   in Loop: Header=BB91_15 Depth=1
	s_or_b32 exec_lo, exec_lo, s33
	s_wait_dscnt 0x0
	s_barrier_signal -1
	s_barrier_wait -1
.LBB91_174:                             ;   in Loop: Header=BB91_15 Depth=1
	s_or_saveexec_b32 s31, s31
	v_mov_b32_e32 v4, 8
	s_mov_b32 s33, 0
	s_xor_b32 exec_lo, exec_lo, s31
; %bb.175:                              ;   in Loop: Header=BB91_15 Depth=1
	v_subrev_nc_u32_e32 v35, s20, v35
	v_mov_b32_e32 v4, 0
	s_mov_b32 s33, exec_lo
; %bb.176:                              ;   in Loop: Header=BB91_15 Depth=1
	s_or_b32 exec_lo, exec_lo, s31
	s_delay_alu instid0(VALU_DEP_2)
	v_mov_b32_e32 v18, v35
	s_and_b32 s46, s33, exec_lo
.LBB91_177:                             ;   in Loop: Header=BB91_15 Depth=1
	s_or_b32 exec_lo, exec_lo, s30
	s_mov_b32 s34, -1
                                        ; implicit-def: $sgpr31
                                        ; implicit-def: $sgpr33
	s_and_saveexec_b32 s30, s46
	s_cbranch_execz .LBB91_259
; %bb.178:                              ;   in Loop: Header=BB91_15 Depth=1
	v_cmp_eq_u32_e32 vcc_lo, 1, v18
	s_cmp_eq_u32 s21, 1
	s_mov_b32 s46, -1
	s_cselect_b32 s31, -1, 0
                                        ; implicit-def: $sgpr33
	s_delay_alu instid0(SALU_CYCLE_1) | instskip(NEXT) | instid1(SALU_CYCLE_1)
	s_and_b32 s54, s31, vcc_lo
                                        ; implicit-def: $sgpr31
	s_and_saveexec_b32 s34, s54
	s_cbranch_execz .LBB91_206
; %bb.179:                              ;   in Loop: Header=BB91_15 Depth=1
	ds_load_b32 v2, v13 offset:4096
	s_wait_dscnt 0x0
	s_barrier_signal -1
	s_barrier_wait -1
	v_readfirstlane_b32 s55, v2
	s_and_saveexec_b32 s31, s6
; %bb.180:                              ;   in Loop: Header=BB91_15 Depth=1
	ds_store_b32 v11, v13
; %bb.181:                              ;   in Loop: Header=BB91_15 Depth=1
	s_or_b32 exec_lo, exec_lo, s31
	s_lshl_b32 s31, 2, s83
	v_or_b32_e32 v12, s18, v12
	v_and_or_b32 v5, v5, s19, s31
	s_mov_b32 s31, -1
	s_mov_b32 s33, 0
	s_cmp_eq_u32 s55, 0
	s_mov_b32 s46, 0
	s_mov_b32 s56, -1
	s_wait_dscnt 0x0
	s_barrier_signal -1
	s_barrier_wait -1
                                        ; implicit-def: $vgpr3
	s_cbranch_scc1 .LBB91_193
; %bb.182:                              ;   in Loop: Header=BB91_15 Depth=1
	s_add_co_i32 s46, s55, s69
                                        ; implicit-def: $vgpr3
	s_delay_alu instid0(SALU_CYCLE_1) | instskip(NEXT) | instid1(SALU_CYCLE_1)
	s_mul_u64 s[56:57], s[46:47], s[50:51]
	s_mul_i32 s56, s57, s40
	s_delay_alu instid0(SALU_CYCLE_1) | instskip(NEXT) | instid1(SALU_CYCLE_1)
	s_sub_co_i32 s56, s46, s56
	s_sub_co_i32 s57, s56, s40
	s_cmp_ge_u32 s56, s40
	s_cselect_b32 s56, s57, s56
	s_delay_alu instid0(SALU_CYCLE_1)
	s_sub_co_i32 s57, s56, s40
	s_cmp_ge_u32 s56, s40
	s_cselect_b32 s56, s57, s56
	s_mov_b32 s57, exec_lo
	s_sub_co_i32 s96, s46, s56
	s_mov_b32 s56, 0
	s_mov_b32 s46, 0
	v_cmpx_gt_u32_e64 s96, v0
	s_cbranch_execz .LBB91_192
; %bb.183:                              ;   in Loop: Header=BB91_15 Depth=1
	v_dual_mov_b32 v35, v1 :: v_dual_mov_b32 v36, v0
                                        ; implicit-def: $sgpr97
	s_branch .LBB91_187
.LBB91_184:                             ;   in Loop: Header=BB91_187 Depth=2
	s_or_b32 exec_lo, exec_lo, s98
	s_wait_dscnt 0x0
	s_barrier_signal -1
	s_barrier_wait -1
	ds_load_b64 v[2:3], v13 offset:3072
	s_wait_dscnt 0x0
	s_barrier_signal -1
	s_barrier_wait -1
	v_cmp_neq_f32_e32 vcc_lo, 0, v2
	s_cbranch_vccnz .LBB91_190
; %bb.185:                              ;   in Loop: Header=BB91_187 Depth=2
	v_dual_add_nc_u32 v36, s40, v36 :: v_dual_add_nc_u32 v35, s65, v35
	s_mov_b32 s98, 0
	s_delay_alu instid0(VALU_DEP_1)
	v_cmp_le_u32_e32 vcc_lo, s96, v36
	s_or_not1_b32 s99, vcc_lo, exec_lo
.LBB91_186:                             ;   in Loop: Header=BB91_187 Depth=2
	s_delay_alu instid0(SALU_CYCLE_1) | instskip(NEXT) | instid1(SALU_CYCLE_1)
	s_and_b32 s99, exec_lo, s99
	s_or_b32 s46, s99, s46
	s_and_not1_b32 s97, s97, exec_lo
	s_and_b32 s98, s98, exec_lo
	s_delay_alu instid0(SALU_CYCLE_1)
	s_or_b32 s97, s97, s98
	s_and_not1_b32 exec_lo, exec_lo, s46
	s_cbranch_execz .LBB91_191
.LBB91_187:                             ;   Parent Loop BB91_15 Depth=1
                                        ; =>  This Inner Loop Header: Depth=2
	s_mov_b32 s98, exec_lo
	s_delay_alu instid0(VALU_DEP_1)
	v_cmpx_gt_u32_e64 s55, v36
	s_cbranch_execz .LBB91_184
; %bb.188:                              ;   in Loop: Header=BB91_187 Depth=2
	ds_load_b32 v17, v35
	s_wait_dscnt 0x0
	v_cmp_lt_i32_e32 vcc_lo, -1, v17
	v_cndmask_b32_e64 v2, -1, 0x80000000, vcc_lo
	v_cmp_o_f32_e32 vcc_lo, v17, v17
	s_delay_alu instid0(VALU_DEP_2) | instskip(NEXT) | instid1(VALU_DEP_1)
	v_xor_b32_e32 v2, v2, v17
	v_cndmask_b32_e32 v2, -1, v2, vcc_lo
	s_delay_alu instid0(VALU_DEP_1) | instskip(NEXT) | instid1(VALU_DEP_1)
	v_and_b32_e32 v2, v2, v12
	v_cmp_eq_u32_e32 vcc_lo, v2, v5
	s_and_b32 exec_lo, exec_lo, vcc_lo
	s_cbranch_execz .LBB91_184
; %bb.189:                              ;   in Loop: Header=BB91_187 Depth=2
	ds_store_b64 v13, v[16:17] offset:3072
	s_branch .LBB91_184
.LBB91_190:                             ;   in Loop: Header=BB91_187 Depth=2
	s_mov_b32 s99, -1
	s_mov_b32 s98, -1
                                        ; implicit-def: $vgpr36
                                        ; implicit-def: $vgpr35
	s_branch .LBB91_186
.LBB91_191:                             ;   in Loop: Header=BB91_15 Depth=1
	s_or_b32 exec_lo, exec_lo, s46
	s_delay_alu instid0(SALU_CYCLE_1)
	s_and_b32 s46, s97, exec_lo
.LBB91_192:                             ;   in Loop: Header=BB91_15 Depth=1
	s_or_b32 exec_lo, exec_lo, s57
.LBB91_193:                             ;   in Loop: Header=BB91_15 Depth=1
	s_delay_alu instid0(SALU_CYCLE_1)
	s_and_b32 vcc_lo, exec_lo, s56
	s_cbranch_vccz .LBB91_205
; %bb.194:                              ;   in Loop: Header=BB91_15 Depth=1
                                        ; implicit-def: $vgpr3
	s_and_saveexec_b32 s31, s13
	s_cbranch_execz .LBB91_204
; %bb.195:                              ;   in Loop: Header=BB91_15 Depth=1
	v_dual_mov_b32 v35, v10 :: v_dual_mov_b32 v36, v0
	s_mov_b32 s33, 0
                                        ; implicit-def: $sgpr55
	s_branch .LBB91_199
.LBB91_196:                             ;   in Loop: Header=BB91_199 Depth=2
	s_or_b32 exec_lo, exec_lo, s56
	s_wait_dscnt 0x0
	s_barrier_signal -1
	s_barrier_wait -1
	ds_load_b64 v[2:3], v13 offset:3072
	s_wait_dscnt 0x0
	s_barrier_signal -1
	s_barrier_wait -1
	v_cmp_eq_f32_e32 vcc_lo, 0, v2
	s_cbranch_vccz .LBB91_202
; %bb.197:                              ;   in Loop: Header=BB91_199 Depth=2
	v_dual_add_nc_u32 v36, s40, v36 :: v_dual_add_nc_u32 v35, s60, v35
	s_mov_b32 s56, 0
	s_delay_alu instid0(VALU_DEP_1)
	v_cmp_le_u32_e32 vcc_lo, s80, v36
	s_or_not1_b32 s57, vcc_lo, exec_lo
.LBB91_198:                             ;   in Loop: Header=BB91_199 Depth=2
	s_delay_alu instid0(SALU_CYCLE_1) | instskip(NEXT) | instid1(SALU_CYCLE_1)
	s_and_b32 s57, exec_lo, s57
	s_or_b32 s33, s57, s33
	s_and_not1_b32 s55, s55, exec_lo
	s_and_b32 s56, s56, exec_lo
	s_delay_alu instid0(SALU_CYCLE_1)
	s_or_b32 s55, s55, s56
	s_and_not1_b32 exec_lo, exec_lo, s33
	s_cbranch_execz .LBB91_203
.LBB91_199:                             ;   Parent Loop BB91_15 Depth=1
                                        ; =>  This Inner Loop Header: Depth=2
	s_mov_b32 s56, exec_lo
	s_delay_alu instid0(VALU_DEP_1)
	v_cmpx_gt_u32_e64 s36, v36
	s_cbranch_execz .LBB91_196
; %bb.200:                              ;   in Loop: Header=BB91_199 Depth=2
	global_load_b32 v17, v35, s[38:39] scale_offset
	s_wait_loadcnt 0x0
	v_cmp_lt_i32_e32 vcc_lo, -1, v17
	v_cndmask_b32_e64 v2, -1, 0x80000000, vcc_lo
	v_cmp_o_f32_e32 vcc_lo, v17, v17
	s_delay_alu instid0(VALU_DEP_2) | instskip(NEXT) | instid1(VALU_DEP_1)
	v_xor_b32_e32 v2, v2, v17
	v_cndmask_b32_e32 v2, -1, v2, vcc_lo
	s_delay_alu instid0(VALU_DEP_1) | instskip(NEXT) | instid1(VALU_DEP_1)
	v_and_b32_e32 v2, v2, v12
	v_cmp_eq_u32_e32 vcc_lo, v2, v5
	s_and_b32 exec_lo, exec_lo, vcc_lo
	s_cbranch_execz .LBB91_196
; %bb.201:                              ;   in Loop: Header=BB91_199 Depth=2
	ds_store_b64 v13, v[16:17] offset:3072
	s_branch .LBB91_196
.LBB91_202:                             ;   in Loop: Header=BB91_199 Depth=2
	s_mov_b32 s57, -1
	s_mov_b32 s56, -1
                                        ; implicit-def: $vgpr36
                                        ; implicit-def: $vgpr35
	s_branch .LBB91_198
.LBB91_203:                             ;   in Loop: Header=BB91_15 Depth=1
	s_or_b32 exec_lo, exec_lo, s33
	s_delay_alu instid0(SALU_CYCLE_1) | instskip(SKIP_1) | instid1(SALU_CYCLE_1)
	s_and_not1_b32 s33, s46, exec_lo
	s_and_b32 s46, s55, exec_lo
	s_or_b32 s46, s33, s46
.LBB91_204:                             ;   in Loop: Header=BB91_15 Depth=1
	s_or_b32 exec_lo, exec_lo, s31
	s_mov_b32 s31, 0
	s_mov_b32 s33, -1
.LBB91_205:                             ;   in Loop: Header=BB91_15 Depth=1
	s_or_not1_b32 s46, s46, exec_lo
.LBB91_206:                             ;   in Loop: Header=BB91_15 Depth=1
	s_or_b32 exec_lo, exec_lo, s34
	s_mov_b32 s55, 0
	s_and_saveexec_b32 s34, s46
	s_cbranch_execz .LBB91_258
; %bb.207:                              ;   in Loop: Header=BB91_15 Depth=1
	v_dual_mov_b32 v35, 1 :: v_dual_mov_b32 v4, 1
	s_xor_b32 s54, s54, -1
	s_delay_alu instid0(SALU_CYCLE_1)
	s_and_saveexec_b32 s46, s54
	s_cbranch_execz .LBB91_216
; %bb.208:                              ;   in Loop: Header=BB91_15 Depth=1
	s_mov_b32 s54, exec_lo
	v_cmpx_ge_u32_e64 s21, v18
	s_xor_b32 s54, exec_lo, s54
	s_cbranch_execz .LBB91_213
; %bb.209:                              ;   in Loop: Header=BB91_15 Depth=1
	ds_load_b32 v2, v13 offset:4096
	s_lshl_b32 s55, 2, s83
	v_or_b32_e32 v12, s18, v12
	v_and_or_b32 v5, v5, s19, s55
	s_wait_dscnt 0x0
	v_cmp_ne_u32_e32 vcc_lo, 0, v2
	s_cbranch_vccnz .LBB91_213
; %bb.210:                              ;   in Loop: Header=BB91_15 Depth=1
	s_and_saveexec_b32 s55, s5
; %bb.211:                              ;   in Loop: Header=BB91_15 Depth=1
	v_mov_b32_e32 v2, s21
	ds_store_b32 v13, v2 offset:4100
; %bb.212:                              ;   in Loop: Header=BB91_15 Depth=1
	s_or_b32 exec_lo, exec_lo, s55
	s_wait_dscnt 0x0
	s_barrier_signal -1
	s_barrier_wait -1
.LBB91_213:                             ;   in Loop: Header=BB91_15 Depth=1
	s_or_saveexec_b32 s54, s54
	v_mov_b32_e32 v4, 8
	s_mov_b32 s55, 0
	s_xor_b32 exec_lo, exec_lo, s54
; %bb.214:                              ;   in Loop: Header=BB91_15 Depth=1
	v_subrev_nc_u32_e32 v18, s21, v18
	v_mov_b32_e32 v4, 0
	s_mov_b32 s55, exec_lo
; %bb.215:                              ;   in Loop: Header=BB91_15 Depth=1
	s_or_b32 exec_lo, exec_lo, s54
	s_delay_alu instid0(VALU_DEP_2)
	v_mov_b32_e32 v35, v18
	s_and_b32 s55, s55, exec_lo
.LBB91_216:                             ;   in Loop: Header=BB91_15 Depth=1
	s_or_b32 exec_lo, exec_lo, s46
	s_mov_b32 s46, -1
                                        ; implicit-def: $sgpr57
                                        ; implicit-def: $sgpr56
	s_and_saveexec_b32 s54, s55
	s_cbranch_execz .LBB91_257
; %bb.217:                              ;   in Loop: Header=BB91_15 Depth=1
	v_cmp_eq_u32_e32 vcc_lo, 1, v35
	s_cmp_eq_u32 s22, 1
	s_mov_b32 s97, -1
	s_cselect_b32 s46, -1, 0
                                        ; implicit-def: $sgpr57
                                        ; implicit-def: $sgpr56
	s_delay_alu instid0(SALU_CYCLE_1) | instskip(NEXT) | instid1(SALU_CYCLE_1)
	s_and_b32 s55, s46, vcc_lo
	s_and_saveexec_b32 s96, s55
	s_cbranch_execz .LBB91_245
; %bb.218:                              ;   in Loop: Header=BB91_15 Depth=1
	ds_load_b32 v2, v13 offset:4096
	s_wait_dscnt 0x0
	s_barrier_signal -1
	s_barrier_wait -1
	v_readfirstlane_b32 s97, v2
	s_and_saveexec_b32 s46, s6
; %bb.219:                              ;   in Loop: Header=BB91_15 Depth=1
	ds_store_b32 v11, v13
; %bb.220:                              ;   in Loop: Header=BB91_15 Depth=1
	s_or_b32 exec_lo, exec_lo, s46
	v_or_b32_e32 v5, s18, v5
	v_or_b32_e32 v12, s18, v12
	s_mov_b32 s56, -1
	s_mov_b32 s57, 0
	s_cmp_eq_u32 s97, 0
	s_mov_b32 s46, 0
	s_mov_b32 s98, -1
	s_wait_dscnt 0x0
	s_barrier_signal -1
	s_barrier_wait -1
                                        ; implicit-def: $vgpr3
	s_cbranch_scc1 .LBB91_232
; %bb.221:                              ;   in Loop: Header=BB91_15 Depth=1
	s_add_co_i32 s46, s97, s69
                                        ; implicit-def: $vgpr3
	s_delay_alu instid0(SALU_CYCLE_1) | instskip(NEXT) | instid1(SALU_CYCLE_1)
	s_mul_u64 s[98:99], s[46:47], s[50:51]
	s_mul_i32 s98, s99, s40
	s_delay_alu instid0(SALU_CYCLE_1) | instskip(NEXT) | instid1(SALU_CYCLE_1)
	s_sub_co_i32 s98, s46, s98
	s_sub_co_i32 s99, s98, s40
	s_cmp_ge_u32 s98, s40
	s_cselect_b32 s98, s99, s98
	s_delay_alu instid0(SALU_CYCLE_1)
	s_sub_co_i32 s99, s98, s40
	s_cmp_ge_u32 s98, s40
	s_cselect_b32 s98, s99, s98
	s_mov_b32 s99, exec_lo
	s_sub_co_i32 s100, s46, s98
	s_mov_b32 s98, 0
	s_mov_b32 s46, 0
	v_cmpx_gt_u32_e64 s100, v0
	s_cbranch_execz .LBB91_231
; %bb.222:                              ;   in Loop: Header=BB91_15 Depth=1
	v_dual_mov_b32 v18, v1 :: v_dual_mov_b32 v36, v0
                                        ; implicit-def: $sgpr101
	s_branch .LBB91_226
.LBB91_223:                             ;   in Loop: Header=BB91_226 Depth=2
	s_or_b32 exec_lo, exec_lo, s102
	s_wait_dscnt 0x0
	s_barrier_signal -1
	s_barrier_wait -1
	ds_load_b64 v[2:3], v13 offset:3072
	s_wait_dscnt 0x0
	s_barrier_signal -1
	s_barrier_wait -1
	v_cmp_neq_f32_e32 vcc_lo, 0, v2
	s_cbranch_vccnz .LBB91_229
; %bb.224:                              ;   in Loop: Header=BB91_226 Depth=2
	v_dual_add_nc_u32 v36, s40, v36 :: v_dual_add_nc_u32 v18, s65, v18
	s_mov_b32 s102, 0
	s_delay_alu instid0(VALU_DEP_1)
	v_cmp_le_u32_e32 vcc_lo, s100, v36
	s_or_not1_b32 s103, vcc_lo, exec_lo
.LBB91_225:                             ;   in Loop: Header=BB91_226 Depth=2
	s_delay_alu instid0(SALU_CYCLE_1) | instskip(NEXT) | instid1(SALU_CYCLE_1)
	s_and_b32 s103, exec_lo, s103
	s_or_b32 s46, s103, s46
	s_and_not1_b32 s101, s101, exec_lo
	s_and_b32 s102, s102, exec_lo
	s_delay_alu instid0(SALU_CYCLE_1)
	s_or_b32 s101, s101, s102
	s_and_not1_b32 exec_lo, exec_lo, s46
	s_cbranch_execz .LBB91_230
.LBB91_226:                             ;   Parent Loop BB91_15 Depth=1
                                        ; =>  This Inner Loop Header: Depth=2
	s_mov_b32 s102, exec_lo
	s_delay_alu instid0(VALU_DEP_1)
	v_cmpx_gt_u32_e64 s97, v36
	s_cbranch_execz .LBB91_223
; %bb.227:                              ;   in Loop: Header=BB91_226 Depth=2
	ds_load_b32 v17, v18
	s_wait_dscnt 0x0
	v_cmp_lt_i32_e32 vcc_lo, -1, v17
	v_cndmask_b32_e64 v2, -1, 0x80000000, vcc_lo
	v_cmp_o_f32_e32 vcc_lo, v17, v17
	s_delay_alu instid0(VALU_DEP_2) | instskip(NEXT) | instid1(VALU_DEP_1)
	v_xor_b32_e32 v2, v2, v17
	v_cndmask_b32_e32 v2, -1, v2, vcc_lo
	s_delay_alu instid0(VALU_DEP_1) | instskip(NEXT) | instid1(VALU_DEP_1)
	v_and_b32_e32 v2, v2, v12
	v_cmp_eq_u32_e32 vcc_lo, v2, v5
	s_and_b32 exec_lo, exec_lo, vcc_lo
	s_cbranch_execz .LBB91_223
; %bb.228:                              ;   in Loop: Header=BB91_226 Depth=2
	ds_store_b64 v13, v[16:17] offset:3072
	s_branch .LBB91_223
.LBB91_229:                             ;   in Loop: Header=BB91_226 Depth=2
	s_mov_b32 s103, -1
	s_mov_b32 s102, -1
                                        ; implicit-def: $vgpr36
                                        ; implicit-def: $vgpr18
	s_branch .LBB91_225
.LBB91_230:                             ;   in Loop: Header=BB91_15 Depth=1
	s_or_b32 exec_lo, exec_lo, s46
	s_delay_alu instid0(SALU_CYCLE_1)
	s_and_b32 s46, s101, exec_lo
.LBB91_231:                             ;   in Loop: Header=BB91_15 Depth=1
	s_or_b32 exec_lo, exec_lo, s99
.LBB91_232:                             ;   in Loop: Header=BB91_15 Depth=1
	s_delay_alu instid0(SALU_CYCLE_1)
	s_and_b32 vcc_lo, exec_lo, s98
	s_cbranch_vccz .LBB91_244
; %bb.233:                              ;   in Loop: Header=BB91_15 Depth=1
                                        ; implicit-def: $vgpr3
	s_and_saveexec_b32 s56, s13
	s_cbranch_execz .LBB91_243
; %bb.234:                              ;   in Loop: Header=BB91_15 Depth=1
	v_dual_mov_b32 v18, v10 :: v_dual_mov_b32 v36, v0
	s_mov_b32 s57, 0
                                        ; implicit-def: $sgpr97
	s_branch .LBB91_238
.LBB91_235:                             ;   in Loop: Header=BB91_238 Depth=2
	s_or_b32 exec_lo, exec_lo, s98
	s_wait_dscnt 0x0
	s_barrier_signal -1
	s_barrier_wait -1
	ds_load_b64 v[2:3], v13 offset:3072
	s_wait_dscnt 0x0
	s_barrier_signal -1
	s_barrier_wait -1
	v_cmp_eq_f32_e32 vcc_lo, 0, v2
	s_cbranch_vccz .LBB91_241
; %bb.236:                              ;   in Loop: Header=BB91_238 Depth=2
	v_dual_add_nc_u32 v36, s40, v36 :: v_dual_add_nc_u32 v18, s60, v18
	s_mov_b32 s98, 0
	s_delay_alu instid0(VALU_DEP_1)
	v_cmp_le_u32_e32 vcc_lo, s80, v36
	s_or_not1_b32 s99, vcc_lo, exec_lo
.LBB91_237:                             ;   in Loop: Header=BB91_238 Depth=2
	s_delay_alu instid0(SALU_CYCLE_1) | instskip(NEXT) | instid1(SALU_CYCLE_1)
	s_and_b32 s99, exec_lo, s99
	s_or_b32 s57, s99, s57
	s_and_not1_b32 s97, s97, exec_lo
	s_and_b32 s98, s98, exec_lo
	s_delay_alu instid0(SALU_CYCLE_1)
	s_or_b32 s97, s97, s98
	s_and_not1_b32 exec_lo, exec_lo, s57
	s_cbranch_execz .LBB91_242
.LBB91_238:                             ;   Parent Loop BB91_15 Depth=1
                                        ; =>  This Inner Loop Header: Depth=2
	s_mov_b32 s98, exec_lo
	s_delay_alu instid0(VALU_DEP_1)
	v_cmpx_gt_u32_e64 s36, v36
	s_cbranch_execz .LBB91_235
; %bb.239:                              ;   in Loop: Header=BB91_238 Depth=2
	global_load_b32 v17, v18, s[38:39] scale_offset
	s_wait_loadcnt 0x0
	v_cmp_lt_i32_e32 vcc_lo, -1, v17
	v_cndmask_b32_e64 v2, -1, 0x80000000, vcc_lo
	v_cmp_o_f32_e32 vcc_lo, v17, v17
	s_delay_alu instid0(VALU_DEP_2) | instskip(NEXT) | instid1(VALU_DEP_1)
	v_xor_b32_e32 v2, v2, v17
	v_cndmask_b32_e32 v2, -1, v2, vcc_lo
	s_delay_alu instid0(VALU_DEP_1) | instskip(NEXT) | instid1(VALU_DEP_1)
	v_and_b32_e32 v2, v2, v12
	v_cmp_eq_u32_e32 vcc_lo, v2, v5
	s_and_b32 exec_lo, exec_lo, vcc_lo
	s_cbranch_execz .LBB91_235
; %bb.240:                              ;   in Loop: Header=BB91_238 Depth=2
	ds_store_b64 v13, v[16:17] offset:3072
	s_branch .LBB91_235
.LBB91_241:                             ;   in Loop: Header=BB91_238 Depth=2
	s_mov_b32 s99, -1
	s_mov_b32 s98, -1
                                        ; implicit-def: $vgpr36
                                        ; implicit-def: $vgpr18
	s_branch .LBB91_237
.LBB91_242:                             ;   in Loop: Header=BB91_15 Depth=1
	s_or_b32 exec_lo, exec_lo, s57
	s_delay_alu instid0(SALU_CYCLE_1) | instskip(SKIP_1) | instid1(SALU_CYCLE_1)
	s_and_not1_b32 s46, s46, exec_lo
	s_and_b32 s57, s97, exec_lo
	s_or_b32 s46, s46, s57
.LBB91_243:                             ;   in Loop: Header=BB91_15 Depth=1
	s_or_b32 exec_lo, exec_lo, s56
	s_mov_b32 s56, 0
	s_mov_b32 s57, -1
.LBB91_244:                             ;   in Loop: Header=BB91_15 Depth=1
	s_or_not1_b32 s97, s46, exec_lo
.LBB91_245:                             ;   in Loop: Header=BB91_15 Depth=1
	s_or_b32 exec_lo, exec_lo, s96
	s_mov_b32 s96, 0
	s_and_saveexec_b32 s46, s97
	s_cbranch_execz .LBB91_256
; %bb.246:                              ;   in Loop: Header=BB91_15 Depth=1
	v_dual_mov_b32 v4, 1 :: v_dual_mov_b32 v2, 1
	s_xor_b32 s96, s55, -1
	s_delay_alu instid0(SALU_CYCLE_1)
	s_and_saveexec_b32 s55, s96
	s_cbranch_execz .LBB91_255
; %bb.247:                              ;   in Loop: Header=BB91_15 Depth=1
	s_mov_b32 s96, exec_lo
	v_cmpx_ge_u32_e64 s22, v35
	s_xor_b32 s96, exec_lo, s96
	s_cbranch_execz .LBB91_252
; %bb.248:                              ;   in Loop: Header=BB91_15 Depth=1
	ds_load_b32 v2, v13 offset:4096
	v_or_b32_e32 v5, s18, v5
	v_or_b32_e32 v12, s18, v12
	s_wait_dscnt 0x0
	v_cmp_ne_u32_e32 vcc_lo, 0, v2
	s_cbranch_vccnz .LBB91_252
; %bb.249:                              ;   in Loop: Header=BB91_15 Depth=1
	s_and_saveexec_b32 s97, s5
; %bb.250:                              ;   in Loop: Header=BB91_15 Depth=1
	v_mov_b32_e32 v2, s22
	ds_store_b32 v13, v2 offset:4100
; %bb.251:                              ;   in Loop: Header=BB91_15 Depth=1
	s_or_b32 exec_lo, exec_lo, s97
	s_wait_dscnt 0x0
	s_barrier_signal -1
	s_barrier_wait -1
.LBB91_252:                             ;   in Loop: Header=BB91_15 Depth=1
	s_and_not1_saveexec_b32 s96, s96
; %bb.253:                              ;   in Loop: Header=BB91_15 Depth=1
	v_subrev_nc_u32_e32 v35, s22, v35
; %bb.254:                              ;   in Loop: Header=BB91_15 Depth=1
	s_or_b32 exec_lo, exec_lo, s96
	s_delay_alu instid0(VALU_DEP_1)
	v_dual_mov_b32 v4, 8 :: v_dual_mov_b32 v2, v35
.LBB91_255:                             ;   in Loop: Header=BB91_15 Depth=1
	s_or_b32 exec_lo, exec_lo, s55
	s_delay_alu instid0(VALU_DEP_1)
	v_mov_b32_e32 v35, v2
	s_mov_b32 s96, exec_lo
.LBB91_256:                             ;   in Loop: Header=BB91_15 Depth=1
	s_or_b32 exec_lo, exec_lo, s46
	s_delay_alu instid0(SALU_CYCLE_1)
	s_or_not1_b32 s46, s96, exec_lo
.LBB91_257:                             ;   in Loop: Header=BB91_15 Depth=1
	s_or_b32 exec_lo, exec_lo, s54
	v_mov_b32_e32 v18, v35
	s_and_not1_b32 s33, s33, exec_lo
	s_and_b32 s54, s57, exec_lo
	s_and_not1_b32 s31, s31, exec_lo
	s_and_b32 s55, s56, exec_lo
	s_or_b32 s33, s33, s54
	s_or_b32 s31, s31, s55
	s_and_b32 s55, s46, exec_lo
.LBB91_258:                             ;   in Loop: Header=BB91_15 Depth=1
	s_or_b32 exec_lo, exec_lo, s34
	s_delay_alu instid0(SALU_CYCLE_1)
	s_or_not1_b32 s34, s55, exec_lo
.LBB91_259:                             ;   in Loop: Header=BB91_15 Depth=1
	s_or_b32 exec_lo, exec_lo, s30
	v_mov_b32_e32 v35, v18
	s_and_not1_b32 s28, s28, exec_lo
	s_and_b32 s30, s33, exec_lo
	s_and_not1_b32 s23, s23, exec_lo
	s_and_b32 s31, s31, exec_lo
	s_or_b32 s28, s28, s30
	s_or_b32 s23, s23, s31
	s_and_b32 s33, s34, exec_lo
.LBB91_260:                             ;   in Loop: Header=BB91_15 Depth=1
	s_or_b32 exec_lo, exec_lo, s29
	s_delay_alu instid0(SALU_CYCLE_1)
	s_or_not1_b32 s29, s33, exec_lo
.LBB91_261:                             ;   in Loop: Header=BB91_15 Depth=1
	s_or_b32 exec_lo, exec_lo, s15
	s_mov_b32 s30, 0
	s_mov_b32 s31, 0
	s_and_saveexec_b32 s15, s29
	s_delay_alu instid0(SALU_CYCLE_1)
	s_xor_b32 s29, exec_lo, s15
; %bb.262:                              ;   in Loop: Header=BB91_15 Depth=1
	v_cmp_ne_u32_e32 vcc_lo, 8, v4
	v_cmp_eq_u32_e64 s15, 8, v4
	s_and_b32 s31, vcc_lo, exec_lo
	s_and_b32 s30, s15, exec_lo
; %bb.263:                              ;   in Loop: Header=BB91_15 Depth=1
	s_or_b32 exec_lo, exec_lo, s29
	s_delay_alu instid0(SALU_CYCLE_1)
	s_and_not1_b32 s15, s25, exec_lo
	s_and_b32 s25, s28, exec_lo
	s_and_not1_b32 s24, s24, exec_lo
	s_and_b32 s23, s23, exec_lo
	s_or_b32 s25, s15, s25
	s_or_b32 s24, s24, s23
	s_and_b32 s15, s31, exec_lo
	s_and_b32 s23, s30, exec_lo
.LBB91_264:                             ;   in Loop: Header=BB91_15 Depth=1
	s_or_b32 exec_lo, exec_lo, s27
.LBB91_265:                             ;   in Loop: Header=BB91_15 Depth=1
	s_delay_alu instid0(SALU_CYCLE_1)
	s_and_b32 vcc_lo, exec_lo, s26
	s_cbranch_vccz .LBB91_279
; %bb.266:                              ;   in Loop: Header=BB91_15 Depth=1
	s_cmp_eq_u32 s22, 1
	s_mov_b32 s25, -1
	s_cselect_b32 s16, -1, 0
                                        ; implicit-def: $sgpr26
	s_delay_alu instid0(SALU_CYCLE_1) | instskip(NEXT) | instid1(SALU_CYCLE_1)
	s_and_b32 s14, s16, s14
                                        ; implicit-def: $sgpr16
	s_and_saveexec_b32 s24, s14
	s_cbranch_execz .LBB91_295
; %bb.267:                              ;   in Loop: Header=BB91_15 Depth=1
	ds_load_b32 v2, v13 offset:4096
	s_wait_dscnt 0x0
	s_barrier_signal -1
	s_barrier_wait -1
	v_readfirstlane_b32 s27, v2
	s_and_saveexec_b32 s16, s6
; %bb.268:                              ;   in Loop: Header=BB91_15 Depth=1
	ds_store_b32 v11, v13
; %bb.269:                              ;   in Loop: Header=BB91_15 Depth=1
	s_or_b32 exec_lo, exec_lo, s16
	v_or_b32_e32 v24, s18, v24
	v_or_b32_e32 v33, s18, v33
	s_mov_b32 s16, -1
	s_mov_b32 s26, 0
	s_cmp_eq_u32 s27, 0
	s_mov_b32 s25, 0
	s_mov_b32 s28, -1
	s_wait_dscnt 0x0
	s_barrier_signal -1
	s_barrier_wait -1
                                        ; implicit-def: $vgpr19
	s_cbranch_scc1 .LBB91_282
; %bb.270:                              ;   in Loop: Header=BB91_15 Depth=1
	s_add_co_i32 s46, s27, s69
                                        ; implicit-def: $vgpr19
	s_delay_alu instid0(SALU_CYCLE_1) | instskip(NEXT) | instid1(SALU_CYCLE_1)
	s_mul_u64 s[28:29], s[46:47], s[50:51]
	s_mul_i32 s25, s29, s40
	s_mov_b32 s29, exec_lo
	s_sub_co_i32 s25, s46, s25
	s_delay_alu instid0(SALU_CYCLE_1) | instskip(SKIP_2) | instid1(SALU_CYCLE_1)
	s_sub_co_i32 s28, s25, s40
	s_cmp_ge_u32 s25, s40
	s_cselect_b32 s25, s28, s25
	s_sub_co_i32 s28, s25, s40
	s_cmp_ge_u32 s25, s40
	s_cselect_b32 s25, s28, s25
	s_mov_b32 s28, 0
	s_sub_co_i32 s30, s46, s25
	s_mov_b32 s25, 0
	v_cmpx_gt_u32_e64 s30, v0
	s_cbranch_execz .LBB91_281
; %bb.271:                              ;   in Loop: Header=BB91_15 Depth=1
	v_dual_mov_b32 v2, v1 :: v_dual_mov_b32 v3, v0
                                        ; implicit-def: $sgpr31
	s_branch .LBB91_275
.LBB91_272:                             ;   in Loop: Header=BB91_275 Depth=2
	s_or_b32 exec_lo, exec_lo, s33
	s_wait_dscnt 0x0
	s_barrier_signal -1
	s_barrier_wait -1
	ds_load_b64 v[18:19], v13 offset:3072
	s_wait_dscnt 0x0
	s_barrier_signal -1
	s_barrier_wait -1
	v_cmp_neq_f32_e32 vcc_lo, 0, v18
	s_cbranch_vccnz .LBB91_278
; %bb.273:                              ;   in Loop: Header=BB91_275 Depth=2
	v_dual_add_nc_u32 v3, s40, v3 :: v_dual_add_nc_u32 v2, s65, v2
	s_mov_b32 s33, 0
	s_delay_alu instid0(VALU_DEP_1)
	v_cmp_le_u32_e32 vcc_lo, s30, v3
	s_or_not1_b32 s34, vcc_lo, exec_lo
.LBB91_274:                             ;   in Loop: Header=BB91_275 Depth=2
	s_delay_alu instid0(SALU_CYCLE_1) | instskip(NEXT) | instid1(SALU_CYCLE_1)
	s_and_b32 s34, exec_lo, s34
	s_or_b32 s25, s34, s25
	s_and_not1_b32 s31, s31, exec_lo
	s_and_b32 s33, s33, exec_lo
	s_delay_alu instid0(SALU_CYCLE_1)
	s_or_b32 s31, s31, s33
	s_and_not1_b32 exec_lo, exec_lo, s25
	s_cbranch_execz .LBB91_280
.LBB91_275:                             ;   Parent Loop BB91_15 Depth=1
                                        ; =>  This Inner Loop Header: Depth=2
	s_mov_b32 s33, exec_lo
	s_delay_alu instid0(VALU_DEP_1)
	v_cmpx_gt_u32_e64 s27, v3
	s_cbranch_execz .LBB91_272
; %bb.276:                              ;   in Loop: Header=BB91_275 Depth=2
	ds_load_b32 v17, v2
	s_wait_dscnt 0x0
	v_cmp_lt_i32_e32 vcc_lo, -1, v17
	v_cndmask_b32_e64 v4, -1, 0x80000000, vcc_lo
	v_cmp_o_f32_e32 vcc_lo, v17, v17
	s_delay_alu instid0(VALU_DEP_2) | instskip(NEXT) | instid1(VALU_DEP_1)
	v_xor_b32_e32 v4, v4, v17
	v_cndmask_b32_e32 v4, -1, v4, vcc_lo
	s_delay_alu instid0(VALU_DEP_1) | instskip(NEXT) | instid1(VALU_DEP_1)
	v_and_b32_e32 v4, v4, v33
	v_cmp_eq_u32_e32 vcc_lo, v4, v24
	s_and_b32 exec_lo, exec_lo, vcc_lo
	s_cbranch_execz .LBB91_272
; %bb.277:                              ;   in Loop: Header=BB91_275 Depth=2
	ds_store_b64 v13, v[16:17] offset:3072
	s_branch .LBB91_272
.LBB91_278:                             ;   in Loop: Header=BB91_275 Depth=2
	s_mov_b32 s34, -1
	s_mov_b32 s33, -1
                                        ; implicit-def: $vgpr3
                                        ; implicit-def: $vgpr2
	s_branch .LBB91_274
.LBB91_279:                             ;   in Loop: Header=BB91_15 Depth=1
	v_dual_mov_b32 v24, v5 :: v_dual_mov_b32 v33, v12
	v_mov_b32_e32 v19, v3
	s_mov_b32 s26, 0
	s_and_saveexec_b32 s14, s23
	s_cbranch_execnz .LBB91_432
	s_branch .LBB91_433
.LBB91_280:                             ;   in Loop: Header=BB91_15 Depth=1
	s_or_b32 exec_lo, exec_lo, s25
	s_delay_alu instid0(SALU_CYCLE_1)
	s_and_b32 s25, s31, exec_lo
.LBB91_281:                             ;   in Loop: Header=BB91_15 Depth=1
	s_or_b32 exec_lo, exec_lo, s29
.LBB91_282:                             ;   in Loop: Header=BB91_15 Depth=1
	s_delay_alu instid0(SALU_CYCLE_1)
	s_and_b32 vcc_lo, exec_lo, s28
	s_cbranch_vccz .LBB91_294
; %bb.283:                              ;   in Loop: Header=BB91_15 Depth=1
                                        ; implicit-def: $vgpr19
	s_and_saveexec_b32 s16, s13
	s_cbranch_execz .LBB91_293
; %bb.284:                              ;   in Loop: Header=BB91_15 Depth=1
	v_dual_mov_b32 v2, v10 :: v_dual_mov_b32 v3, v0
	s_mov_b32 s26, 0
                                        ; implicit-def: $sgpr27
	s_branch .LBB91_288
.LBB91_285:                             ;   in Loop: Header=BB91_288 Depth=2
	s_or_b32 exec_lo, exec_lo, s28
	s_wait_dscnt 0x0
	s_barrier_signal -1
	s_barrier_wait -1
	ds_load_b64 v[18:19], v13 offset:3072
	s_wait_dscnt 0x0
	s_barrier_signal -1
	s_barrier_wait -1
	v_cmp_neq_f32_e32 vcc_lo, 0, v18
	s_cbranch_vccnz .LBB91_291
; %bb.286:                              ;   in Loop: Header=BB91_288 Depth=2
	v_dual_add_nc_u32 v3, s40, v3 :: v_dual_add_nc_u32 v2, s60, v2
	s_mov_b32 s28, 0
	s_delay_alu instid0(VALU_DEP_1)
	v_cmp_le_u32_e32 vcc_lo, s80, v3
	s_or_not1_b32 s29, vcc_lo, exec_lo
.LBB91_287:                             ;   in Loop: Header=BB91_288 Depth=2
	s_delay_alu instid0(SALU_CYCLE_1) | instskip(NEXT) | instid1(SALU_CYCLE_1)
	s_and_b32 s29, exec_lo, s29
	s_or_b32 s26, s29, s26
	s_and_not1_b32 s27, s27, exec_lo
	s_and_b32 s28, s28, exec_lo
	s_delay_alu instid0(SALU_CYCLE_1)
	s_or_b32 s27, s27, s28
	s_and_not1_b32 exec_lo, exec_lo, s26
	s_cbranch_execz .LBB91_292
.LBB91_288:                             ;   Parent Loop BB91_15 Depth=1
                                        ; =>  This Inner Loop Header: Depth=2
	s_mov_b32 s28, exec_lo
	s_delay_alu instid0(VALU_DEP_1)
	v_cmpx_gt_u32_e64 s36, v3
	s_cbranch_execz .LBB91_285
; %bb.289:                              ;   in Loop: Header=BB91_288 Depth=2
	global_load_b32 v17, v2, s[38:39] scale_offset
	s_wait_loadcnt 0x0
	v_cmp_lt_i32_e32 vcc_lo, -1, v17
	v_cndmask_b32_e64 v4, -1, 0x80000000, vcc_lo
	v_cmp_o_f32_e32 vcc_lo, v17, v17
	s_delay_alu instid0(VALU_DEP_2) | instskip(NEXT) | instid1(VALU_DEP_1)
	v_xor_b32_e32 v4, v4, v17
	v_cndmask_b32_e32 v4, -1, v4, vcc_lo
	s_delay_alu instid0(VALU_DEP_1) | instskip(NEXT) | instid1(VALU_DEP_1)
	v_and_b32_e32 v4, v4, v33
	v_cmp_eq_u32_e32 vcc_lo, v4, v24
	s_and_b32 exec_lo, exec_lo, vcc_lo
	s_cbranch_execz .LBB91_285
; %bb.290:                              ;   in Loop: Header=BB91_288 Depth=2
	ds_store_b64 v13, v[16:17] offset:3072
	s_branch .LBB91_285
.LBB91_291:                             ;   in Loop: Header=BB91_288 Depth=2
	s_mov_b32 s29, -1
	s_mov_b32 s28, -1
                                        ; implicit-def: $vgpr3
                                        ; implicit-def: $vgpr2
	s_branch .LBB91_287
.LBB91_292:                             ;   in Loop: Header=BB91_15 Depth=1
	s_or_b32 exec_lo, exec_lo, s26
	s_delay_alu instid0(SALU_CYCLE_1) | instskip(SKIP_1) | instid1(SALU_CYCLE_1)
	s_and_not1_b32 s25, s25, exec_lo
	s_and_b32 s26, s27, exec_lo
	s_or_b32 s25, s25, s26
.LBB91_293:                             ;   in Loop: Header=BB91_15 Depth=1
	s_or_b32 exec_lo, exec_lo, s16
	s_mov_b32 s16, 0
	s_mov_b32 s26, -1
.LBB91_294:                             ;   in Loop: Header=BB91_15 Depth=1
	s_or_not1_b32 s25, s25, exec_lo
.LBB91_295:                             ;   in Loop: Header=BB91_15 Depth=1
	s_or_b32 exec_lo, exec_lo, s24
                                        ; implicit-def: $vgpr35
                                        ; implicit-def: $vgpr4
	s_and_saveexec_b32 s24, s25
	s_cbranch_execz .LBB91_431
; %bb.296:                              ;   in Loop: Header=BB91_15 Depth=1
	v_dual_mov_b32 v35, 1 :: v_dual_mov_b32 v4, 1
	s_xor_b32 s25, s14, -1
	s_mov_b32 s28, 0
	s_and_saveexec_b32 s14, s25
	s_cbranch_execz .LBB91_305
; %bb.297:                              ;   in Loop: Header=BB91_15 Depth=1
	s_mov_b32 s25, exec_lo
	v_cmpx_ge_u32_e64 s22, v34
	s_xor_b32 s25, exec_lo, s25
	s_cbranch_execz .LBB91_302
; %bb.298:                              ;   in Loop: Header=BB91_15 Depth=1
	ds_load_b32 v2, v13 offset:4096
	v_or_b32_e32 v24, s18, v24
	v_or_b32_e32 v33, s18, v33
	s_wait_dscnt 0x0
	v_cmp_ne_u32_e32 vcc_lo, 0, v2
	s_cbranch_vccnz .LBB91_302
; %bb.299:                              ;   in Loop: Header=BB91_15 Depth=1
	s_and_saveexec_b32 s27, s5
; %bb.300:                              ;   in Loop: Header=BB91_15 Depth=1
	v_mov_b32_e32 v2, s22
	ds_store_b32 v13, v2 offset:4100
; %bb.301:                              ;   in Loop: Header=BB91_15 Depth=1
	s_or_b32 exec_lo, exec_lo, s27
	s_wait_dscnt 0x0
	s_barrier_signal -1
	s_barrier_wait -1
.LBB91_302:                             ;   in Loop: Header=BB91_15 Depth=1
	s_or_saveexec_b32 s25, s25
	v_mov_b32_e32 v4, 5
	s_mov_b32 s27, 0
	s_xor_b32 exec_lo, exec_lo, s25
; %bb.303:                              ;   in Loop: Header=BB91_15 Depth=1
	v_subrev_nc_u32_e32 v34, s22, v34
	v_mov_b32_e32 v4, 0
	s_mov_b32 s27, exec_lo
; %bb.304:                              ;   in Loop: Header=BB91_15 Depth=1
	s_or_b32 exec_lo, exec_lo, s25
	s_delay_alu instid0(VALU_DEP_2)
	v_mov_b32_e32 v35, v34
	s_and_b32 s28, s27, exec_lo
.LBB91_305:                             ;   in Loop: Header=BB91_15 Depth=1
	s_or_b32 exec_lo, exec_lo, s14
	s_mov_b32 s27, -1
                                        ; implicit-def: $sgpr22
                                        ; implicit-def: $sgpr25
	s_and_saveexec_b32 s14, s28
	s_delay_alu instid0(SALU_CYCLE_1)
	s_xor_b32 s14, exec_lo, s14
	s_cbranch_execz .LBB91_428
; %bb.306:                              ;   in Loop: Header=BB91_15 Depth=1
	v_cmp_eq_u32_e32 vcc_lo, 1, v35
	s_cmp_eq_u32 s21, 1
	s_mov_b32 s29, -1
	s_cselect_b32 s22, -1, 0
                                        ; implicit-def: $sgpr25
	s_delay_alu instid0(SALU_CYCLE_1) | instskip(NEXT) | instid1(SALU_CYCLE_1)
	s_and_b32 s28, s22, vcc_lo
                                        ; implicit-def: $sgpr22
	s_and_saveexec_b32 s27, s28
	s_cbranch_execz .LBB91_334
; %bb.307:                              ;   in Loop: Header=BB91_15 Depth=1
	ds_load_b32 v2, v13 offset:4096
	s_wait_dscnt 0x0
	s_barrier_signal -1
	s_barrier_wait -1
	v_readfirstlane_b32 s30, v2
	s_and_saveexec_b32 s22, s6
; %bb.308:                              ;   in Loop: Header=BB91_15 Depth=1
	ds_store_b32 v11, v13
; %bb.309:                              ;   in Loop: Header=BB91_15 Depth=1
	s_or_b32 exec_lo, exec_lo, s22
	s_lshl_b32 s22, 2, s83
	v_or_b32_e32 v33, s18, v33
	v_and_or_b32 v24, v24, s19, s22
	s_mov_b32 s22, -1
	s_mov_b32 s25, 0
	s_cmp_eq_u32 s30, 0
	s_mov_b32 s29, 0
	s_mov_b32 s31, -1
	s_wait_dscnt 0x0
	s_barrier_signal -1
	s_barrier_wait -1
                                        ; implicit-def: $vgpr19
	s_cbranch_scc1 .LBB91_321
; %bb.310:                              ;   in Loop: Header=BB91_15 Depth=1
	s_add_co_i32 s46, s30, s69
	s_mov_b32 s33, exec_lo
	s_mul_u64 s[54:55], s[46:47], s[50:51]
                                        ; implicit-def: $vgpr19
	s_delay_alu instid0(SALU_CYCLE_1) | instskip(NEXT) | instid1(SALU_CYCLE_1)
	s_mul_i32 s29, s55, s40
	s_sub_co_i32 s29, s46, s29
	s_delay_alu instid0(SALU_CYCLE_1) | instskip(SKIP_2) | instid1(SALU_CYCLE_1)
	s_sub_co_i32 s31, s29, s40
	s_cmp_ge_u32 s29, s40
	s_cselect_b32 s29, s31, s29
	s_sub_co_i32 s31, s29, s40
	s_cmp_ge_u32 s29, s40
	s_cselect_b32 s29, s31, s29
	s_mov_b32 s31, 0
	s_sub_co_i32 s34, s46, s29
	s_mov_b32 s29, 0
	v_cmpx_gt_u32_e64 s34, v0
	s_cbranch_execz .LBB91_320
; %bb.311:                              ;   in Loop: Header=BB91_15 Depth=1
	v_dual_mov_b32 v2, v1 :: v_dual_mov_b32 v3, v0
                                        ; implicit-def: $sgpr46
	s_branch .LBB91_315
.LBB91_312:                             ;   in Loop: Header=BB91_315 Depth=2
	s_or_b32 exec_lo, exec_lo, s54
	s_wait_dscnt 0x0
	s_barrier_signal -1
	s_barrier_wait -1
	ds_load_b64 v[18:19], v13 offset:3072
	s_wait_dscnt 0x0
	s_barrier_signal -1
	s_barrier_wait -1
	v_cmp_neq_f32_e32 vcc_lo, 0, v18
	s_cbranch_vccnz .LBB91_318
; %bb.313:                              ;   in Loop: Header=BB91_315 Depth=2
	v_dual_add_nc_u32 v3, s40, v3 :: v_dual_add_nc_u32 v2, s65, v2
	s_mov_b32 s54, 0
	s_delay_alu instid0(VALU_DEP_1)
	v_cmp_le_u32_e32 vcc_lo, s34, v3
	s_or_not1_b32 s55, vcc_lo, exec_lo
.LBB91_314:                             ;   in Loop: Header=BB91_315 Depth=2
	s_delay_alu instid0(SALU_CYCLE_1) | instskip(NEXT) | instid1(SALU_CYCLE_1)
	s_and_b32 s55, exec_lo, s55
	s_or_b32 s29, s55, s29
	s_and_not1_b32 s46, s46, exec_lo
	s_and_b32 s54, s54, exec_lo
	s_delay_alu instid0(SALU_CYCLE_1)
	s_or_b32 s46, s46, s54
	s_and_not1_b32 exec_lo, exec_lo, s29
	s_cbranch_execz .LBB91_319
.LBB91_315:                             ;   Parent Loop BB91_15 Depth=1
                                        ; =>  This Inner Loop Header: Depth=2
	s_mov_b32 s54, exec_lo
	s_delay_alu instid0(VALU_DEP_1)
	v_cmpx_gt_u32_e64 s30, v3
	s_cbranch_execz .LBB91_312
; %bb.316:                              ;   in Loop: Header=BB91_315 Depth=2
	ds_load_b32 v17, v2
	s_wait_dscnt 0x0
	v_cmp_lt_i32_e32 vcc_lo, -1, v17
	v_cndmask_b32_e64 v5, -1, 0x80000000, vcc_lo
	v_cmp_o_f32_e32 vcc_lo, v17, v17
	s_delay_alu instid0(VALU_DEP_2) | instskip(NEXT) | instid1(VALU_DEP_1)
	v_xor_b32_e32 v5, v5, v17
	v_cndmask_b32_e32 v5, -1, v5, vcc_lo
	s_delay_alu instid0(VALU_DEP_1) | instskip(NEXT) | instid1(VALU_DEP_1)
	v_and_b32_e32 v5, v5, v33
	v_cmp_eq_u32_e32 vcc_lo, v5, v24
	s_and_b32 exec_lo, exec_lo, vcc_lo
	s_cbranch_execz .LBB91_312
; %bb.317:                              ;   in Loop: Header=BB91_315 Depth=2
	ds_store_b64 v13, v[16:17] offset:3072
	s_branch .LBB91_312
.LBB91_318:                             ;   in Loop: Header=BB91_315 Depth=2
	s_mov_b32 s55, -1
	s_mov_b32 s54, -1
                                        ; implicit-def: $vgpr3
                                        ; implicit-def: $vgpr2
	s_branch .LBB91_314
.LBB91_319:                             ;   in Loop: Header=BB91_15 Depth=1
	s_or_b32 exec_lo, exec_lo, s29
	s_delay_alu instid0(SALU_CYCLE_1)
	s_and_b32 s29, s46, exec_lo
.LBB91_320:                             ;   in Loop: Header=BB91_15 Depth=1
	s_or_b32 exec_lo, exec_lo, s33
.LBB91_321:                             ;   in Loop: Header=BB91_15 Depth=1
	s_delay_alu instid0(SALU_CYCLE_1)
	s_and_b32 vcc_lo, exec_lo, s31
	s_cbranch_vccz .LBB91_333
; %bb.322:                              ;   in Loop: Header=BB91_15 Depth=1
                                        ; implicit-def: $vgpr19
	s_and_saveexec_b32 s22, s13
	s_cbranch_execz .LBB91_332
; %bb.323:                              ;   in Loop: Header=BB91_15 Depth=1
	v_dual_mov_b32 v2, v10 :: v_dual_mov_b32 v3, v0
	s_mov_b32 s25, 0
                                        ; implicit-def: $sgpr30
	s_branch .LBB91_327
.LBB91_324:                             ;   in Loop: Header=BB91_327 Depth=2
	s_or_b32 exec_lo, exec_lo, s31
	s_wait_dscnt 0x0
	s_barrier_signal -1
	s_barrier_wait -1
	ds_load_b64 v[18:19], v13 offset:3072
	s_wait_dscnt 0x0
	s_barrier_signal -1
	s_barrier_wait -1
	v_cmp_eq_f32_e32 vcc_lo, 0, v18
	s_cbranch_vccz .LBB91_330
; %bb.325:                              ;   in Loop: Header=BB91_327 Depth=2
	v_dual_add_nc_u32 v3, s40, v3 :: v_dual_add_nc_u32 v2, s60, v2
	s_mov_b32 s31, 0
	s_delay_alu instid0(VALU_DEP_1)
	v_cmp_le_u32_e32 vcc_lo, s80, v3
	s_or_not1_b32 s33, vcc_lo, exec_lo
.LBB91_326:                             ;   in Loop: Header=BB91_327 Depth=2
	s_delay_alu instid0(SALU_CYCLE_1) | instskip(NEXT) | instid1(SALU_CYCLE_1)
	s_and_b32 s33, exec_lo, s33
	s_or_b32 s25, s33, s25
	s_and_not1_b32 s30, s30, exec_lo
	s_and_b32 s31, s31, exec_lo
	s_delay_alu instid0(SALU_CYCLE_1)
	s_or_b32 s30, s30, s31
	s_and_not1_b32 exec_lo, exec_lo, s25
	s_cbranch_execz .LBB91_331
.LBB91_327:                             ;   Parent Loop BB91_15 Depth=1
                                        ; =>  This Inner Loop Header: Depth=2
	s_mov_b32 s31, exec_lo
	s_delay_alu instid0(VALU_DEP_1)
	v_cmpx_gt_u32_e64 s36, v3
	s_cbranch_execz .LBB91_324
; %bb.328:                              ;   in Loop: Header=BB91_327 Depth=2
	global_load_b32 v17, v2, s[38:39] scale_offset
	s_wait_loadcnt 0x0
	v_cmp_lt_i32_e32 vcc_lo, -1, v17
	v_cndmask_b32_e64 v5, -1, 0x80000000, vcc_lo
	v_cmp_o_f32_e32 vcc_lo, v17, v17
	s_delay_alu instid0(VALU_DEP_2) | instskip(NEXT) | instid1(VALU_DEP_1)
	v_xor_b32_e32 v5, v5, v17
	v_cndmask_b32_e32 v5, -1, v5, vcc_lo
	s_delay_alu instid0(VALU_DEP_1) | instskip(NEXT) | instid1(VALU_DEP_1)
	v_and_b32_e32 v5, v5, v33
	v_cmp_eq_u32_e32 vcc_lo, v5, v24
	s_and_b32 exec_lo, exec_lo, vcc_lo
	s_cbranch_execz .LBB91_324
; %bb.329:                              ;   in Loop: Header=BB91_327 Depth=2
	ds_store_b64 v13, v[16:17] offset:3072
	s_branch .LBB91_324
.LBB91_330:                             ;   in Loop: Header=BB91_327 Depth=2
	s_mov_b32 s33, -1
	s_mov_b32 s31, -1
                                        ; implicit-def: $vgpr3
                                        ; implicit-def: $vgpr2
	s_branch .LBB91_326
.LBB91_331:                             ;   in Loop: Header=BB91_15 Depth=1
	s_or_b32 exec_lo, exec_lo, s25
	s_delay_alu instid0(SALU_CYCLE_1) | instskip(SKIP_1) | instid1(SALU_CYCLE_1)
	s_and_not1_b32 s25, s29, exec_lo
	s_and_b32 s29, s30, exec_lo
	s_or_b32 s29, s25, s29
.LBB91_332:                             ;   in Loop: Header=BB91_15 Depth=1
	s_or_b32 exec_lo, exec_lo, s22
	s_mov_b32 s22, 0
	s_mov_b32 s25, -1
.LBB91_333:                             ;   in Loop: Header=BB91_15 Depth=1
	s_or_not1_b32 s29, s29, exec_lo
.LBB91_334:                             ;   in Loop: Header=BB91_15 Depth=1
	s_or_b32 exec_lo, exec_lo, s27
	s_mov_b32 s30, 0
	s_and_saveexec_b32 s27, s29
	s_cbranch_execz .LBB91_427
; %bb.335:                              ;   in Loop: Header=BB91_15 Depth=1
	v_dual_mov_b32 v2, 1 :: v_dual_mov_b32 v4, 1
	s_xor_b32 s29, s28, -1
	s_mov_b32 s31, 0
	s_and_saveexec_b32 s28, s29
	s_cbranch_execz .LBB91_344
; %bb.336:                              ;   in Loop: Header=BB91_15 Depth=1
	s_mov_b32 s29, exec_lo
	v_cmpx_ge_u32_e64 s21, v35
	s_xor_b32 s29, exec_lo, s29
	s_cbranch_execz .LBB91_341
; %bb.337:                              ;   in Loop: Header=BB91_15 Depth=1
	ds_load_b32 v2, v13 offset:4096
	s_lshl_b32 s30, 2, s83
	v_or_b32_e32 v33, s18, v33
	v_and_or_b32 v24, v24, s19, s30
	s_wait_dscnt 0x0
	v_cmp_ne_u32_e32 vcc_lo, 0, v2
	s_cbranch_vccnz .LBB91_341
; %bb.338:                              ;   in Loop: Header=BB91_15 Depth=1
	s_and_saveexec_b32 s30, s5
; %bb.339:                              ;   in Loop: Header=BB91_15 Depth=1
	v_mov_b32_e32 v2, s21
	ds_store_b32 v13, v2 offset:4100
; %bb.340:                              ;   in Loop: Header=BB91_15 Depth=1
	s_or_b32 exec_lo, exec_lo, s30
	s_wait_dscnt 0x0
	s_barrier_signal -1
	s_barrier_wait -1
.LBB91_341:                             ;   in Loop: Header=BB91_15 Depth=1
	s_or_saveexec_b32 s29, s29
	v_mov_b32_e32 v4, 5
	s_mov_b32 s30, 0
	s_xor_b32 exec_lo, exec_lo, s29
; %bb.342:                              ;   in Loop: Header=BB91_15 Depth=1
	v_subrev_nc_u32_e32 v35, s21, v35
	v_mov_b32_e32 v4, 0
	s_mov_b32 s30, exec_lo
; %bb.343:                              ;   in Loop: Header=BB91_15 Depth=1
	s_or_b32 exec_lo, exec_lo, s29
	s_delay_alu instid0(VALU_DEP_2)
	v_mov_b32_e32 v2, v35
	s_and_b32 s31, s30, exec_lo
.LBB91_344:                             ;   in Loop: Header=BB91_15 Depth=1
	s_or_b32 exec_lo, exec_lo, s28
	s_mov_b32 s30, -1
                                        ; implicit-def: $sgpr28
                                        ; implicit-def: $sgpr29
	s_and_saveexec_b32 s21, s31
	s_cbranch_execz .LBB91_426
; %bb.345:                              ;   in Loop: Header=BB91_15 Depth=1
	v_cmp_eq_u32_e32 vcc_lo, 1, v2
	s_cmp_eq_u32 s20, 1
	s_mov_b32 s33, -1
	s_cselect_b32 s28, -1, 0
                                        ; implicit-def: $sgpr29
	s_delay_alu instid0(SALU_CYCLE_1) | instskip(NEXT) | instid1(SALU_CYCLE_1)
	s_and_b32 s31, s28, vcc_lo
                                        ; implicit-def: $sgpr28
	s_and_saveexec_b32 s30, s31
	s_cbranch_execz .LBB91_373
; %bb.346:                              ;   in Loop: Header=BB91_15 Depth=1
	ds_load_b32 v3, v13 offset:4096
	s_wait_dscnt 0x0
	s_barrier_signal -1
	s_barrier_wait -1
	v_readfirstlane_b32 s34, v3
	s_and_saveexec_b32 s28, s6
; %bb.347:                              ;   in Loop: Header=BB91_15 Depth=1
	ds_store_b32 v11, v13
; %bb.348:                              ;   in Loop: Header=BB91_15 Depth=1
	s_or_b32 exec_lo, exec_lo, s28
	s_lshl_b32 s28, 1, s83
	v_or_b32_e32 v33, s18, v33
	v_and_or_b32 v24, v24, s19, s28
	s_mov_b32 s28, -1
	s_mov_b32 s29, 0
	s_cmp_eq_u32 s34, 0
	s_mov_b32 s33, 0
	s_mov_b32 s46, -1
	s_wait_dscnt 0x0
	s_barrier_signal -1
	s_barrier_wait -1
                                        ; implicit-def: $vgpr19
	s_cbranch_scc1 .LBB91_360
; %bb.349:                              ;   in Loop: Header=BB91_15 Depth=1
	s_add_co_i32 s46, s34, s69
                                        ; implicit-def: $vgpr19
	s_delay_alu instid0(SALU_CYCLE_1) | instskip(NEXT) | instid1(SALU_CYCLE_1)
	s_mul_u64 s[54:55], s[46:47], s[50:51]
	s_mul_i32 s33, s55, s40
	s_delay_alu instid0(SALU_CYCLE_1) | instskip(NEXT) | instid1(SALU_CYCLE_1)
	s_sub_co_i32 s33, s46, s33
	s_sub_co_i32 s54, s33, s40
	s_cmp_ge_u32 s33, s40
	s_cselect_b32 s33, s54, s33
	s_delay_alu instid0(SALU_CYCLE_1)
	s_sub_co_i32 s54, s33, s40
	s_cmp_ge_u32 s33, s40
	s_cselect_b32 s33, s54, s33
	s_mov_b32 s54, exec_lo
	s_sub_co_i32 s55, s46, s33
	s_mov_b32 s46, 0
	s_mov_b32 s33, 0
	v_cmpx_gt_u32_e64 s55, v0
	s_cbranch_execz .LBB91_359
; %bb.350:                              ;   in Loop: Header=BB91_15 Depth=1
	v_dual_mov_b32 v3, v1 :: v_dual_mov_b32 v5, v0
                                        ; implicit-def: $sgpr56
	s_branch .LBB91_354
.LBB91_351:                             ;   in Loop: Header=BB91_354 Depth=2
	s_or_b32 exec_lo, exec_lo, s57
	s_wait_dscnt 0x0
	s_barrier_signal -1
	s_barrier_wait -1
	ds_load_b64 v[18:19], v13 offset:3072
	s_wait_dscnt 0x0
	s_barrier_signal -1
	s_barrier_wait -1
	v_cmp_neq_f32_e32 vcc_lo, 0, v18
	s_cbranch_vccnz .LBB91_357
; %bb.352:                              ;   in Loop: Header=BB91_354 Depth=2
	v_dual_add_nc_u32 v5, s40, v5 :: v_dual_add_nc_u32 v3, s65, v3
	s_mov_b32 s57, 0
	s_delay_alu instid0(VALU_DEP_1)
	v_cmp_le_u32_e32 vcc_lo, s55, v5
	s_or_not1_b32 s96, vcc_lo, exec_lo
.LBB91_353:                             ;   in Loop: Header=BB91_354 Depth=2
	s_delay_alu instid0(SALU_CYCLE_1) | instskip(NEXT) | instid1(SALU_CYCLE_1)
	s_and_b32 s96, exec_lo, s96
	s_or_b32 s33, s96, s33
	s_and_not1_b32 s56, s56, exec_lo
	s_and_b32 s57, s57, exec_lo
	s_delay_alu instid0(SALU_CYCLE_1)
	s_or_b32 s56, s56, s57
	s_and_not1_b32 exec_lo, exec_lo, s33
	s_cbranch_execz .LBB91_358
.LBB91_354:                             ;   Parent Loop BB91_15 Depth=1
                                        ; =>  This Inner Loop Header: Depth=2
	s_mov_b32 s57, exec_lo
	s_delay_alu instid0(VALU_DEP_1)
	v_cmpx_gt_u32_e64 s34, v5
	s_cbranch_execz .LBB91_351
; %bb.355:                              ;   in Loop: Header=BB91_354 Depth=2
	ds_load_b32 v17, v3
	s_wait_dscnt 0x0
	v_cmp_lt_i32_e32 vcc_lo, -1, v17
	v_cndmask_b32_e64 v12, -1, 0x80000000, vcc_lo
	v_cmp_o_f32_e32 vcc_lo, v17, v17
	s_delay_alu instid0(VALU_DEP_2) | instskip(NEXT) | instid1(VALU_DEP_1)
	v_xor_b32_e32 v12, v12, v17
	v_cndmask_b32_e32 v12, -1, v12, vcc_lo
	s_delay_alu instid0(VALU_DEP_1) | instskip(NEXT) | instid1(VALU_DEP_1)
	v_and_b32_e32 v12, v12, v33
	v_cmp_eq_u32_e32 vcc_lo, v12, v24
	s_and_b32 exec_lo, exec_lo, vcc_lo
	s_cbranch_execz .LBB91_351
; %bb.356:                              ;   in Loop: Header=BB91_354 Depth=2
	ds_store_b64 v13, v[16:17] offset:3072
	s_branch .LBB91_351
.LBB91_357:                             ;   in Loop: Header=BB91_354 Depth=2
	s_mov_b32 s96, -1
	s_mov_b32 s57, -1
                                        ; implicit-def: $vgpr5
                                        ; implicit-def: $vgpr3
	s_branch .LBB91_353
.LBB91_358:                             ;   in Loop: Header=BB91_15 Depth=1
	s_or_b32 exec_lo, exec_lo, s33
	s_delay_alu instid0(SALU_CYCLE_1)
	s_and_b32 s33, s56, exec_lo
.LBB91_359:                             ;   in Loop: Header=BB91_15 Depth=1
	s_or_b32 exec_lo, exec_lo, s54
.LBB91_360:                             ;   in Loop: Header=BB91_15 Depth=1
	s_delay_alu instid0(SALU_CYCLE_1)
	s_and_b32 vcc_lo, exec_lo, s46
	s_cbranch_vccz .LBB91_372
; %bb.361:                              ;   in Loop: Header=BB91_15 Depth=1
                                        ; implicit-def: $vgpr19
	s_and_saveexec_b32 s28, s13
	s_cbranch_execz .LBB91_371
; %bb.362:                              ;   in Loop: Header=BB91_15 Depth=1
	v_dual_mov_b32 v3, v10 :: v_dual_mov_b32 v5, v0
	s_mov_b32 s29, 0
                                        ; implicit-def: $sgpr34
	s_branch .LBB91_366
.LBB91_363:                             ;   in Loop: Header=BB91_366 Depth=2
	s_or_b32 exec_lo, exec_lo, s46
	s_wait_dscnt 0x0
	s_barrier_signal -1
	s_barrier_wait -1
	ds_load_b64 v[18:19], v13 offset:3072
	s_wait_dscnt 0x0
	s_barrier_signal -1
	s_barrier_wait -1
	v_cmp_eq_f32_e32 vcc_lo, 0, v18
	s_cbranch_vccz .LBB91_369
; %bb.364:                              ;   in Loop: Header=BB91_366 Depth=2
	v_dual_add_nc_u32 v5, s40, v5 :: v_dual_add_nc_u32 v3, s60, v3
	s_mov_b32 s46, 0
	s_delay_alu instid0(VALU_DEP_1)
	v_cmp_le_u32_e32 vcc_lo, s80, v5
	s_or_not1_b32 s54, vcc_lo, exec_lo
.LBB91_365:                             ;   in Loop: Header=BB91_366 Depth=2
	s_delay_alu instid0(SALU_CYCLE_1) | instskip(NEXT) | instid1(SALU_CYCLE_1)
	s_and_b32 s54, exec_lo, s54
	s_or_b32 s29, s54, s29
	s_and_not1_b32 s34, s34, exec_lo
	s_and_b32 s46, s46, exec_lo
	s_delay_alu instid0(SALU_CYCLE_1)
	s_or_b32 s34, s34, s46
	s_and_not1_b32 exec_lo, exec_lo, s29
	s_cbranch_execz .LBB91_370
.LBB91_366:                             ;   Parent Loop BB91_15 Depth=1
                                        ; =>  This Inner Loop Header: Depth=2
	s_mov_b32 s46, exec_lo
	s_delay_alu instid0(VALU_DEP_1)
	v_cmpx_gt_u32_e64 s36, v5
	s_cbranch_execz .LBB91_363
; %bb.367:                              ;   in Loop: Header=BB91_366 Depth=2
	global_load_b32 v17, v3, s[38:39] scale_offset
	s_wait_loadcnt 0x0
	v_cmp_lt_i32_e32 vcc_lo, -1, v17
	v_cndmask_b32_e64 v12, -1, 0x80000000, vcc_lo
	v_cmp_o_f32_e32 vcc_lo, v17, v17
	s_delay_alu instid0(VALU_DEP_2) | instskip(NEXT) | instid1(VALU_DEP_1)
	v_xor_b32_e32 v12, v12, v17
	v_cndmask_b32_e32 v12, -1, v12, vcc_lo
	s_delay_alu instid0(VALU_DEP_1) | instskip(NEXT) | instid1(VALU_DEP_1)
	v_and_b32_e32 v12, v12, v33
	v_cmp_eq_u32_e32 vcc_lo, v12, v24
	s_and_b32 exec_lo, exec_lo, vcc_lo
	s_cbranch_execz .LBB91_363
; %bb.368:                              ;   in Loop: Header=BB91_366 Depth=2
	ds_store_b64 v13, v[16:17] offset:3072
	s_branch .LBB91_363
.LBB91_369:                             ;   in Loop: Header=BB91_366 Depth=2
	s_mov_b32 s54, -1
	s_mov_b32 s46, -1
                                        ; implicit-def: $vgpr5
                                        ; implicit-def: $vgpr3
	s_branch .LBB91_365
.LBB91_370:                             ;   in Loop: Header=BB91_15 Depth=1
	s_or_b32 exec_lo, exec_lo, s29
	s_delay_alu instid0(SALU_CYCLE_1) | instskip(SKIP_1) | instid1(SALU_CYCLE_1)
	s_and_not1_b32 s29, s33, exec_lo
	s_and_b32 s33, s34, exec_lo
	s_or_b32 s33, s29, s33
.LBB91_371:                             ;   in Loop: Header=BB91_15 Depth=1
	s_or_b32 exec_lo, exec_lo, s28
	s_mov_b32 s28, 0
	s_mov_b32 s29, -1
.LBB91_372:                             ;   in Loop: Header=BB91_15 Depth=1
	s_or_not1_b32 s33, s33, exec_lo
.LBB91_373:                             ;   in Loop: Header=BB91_15 Depth=1
	s_or_b32 exec_lo, exec_lo, s30
	s_mov_b32 s34, 0
	s_and_saveexec_b32 s30, s33
	s_cbranch_execz .LBB91_425
; %bb.374:                              ;   in Loop: Header=BB91_15 Depth=1
	v_dual_mov_b32 v3, 1 :: v_dual_mov_b32 v4, 1
	s_xor_b32 s33, s31, -1
	s_mov_b32 s46, 0
	s_and_saveexec_b32 s31, s33
	s_cbranch_execz .LBB91_383
; %bb.375:                              ;   in Loop: Header=BB91_15 Depth=1
	s_mov_b32 s33, exec_lo
	v_cmpx_ge_u32_e64 s20, v2
	s_xor_b32 s33, exec_lo, s33
	s_cbranch_execz .LBB91_380
; %bb.376:                              ;   in Loop: Header=BB91_15 Depth=1
	ds_load_b32 v3, v13 offset:4096
	s_lshl_b32 s34, 1, s83
	v_or_b32_e32 v33, s18, v33
	v_and_or_b32 v24, v24, s19, s34
	s_wait_dscnt 0x0
	v_cmp_ne_u32_e32 vcc_lo, 0, v3
	s_cbranch_vccnz .LBB91_380
; %bb.377:                              ;   in Loop: Header=BB91_15 Depth=1
	s_and_saveexec_b32 s34, s5
; %bb.378:                              ;   in Loop: Header=BB91_15 Depth=1
	v_mov_b32_e32 v3, s20
	ds_store_b32 v13, v3 offset:4100
; %bb.379:                              ;   in Loop: Header=BB91_15 Depth=1
	s_or_b32 exec_lo, exec_lo, s34
	s_wait_dscnt 0x0
	s_barrier_signal -1
	s_barrier_wait -1
.LBB91_380:                             ;   in Loop: Header=BB91_15 Depth=1
	s_or_saveexec_b32 s33, s33
	v_mov_b32_e32 v4, 5
	s_mov_b32 s34, 0
	s_xor_b32 exec_lo, exec_lo, s33
; %bb.381:                              ;   in Loop: Header=BB91_15 Depth=1
	v_subrev_nc_u32_e32 v2, s20, v2
	v_mov_b32_e32 v4, 0
	s_mov_b32 s34, exec_lo
; %bb.382:                              ;   in Loop: Header=BB91_15 Depth=1
	s_or_b32 exec_lo, exec_lo, s33
	s_delay_alu instid0(VALU_DEP_2)
	v_mov_b32_e32 v3, v2
	s_and_b32 s46, s34, exec_lo
.LBB91_383:                             ;   in Loop: Header=BB91_15 Depth=1
	s_or_b32 exec_lo, exec_lo, s31
	s_mov_b32 s31, -1
                                        ; implicit-def: $sgpr34
                                        ; implicit-def: $sgpr33
	s_and_saveexec_b32 s20, s46
	s_cbranch_execz .LBB91_424
; %bb.384:                              ;   in Loop: Header=BB91_15 Depth=1
	v_cmp_eq_u32_e32 vcc_lo, 1, v3
	s_cmp_eq_u32 s17, 1
	s_mov_b32 s55, -1
	s_cselect_b32 s31, -1, 0
                                        ; implicit-def: $sgpr34
                                        ; implicit-def: $sgpr33
	s_delay_alu instid0(SALU_CYCLE_1) | instskip(NEXT) | instid1(SALU_CYCLE_1)
	s_and_b32 s31, s31, vcc_lo
	s_and_saveexec_b32 s54, s31
	s_cbranch_execz .LBB91_412
; %bb.385:                              ;   in Loop: Header=BB91_15 Depth=1
	ds_load_b32 v2, v13 offset:4096
	s_wait_dscnt 0x0
	s_barrier_signal -1
	s_barrier_wait -1
	v_readfirstlane_b32 s55, v2
	s_and_saveexec_b32 s33, s6
; %bb.386:                              ;   in Loop: Header=BB91_15 Depth=1
	ds_store_b32 v11, v13
; %bb.387:                              ;   in Loop: Header=BB91_15 Depth=1
	s_or_b32 exec_lo, exec_lo, s33
	v_and_b32_e32 v24, s19, v24
	v_or_b32_e32 v33, s18, v33
	s_mov_b32 s33, -1
	s_mov_b32 s34, 0
	s_cmp_eq_u32 s55, 0
	s_mov_b32 s46, 0
	s_mov_b32 s56, -1
	s_wait_dscnt 0x0
	s_barrier_signal -1
	s_barrier_wait -1
                                        ; implicit-def: $vgpr19
	s_cbranch_scc1 .LBB91_399
; %bb.388:                              ;   in Loop: Header=BB91_15 Depth=1
	s_add_co_i32 s46, s55, s69
                                        ; implicit-def: $vgpr19
	s_delay_alu instid0(SALU_CYCLE_1) | instskip(NEXT) | instid1(SALU_CYCLE_1)
	s_mul_u64 s[56:57], s[46:47], s[50:51]
	s_mul_i32 s56, s57, s40
	s_delay_alu instid0(SALU_CYCLE_1) | instskip(NEXT) | instid1(SALU_CYCLE_1)
	s_sub_co_i32 s56, s46, s56
	s_sub_co_i32 s57, s56, s40
	s_cmp_ge_u32 s56, s40
	s_cselect_b32 s56, s57, s56
	s_delay_alu instid0(SALU_CYCLE_1)
	s_sub_co_i32 s57, s56, s40
	s_cmp_ge_u32 s56, s40
	s_cselect_b32 s56, s57, s56
	s_mov_b32 s57, exec_lo
	s_sub_co_i32 s96, s46, s56
	s_mov_b32 s56, 0
	s_mov_b32 s46, 0
	v_cmpx_gt_u32_e64 s96, v0
	s_cbranch_execz .LBB91_398
; %bb.389:                              ;   in Loop: Header=BB91_15 Depth=1
	v_dual_mov_b32 v2, v1 :: v_dual_mov_b32 v5, v0
                                        ; implicit-def: $sgpr97
	s_branch .LBB91_393
.LBB91_390:                             ;   in Loop: Header=BB91_393 Depth=2
	s_or_b32 exec_lo, exec_lo, s98
	s_wait_dscnt 0x0
	s_barrier_signal -1
	s_barrier_wait -1
	ds_load_b64 v[18:19], v13 offset:3072
	s_wait_dscnt 0x0
	s_barrier_signal -1
	s_barrier_wait -1
	v_cmp_neq_f32_e32 vcc_lo, 0, v18
	s_cbranch_vccnz .LBB91_396
; %bb.391:                              ;   in Loop: Header=BB91_393 Depth=2
	v_dual_add_nc_u32 v5, s40, v5 :: v_dual_add_nc_u32 v2, s65, v2
	s_mov_b32 s98, 0
	s_delay_alu instid0(VALU_DEP_1)
	v_cmp_le_u32_e32 vcc_lo, s96, v5
	s_or_not1_b32 s99, vcc_lo, exec_lo
.LBB91_392:                             ;   in Loop: Header=BB91_393 Depth=2
	s_delay_alu instid0(SALU_CYCLE_1) | instskip(NEXT) | instid1(SALU_CYCLE_1)
	s_and_b32 s99, exec_lo, s99
	s_or_b32 s46, s99, s46
	s_and_not1_b32 s97, s97, exec_lo
	s_and_b32 s98, s98, exec_lo
	s_delay_alu instid0(SALU_CYCLE_1)
	s_or_b32 s97, s97, s98
	s_and_not1_b32 exec_lo, exec_lo, s46
	s_cbranch_execz .LBB91_397
.LBB91_393:                             ;   Parent Loop BB91_15 Depth=1
                                        ; =>  This Inner Loop Header: Depth=2
	s_mov_b32 s98, exec_lo
	s_delay_alu instid0(VALU_DEP_1)
	v_cmpx_gt_u32_e64 s55, v5
	s_cbranch_execz .LBB91_390
; %bb.394:                              ;   in Loop: Header=BB91_393 Depth=2
	ds_load_b32 v17, v2
	s_wait_dscnt 0x0
	v_cmp_lt_i32_e32 vcc_lo, -1, v17
	v_cndmask_b32_e64 v12, -1, 0x80000000, vcc_lo
	v_cmp_o_f32_e32 vcc_lo, v17, v17
	s_delay_alu instid0(VALU_DEP_2) | instskip(NEXT) | instid1(VALU_DEP_1)
	v_xor_b32_e32 v12, v12, v17
	v_cndmask_b32_e32 v12, -1, v12, vcc_lo
	s_delay_alu instid0(VALU_DEP_1) | instskip(NEXT) | instid1(VALU_DEP_1)
	v_and_b32_e32 v12, v12, v33
	v_cmp_eq_u32_e32 vcc_lo, v12, v24
	s_and_b32 exec_lo, exec_lo, vcc_lo
	s_cbranch_execz .LBB91_390
; %bb.395:                              ;   in Loop: Header=BB91_393 Depth=2
	ds_store_b64 v13, v[16:17] offset:3072
	s_branch .LBB91_390
.LBB91_396:                             ;   in Loop: Header=BB91_393 Depth=2
	s_mov_b32 s99, -1
	s_mov_b32 s98, -1
                                        ; implicit-def: $vgpr5
                                        ; implicit-def: $vgpr2
	s_branch .LBB91_392
.LBB91_397:                             ;   in Loop: Header=BB91_15 Depth=1
	s_or_b32 exec_lo, exec_lo, s46
	s_delay_alu instid0(SALU_CYCLE_1)
	s_and_b32 s46, s97, exec_lo
.LBB91_398:                             ;   in Loop: Header=BB91_15 Depth=1
	s_or_b32 exec_lo, exec_lo, s57
.LBB91_399:                             ;   in Loop: Header=BB91_15 Depth=1
	s_delay_alu instid0(SALU_CYCLE_1)
	s_and_b32 vcc_lo, exec_lo, s56
	s_cbranch_vccz .LBB91_411
; %bb.400:                              ;   in Loop: Header=BB91_15 Depth=1
                                        ; implicit-def: $vgpr19
	s_and_saveexec_b32 s33, s13
	s_cbranch_execz .LBB91_410
; %bb.401:                              ;   in Loop: Header=BB91_15 Depth=1
	v_dual_mov_b32 v2, v10 :: v_dual_mov_b32 v5, v0
	s_mov_b32 s34, 0
                                        ; implicit-def: $sgpr55
	s_branch .LBB91_405
.LBB91_402:                             ;   in Loop: Header=BB91_405 Depth=2
	s_or_b32 exec_lo, exec_lo, s56
	s_wait_dscnt 0x0
	s_barrier_signal -1
	s_barrier_wait -1
	ds_load_b64 v[18:19], v13 offset:3072
	s_wait_dscnt 0x0
	s_barrier_signal -1
	s_barrier_wait -1
	v_cmp_eq_f32_e32 vcc_lo, 0, v18
	s_cbranch_vccz .LBB91_408
; %bb.403:                              ;   in Loop: Header=BB91_405 Depth=2
	v_dual_add_nc_u32 v5, s40, v5 :: v_dual_add_nc_u32 v2, s60, v2
	s_mov_b32 s56, 0
	s_delay_alu instid0(VALU_DEP_1)
	v_cmp_le_u32_e32 vcc_lo, s80, v5
	s_or_not1_b32 s57, vcc_lo, exec_lo
.LBB91_404:                             ;   in Loop: Header=BB91_405 Depth=2
	s_delay_alu instid0(SALU_CYCLE_1) | instskip(NEXT) | instid1(SALU_CYCLE_1)
	s_and_b32 s57, exec_lo, s57
	s_or_b32 s34, s57, s34
	s_and_not1_b32 s55, s55, exec_lo
	s_and_b32 s56, s56, exec_lo
	s_delay_alu instid0(SALU_CYCLE_1)
	s_or_b32 s55, s55, s56
	s_and_not1_b32 exec_lo, exec_lo, s34
	s_cbranch_execz .LBB91_409
.LBB91_405:                             ;   Parent Loop BB91_15 Depth=1
                                        ; =>  This Inner Loop Header: Depth=2
	s_mov_b32 s56, exec_lo
	s_delay_alu instid0(VALU_DEP_1)
	v_cmpx_gt_u32_e64 s36, v5
	s_cbranch_execz .LBB91_402
; %bb.406:                              ;   in Loop: Header=BB91_405 Depth=2
	global_load_b32 v17, v2, s[38:39] scale_offset
	s_wait_loadcnt 0x0
	v_cmp_lt_i32_e32 vcc_lo, -1, v17
	v_cndmask_b32_e64 v12, -1, 0x80000000, vcc_lo
	v_cmp_o_f32_e32 vcc_lo, v17, v17
	s_delay_alu instid0(VALU_DEP_2) | instskip(NEXT) | instid1(VALU_DEP_1)
	v_xor_b32_e32 v12, v12, v17
	v_cndmask_b32_e32 v12, -1, v12, vcc_lo
	s_delay_alu instid0(VALU_DEP_1) | instskip(NEXT) | instid1(VALU_DEP_1)
	v_and_b32_e32 v12, v12, v33
	v_cmp_eq_u32_e32 vcc_lo, v12, v24
	s_and_b32 exec_lo, exec_lo, vcc_lo
	s_cbranch_execz .LBB91_402
; %bb.407:                              ;   in Loop: Header=BB91_405 Depth=2
	ds_store_b64 v13, v[16:17] offset:3072
	s_branch .LBB91_402
.LBB91_408:                             ;   in Loop: Header=BB91_405 Depth=2
	s_mov_b32 s57, -1
	s_mov_b32 s56, -1
                                        ; implicit-def: $vgpr5
                                        ; implicit-def: $vgpr2
	s_branch .LBB91_404
.LBB91_409:                             ;   in Loop: Header=BB91_15 Depth=1
	s_or_b32 exec_lo, exec_lo, s34
	s_delay_alu instid0(SALU_CYCLE_1) | instskip(SKIP_1) | instid1(SALU_CYCLE_1)
	s_and_not1_b32 s34, s46, exec_lo
	s_and_b32 s46, s55, exec_lo
	s_or_b32 s46, s34, s46
.LBB91_410:                             ;   in Loop: Header=BB91_15 Depth=1
	s_or_b32 exec_lo, exec_lo, s33
	s_mov_b32 s33, 0
	s_mov_b32 s34, -1
.LBB91_411:                             ;   in Loop: Header=BB91_15 Depth=1
	s_or_not1_b32 s55, s46, exec_lo
.LBB91_412:                             ;   in Loop: Header=BB91_15 Depth=1
	s_or_b32 exec_lo, exec_lo, s54
	s_mov_b32 s54, 0
	s_and_saveexec_b32 s46, s55
	s_cbranch_execz .LBB91_423
; %bb.413:                              ;   in Loop: Header=BB91_15 Depth=1
	v_dual_mov_b32 v4, 1 :: v_dual_mov_b32 v2, 1
	s_xor_b32 s54, s31, -1
	s_delay_alu instid0(SALU_CYCLE_1)
	s_and_saveexec_b32 s31, s54
	s_cbranch_execz .LBB91_422
; %bb.414:                              ;   in Loop: Header=BB91_15 Depth=1
	s_mov_b32 s54, exec_lo
	v_cmpx_ge_u32_e64 s17, v3
	s_xor_b32 s54, exec_lo, s54
	s_cbranch_execz .LBB91_419
; %bb.415:                              ;   in Loop: Header=BB91_15 Depth=1
	ds_load_b32 v2, v13 offset:4096
	v_and_b32_e32 v24, s19, v24
	v_or_b32_e32 v33, s18, v33
	s_wait_dscnt 0x0
	v_cmp_ne_u32_e32 vcc_lo, 0, v2
	s_cbranch_vccnz .LBB91_419
; %bb.416:                              ;   in Loop: Header=BB91_15 Depth=1
	s_and_saveexec_b32 s18, s5
; %bb.417:                              ;   in Loop: Header=BB91_15 Depth=1
	v_mov_b32_e32 v2, s17
	ds_store_b32 v13, v2 offset:4100
; %bb.418:                              ;   in Loop: Header=BB91_15 Depth=1
	s_or_b32 exec_lo, exec_lo, s18
	s_wait_dscnt 0x0
	s_barrier_signal -1
	s_barrier_wait -1
.LBB91_419:                             ;   in Loop: Header=BB91_15 Depth=1
	s_and_not1_saveexec_b32 s18, s54
; %bb.420:                              ;   in Loop: Header=BB91_15 Depth=1
	v_subrev_nc_u32_e32 v3, s17, v3
; %bb.421:                              ;   in Loop: Header=BB91_15 Depth=1
	s_or_b32 exec_lo, exec_lo, s18
	s_delay_alu instid0(VALU_DEP_1)
	v_dual_mov_b32 v4, 5 :: v_dual_mov_b32 v2, v3
.LBB91_422:                             ;   in Loop: Header=BB91_15 Depth=1
	s_or_b32 exec_lo, exec_lo, s31
	s_delay_alu instid0(VALU_DEP_1)
	v_mov_b32_e32 v3, v2
	s_mov_b32 s54, exec_lo
.LBB91_423:                             ;   in Loop: Header=BB91_15 Depth=1
	s_or_b32 exec_lo, exec_lo, s46
	s_delay_alu instid0(SALU_CYCLE_1)
	s_or_not1_b32 s31, s54, exec_lo
.LBB91_424:                             ;   in Loop: Header=BB91_15 Depth=1
	s_or_b32 exec_lo, exec_lo, s20
	s_delay_alu instid0(SALU_CYCLE_1)
	s_and_not1_b32 s17, s29, exec_lo
	s_and_b32 s18, s34, exec_lo
	s_and_not1_b32 s19, s28, exec_lo
	s_and_b32 s20, s33, exec_lo
	v_mov_b32_e32 v2, v3
	s_or_b32 s29, s17, s18
	s_or_b32 s28, s19, s20
	s_and_b32 s34, s31, exec_lo
.LBB91_425:                             ;   in Loop: Header=BB91_15 Depth=1
	s_or_b32 exec_lo, exec_lo, s30
	s_delay_alu instid0(SALU_CYCLE_1)
	s_or_not1_b32 s30, s34, exec_lo
.LBB91_426:                             ;   in Loop: Header=BB91_15 Depth=1
	s_or_b32 exec_lo, exec_lo, s21
	s_delay_alu instid0(SALU_CYCLE_1)
	s_and_not1_b32 s17, s25, exec_lo
	s_and_b32 s18, s29, exec_lo
	s_and_not1_b32 s19, s22, exec_lo
	s_and_b32 s20, s28, exec_lo
	v_mov_b32_e32 v35, v2
	s_or_b32 s25, s17, s18
	s_or_b32 s22, s19, s20
	s_and_b32 s30, s30, exec_lo
.LBB91_427:                             ;   in Loop: Header=BB91_15 Depth=1
	s_or_b32 exec_lo, exec_lo, s27
	s_delay_alu instid0(SALU_CYCLE_1)
	s_or_not1_b32 s27, s30, exec_lo
.LBB91_428:                             ;   in Loop: Header=BB91_15 Depth=1
	s_or_b32 exec_lo, exec_lo, s14
	s_mov_b32 s14, s23
	s_mov_b32 s17, s15
	s_and_saveexec_b32 s18, s27
; %bb.429:                              ;   in Loop: Header=BB91_15 Depth=1
	v_cmp_ne_u32_e32 vcc_lo, 5, v4
	v_cmp_eq_u32_e64 s14, 5, v4
	s_and_not1_b32 s17, s15, exec_lo
	s_and_not1_b32 s19, s23, exec_lo
	s_and_b32 s20, vcc_lo, exec_lo
	s_and_b32 s14, s14, exec_lo
	s_or_b32 s17, s17, s20
	s_or_b32 s14, s19, s14
; %bb.430:                              ;   in Loop: Header=BB91_15 Depth=1
	s_or_b32 exec_lo, exec_lo, s18
	s_delay_alu instid0(SALU_CYCLE_1)
	s_and_not1_b32 s18, s26, exec_lo
	s_and_b32 s19, s25, exec_lo
	s_and_not1_b32 s16, s16, exec_lo
	s_and_b32 s20, s22, exec_lo
	s_or_b32 s26, s18, s19
	s_and_not1_b32 s15, s15, exec_lo
	s_and_b32 s17, s17, exec_lo
	s_and_not1_b32 s18, s23, exec_lo
	s_and_b32 s14, s14, exec_lo
	s_or_b32 s16, s16, s20
	s_or_b32 s15, s15, s17
	;; [unrolled: 1-line block ×3, first 2 shown]
.LBB91_431:                             ;   in Loop: Header=BB91_15 Depth=1
	s_or_b32 exec_lo, exec_lo, s24
	s_mov_b32 s24, 0
	s_mov_b32 s25, 0
	s_and_saveexec_b32 s14, s23
.LBB91_432:                             ;   in Loop: Header=BB91_15 Depth=1
	v_mov_b32_e32 v4, 0
	s_or_b32 s15, s15, exec_lo
.LBB91_433:                             ;   in Loop: Header=BB91_15 Depth=1
	s_or_b32 exec_lo, exec_lo, s14
	s_delay_alu instid0(SALU_CYCLE_1)
	s_and_not1_b32 s14, s93, exec_lo
	s_and_b32 s18, s26, exec_lo
	s_and_not1_b32 s19, s91, exec_lo
	s_and_b32 s16, s16, exec_lo
	v_mov_b32_e32 v34, v35
	s_or_b32 s93, s14, s18
	s_or_b32 s91, s19, s16
	s_and_not1_b32 s14, s95, exec_lo
	s_and_b32 s16, s25, exec_lo
	s_and_not1_b32 s18, s94, exec_lo
	s_and_b32 s19, s24, exec_lo
	s_mov_b32 s17, -1
	s_and_not1_b32 s92, s92, exec_lo
	s_or_b32 s95, s14, s16
	s_or_b32 s94, s18, s19
	s_and_saveexec_b32 s14, s15
	s_delay_alu instid0(SALU_CYCLE_1)
	s_xor_b32 s14, exec_lo, s14
	s_cbranch_execz .LBB91_14
; %bb.434:                              ;   in Loop: Header=BB91_15 Depth=1
	s_mov_b32 s15, -1
	s_mov_b32 s16, -1
	s_mov_b32 s17, exec_lo
	v_cmpx_eq_u32_e32 0, v4
	s_cbranch_execz .LBB91_13
; %bb.435:                              ;   in Loop: Header=BB91_15 Depth=1
	s_xor_b32 s86, s86, 1
	s_add_co_i32 s18, s83, -2
	s_cmp_eq_u32 s83, 0
	s_mov_b32 s83, s18
	s_cselect_b32 s15, -1, 0
	s_xor_b32 s16, exec_lo, -1
	s_or_not1_b32 s15, s15, exec_lo
	s_branch .LBB91_13
.LBB91_436:
	s_or_b32 exec_lo, exec_lo, s84
	s_xor_b32 s7, s90, -1
	s_xor_b32 s9, s88, -1
	;; [unrolled: 1-line block ×5, first 2 shown]
	s_mov_b32 s8, 0
	s_and_saveexec_b32 s12, s11
	s_delay_alu instid0(SALU_CYCLE_1)
	s_xor_b32 s12, exec_lo, s12
	s_cbranch_execnz .LBB91_441
; %bb.437:
	s_and_not1_saveexec_b32 s0, s12
	s_cbranch_execnz .LBB91_460
.LBB91_438:
	s_or_b32 exec_lo, exec_lo, s0
	s_and_saveexec_b32 s0, s8
.LBB91_439:
	; divergent unreachable
.LBB91_440:
	s_endpgm
.LBB91_441:
	s_and_saveexec_b32 s11, s10
	s_delay_alu instid0(SALU_CYCLE_1)
	s_xor_b32 s13, exec_lo, s11
	s_cbranch_execz .LBB91_458
; %bb.442:
	s_and_saveexec_b32 s10, s9
	s_delay_alu instid0(SALU_CYCLE_1)
	s_xor_b32 s14, exec_lo, s10
	s_cbranch_execz .LBB91_456
; %bb.443:
	;; [unrolled: 5-line block ×3, first 2 shown]
	s_and_saveexec_b32 s7, s6
	s_delay_alu instid0(SALU_CYCLE_1)
	s_xor_b32 s6, exec_lo, s7
; %bb.445:
	v_cmp_lt_i32_e32 vcc_lo, -1, v24
	v_cndmask_b32_e64 v1, 0x80000000, -1, vcc_lo
	s_delay_alu instid0(VALU_DEP_1)
	v_xor_b32_e32 v19, v1, v24
; %bb.446:
	s_or_b32 exec_lo, exec_lo, s6
	s_and_saveexec_b32 s6, s5
; %bb.447:
	v_mov_b32_e32 v1, 0
	ds_store_b32 v1, v1 offset:4108
; %bb.448:
	s_or_b32 exec_lo, exec_lo, s6
	v_mov_b32_e32 v1, 0
	s_wait_dscnt 0x0
	s_barrier_signal -1
	s_barrier_wait -1
	s_and_saveexec_b32 s5, s3
	s_cbranch_execz .LBB91_450
; %bb.449:
	global_load_b32 v1, v[8:9], off
.LBB91_450:
	s_wait_xcnt 0x0
	s_or_b32 exec_lo, exec_lo, s5
	v_cmp_lt_i32_e32 vcc_lo, -1, v19
	s_clause 0x1
	s_load_b32 s5, s[0:1], 0x1c8
	s_load_b32 s16, s[0:1], 0x2a8
	s_wait_xcnt 0x0
	s_mul_i32 s1, s62, s61
	s_add_co_i32 s17, s36, 31
	s_add_co_i32 s10, s1, s35
	v_cndmask_b32_e64 v2, -1, 0x80000000, vcc_lo
	v_cmp_o_f32_e32 vcc_lo, v19, v19
	s_mul_i32 s1, s63, s59
	s_mov_b32 s11, 0
	s_and_not1_b32 s17, s17, 31
	v_xor_b32_e32 v2, v2, v19
	s_add_co_i32 s6, s1, s41
	s_mov_b32 s7, s11
	s_lshl_b64 s[8:9], s[10:11], 2
	s_lshl_b64 s[18:19], s[6:7], 3
	v_cndmask_b32_e32 v4, -1, v2, vcc_lo
	v_cmp_gt_u32_e32 vcc_lo, s17, v0
	s_mov_b32 s0, -1
	s_add_nc_u64 s[6:7], s[42:43], s[8:9]
	s_add_nc_u64 s[8:9], s[44:45], s[18:19]
	s_mov_b32 s1, 0
	s_and_saveexec_b32 s10, vcc_lo
	s_cbranch_execnz .LBB91_461
; %bb.451:
	s_or_b32 exec_lo, exec_lo, s10
	s_and_saveexec_b32 s4, s0
	s_cbranch_execnz .LBB91_478
.LBB91_452:
	s_or_b32 exec_lo, exec_lo, s4
	s_and_saveexec_b32 s0, s1
	s_delay_alu instid0(SALU_CYCLE_1)
	s_xor_b32 s0, exec_lo, s0
	s_cbranch_execnz .LBB91_501
.LBB91_453:
	s_or_b32 exec_lo, exec_lo, s0
	s_delay_alu instid0(SALU_CYCLE_1)
	s_and_b32 s8, s11, exec_lo
.LBB91_454:
	s_and_not1_saveexec_b32 s0, s15
	s_cbranch_execnz .LBB91_503
.LBB91_455:
	s_or_b32 exec_lo, exec_lo, s0
	s_delay_alu instid0(SALU_CYCLE_1)
	s_and_b32 s8, s8, exec_lo
.LBB91_456:
	s_and_not1_saveexec_b32 s0, s14
	s_cbranch_execnz .LBB91_502
.LBB91_457:
	s_or_b32 exec_lo, exec_lo, s0
	s_delay_alu instid0(SALU_CYCLE_1)
	s_and_b32 s8, s8, exec_lo
.LBB91_458:
	s_and_not1_saveexec_b32 s0, s13
	s_cbranch_execnz .LBB91_497
.LBB91_459:
	s_or_b32 exec_lo, exec_lo, s0
	s_delay_alu instid0(SALU_CYCLE_1)
	s_and_b32 s8, s8, exec_lo
	s_and_not1_saveexec_b32 s0, s12
	s_cbranch_execz .LBB91_438
.LBB91_460:
	s_or_b32 s8, s8, exec_lo
	s_trap 2
	s_or_b32 exec_lo, exec_lo, s0
	s_and_saveexec_b32 s0, s8
	s_cbranch_execnz .LBB91_439
	s_branch .LBB91_440
.LBB91_461:
	v_dual_mov_b32 v3, 0 :: v_dual_add_nc_u32 v2, s40, v0
	s_mov_b32 s18, 0
                                        ; implicit-def: $sgpr19
                                        ; implicit-def: $vgpr11
	s_delay_alu instid0(VALU_DEP_1)
	v_mul_lo_u32 v5, s58, v2
	v_mov_b32_e32 v2, v0
	s_branch .LBB91_463
.LBB91_462:                             ;   in Loop: Header=BB91_463 Depth=1
	s_or_b32 exec_lo, exec_lo, s21
	s_xor_b32 s0, s20, -1
	s_and_b32 s1, exec_lo, s1
	s_wait_loadcnt 0x0
	v_dual_mov_b32 v1, v10 :: v_dual_mov_b32 v2, v7
	s_or_b32 s18, s1, s18
	s_and_not1_b32 s1, s19, exec_lo
	s_and_b32 s0, s0, exec_lo
	s_delay_alu instid0(SALU_CYCLE_1)
	s_or_b32 s19, s1, s0
	s_and_not1_b32 exec_lo, exec_lo, s18
	s_cbranch_execz .LBB91_477
.LBB91_463:                             ; =>This Inner Loop Header: Depth=1
	s_delay_alu instid0(VALU_DEP_1) | instskip(SKIP_1) | instid1(VALU_DEP_1)
	v_dual_mov_b32 v10, 0 :: v_dual_add_nc_u32 v7, s40, v2
	s_mov_b32 s1, exec_lo
	v_cmpx_gt_u32_e64 s36, v7
	s_cbranch_execz .LBB91_465
; %bb.464:                              ;   in Loop: Header=BB91_463 Depth=1
	global_load_b32 v10, v5, s[38:39] scale_offset
.LBB91_465:                             ;   in Loop: Header=BB91_463 Depth=1
	s_wait_xcnt 0x0
	s_or_b32 exec_lo, exec_lo, s1
	s_mov_b32 s20, 0
	s_mov_b32 s1, exec_lo
	v_cmpx_gt_u32_e64 s36, v2
	s_cbranch_execz .LBB91_467
; %bb.466:                              ;   in Loop: Header=BB91_463 Depth=1
	s_wait_loadcnt 0x0
	v_cmp_lt_i32_e64 s0, -1, v1
	s_delay_alu instid0(VALU_DEP_1) | instskip(SKIP_1) | instid1(VALU_DEP_2)
	v_cndmask_b32_e64 v12, -1, 0x80000000, s0
	v_cmp_o_f32_e64 s0, v1, v1
	v_xor_b32_e32 v12, v12, v1
	s_delay_alu instid0(VALU_DEP_1) | instskip(NEXT) | instid1(VALU_DEP_1)
	v_cndmask_b32_e64 v12, -1, v12, s0
	v_cmp_gt_u32_e64 s0, v12, v4
	s_delay_alu instid0(VALU_DEP_1) | instskip(SKIP_1) | instid1(VALU_DEP_1)
	v_cndmask_b32_e64 v13, 0, 1, s0
	v_cmp_lt_u32_e64 s0, v12, v4
	v_cndmask_b32_e64 v12, 0, 1, s0
	s_delay_alu instid0(VALU_DEP_1) | instskip(NEXT) | instid1(VALU_DEP_1)
	v_cndmask_b32_e64 v12, v12, v13, s4
	v_and_b32_e32 v12, 1, v12
	s_delay_alu instid0(VALU_DEP_1)
	v_cmp_eq_u32_e64 s0, 1, v12
	s_and_b32 s20, s0, exec_lo
.LBB91_467:                             ;   in Loop: Header=BB91_463 Depth=1
	s_or_b32 exec_lo, exec_lo, s1
	v_cndmask_b32_e64 v12, 0, 1, s20
	s_delay_alu instid0(VALU_DEP_1) | instskip(SKIP_2) | instid1(SALU_CYCLE_1)
	v_cmp_ne_u32_e64 s0, 0, v12
	s_cmp_lg_u32 s0, 0
	s_cselect_b32 s1, -1, 0
	s_and_b32 s1, s2, s1
	s_delay_alu instid0(SALU_CYCLE_1)
	s_and_saveexec_b32 s21, s1
	s_cbranch_execz .LBB91_471
; %bb.468:                              ;   in Loop: Header=BB91_463 Depth=1
	s_mov_b32 s24, exec_lo
	s_bcnt1_i32_b32 s22, s0
	s_wait_dscnt 0x0
	v_mbcnt_lo_u32_b32 v11, s24, 0
	s_mov_b32 s23, exec_lo
                                        ; implicit-def: $vgpr12
	s_delay_alu instid0(VALU_DEP_1)
	v_cmpx_eq_u32_e32 0, v11
; %bb.469:                              ;   in Loop: Header=BB91_463 Depth=1
	s_bcnt1_i32_b32 s1, s24
	s_delay_alu instid0(SALU_CYCLE_1) | instskip(NEXT) | instid1(SALU_CYCLE_1)
	s_mul_i32 s1, s22, s1
	v_mov_b32_e32 v12, s1
	ds_add_rtn_u32 v12, v3, v12 offset:4108
; %bb.470:                              ;   in Loop: Header=BB91_463 Depth=1
	s_or_b32 exec_lo, exec_lo, s23
	s_wait_dscnt 0x0
	v_readfirstlane_b32 s1, v12
	s_delay_alu instid0(VALU_DEP_1)
	v_mad_u32_u24 v11, s22, v11, s1
.LBB91_471:                             ;   in Loop: Header=BB91_463 Depth=1
	s_or_b32 exec_lo, exec_lo, s21
	s_wait_dscnt 0x0
	ds_bpermute_b32 v11, v3, v11
	s_mov_b32 s1, -1
	s_mov_b32 s22, -1
	s_and_saveexec_b32 s21, s20
	s_cbranch_execz .LBB91_475
; %bb.472:                              ;   in Loop: Header=BB91_463 Depth=1
	v_and_b32_e32 v12, s0, v6
	s_mov_b32 s20, 0
	s_mov_b32 s22, exec_lo
	s_wait_dscnt 0x0
	s_delay_alu instid0(VALU_DEP_1) | instskip(NEXT) | instid1(VALU_DEP_1)
	v_bcnt_u32_b32 v12, v12, v11
	v_cmpx_gt_u32_e64 s37, v12
	s_cbranch_execz .LBB91_474
; %bb.473:                              ;   in Loop: Header=BB91_463 Depth=1
	s_wait_kmcnt 0x0
	v_mul_lo_u32 v13, v12, s5
	v_mul_lo_u32 v12, v12, s16
	s_mov_b32 s20, exec_lo
	s_wait_loadcnt 0x0
	global_store_b32 v13, v1, s[6:7] scale_offset
	global_store_b64 v12, v[2:3], s[8:9] scale_offset
.LBB91_474:                             ;   in Loop: Header=BB91_463 Depth=1
	s_wait_xcnt 0x0
	s_or_b32 exec_lo, exec_lo, s22
	s_delay_alu instid0(SALU_CYCLE_1)
	s_or_not1_b32 s22, s20, exec_lo
.LBB91_475:                             ;   in Loop: Header=BB91_463 Depth=1
	s_or_b32 exec_lo, exec_lo, s21
	s_mov_b32 s20, -1
	s_and_saveexec_b32 s21, s22
	s_cbranch_execz .LBB91_462
; %bb.476:                              ;   in Loop: Header=BB91_463 Depth=1
	v_cmp_le_u32_e64 s0, s17, v7
	v_add_nc_u32_e32 v5, s60, v5
	s_xor_b32 s20, exec_lo, -1
	s_or_not1_b32 s1, s0, exec_lo
	s_branch .LBB91_462
.LBB91_477:
	s_or_b32 exec_lo, exec_lo, s18
	s_delay_alu instid0(SALU_CYCLE_1)
	s_mov_b32 s1, exec_lo
	s_or_not1_b32 s0, s19, exec_lo
	s_or_b32 exec_lo, exec_lo, s10
	s_and_saveexec_b32 s4, s0
	s_cbranch_execz .LBB91_452
.LBB91_478:
	v_mov_b32_e32 v10, 0
	s_wait_storecnt 0x0
	s_wait_loadcnt_dscnt 0x0
	s_barrier_signal -1
	s_barrier_wait -1
	s_and_saveexec_b32 s0, s3
	s_cbranch_execz .LBB91_480
; %bb.479:
	global_load_b32 v10, v[8:9], off
.LBB91_480:
	s_wait_xcnt 0x0
	s_or_b32 exec_lo, exec_lo, s0
	s_mov_b32 s0, 0
	s_and_saveexec_b32 s3, vcc_lo
	s_cbranch_execz .LBB91_500
; %bb.481:
	v_add_nc_u32_e32 v1, s40, v0
	s_mov_b32 s10, 0
                                        ; implicit-def: $sgpr11
                                        ; implicit-def: $vgpr7
	s_delay_alu instid0(VALU_DEP_1)
	v_mul_lo_u32 v2, s58, v1
	v_mov_b32_e32 v1, 0
	s_branch .LBB91_484
.LBB91_482:                             ;   in Loop: Header=BB91_484 Depth=1
	s_or_b32 exec_lo, exec_lo, s20
	s_delay_alu instid0(SALU_CYCLE_1)
	s_or_not1_b32 s20, s18, exec_lo
	s_or_not1_b32 s19, s19, exec_lo
.LBB91_483:                             ;   in Loop: Header=BB91_484 Depth=1
	s_or_b32 exec_lo, exec_lo, s0
	s_xor_b32 s0, s20, -1
	s_and_b32 s18, exec_lo, s19
	v_dual_mov_b32 v0, v3 :: v_dual_mov_b32 v10, v5
	s_or_b32 s10, s18, s10
	s_and_not1_b32 s11, s11, exec_lo
	s_and_b32 s0, s0, exec_lo
	s_delay_alu instid0(SALU_CYCLE_1)
	s_or_b32 s11, s11, s0
	s_and_not1_b32 exec_lo, exec_lo, s10
	s_cbranch_execz .LBB91_498
.LBB91_484:                             ; =>This Inner Loop Header: Depth=1
	v_dual_add_nc_u32 v3, s40, v0 :: v_dual_mov_b32 v5, 0
	s_mov_b32 s0, exec_lo
	s_delay_alu instid0(VALU_DEP_1)
	v_cmpx_gt_u32_e64 s36, v3
	s_cbranch_execz .LBB91_486
; %bb.485:                              ;   in Loop: Header=BB91_484 Depth=1
	global_load_b32 v5, v2, s[38:39] scale_offset
.LBB91_486:                             ;   in Loop: Header=BB91_484 Depth=1
	s_wait_xcnt 0x0
	s_or_b32 exec_lo, exec_lo, s0
	s_wait_loadcnt 0x0
	v_cmp_lt_i32_e32 vcc_lo, -1, v10
	v_cndmask_b32_e64 v8, -1, 0x80000000, vcc_lo
	v_cmp_o_f32_e32 vcc_lo, v10, v10
	s_delay_alu instid0(VALU_DEP_2) | instskip(NEXT) | instid1(VALU_DEP_1)
	v_xor_b32_e32 v8, v8, v10
	v_cndmask_b32_e32 v8, -1, v8, vcc_lo
	v_cmp_gt_u32_e32 vcc_lo, s36, v0
	s_delay_alu instid0(VALU_DEP_2) | instskip(SKIP_1) | instid1(SALU_CYCLE_1)
	v_cmp_eq_u32_e64 s0, v8, v4
	s_and_b32 s18, vcc_lo, s0
	v_cndmask_b32_e64 v8, 0, 1, s18
	s_delay_alu instid0(VALU_DEP_1) | instskip(SKIP_2) | instid1(SALU_CYCLE_1)
	v_cmp_ne_u32_e32 vcc_lo, 0, v8
	s_cmp_lg_u32 vcc_lo, 0
	s_cselect_b32 s0, -1, 0
	s_and_b32 s0, s2, s0
	s_delay_alu instid0(SALU_CYCLE_1)
	s_and_saveexec_b32 s19, s0
	s_cbranch_execz .LBB91_490
; %bb.487:                              ;   in Loop: Header=BB91_484 Depth=1
	s_mov_b32 s22, exec_lo
	s_bcnt1_i32_b32 s20, vcc_lo
	v_mbcnt_lo_u32_b32 v7, s22, 0
	s_mov_b32 s21, exec_lo
                                        ; implicit-def: $vgpr8
	s_delay_alu instid0(VALU_DEP_1)
	v_cmpx_eq_u32_e32 0, v7
; %bb.488:                              ;   in Loop: Header=BB91_484 Depth=1
	s_bcnt1_i32_b32 s0, s22
	s_delay_alu instid0(SALU_CYCLE_1) | instskip(NEXT) | instid1(SALU_CYCLE_1)
	s_mul_i32 s0, s20, s0
	v_mov_b32_e32 v8, s0
	ds_add_rtn_u32 v8, v1, v8 offset:4108
; %bb.489:                              ;   in Loop: Header=BB91_484 Depth=1
	s_or_b32 exec_lo, exec_lo, s21
	s_wait_dscnt 0x0
	v_readfirstlane_b32 s0, v8
	s_delay_alu instid0(VALU_DEP_1)
	v_mad_u32_u24 v7, s20, v7, s0
.LBB91_490:                             ;   in Loop: Header=BB91_484 Depth=1
	s_or_b32 exec_lo, exec_lo, s19
	ds_bpermute_b32 v7, v1, v7
	s_cmp_eq_u32 vcc_lo, 0
	s_mov_b32 s19, -1
	s_cselect_b32 s20, -1, 0
	s_wait_dscnt 0x0
	v_cmp_gt_u32_e64 s0, s37, v7
	s_or_b32 s21, s20, s0
	s_mov_b32 s20, -1
	s_and_saveexec_b32 s0, s21
	s_cbranch_execz .LBB91_483
; %bb.491:                              ;   in Loop: Header=BB91_484 Depth=1
	v_dual_sub_nc_u32 v9, s37, v7 :: v_dual_bitop2_b32 v8, vcc_lo, v6 bitop3:0x40
	s_mov_b32 s21, -1
	s_delay_alu instid0(VALU_DEP_1) | instskip(NEXT) | instid1(VALU_DEP_1)
	v_bcnt_u32_b32 v8, v8, 0
	v_bcnt_u32_b32 v8, 0, v8
	s_delay_alu instid0(VALU_DEP_1)
	v_cmp_gt_u32_e32 vcc_lo, v9, v8
	s_and_b32 s22, s18, vcc_lo
	s_mov_b32 s18, -1
	s_and_saveexec_b32 s20, s22
	s_cbranch_execz .LBB91_495
; %bb.492:                              ;   in Loop: Header=BB91_484 Depth=1
	v_add_nc_u32_e32 v8, v7, v8
	s_mov_b32 s21, 0
	s_mov_b32 s18, exec_lo
	s_delay_alu instid0(VALU_DEP_1)
	v_cmpx_gt_u32_e64 s37, v8
	s_cbranch_execz .LBB91_494
; %bb.493:                              ;   in Loop: Header=BB91_484 Depth=1
	s_wait_kmcnt 0x0
	v_mul_lo_u32 v9, v8, s5
	v_mul_lo_u32 v8, v8, s16
	s_mov_b32 s21, exec_lo
	global_store_b32 v9, v10, s[6:7] scale_offset
	global_store_b64 v8, v[0:1], s[8:9] scale_offset
.LBB91_494:                             ;   in Loop: Header=BB91_484 Depth=1
	s_wait_xcnt 0x0
	s_or_b32 exec_lo, exec_lo, s18
	s_delay_alu instid0(SALU_CYCLE_1)
	s_xor_b32 s18, exec_lo, -1
	s_or_not1_b32 s21, s21, exec_lo
.LBB91_495:                             ;   in Loop: Header=BB91_484 Depth=1
	s_or_b32 exec_lo, exec_lo, s20
	s_and_saveexec_b32 s20, s21
	s_cbranch_execz .LBB91_482
; %bb.496:                              ;   in Loop: Header=BB91_484 Depth=1
	v_cmp_le_u32_e32 vcc_lo, s17, v3
	v_add_nc_u32_e32 v2, s60, v2
	s_or_b32 s18, s18, exec_lo
	s_or_not1_b32 s19, vcc_lo, exec_lo
	s_branch .LBB91_482
.LBB91_497:
	s_or_b32 s8, s8, exec_lo
	s_trap 2
	s_branch .LBB91_459
.LBB91_498:
	s_or_b32 exec_lo, exec_lo, s10
	s_mov_b32 s0, 0
	s_and_saveexec_b32 s2, s11
	s_delay_alu instid0(SALU_CYCLE_1)
	s_xor_b32 s2, exec_lo, s2
	s_cbranch_execnz .LBB91_504
.LBB91_499:
	s_or_b32 exec_lo, exec_lo, s2
	s_delay_alu instid0(SALU_CYCLE_1)
	s_and_b32 s0, s0, exec_lo
.LBB91_500:
	s_or_b32 exec_lo, exec_lo, s3
	s_delay_alu instid0(SALU_CYCLE_1) | instskip(SKIP_3) | instid1(SALU_CYCLE_1)
	s_and_b32 s11, s0, exec_lo
	s_and_not1_b32 s1, s1, exec_lo
	s_or_b32 exec_lo, exec_lo, s4
	s_and_saveexec_b32 s0, s1
	s_xor_b32 s0, exec_lo, s0
	s_cbranch_execz .LBB91_453
.LBB91_501:
	s_or_b32 s11, s11, exec_lo
	s_trap 2
	s_branch .LBB91_453
.LBB91_502:
	s_or_b32 s8, s8, exec_lo
	s_trap 2
	s_branch .LBB91_457
.LBB91_503:
	s_or_b32 s8, s8, exec_lo
	s_trap 2
	s_branch .LBB91_455
.LBB91_504:
	s_mov_b32 s0, exec_lo
	s_trap 2
	s_branch .LBB91_499
	.section	.rodata,"a",@progbits
	.p2align	6, 0x0
	.amdhsa_kernel _ZN2at6native6sbtopk10gatherTopKIfjLin1ELb0EEEvNS_4cuda6detail10TensorInfoIKT_T0_EES8_S8_bS8_S8_NS5_IS6_S8_EES8_NS5_IlS8_EES8_PS6_
		.amdhsa_group_segment_fixed_size 4112
		.amdhsa_private_segment_fixed_size 0
		.amdhsa_kernarg_size 952
		.amdhsa_user_sgpr_count 2
		.amdhsa_user_sgpr_dispatch_ptr 0
		.amdhsa_user_sgpr_queue_ptr 0
		.amdhsa_user_sgpr_kernarg_segment_ptr 1
		.amdhsa_user_sgpr_dispatch_id 0
		.amdhsa_user_sgpr_kernarg_preload_length 0
		.amdhsa_user_sgpr_kernarg_preload_offset 0
		.amdhsa_user_sgpr_private_segment_size 0
		.amdhsa_wavefront_size32 1
		.amdhsa_uses_dynamic_stack 0
		.amdhsa_enable_private_segment 0
		.amdhsa_system_sgpr_workgroup_id_x 1
		.amdhsa_system_sgpr_workgroup_id_y 1
		.amdhsa_system_sgpr_workgroup_id_z 1
		.amdhsa_system_sgpr_workgroup_info 0
		.amdhsa_system_vgpr_workitem_id 0
		.amdhsa_next_free_vgpr 64
		.amdhsa_next_free_sgpr 104
		.amdhsa_named_barrier_count 0
		.amdhsa_reserve_vcc 1
		.amdhsa_float_round_mode_32 0
		.amdhsa_float_round_mode_16_64 0
		.amdhsa_float_denorm_mode_32 3
		.amdhsa_float_denorm_mode_16_64 3
		.amdhsa_fp16_overflow 0
		.amdhsa_memory_ordered 1
		.amdhsa_forward_progress 1
		.amdhsa_inst_pref_size 136
		.amdhsa_round_robin_scheduling 0
		.amdhsa_exception_fp_ieee_invalid_op 0
		.amdhsa_exception_fp_denorm_src 0
		.amdhsa_exception_fp_ieee_div_zero 0
		.amdhsa_exception_fp_ieee_overflow 0
		.amdhsa_exception_fp_ieee_underflow 0
		.amdhsa_exception_fp_ieee_inexact 0
		.amdhsa_exception_int_div_zero 0
	.end_amdhsa_kernel
	.section	.text._ZN2at6native6sbtopk10gatherTopKIfjLin1ELb0EEEvNS_4cuda6detail10TensorInfoIKT_T0_EES8_S8_bS8_S8_NS5_IS6_S8_EES8_NS5_IlS8_EES8_PS6_,"axG",@progbits,_ZN2at6native6sbtopk10gatherTopKIfjLin1ELb0EEEvNS_4cuda6detail10TensorInfoIKT_T0_EES8_S8_bS8_S8_NS5_IS6_S8_EES8_NS5_IlS8_EES8_PS6_,comdat
.Lfunc_end91:
	.size	_ZN2at6native6sbtopk10gatherTopKIfjLin1ELb0EEEvNS_4cuda6detail10TensorInfoIKT_T0_EES8_S8_bS8_S8_NS5_IS6_S8_EES8_NS5_IlS8_EES8_PS6_, .Lfunc_end91-_ZN2at6native6sbtopk10gatherTopKIfjLin1ELb0EEEvNS_4cuda6detail10TensorInfoIKT_T0_EES8_S8_bS8_S8_NS5_IS6_S8_EES8_NS5_IlS8_EES8_PS6_
                                        ; -- End function
	.set _ZN2at6native6sbtopk10gatherTopKIfjLin1ELb0EEEvNS_4cuda6detail10TensorInfoIKT_T0_EES8_S8_bS8_S8_NS5_IS6_S8_EES8_NS5_IlS8_EES8_PS6_.num_vgpr, 64
	.set _ZN2at6native6sbtopk10gatherTopKIfjLin1ELb0EEEvNS_4cuda6detail10TensorInfoIKT_T0_EES8_S8_bS8_S8_NS5_IS6_S8_EES8_NS5_IlS8_EES8_PS6_.num_agpr, 0
	.set _ZN2at6native6sbtopk10gatherTopKIfjLin1ELb0EEEvNS_4cuda6detail10TensorInfoIKT_T0_EES8_S8_bS8_S8_NS5_IS6_S8_EES8_NS5_IlS8_EES8_PS6_.numbered_sgpr, 104
	.set _ZN2at6native6sbtopk10gatherTopKIfjLin1ELb0EEEvNS_4cuda6detail10TensorInfoIKT_T0_EES8_S8_bS8_S8_NS5_IS6_S8_EES8_NS5_IlS8_EES8_PS6_.num_named_barrier, 0
	.set _ZN2at6native6sbtopk10gatherTopKIfjLin1ELb0EEEvNS_4cuda6detail10TensorInfoIKT_T0_EES8_S8_bS8_S8_NS5_IS6_S8_EES8_NS5_IlS8_EES8_PS6_.private_seg_size, 0
	.set _ZN2at6native6sbtopk10gatherTopKIfjLin1ELb0EEEvNS_4cuda6detail10TensorInfoIKT_T0_EES8_S8_bS8_S8_NS5_IS6_S8_EES8_NS5_IlS8_EES8_PS6_.uses_vcc, 1
	.set _ZN2at6native6sbtopk10gatherTopKIfjLin1ELb0EEEvNS_4cuda6detail10TensorInfoIKT_T0_EES8_S8_bS8_S8_NS5_IS6_S8_EES8_NS5_IlS8_EES8_PS6_.uses_flat_scratch, 0
	.set _ZN2at6native6sbtopk10gatherTopKIfjLin1ELb0EEEvNS_4cuda6detail10TensorInfoIKT_T0_EES8_S8_bS8_S8_NS5_IS6_S8_EES8_NS5_IlS8_EES8_PS6_.has_dyn_sized_stack, 0
	.set _ZN2at6native6sbtopk10gatherTopKIfjLin1ELb0EEEvNS_4cuda6detail10TensorInfoIKT_T0_EES8_S8_bS8_S8_NS5_IS6_S8_EES8_NS5_IlS8_EES8_PS6_.has_recursion, 0
	.set _ZN2at6native6sbtopk10gatherTopKIfjLin1ELb0EEEvNS_4cuda6detail10TensorInfoIKT_T0_EES8_S8_bS8_S8_NS5_IS6_S8_EES8_NS5_IlS8_EES8_PS6_.has_indirect_call, 0
	.section	.AMDGPU.csdata,"",@progbits
; Kernel info:
; codeLenInByte = 17316
; TotalNumSgprs: 106
; NumVgprs: 64
; ScratchSize: 0
; MemoryBound: 0
; FloatMode: 240
; IeeeMode: 1
; LDSByteSize: 4112 bytes/workgroup (compile time only)
; SGPRBlocks: 0
; VGPRBlocks: 3
; NumSGPRsForWavesPerEU: 106
; NumVGPRsForWavesPerEU: 64
; NamedBarCnt: 0
; Occupancy: 16
; WaveLimiterHint : 1
; COMPUTE_PGM_RSRC2:SCRATCH_EN: 0
; COMPUTE_PGM_RSRC2:USER_SGPR: 2
; COMPUTE_PGM_RSRC2:TRAP_HANDLER: 0
; COMPUTE_PGM_RSRC2:TGID_X_EN: 1
; COMPUTE_PGM_RSRC2:TGID_Y_EN: 1
; COMPUTE_PGM_RSRC2:TGID_Z_EN: 1
; COMPUTE_PGM_RSRC2:TIDIG_COMP_CNT: 0
	.section	.text._ZN2at6native6mbtopk23computeBlockDigitCountsIN3c104HalfEjjLi1EEEvNS_4cuda6detail10TensorInfoIKT_T0_EEjPjjSA_iijT1_PSD_Ps,"axG",@progbits,_ZN2at6native6mbtopk23computeBlockDigitCountsIN3c104HalfEjjLi1EEEvNS_4cuda6detail10TensorInfoIKT_T0_EEjPjjSA_iijT1_PSD_Ps,comdat
	.protected	_ZN2at6native6mbtopk23computeBlockDigitCountsIN3c104HalfEjjLi1EEEvNS_4cuda6detail10TensorInfoIKT_T0_EEjPjjSA_iijT1_PSD_Ps ; -- Begin function _ZN2at6native6mbtopk23computeBlockDigitCountsIN3c104HalfEjjLi1EEEvNS_4cuda6detail10TensorInfoIKT_T0_EEjPjjSA_iijT1_PSD_Ps
	.globl	_ZN2at6native6mbtopk23computeBlockDigitCountsIN3c104HalfEjjLi1EEEvNS_4cuda6detail10TensorInfoIKT_T0_EEjPjjSA_iijT1_PSD_Ps
	.p2align	8
	.type	_ZN2at6native6mbtopk23computeBlockDigitCountsIN3c104HalfEjjLi1EEEvNS_4cuda6detail10TensorInfoIKT_T0_EEjPjjSA_iijT1_PSD_Ps,@function
_ZN2at6native6mbtopk23computeBlockDigitCountsIN3c104HalfEjjLi1EEEvNS_4cuda6detail10TensorInfoIKT_T0_EEjPjjSA_iijT1_PSD_Ps: ; @_ZN2at6native6mbtopk23computeBlockDigitCountsIN3c104HalfEjjLi1EEEvNS_4cuda6detail10TensorInfoIKT_T0_EEjPjjSA_iijT1_PSD_Ps
; %bb.0:
	s_load_b64 s[2:3], s[0:1], 0xf8
	s_bfe_u32 s4, ttmp6, 0x40010
	s_and_b32 s6, ttmp7, 0xffff
	s_add_co_i32 s7, s4, 1
	s_bfe_u32 s8, ttmp6, 0x40004
	s_mul_i32 s7, s6, s7
	s_load_b64 s[4:5], s[0:1], 0x110
	s_add_co_i32 s7, s8, s7
	s_bfe_u32 s9, ttmp6, 0x4000c
	s_bfe_u32 s11, ttmp6, 0x40014
	s_add_co_i32 s9, s9, 1
	s_and_b32 s10, ttmp6, 15
	s_mul_i32 s9, ttmp9, s9
	s_add_co_i32 s11, s11, 1
	s_add_co_i32 s12, s10, s9
	s_bfe_u32 s10, ttmp6, 0x40008
	s_wait_kmcnt 0x0
	s_cvt_f32_u32 s8, s2
	s_delay_alu instid0(SALU_CYCLE_3) | instskip(SKIP_1) | instid1(SALU_CYCLE_1)
	v_rcp_iflag_f32_e32 v1, s8
	s_lshr_b32 s8, ttmp7, 16
	s_mul_i32 s9, s8, s11
	s_getreg_b32 s11, hwreg(HW_REG_IB_STS2, 6, 4)
	s_add_co_i32 s10, s10, s9
	s_cmp_eq_u32 s11, 0
	v_nop
	v_readfirstlane_b32 s13, v1
	s_cselect_b32 s14, s8, s10
	s_load_b128 s[8:11], s[0:1], 0xe8
	s_mul_i32 s5, s5, s14
	s_cselect_b32 s12, ttmp9, s12
	s_mul_f32 s13, s13, 0x4f7ffffe
	s_cselect_b32 s6, s6, s7
	s_sub_co_i32 s7, 0, s2
	s_add_co_i32 s5, s5, s6
	s_cvt_u32_f32 s13, s13
	s_mul_i32 s14, s5, s4
	s_delay_alu instid0(SALU_CYCLE_1) | instskip(NEXT) | instid1(SALU_CYCLE_1)
	s_add_co_i32 s14, s14, s12
	s_mul_i32 s7, s7, s13
	s_delay_alu instid0(SALU_CYCLE_1) | instskip(NEXT) | instid1(SALU_CYCLE_1)
	s_mul_hi_u32 s4, s13, s7
	s_add_co_i32 s13, s13, s4
	s_delay_alu instid0(SALU_CYCLE_1) | instskip(NEXT) | instid1(SALU_CYCLE_1)
	s_mul_hi_u32 s4, s14, s13
	s_mul_i32 s5, s4, s2
	s_add_co_i32 s6, s4, 1
	s_sub_co_i32 s5, s14, s5
	s_delay_alu instid0(SALU_CYCLE_1)
	s_sub_co_i32 s7, s5, s2
	s_cmp_ge_u32 s5, s2
	s_cselect_b32 s4, s6, s4
	s_cselect_b32 s5, s7, s5
	s_add_co_i32 s6, s4, 1
	s_cmp_ge_u32 s5, s2
	s_cselect_b32 s16, s6, s4
	s_wait_kmcnt 0x0
	s_cmp_ge_u32 s16, s8
	s_cbranch_scc1 .LBB92_27
; %bb.1:
	v_cmp_gt_u32_e32 vcc_lo, 0x100, v0
	v_lshlrev_b32_e32 v1, 2, v0
	s_and_saveexec_b32 s4, vcc_lo
; %bb.2:
	v_mov_b32_e32 v2, 0
	ds_store_b32 v1, v2
; %bb.3:
	s_or_b32 exec_lo, exec_lo, s4
	s_clause 0x1
	s_load_b32 s8, s[0:1], 0xd8
	s_load_b128 s[4:7], s[0:1], 0x100
	s_mul_i32 s12, s16, s2
	s_mov_b32 s13, 0
	s_sub_co_i32 s17, s14, s12
	s_wait_dscnt 0x0
	s_mul_i32 s12, s11, s17
	s_add_co_i32 s17, s17, 1
	s_lshl_b32 s15, s12, 8
	s_barrier_signal -1
	s_barrier_wait -1
	s_wait_kmcnt 0x0
	s_sub_co_i32 s12, s8, s15
	s_delay_alu instid0(SALU_CYCLE_1) | instskip(NEXT) | instid1(SALU_CYCLE_1)
	s_add_nc_u64 s[18:19], s[12:13], 0xff
	s_lshr_b64 s[18:19], s[18:19], 8
	s_cmp_lt_u32 s17, s2
	s_cselect_b32 s11, s11, s18
	s_delay_alu instid0(SALU_CYCLE_1)
	s_cmp_lt_i32 s11, 1
	s_cbranch_scc1 .LBB92_25
; %bb.4:
	s_clause 0x1
	s_load_b32 s12, s[0:1], 0x6c
	s_load_b64 s[18:19], s[0:1], 0x0
	s_load_b32 s2, s[4:5], s16 offset:0x0 scale_offset
	s_wait_xcnt 0x0
	s_and_b32 s1, s10, 0xff
	s_wait_kmcnt 0x0
	s_mul_i32 s12, s12, s16
	s_delay_alu instid0(SALU_CYCLE_1)
	s_lshl_b64 s[4:5], s[12:13], 1
	s_cmp_lt_u32 s11, 4
	s_add_nc_u64 s[4:5], s[18:19], s[4:5]
	s_cbranch_scc1 .LBB92_19
; %bb.5:
	v_dual_mov_b32 v7, 1 :: v_dual_add_nc_u32 v6, s15, v0
	v_mov_b32_e32 v8, 0x8000
	s_and_b32 s13, s11, 0x7ffffffc
	s_lshl_b32 s10, s9, 10
	s_delay_alu instid0(VALU_DEP_2)
	v_add_nc_u32_e32 v2, 0x300, v6
	v_add_nc_u32_e32 v4, 0x200, v6
	;; [unrolled: 1-line block ×3, first 2 shown]
	v_mul_lo_u32 v6, s9, v6
	s_mov_b32 s12, 0
	v_mul_lo_u32 v3, s9, v2
	v_mul_lo_u32 v4, s9, v4
	v_mul_lo_u32 v5, s9, v5
	s_mov_b32 s16, 0
	s_branch .LBB92_7
.LBB92_6:                               ;   in Loop: Header=BB92_7 Depth=1
	s_or_b32 exec_lo, exec_lo, s17
	v_add_nc_u32_e32 v2, 0x400, v2
	s_add_co_i32 s16, s16, 4
	s_add_co_i32 s12, s12, s10
	s_cmp_eq_u32 s13, s16
	s_cbranch_scc1 .LBB92_19
.LBB92_7:                               ; =>This Inner Loop Header: Depth=1
	v_add_nc_u32_e32 v9, 0xfffffd00, v2
	s_mov_b32 s17, exec_lo
	s_delay_alu instid0(VALU_DEP_1)
	v_cmpx_gt_u32_e64 s8, v9
	s_cbranch_execz .LBB92_10
; %bb.8:                                ;   in Loop: Header=BB92_7 Depth=1
	v_add_nc_u32_e32 v9, s12, v6
	global_load_u16 v9, v9, s[4:5] scale_offset
	s_wait_loadcnt 0x0
	v_cmp_lt_i16_e64 s0, -1, v9
	v_and_b32_e32 v10, 0xffff, v9
	s_delay_alu instid0(VALU_DEP_2) | instskip(SKIP_1) | instid1(VALU_DEP_2)
	v_cndmask_b32_e64 v11, 0xffff, v8, s0
	v_cmp_o_f16_e64 s0, v9, v9
	v_xor_b32_e32 v10, v11, v10
	s_wait_xcnt 0x0
	s_delay_alu instid0(VALU_DEP_1) | instskip(NEXT) | instid1(VALU_DEP_1)
	v_cndmask_b32_e64 v9, 0xffff, v10, s0
	v_bitop3_b32 v10, v9, s3, s2 bitop3:0x48
	s_delay_alu instid0(VALU_DEP_1)
	v_cmp_eq_u32_e64 s0, 0, v10
	s_and_b32 exec_lo, exec_lo, s0
; %bb.9:                                ;   in Loop: Header=BB92_7 Depth=1
	v_bfe_u32 v9, v9, s1, 8
	s_delay_alu instid0(VALU_DEP_1)
	v_lshlrev_b32_e32 v9, 2, v9
	ds_add_u32 v9, v7
.LBB92_10:                              ;   in Loop: Header=BB92_7 Depth=1
	s_or_b32 exec_lo, exec_lo, s17
	v_add_nc_u32_e32 v9, 0xfffffe00, v2
	s_mov_b32 s17, exec_lo
	s_delay_alu instid0(VALU_DEP_1)
	v_cmpx_gt_u32_e64 s8, v9
	s_cbranch_execz .LBB92_13
; %bb.11:                               ;   in Loop: Header=BB92_7 Depth=1
	v_add_nc_u32_e32 v9, s12, v5
	global_load_u16 v9, v9, s[4:5] scale_offset
	s_wait_loadcnt 0x0
	v_cmp_lt_i16_e64 s0, -1, v9
	v_and_b32_e32 v10, 0xffff, v9
	s_delay_alu instid0(VALU_DEP_2) | instskip(SKIP_1) | instid1(VALU_DEP_2)
	v_cndmask_b32_e64 v11, 0xffff, v8, s0
	v_cmp_o_f16_e64 s0, v9, v9
	v_xor_b32_e32 v10, v11, v10
	s_delay_alu instid0(VALU_DEP_1) | instskip(NEXT) | instid1(VALU_DEP_1)
	v_cndmask_b32_e64 v9, 0xffff, v10, s0
	v_bitop3_b32 v10, v9, s3, s2 bitop3:0x48
	s_delay_alu instid0(VALU_DEP_1)
	v_cmp_eq_u32_e64 s0, 0, v10
	s_and_b32 exec_lo, exec_lo, s0
; %bb.12:                               ;   in Loop: Header=BB92_7 Depth=1
	v_bfe_u32 v9, v9, s1, 8
	s_delay_alu instid0(VALU_DEP_1)
	v_lshlrev_b32_e32 v9, 2, v9
	ds_add_u32 v9, v7
.LBB92_13:                              ;   in Loop: Header=BB92_7 Depth=1
	s_or_b32 exec_lo, exec_lo, s17
	v_add_nc_u32_e32 v9, 0xffffff00, v2
	s_mov_b32 s17, exec_lo
	s_delay_alu instid0(VALU_DEP_1)
	v_cmpx_gt_u32_e64 s8, v9
	s_cbranch_execz .LBB92_16
; %bb.14:                               ;   in Loop: Header=BB92_7 Depth=1
	v_add_nc_u32_e32 v9, s12, v4
	global_load_u16 v9, v9, s[4:5] scale_offset
	s_wait_loadcnt 0x0
	v_cmp_lt_i16_e64 s0, -1, v9
	v_and_b32_e32 v10, 0xffff, v9
	s_delay_alu instid0(VALU_DEP_2) | instskip(SKIP_1) | instid1(VALU_DEP_2)
	v_cndmask_b32_e64 v11, 0xffff, v8, s0
	v_cmp_o_f16_e64 s0, v9, v9
	v_xor_b32_e32 v10, v11, v10
	s_delay_alu instid0(VALU_DEP_1) | instskip(NEXT) | instid1(VALU_DEP_1)
	v_cndmask_b32_e64 v9, 0xffff, v10, s0
	v_bitop3_b32 v10, v9, s3, s2 bitop3:0x48
	s_delay_alu instid0(VALU_DEP_1)
	v_cmp_eq_u32_e64 s0, 0, v10
	s_and_b32 exec_lo, exec_lo, s0
; %bb.15:                               ;   in Loop: Header=BB92_7 Depth=1
	v_bfe_u32 v9, v9, s1, 8
	s_delay_alu instid0(VALU_DEP_1)
	v_lshlrev_b32_e32 v9, 2, v9
	ds_add_u32 v9, v7
.LBB92_16:                              ;   in Loop: Header=BB92_7 Depth=1
	s_or_b32 exec_lo, exec_lo, s17
	s_delay_alu instid0(SALU_CYCLE_1)
	s_mov_b32 s17, exec_lo
	v_cmpx_gt_u32_e64 s8, v2
	s_cbranch_execz .LBB92_6
; %bb.17:                               ;   in Loop: Header=BB92_7 Depth=1
	v_add_nc_u32_e32 v9, s12, v3
	global_load_u16 v9, v9, s[4:5] scale_offset
	s_wait_loadcnt 0x0
	v_cmp_lt_i16_e64 s0, -1, v9
	v_and_b32_e32 v10, 0xffff, v9
	s_delay_alu instid0(VALU_DEP_2) | instskip(SKIP_1) | instid1(VALU_DEP_2)
	v_cndmask_b32_e64 v11, 0xffff, v8, s0
	v_cmp_o_f16_e64 s0, v9, v9
	v_xor_b32_e32 v10, v11, v10
	s_delay_alu instid0(VALU_DEP_1) | instskip(NEXT) | instid1(VALU_DEP_1)
	v_cndmask_b32_e64 v9, 0xffff, v10, s0
	v_bitop3_b32 v10, v9, s3, s2 bitop3:0x48
	s_delay_alu instid0(VALU_DEP_1)
	v_cmp_eq_u32_e64 s0, 0, v10
	s_and_b32 exec_lo, exec_lo, s0
	s_cbranch_execz .LBB92_6
; %bb.18:                               ;   in Loop: Header=BB92_7 Depth=1
	v_bfe_u32 v9, v9, s1, 8
	s_delay_alu instid0(VALU_DEP_1)
	v_lshlrev_b32_e32 v9, 2, v9
	ds_add_u32 v9, v7
	s_branch .LBB92_6
.LBB92_19:
	s_and_b32 s10, s11, 3
	s_delay_alu instid0(SALU_CYCLE_1)
	s_cmp_eq_u32 s10, 0
	s_cbranch_scc1 .LBB92_25
; %bb.20:
	s_lshl_b32 s0, s13, 8
	v_dual_mov_b32 v4, 1 :: v_dual_mov_b32 v5, 0x8000
	v_add3_u32 v2, s0, s15, v0
	s_delay_alu instid0(VALU_DEP_1)
	v_mul_lo_u32 v3, s9, v2
	s_lshl_b32 s9, s9, 8
	s_branch .LBB92_22
.LBB92_21:                              ;   in Loop: Header=BB92_22 Depth=1
	s_or_b32 exec_lo, exec_lo, s11
	s_delay_alu instid0(VALU_DEP_2) | instskip(SKIP_2) | instid1(SALU_CYCLE_1)
	v_add_nc_u32_e32 v3, s9, v3
	v_add_nc_u32_e32 v2, 0x100, v2
	s_add_co_i32 s10, s10, -1
	s_cmp_lg_u32 s10, 0
	s_cbranch_scc0 .LBB92_25
.LBB92_22:                              ; =>This Inner Loop Header: Depth=1
	s_mov_b32 s11, exec_lo
	v_cmpx_gt_u32_e64 s8, v2
	s_cbranch_execz .LBB92_21
; %bb.23:                               ;   in Loop: Header=BB92_22 Depth=1
	global_load_u16 v6, v3, s[4:5] scale_offset
	s_wait_loadcnt 0x0
	v_cmp_lt_i16_e64 s0, -1, v6
	v_and_b32_e32 v7, 0xffff, v6
	s_delay_alu instid0(VALU_DEP_2) | instskip(SKIP_1) | instid1(VALU_DEP_2)
	v_cndmask_b32_e64 v8, 0xffff, v5, s0
	v_cmp_o_f16_e64 s0, v6, v6
	v_xor_b32_e32 v7, v8, v7
	s_delay_alu instid0(VALU_DEP_1) | instskip(NEXT) | instid1(VALU_DEP_1)
	v_cndmask_b32_e64 v6, 0xffff, v7, s0
	v_bitop3_b32 v7, v6, s3, s2 bitop3:0x48
	s_delay_alu instid0(VALU_DEP_1)
	v_cmp_eq_u32_e64 s0, 0, v7
	s_and_b32 exec_lo, exec_lo, s0
	s_cbranch_execz .LBB92_21
; %bb.24:                               ;   in Loop: Header=BB92_22 Depth=1
	v_bfe_u32 v6, v6, s1, 8
	s_delay_alu instid0(VALU_DEP_1)
	v_lshlrev_b32_e32 v6, 2, v6
	ds_add_u32 v6, v4
	s_branch .LBB92_21
.LBB92_25:
	s_wait_dscnt 0x0
	s_barrier_signal -1
	s_barrier_wait -1
	s_and_saveexec_b32 s0, vcc_lo
	s_cbranch_execz .LBB92_27
; %bb.26:
	ds_load_b32 v1, v1
	v_lshl_or_b32 v0, s14, 8, v0
	s_wait_dscnt 0x0
	global_store_b16 v0, v1, s[6:7] scale_offset
.LBB92_27:
	s_endpgm
	.section	.rodata,"a",@progbits
	.p2align	6, 0x0
	.amdhsa_kernel _ZN2at6native6mbtopk23computeBlockDigitCountsIN3c104HalfEjjLi1EEEvNS_4cuda6detail10TensorInfoIKT_T0_EEjPjjSA_iijT1_PSD_Ps
		.amdhsa_group_segment_fixed_size 1024
		.amdhsa_private_segment_fixed_size 0
		.amdhsa_kernarg_size 528
		.amdhsa_user_sgpr_count 2
		.amdhsa_user_sgpr_dispatch_ptr 0
		.amdhsa_user_sgpr_queue_ptr 0
		.amdhsa_user_sgpr_kernarg_segment_ptr 1
		.amdhsa_user_sgpr_dispatch_id 0
		.amdhsa_user_sgpr_kernarg_preload_length 0
		.amdhsa_user_sgpr_kernarg_preload_offset 0
		.amdhsa_user_sgpr_private_segment_size 0
		.amdhsa_wavefront_size32 1
		.amdhsa_uses_dynamic_stack 0
		.amdhsa_enable_private_segment 0
		.amdhsa_system_sgpr_workgroup_id_x 1
		.amdhsa_system_sgpr_workgroup_id_y 1
		.amdhsa_system_sgpr_workgroup_id_z 1
		.amdhsa_system_sgpr_workgroup_info 0
		.amdhsa_system_vgpr_workitem_id 0
		.amdhsa_next_free_vgpr 12
		.amdhsa_next_free_sgpr 20
		.amdhsa_named_barrier_count 0
		.amdhsa_reserve_vcc 1
		.amdhsa_float_round_mode_32 0
		.amdhsa_float_round_mode_16_64 0
		.amdhsa_float_denorm_mode_32 3
		.amdhsa_float_denorm_mode_16_64 3
		.amdhsa_fp16_overflow 0
		.amdhsa_memory_ordered 1
		.amdhsa_forward_progress 1
		.amdhsa_inst_pref_size 13
		.amdhsa_round_robin_scheduling 0
		.amdhsa_exception_fp_ieee_invalid_op 0
		.amdhsa_exception_fp_denorm_src 0
		.amdhsa_exception_fp_ieee_div_zero 0
		.amdhsa_exception_fp_ieee_overflow 0
		.amdhsa_exception_fp_ieee_underflow 0
		.amdhsa_exception_fp_ieee_inexact 0
		.amdhsa_exception_int_div_zero 0
	.end_amdhsa_kernel
	.section	.text._ZN2at6native6mbtopk23computeBlockDigitCountsIN3c104HalfEjjLi1EEEvNS_4cuda6detail10TensorInfoIKT_T0_EEjPjjSA_iijT1_PSD_Ps,"axG",@progbits,_ZN2at6native6mbtopk23computeBlockDigitCountsIN3c104HalfEjjLi1EEEvNS_4cuda6detail10TensorInfoIKT_T0_EEjPjjSA_iijT1_PSD_Ps,comdat
.Lfunc_end92:
	.size	_ZN2at6native6mbtopk23computeBlockDigitCountsIN3c104HalfEjjLi1EEEvNS_4cuda6detail10TensorInfoIKT_T0_EEjPjjSA_iijT1_PSD_Ps, .Lfunc_end92-_ZN2at6native6mbtopk23computeBlockDigitCountsIN3c104HalfEjjLi1EEEvNS_4cuda6detail10TensorInfoIKT_T0_EEjPjjSA_iijT1_PSD_Ps
                                        ; -- End function
	.set _ZN2at6native6mbtopk23computeBlockDigitCountsIN3c104HalfEjjLi1EEEvNS_4cuda6detail10TensorInfoIKT_T0_EEjPjjSA_iijT1_PSD_Ps.num_vgpr, 12
	.set _ZN2at6native6mbtopk23computeBlockDigitCountsIN3c104HalfEjjLi1EEEvNS_4cuda6detail10TensorInfoIKT_T0_EEjPjjSA_iijT1_PSD_Ps.num_agpr, 0
	.set _ZN2at6native6mbtopk23computeBlockDigitCountsIN3c104HalfEjjLi1EEEvNS_4cuda6detail10TensorInfoIKT_T0_EEjPjjSA_iijT1_PSD_Ps.numbered_sgpr, 20
	.set _ZN2at6native6mbtopk23computeBlockDigitCountsIN3c104HalfEjjLi1EEEvNS_4cuda6detail10TensorInfoIKT_T0_EEjPjjSA_iijT1_PSD_Ps.num_named_barrier, 0
	.set _ZN2at6native6mbtopk23computeBlockDigitCountsIN3c104HalfEjjLi1EEEvNS_4cuda6detail10TensorInfoIKT_T0_EEjPjjSA_iijT1_PSD_Ps.private_seg_size, 0
	.set _ZN2at6native6mbtopk23computeBlockDigitCountsIN3c104HalfEjjLi1EEEvNS_4cuda6detail10TensorInfoIKT_T0_EEjPjjSA_iijT1_PSD_Ps.uses_vcc, 1
	.set _ZN2at6native6mbtopk23computeBlockDigitCountsIN3c104HalfEjjLi1EEEvNS_4cuda6detail10TensorInfoIKT_T0_EEjPjjSA_iijT1_PSD_Ps.uses_flat_scratch, 0
	.set _ZN2at6native6mbtopk23computeBlockDigitCountsIN3c104HalfEjjLi1EEEvNS_4cuda6detail10TensorInfoIKT_T0_EEjPjjSA_iijT1_PSD_Ps.has_dyn_sized_stack, 0
	.set _ZN2at6native6mbtopk23computeBlockDigitCountsIN3c104HalfEjjLi1EEEvNS_4cuda6detail10TensorInfoIKT_T0_EEjPjjSA_iijT1_PSD_Ps.has_recursion, 0
	.set _ZN2at6native6mbtopk23computeBlockDigitCountsIN3c104HalfEjjLi1EEEvNS_4cuda6detail10TensorInfoIKT_T0_EEjPjjSA_iijT1_PSD_Ps.has_indirect_call, 0
	.section	.AMDGPU.csdata,"",@progbits
; Kernel info:
; codeLenInByte = 1540
; TotalNumSgprs: 22
; NumVgprs: 12
; ScratchSize: 0
; MemoryBound: 0
; FloatMode: 240
; IeeeMode: 1
; LDSByteSize: 1024 bytes/workgroup (compile time only)
; SGPRBlocks: 0
; VGPRBlocks: 0
; NumSGPRsForWavesPerEU: 22
; NumVGPRsForWavesPerEU: 12
; NamedBarCnt: 0
; Occupancy: 16
; WaveLimiterHint : 1
; COMPUTE_PGM_RSRC2:SCRATCH_EN: 0
; COMPUTE_PGM_RSRC2:USER_SGPR: 2
; COMPUTE_PGM_RSRC2:TRAP_HANDLER: 0
; COMPUTE_PGM_RSRC2:TGID_X_EN: 1
; COMPUTE_PGM_RSRC2:TGID_Y_EN: 1
; COMPUTE_PGM_RSRC2:TGID_Z_EN: 1
; COMPUTE_PGM_RSRC2:TIDIG_COMP_CNT: 0
	.section	.text._ZN2at6native6mbtopk29computeBlockwiseWithinKCountsIjN3c104HalfEEEvPT_PsPjjibS8_PT0_S8_S6_S8_j,"axG",@progbits,_ZN2at6native6mbtopk29computeBlockwiseWithinKCountsIjN3c104HalfEEEvPT_PsPjjibS8_PT0_S8_S6_S8_j,comdat
	.protected	_ZN2at6native6mbtopk29computeBlockwiseWithinKCountsIjN3c104HalfEEEvPT_PsPjjibS8_PT0_S8_S6_S8_j ; -- Begin function _ZN2at6native6mbtopk29computeBlockwiseWithinKCountsIjN3c104HalfEEEvPT_PsPjjibS8_PT0_S8_S6_S8_j
	.globl	_ZN2at6native6mbtopk29computeBlockwiseWithinKCountsIjN3c104HalfEEEvPT_PsPjjibS8_PT0_S8_S6_S8_j
	.p2align	8
	.type	_ZN2at6native6mbtopk29computeBlockwiseWithinKCountsIjN3c104HalfEEEvPT_PsPjjibS8_PT0_S8_S6_S8_j,@function
_ZN2at6native6mbtopk29computeBlockwiseWithinKCountsIjN3c104HalfEEEvPT_PsPjjibS8_PT0_S8_S6_S8_j: ; @_ZN2at6native6mbtopk29computeBlockwiseWithinKCountsIjN3c104HalfEEEvPT_PsPjjibS8_PT0_S8_S6_S8_j
; %bb.0:
	s_bfe_u32 s2, ttmp6, 0x40010
	s_and_b32 s4, ttmp7, 0xffff
	s_add_co_i32 s5, s2, 1
	s_clause 0x2
	s_load_b96 s[16:18], s[0:1], 0x18
	s_load_b32 s6, s[0:1], 0x50
	s_load_b64 s[2:3], s[0:1], 0x58
	s_bfe_u32 s8, ttmp6, 0x4000c
	s_mul_i32 s5, s4, s5
	s_bfe_u32 s7, ttmp6, 0x40004
	s_add_co_i32 s8, s8, 1
	s_bfe_u32 s9, ttmp6, 0x40014
	s_add_co_i32 s7, s7, s5
	s_and_b32 s5, ttmp6, 15
	s_mul_i32 s8, ttmp9, s8
	s_lshr_b32 s10, ttmp7, 16
	s_add_co_i32 s9, s9, 1
	s_add_co_i32 s5, s5, s8
	s_mul_i32 s8, s10, s9
	s_bfe_u32 s9, ttmp6, 0x40008
	s_getreg_b32 s11, hwreg(HW_REG_IB_STS2, 6, 4)
	s_add_co_i32 s9, s9, s8
	s_cmp_eq_u32 s11, 0
	s_mov_b32 s21, 0
	s_cselect_b32 s8, s10, s9
	s_wait_kmcnt 0x0
	s_cvt_f32_u32 s9, s16
	s_mul_i32 s3, s3, s8
	s_cselect_b32 s4, s4, s7
	s_cselect_b32 s5, ttmp9, s5
	v_rcp_iflag_f32_e32 v1, s9
	s_add_co_i32 s3, s3, s4
	s_delay_alu instid0(SALU_CYCLE_1) | instskip(NEXT) | instid1(SALU_CYCLE_1)
	s_mul_i32 s2, s3, s2
	s_add_co_i32 s20, s2, s5
	v_nop
	s_delay_alu instid0(TRANS32_DEP_1)
	v_readfirstlane_b32 s2, v1
	s_cmp_ge_u32 s20, s6
	s_cbranch_scc1 .LBB93_49
; %bb.1:
	s_mul_f32 s2, s2, 0x4f7ffffe
	s_delay_alu instid0(SALU_CYCLE_3) | instskip(SKIP_1) | instid1(SALU_CYCLE_2)
	s_cvt_u32_f32 s4, s2
	s_sub_co_i32 s2, 0, s16
	s_mul_i32 s2, s2, s4
	s_delay_alu instid0(SALU_CYCLE_1) | instskip(SKIP_3) | instid1(SALU_CYCLE_1)
	s_mul_hi_u32 s5, s4, s2
	s_load_b64 s[2:3], s[0:1], 0x10
	s_add_co_i32 s4, s4, s5
	s_mov_b32 s5, s21
	s_mul_u64 s[4:5], s[20:21], s[4:5]
	s_delay_alu instid0(SALU_CYCLE_1) | instskip(SKIP_2) | instid1(SALU_CYCLE_1)
	s_mul_i32 s4, s5, s16
	s_add_co_i32 s6, s5, 1
	s_sub_co_i32 s4, s20, s4
	s_sub_co_i32 s7, s4, s16
	s_cmp_ge_u32 s4, s16
	s_cselect_b32 s5, s6, s5
	s_cselect_b32 s4, s7, s4
	s_add_co_i32 s6, s5, 1
	s_cmp_ge_u32 s4, s16
	s_cselect_b32 s22, s6, s5
	s_load_b128 s[12:15], s[0:1], 0x0
	s_wait_kmcnt 0x0
	s_load_b32 s19, s[2:3], s22 offset:0x0 scale_offset
	s_wait_xcnt 0x0
	v_cmp_gt_u32_e64 s2, 0x100, v0
	s_and_saveexec_b32 s3, s2
	s_cbranch_execz .LBB93_17
; %bb.2:
	s_mul_i32 s4, s22, s16
	s_mov_b32 s5, 0
	s_lshl_b32 s4, s4, 8
	v_dual_mov_b32 v3, 0 :: v_dual_lshlrev_b32 v2, 1, v0
	s_lshl_b64 s[6:7], s[4:5], 1
	s_cmp_lt_u32 s16, 4
	s_add_nc_u64 s[6:7], s[14:15], s[6:7]
	s_delay_alu instid0(VALU_DEP_1) | instid1(SALU_CYCLE_1)
	v_add_nc_u64_e32 v[4:5], s[6:7], v[2:3]
	s_cbranch_scc1 .LBB93_10
; %bb.3:
	v_readfirstlane_b32 s5, v0
	v_mov_b32_e32 v3, 0
	s_add_co_i32 s4, s16, -4
	s_delay_alu instid0(SALU_CYCLE_1)
	s_cmp_lt_u32 s4, 4
	s_cbranch_scc1 .LBB93_7
; %bb.4:
	s_delay_alu instid0(VALU_DEP_1)
	v_add_nc_u64_e32 v[6:7], s[6:7], v[2:3]
	s_lshr_b32 s4, s4, 2
	s_mov_b32 s7, 0
	s_add_co_i32 s6, s4, 1
	v_mov_b32_e32 v1, v3
	s_and_b64 s[8:9], s[6:7], 0x7ffffffe
	s_delay_alu instid0(SALU_CYCLE_1)
	s_mov_b64 s[4:5], s[8:9]
	v_add_nc_u64_e32 v[6:7], 0x800, v[6:7]
.LBB93_5:                               ; =>This Inner Loop Header: Depth=1
	s_clause 0x7
	global_load_i16 v2, v[6:7], off offset:-2048
	global_load_i16 v8, v[6:7], off
	global_load_i16 v9, v[6:7], off offset:512
	global_load_i16 v10, v[6:7], off offset:-1536
	global_load_i16 v11, v[6:7], off offset:-1024
	global_load_i16 v12, v[6:7], off offset:1024
	global_load_i16 v13, v[6:7], off offset:1536
	global_load_i16 v14, v[6:7], off offset:-512
	s_wait_xcnt 0x0
	v_add_nc_u64_e32 v[6:7], 0x1000, v[6:7]
	s_add_nc_u64 s[4:5], s[4:5], -2
	s_delay_alu instid0(SALU_CYCLE_1)
	s_cmp_lg_u64 s[4:5], 0
	s_wait_loadcnt 0x5
	v_add3_u32 v1, v1, v8, v9
	s_wait_loadcnt 0x4
	v_add3_u32 v2, v3, v2, v10
	s_wait_loadcnt 0x1
	s_delay_alu instid0(VALU_DEP_2) | instskip(SKIP_1) | instid1(VALU_DEP_2)
	v_add3_u32 v1, v1, v12, v13
	s_wait_loadcnt 0x0
	v_add3_u32 v3, v2, v11, v14
	s_cbranch_scc1 .LBB93_5
; %bb.6:
	s_lshl_b64 s[4:5], s[8:9], 11
	s_delay_alu instid0(VALU_DEP_1)
	v_add_nc_u32_e32 v3, v3, v1
	v_add_nc_u64_e32 v[4:5], s[4:5], v[4:5]
	s_lshl_b32 s5, s8, 2
	s_cmp_lg_u64 s[8:9], s[6:7]
	s_mov_b32 s4, s5
	s_cselect_b32 s6, -1, 0
	s_delay_alu instid0(SALU_CYCLE_1)
	s_and_b32 vcc_lo, exec_lo, s6
	s_cbranch_vccnz .LBB93_8
	s_branch .LBB93_10
.LBB93_7:
	s_mov_b32 s4, 0
	s_cbranch_execz .LBB93_10
.LBB93_8:                               ; =>This Inner Loop Header: Depth=1
	s_clause 0x3
	global_load_i16 v1, v[4:5], off
	global_load_i16 v2, v[4:5], off offset:512
	global_load_i16 v6, v[4:5], off offset:1024
	;; [unrolled: 1-line block ×3, first 2 shown]
	s_wait_xcnt 0x0
	v_add_nc_u64_e32 v[4:5], 0x800, v[4:5]
	s_add_co_i32 s5, s4, 7
	s_add_co_i32 s4, s4, 4
	s_cmp_ge_u32 s5, s16
	s_wait_loadcnt 0x2
	v_add3_u32 v1, v3, v1, v2
	s_wait_loadcnt 0x0
	s_delay_alu instid0(VALU_DEP_1)
	v_add3_u32 v3, v1, v6, v7
	s_cbranch_scc0 .LBB93_8
; %bb.9:
	s_mov_b32 s5, s4
.LBB93_10:
	s_delay_alu instid0(SALU_CYCLE_1)
	s_cmp_ge_u32 s5, s16
	s_cbranch_scc1 .LBB93_16
; %bb.11:
	s_not_b32 s4, s5
	s_mov_b32 s7, 0
	s_add_co_i32 s6, s16, s4
	s_delay_alu instid0(SALU_CYCLE_1)
	s_cmp_eq_u32 s6, 0
	s_cbranch_scc1 .LBB93_50
; %bb.12:
	v_add_nc_u64_e32 v[6:7], 0x200, v[4:5]
	s_add_nc_u64 s[6:7], s[6:7], 1
	v_mov_b32_e32 v1, 0
	s_and_b64 s[8:9], s[6:7], 0x1fffffffe
	s_delay_alu instid0(SALU_CYCLE_1)
	s_mov_b64 s[10:11], s[8:9]
.LBB93_13:                              ; =>This Inner Loop Header: Depth=1
	s_clause 0x1
	global_load_i16 v2, v[6:7], off
	global_load_i16 v8, v[6:7], off offset:-512
	s_wait_xcnt 0x0
	v_add_nc_u64_e32 v[6:7], 0x400, v[6:7]
	s_add_nc_u64 s[10:11], s[10:11], -2
	s_delay_alu instid0(SALU_CYCLE_1)
	s_cmp_lg_u64 s[10:11], 0
	s_wait_loadcnt 0x0
	v_dual_add_nc_u32 v1, v1, v2 :: v_dual_add_nc_u32 v3, v3, v8
	s_cbranch_scc1 .LBB93_13
; %bb.14:
	s_lshl_b64 s[10:11], s[8:9], 9
	s_add_co_i32 s5, s5, s8
	v_add_nc_u64_e32 v[4:5], s[10:11], v[4:5]
	v_add_nc_u32_e32 v3, v3, v1
	s_cmp_lg_u64 s[6:7], s[8:9]
	s_cselect_b32 s4, -1, 0
	s_delay_alu instid0(SALU_CYCLE_1)
	s_and_b32 vcc_lo, exec_lo, s4
	s_cbranch_vccz .LBB93_16
.LBB93_15:                              ; =>This Inner Loop Header: Depth=1
	global_load_i16 v1, v[4:5], off
	s_wait_xcnt 0x0
	v_add_nc_u64_e32 v[4:5], 0x200, v[4:5]
	s_add_co_i32 s5, s5, 1
	s_delay_alu instid0(SALU_CYCLE_1)
	s_cmp_lt_u32 s5, s16
	s_wait_loadcnt 0x0
	v_add_nc_u32_e32 v3, v3, v1
	s_cbranch_scc1 .LBB93_15
.LBB93_16:
	v_lshlrev_b32_e32 v1, 2, v0
	ds_store_b32 v1, v3 offset:1056
.LBB93_17:
	s_or_b32 exec_lo, exec_lo, s3
	v_dual_mov_b32 v5, 0 :: v_dual_lshlrev_b32 v1, 2, v0
	s_mov_b32 s23, s21
	s_wait_dscnt 0x0
	s_barrier_signal -1
	s_barrier_wait -1
	s_and_saveexec_b32 s3, s2
; %bb.18:
	ds_load_b32 v5, v1 offset:1056
; %bb.19:
	s_or_b32 exec_lo, exec_lo, s3
	v_lshrrev_b32_e32 v3, 5, v0
	v_cmp_gt_u32_e64 s3, 32, v0
	v_mbcnt_lo_u32_b32 v2, -1, 0
	s_delay_alu instid0(VALU_DEP_3)
	v_lshl_add_u32 v4, v3, 2, v1
	s_wait_dscnt 0x0
	ds_store_b32 v4, v5
	s_wait_dscnt 0x0
	s_barrier_signal -1
	s_barrier_wait -1
	s_and_saveexec_b32 s4, s3
	s_cbranch_execz .LBB93_21
; %bb.20:
	v_and_b32_e32 v6, 0xfc, v0
	s_delay_alu instid0(VALU_DEP_1)
	v_lshl_add_u32 v14, v0, 5, v6
	ds_load_2addr_b32 v[6:7], v14 offset1:1
	ds_load_2addr_b32 v[8:9], v14 offset0:2 offset1:3
	ds_load_2addr_b32 v[10:11], v14 offset0:4 offset1:5
	;; [unrolled: 1-line block ×3, first 2 shown]
	; wave barrier
	s_wait_dscnt 0x3
	v_add_nc_u32_e32 v7, v7, v6
	s_wait_dscnt 0x2
	s_delay_alu instid0(VALU_DEP_1) | instskip(SKIP_1) | instid1(VALU_DEP_1)
	v_add3_u32 v7, v7, v8, v9
	s_wait_dscnt 0x1
	v_add3_u32 v7, v7, v10, v11
	v_bfe_i32 v10, v2, 4, 1
	s_wait_dscnt 0x0
	s_delay_alu instid0(VALU_DEP_2) | instskip(SKIP_1) | instid1(VALU_DEP_2)
	v_add3_u32 v7, v7, v12, v13
	v_and_b32_e32 v8, 15, v2
	v_mov_b32_dpp v9, v7 row_shr:1 row_mask:0xf bank_mask:0xf
	s_delay_alu instid0(VALU_DEP_2) | instskip(NEXT) | instid1(VALU_DEP_2)
	v_cmp_ne_u32_e32 vcc_lo, 0, v8
	v_cndmask_b32_e32 v9, 0, v9, vcc_lo
	s_delay_alu instid0(VALU_DEP_1) | instskip(SKIP_1) | instid1(VALU_DEP_2)
	v_add_nc_u32_e32 v7, v9, v7
	v_cmp_lt_u32_e32 vcc_lo, 1, v8
	v_mov_b32_dpp v9, v7 row_shr:2 row_mask:0xf bank_mask:0xf
	s_delay_alu instid0(VALU_DEP_1) | instskip(SKIP_1) | instid1(VALU_DEP_2)
	v_cndmask_b32_e32 v9, 0, v9, vcc_lo
	v_cmp_lt_u32_e32 vcc_lo, 3, v8
	v_add_nc_u32_e32 v7, v7, v9
	s_delay_alu instid0(VALU_DEP_1) | instskip(NEXT) | instid1(VALU_DEP_1)
	v_mov_b32_dpp v9, v7 row_shr:4 row_mask:0xf bank_mask:0xf
	v_cndmask_b32_e32 v9, 0, v9, vcc_lo
	v_cmp_lt_u32_e32 vcc_lo, 7, v8
	s_delay_alu instid0(VALU_DEP_2) | instskip(NEXT) | instid1(VALU_DEP_1)
	v_add_nc_u32_e32 v7, v7, v9
	v_mov_b32_dpp v9, v7 row_shr:8 row_mask:0xf bank_mask:0xf
	s_delay_alu instid0(VALU_DEP_1) | instskip(NEXT) | instid1(VALU_DEP_1)
	v_cndmask_b32_e32 v8, 0, v9, vcc_lo
	v_add_nc_u32_e32 v7, v7, v8
	ds_swizzle_b32 v8, v7 offset:swizzle(BROADCAST,32,15)
	s_wait_dscnt 0x0
	v_dual_add_nc_u32 v9, -1, v2 :: v_dual_bitop2_b32 v8, v10, v8 bitop3:0x40
	s_delay_alu instid0(VALU_DEP_1) | instskip(NEXT) | instid1(VALU_DEP_2)
	v_cmp_gt_i32_e32 vcc_lo, 0, v9
	v_dual_add_nc_u32 v7, v7, v8 :: v_dual_cndmask_b32 v9, v9, v2, vcc_lo
	v_cmp_eq_u32_e32 vcc_lo, 0, v0
	s_delay_alu instid0(VALU_DEP_2) | instskip(SKIP_3) | instid1(VALU_DEP_1)
	v_lshlrev_b32_e32 v9, 2, v9
	ds_bpermute_b32 v7, v9, v7
	s_wait_dscnt 0x0
	v_add_nc_u32_e32 v6, v7, v6
	v_cndmask_b32_e32 v5, v6, v5, vcc_lo
	ds_store_b32 v14, v5
	; wave barrier
	ds_load_2addr_b32 v[6:7], v14 offset0:1 offset1:2
	ds_load_2addr_b32 v[8:9], v14 offset0:3 offset1:4
	;; [unrolled: 1-line block ×3, first 2 shown]
	ds_load_b32 v12, v14 offset:28
	s_wait_dscnt 0x3
	v_add_nc_u32_e32 v5, v6, v5
	s_delay_alu instid0(VALU_DEP_1) | instskip(SKIP_1) | instid1(VALU_DEP_1)
	v_add_nc_u32_e32 v6, v7, v5
	s_wait_dscnt 0x2
	v_add_nc_u32_e32 v7, v8, v6
	s_delay_alu instid0(VALU_DEP_1) | instskip(SKIP_1) | instid1(VALU_DEP_1)
	v_add_nc_u32_e32 v8, v9, v7
	s_wait_dscnt 0x1
	v_add_nc_u32_e32 v9, v10, v8
	s_delay_alu instid0(VALU_DEP_1) | instskip(SKIP_1) | instid1(VALU_DEP_1)
	v_add_nc_u32_e32 v10, v11, v9
	s_wait_dscnt 0x0
	v_add_nc_u32_e32 v11, v12, v10
	ds_store_2addr_b32 v14, v5, v6 offset0:1 offset1:2
	ds_store_2addr_b32 v14, v7, v8 offset0:3 offset1:4
	;; [unrolled: 1-line block ×3, first 2 shown]
	ds_store_b32 v14, v11 offset:28
.LBB93_21:
	s_or_b32 exec_lo, exec_lo, s4
	s_wait_dscnt 0x0
	s_barrier_signal -1
	s_barrier_wait -1
	ds_load_b32 v5, v4
	s_wait_dscnt 0x0
	s_barrier_signal -1
	s_barrier_wait -1
	s_and_saveexec_b32 s4, s2
; %bb.22:
	ds_store_b32 v1, v5 offset:1056
; %bb.23:
	s_or_b32 exec_lo, exec_lo, s4
	s_clause 0x1
	s_load_b256 s[4:11], s[0:1], 0x28
	s_load_b64 s[24:25], s[0:1], 0x48
	s_wait_dscnt 0x0
	s_barrier_signal -1
	s_barrier_wait -1
	s_and_saveexec_b32 s26, s2
	s_cbranch_execz .LBB93_32
; %bb.24:
	v_mov_b32_e32 v4, 0
	s_wait_xcnt 0x0
	s_mov_b32 s0, exec_lo
	v_cmpx_ne_u32_e32 0, v0
; %bb.25:
	ds_load_b32 v4, v1 offset:1052
; %bb.26:
	s_or_b32 exec_lo, exec_lo, s0
	s_wait_dscnt 0x0
	s_wait_kmcnt 0x0
	v_cmp_gt_u32_e32 vcc_lo, s19, v4
	v_cmp_le_u32_e64 s0, s19, v5
	s_and_b32 s0, vcc_lo, s0
	s_delay_alu instid0(SALU_CYCLE_1)
	s_and_b32 exec_lo, exec_lo, s0
	s_cbranch_execz .LBB93_32
; %bb.27:
	v_dual_mov_b32 v6, 0 :: v_dual_lshlrev_b32 v7, s17, v0
	s_lshl_b64 s[0:1], s[22:23], 2
	s_lshl_b32 s2, 0xff, s17
	s_add_nc_u64 s[12:13], s[12:13], s[0:1]
	global_load_b32 v5, v6, s[12:13]
	s_wait_loadcnt 0x0
	v_bitop3_b32 v5, v5, v7, s2 bitop3:0xdc
	s_mul_i32 s2, s22, s16
	s_delay_alu instid0(SALU_CYCLE_1)
	s_cmp_lg_u32 s20, s2
	ds_store_b32 v6, v5 offset:2112
	s_cbranch_scc1 .LBB93_32
; %bb.28:
	s_add_nc_u64 s[10:11], s[10:11], s[0:1]
	s_cmp_lt_i32 s17, 1
	s_mov_b32 s2, -1
	global_store_b32 v6, v5, s[10:11]
	s_cbranch_scc0 .LBB93_30
; %bb.29:
	s_wait_xcnt 0x0
	v_and_b32_e32 v6, 0x8000, v5
	v_mov_b32_e32 v7, 0xffff
	s_lshl_b64 s[10:11], s[22:23], 1
	s_mov_b32 s2, 0
	s_add_nc_u64 s[6:7], s[6:7], s[10:11]
	v_cmp_eq_u32_e32 vcc_lo, 0, v6
	v_cndmask_b32_e32 v6, 0x8000, v7, vcc_lo
	s_delay_alu instid0(VALU_DEP_1)
	v_dual_mov_b32 v6, 0 :: v_dual_bitop2_b32 v5, v6, v5 bitop3:0x14
	global_store_b16 v6, v5, s[6:7]
.LBB93_30:
	s_and_not1_b32 vcc_lo, exec_lo, s2
	s_cbranch_vccnz .LBB93_32
; %bb.31:
	s_wait_xcnt 0x0
	v_dual_mov_b32 v5, 0 :: v_dual_sub_nc_u32 v4, s19, v4
	s_add_nc_u64 s[0:1], s[8:9], s[0:1]
	global_store_b32 v5, v4, s[0:1]
.LBB93_32:
	s_wait_xcnt 0x0
	s_or_b32 exec_lo, exec_lo, s26
	v_mov_b32_e32 v4, 0
	s_wait_storecnt_dscnt 0x0
	s_barrier_signal -1
	s_barrier_wait -1
	ds_load_b32 v4, v4 offset:2112
	s_bitcmp0_b32 s18, 0
	s_mov_b32 s0, 0
	s_wait_dscnt 0x0
	v_lshrrev_b32_e32 v4, s17, v4
	s_delay_alu instid0(VALU_DEP_1)
	v_and_b32_e32 v4, 0xff, v4
	s_cbranch_scc0 .LBB93_34
; %bb.33:
	v_and_b32_e32 v5, 0xe0, v0
	s_delay_alu instid0(VALU_DEP_2) | instskip(NEXT) | instid1(VALU_DEP_2)
	v_cmp_lt_u32_e64 s1, v0, v4
	v_cmp_lt_u32_e64 s2, v5, v4
	s_and_not1_b32 vcc_lo, exec_lo, s0
	s_cbranch_vccz .LBB93_35
	s_branch .LBB93_36
.LBB93_34:
                                        ; implicit-def: $sgpr1
                                        ; implicit-def: $sgpr2
.LBB93_35:
	v_or_b32_e32 v5, 31, v0
	s_delay_alu instid0(VALU_DEP_2) | instskip(SKIP_2) | instid1(VALU_DEP_2)
	v_cmp_gt_u32_e32 vcc_lo, v0, v4
	s_and_not1_b32 s1, s1, exec_lo
	s_and_not1_b32 s2, s2, exec_lo
	v_cmp_gt_u32_e64 s0, v5, v4
	s_wait_kmcnt 0x0
	s_and_b32 s6, vcc_lo, exec_lo
	s_delay_alu instid0(SALU_CYCLE_1) | instskip(SKIP_1) | instid1(SALU_CYCLE_1)
	s_or_b32 s1, s1, s6
	s_and_b32 s0, s0, exec_lo
	s_or_b32 s2, s2, s0
.LBB93_36:
	v_mov_b32_e32 v4, 0
	s_and_saveexec_b32 s0, s2
	s_cbranch_execz .LBB93_40
; %bb.37:
	v_mov_b32_e32 v4, 0
	s_and_saveexec_b32 s2, s1
	s_cbranch_execz .LBB93_39
; %bb.38:
	s_wait_kmcnt 0x0
	s_lshl_b32 s6, s20, 8
	s_mov_b32 s7, 0
	s_delay_alu instid0(SALU_CYCLE_1) | instskip(NEXT) | instid1(SALU_CYCLE_1)
	s_lshl_b64 s[6:7], s[6:7], 1
	s_add_nc_u64 s[6:7], s[14:15], s[6:7]
	global_load_i16 v4, v0, s[6:7] scale_offset
.LBB93_39:
	s_wait_xcnt 0x0
	s_or_b32 exec_lo, exec_lo, s2
	v_lshl_or_b32 v5, v2, 2, 64
	v_cmp_gt_u32_e32 vcc_lo, 24, v2
	s_wait_loadcnt 0x0
	ds_bpermute_b32 v5, v5, v4
	v_cndmask_b32_e64 v6, 0, 8, vcc_lo
	v_cmp_gt_u32_e32 vcc_lo, 28, v2
	s_delay_alu instid0(VALU_DEP_2)
	v_add_lshl_u32 v6, v6, v2, 2
	s_wait_dscnt 0x0
	v_add_nc_u32_e32 v4, v5, v4
	ds_bpermute_b32 v5, v6, v4
	v_cndmask_b32_e64 v6, 0, 4, vcc_lo
	v_cmp_gt_u32_e32 vcc_lo, 30, v2
	s_delay_alu instid0(VALU_DEP_2)
	v_add_lshl_u32 v6, v6, v2, 2
	s_wait_dscnt 0x0
	v_add_nc_u32_e32 v4, v5, v4
	ds_bpermute_b32 v5, v6, v4
	v_cndmask_b32_e64 v6, 0, 2, vcc_lo
	v_cmp_ne_u32_e32 vcc_lo, 31, v2
	s_delay_alu instid0(VALU_DEP_2)
	v_add_lshl_u32 v6, v6, v2, 2
	s_wait_dscnt 0x0
	v_add_nc_u32_e32 v4, v5, v4
	ds_bpermute_b32 v5, v6, v4
	v_add_co_ci_u32_e64 v6, null, 0, v2, vcc_lo
	s_wait_dscnt 0x0
	s_delay_alu instid0(VALU_DEP_1)
	v_dual_add_nc_u32 v4, v5, v4 :: v_dual_lshlrev_b32 v5, 2, v6
	ds_bpermute_b32 v5, v5, v4
	s_wait_dscnt 0x0
	v_add_nc_u32_e32 v4, v5, v4
.LBB93_40:
	s_or_b32 exec_lo, exec_lo, s0
	v_and_b32_e32 v5, 31, v0
	s_mov_b32 s0, exec_lo
	s_delay_alu instid0(VALU_DEP_1)
	v_cmpx_eq_u32_e32 0, v5
; %bb.41:
	v_lshlrev_b32_e32 v3, 2, v3
	ds_store_b32 v3, v4 offset:2080
; %bb.42:
	s_or_b32 exec_lo, exec_lo, s0
	s_wait_dscnt 0x0
	s_barrier_signal -1
	s_barrier_wait -1
	s_and_saveexec_b32 s0, s3
	s_cbranch_execz .LBB93_49
; %bb.43:
	v_mov_b32_e32 v3, 0
	s_mov_b32 s0, exec_lo
	v_cmpx_gt_u32_e32 8, v0
; %bb.44:
	ds_load_b32 v3, v1 offset:2080
; %bb.45:
	s_or_b32 exec_lo, exec_lo, s0
	v_cmp_gt_u32_e32 vcc_lo, 28, v2
	s_mov_b32 s0, exec_lo
	v_cndmask_b32_e64 v1, 0, 4, vcc_lo
	v_cmp_gt_u32_e32 vcc_lo, 30, v2
	s_delay_alu instid0(VALU_DEP_2)
	v_add_lshl_u32 v1, v1, v2, 2
	v_cndmask_b32_e64 v4, 0, 2, vcc_lo
	v_cmp_ne_u32_e32 vcc_lo, 31, v2
	s_wait_dscnt 0x0
	ds_bpermute_b32 v1, v1, v3
	v_add_lshl_u32 v4, v4, v2, 2
	v_add_co_ci_u32_e64 v2, null, 0, v2, vcc_lo
	s_wait_dscnt 0x0
	s_delay_alu instid0(VALU_DEP_1)
	v_dual_lshlrev_b32 v2, 2, v2 :: v_dual_add_nc_u32 v1, v1, v3
	ds_bpermute_b32 v3, v4, v1
	s_wait_dscnt 0x0
	v_add_nc_u32_e32 v1, v3, v1
	ds_bpermute_b32 v2, v2, v1
	v_cmpx_eq_u32_e32 0, v0
	s_cbranch_execz .LBB93_47
; %bb.46:
	v_mov_b32_e32 v3, 0
	s_lshl_b64 s[2:3], s[20:21], 2
	s_wait_kmcnt 0x0
	s_add_nc_u64 s[2:3], s[4:5], s[2:3]
	global_load_b32 v4, v3, s[2:3]
	s_wait_loadcnt_dscnt 0x0
	v_add3_u32 v1, v2, v1, v4
	global_store_b32 v3, v1, s[2:3]
.LBB93_47:
	s_wait_xcnt 0x0
	s_or_b32 exec_lo, exec_lo, s0
	v_or_b32_e32 v0, s17, v0
	s_delay_alu instid0(VALU_DEP_1)
	v_cmp_eq_u32_e32 vcc_lo, 0, v0
	s_and_b32 exec_lo, exec_lo, vcc_lo
	s_cbranch_execz .LBB93_49
; %bb.48:
	v_mov_b32_e32 v0, 0
	s_lshl_b32 s0, s20, 8
	s_mov_b32 s1, 0
	s_delay_alu instid0(SALU_CYCLE_1)
	s_lshl_b64 s[0:1], s[0:1], 1
	ds_load_b32 v1, v0 offset:2112
	s_add_nc_u64 s[0:1], s[14:15], s[0:1]
	s_wait_dscnt 0x0
	v_and_b32_e32 v1, 0xff, v1
	global_load_i16 v1, v1, s[0:1] scale_offset
	s_wait_xcnt 0x0
	s_lshl_b64 s[0:1], s[20:21], 2
	s_wait_kmcnt 0x0
	s_add_nc_u64 s[0:1], s[24:25], s[0:1]
	s_wait_loadcnt 0x0
	global_store_b32 v0, v1, s[0:1]
.LBB93_49:
	s_endpgm
.LBB93_50:
	s_cbranch_execnz .LBB93_15
	s_branch .LBB93_16
	.section	.rodata,"a",@progbits
	.p2align	6, 0x0
	.amdhsa_kernel _ZN2at6native6mbtopk29computeBlockwiseWithinKCountsIjN3c104HalfEEEvPT_PsPjjibS8_PT0_S8_S6_S8_j
		.amdhsa_group_segment_fixed_size 2116
		.amdhsa_private_segment_fixed_size 0
		.amdhsa_kernarg_size 344
		.amdhsa_user_sgpr_count 2
		.amdhsa_user_sgpr_dispatch_ptr 0
		.amdhsa_user_sgpr_queue_ptr 0
		.amdhsa_user_sgpr_kernarg_segment_ptr 1
		.amdhsa_user_sgpr_dispatch_id 0
		.amdhsa_user_sgpr_kernarg_preload_length 0
		.amdhsa_user_sgpr_kernarg_preload_offset 0
		.amdhsa_user_sgpr_private_segment_size 0
		.amdhsa_wavefront_size32 1
		.amdhsa_uses_dynamic_stack 0
		.amdhsa_enable_private_segment 0
		.amdhsa_system_sgpr_workgroup_id_x 1
		.amdhsa_system_sgpr_workgroup_id_y 1
		.amdhsa_system_sgpr_workgroup_id_z 1
		.amdhsa_system_sgpr_workgroup_info 0
		.amdhsa_system_vgpr_workitem_id 0
		.amdhsa_next_free_vgpr 15
		.amdhsa_next_free_sgpr 27
		.amdhsa_named_barrier_count 0
		.amdhsa_reserve_vcc 1
		.amdhsa_float_round_mode_32 0
		.amdhsa_float_round_mode_16_64 0
		.amdhsa_float_denorm_mode_32 3
		.amdhsa_float_denorm_mode_16_64 3
		.amdhsa_fp16_overflow 0
		.amdhsa_memory_ordered 1
		.amdhsa_forward_progress 1
		.amdhsa_inst_pref_size 22
		.amdhsa_round_robin_scheduling 0
		.amdhsa_exception_fp_ieee_invalid_op 0
		.amdhsa_exception_fp_denorm_src 0
		.amdhsa_exception_fp_ieee_div_zero 0
		.amdhsa_exception_fp_ieee_overflow 0
		.amdhsa_exception_fp_ieee_underflow 0
		.amdhsa_exception_fp_ieee_inexact 0
		.amdhsa_exception_int_div_zero 0
	.end_amdhsa_kernel
	.section	.text._ZN2at6native6mbtopk29computeBlockwiseWithinKCountsIjN3c104HalfEEEvPT_PsPjjibS8_PT0_S8_S6_S8_j,"axG",@progbits,_ZN2at6native6mbtopk29computeBlockwiseWithinKCountsIjN3c104HalfEEEvPT_PsPjjibS8_PT0_S8_S6_S8_j,comdat
.Lfunc_end93:
	.size	_ZN2at6native6mbtopk29computeBlockwiseWithinKCountsIjN3c104HalfEEEvPT_PsPjjibS8_PT0_S8_S6_S8_j, .Lfunc_end93-_ZN2at6native6mbtopk29computeBlockwiseWithinKCountsIjN3c104HalfEEEvPT_PsPjjibS8_PT0_S8_S6_S8_j
                                        ; -- End function
	.set _ZN2at6native6mbtopk29computeBlockwiseWithinKCountsIjN3c104HalfEEEvPT_PsPjjibS8_PT0_S8_S6_S8_j.num_vgpr, 15
	.set _ZN2at6native6mbtopk29computeBlockwiseWithinKCountsIjN3c104HalfEEEvPT_PsPjjibS8_PT0_S8_S6_S8_j.num_agpr, 0
	.set _ZN2at6native6mbtopk29computeBlockwiseWithinKCountsIjN3c104HalfEEEvPT_PsPjjibS8_PT0_S8_S6_S8_j.numbered_sgpr, 27
	.set _ZN2at6native6mbtopk29computeBlockwiseWithinKCountsIjN3c104HalfEEEvPT_PsPjjibS8_PT0_S8_S6_S8_j.num_named_barrier, 0
	.set _ZN2at6native6mbtopk29computeBlockwiseWithinKCountsIjN3c104HalfEEEvPT_PsPjjibS8_PT0_S8_S6_S8_j.private_seg_size, 0
	.set _ZN2at6native6mbtopk29computeBlockwiseWithinKCountsIjN3c104HalfEEEvPT_PsPjjibS8_PT0_S8_S6_S8_j.uses_vcc, 1
	.set _ZN2at6native6mbtopk29computeBlockwiseWithinKCountsIjN3c104HalfEEEvPT_PsPjjibS8_PT0_S8_S6_S8_j.uses_flat_scratch, 0
	.set _ZN2at6native6mbtopk29computeBlockwiseWithinKCountsIjN3c104HalfEEEvPT_PsPjjibS8_PT0_S8_S6_S8_j.has_dyn_sized_stack, 0
	.set _ZN2at6native6mbtopk29computeBlockwiseWithinKCountsIjN3c104HalfEEEvPT_PsPjjibS8_PT0_S8_S6_S8_j.has_recursion, 0
	.set _ZN2at6native6mbtopk29computeBlockwiseWithinKCountsIjN3c104HalfEEEvPT_PsPjjibS8_PT0_S8_S6_S8_j.has_indirect_call, 0
	.section	.AMDGPU.csdata,"",@progbits
; Kernel info:
; codeLenInByte = 2736
; TotalNumSgprs: 29
; NumVgprs: 15
; ScratchSize: 0
; MemoryBound: 0
; FloatMode: 240
; IeeeMode: 1
; LDSByteSize: 2116 bytes/workgroup (compile time only)
; SGPRBlocks: 0
; VGPRBlocks: 0
; NumSGPRsForWavesPerEU: 29
; NumVGPRsForWavesPerEU: 15
; NamedBarCnt: 0
; Occupancy: 16
; WaveLimiterHint : 1
; COMPUTE_PGM_RSRC2:SCRATCH_EN: 0
; COMPUTE_PGM_RSRC2:USER_SGPR: 2
; COMPUTE_PGM_RSRC2:TRAP_HANDLER: 0
; COMPUTE_PGM_RSRC2:TGID_X_EN: 1
; COMPUTE_PGM_RSRC2:TGID_Y_EN: 1
; COMPUTE_PGM_RSRC2:TGID_Z_EN: 1
; COMPUTE_PGM_RSRC2:TIDIG_COMP_CNT: 0
	.section	.text._ZN2at6native6mbtopk10gatherTopKIN3c104HalfEjLi1EEEvNS_4cuda6detail10TensorInfoIKT_T0_EESA_SA_bjSA_NS7_IS8_SA_EESA_NS7_IlSA_EESA_jjPS8_PjSF_j,"axG",@progbits,_ZN2at6native6mbtopk10gatherTopKIN3c104HalfEjLi1EEEvNS_4cuda6detail10TensorInfoIKT_T0_EESA_SA_bjSA_NS7_IS8_SA_EESA_NS7_IlSA_EESA_jjPS8_PjSF_j,comdat
	.protected	_ZN2at6native6mbtopk10gatherTopKIN3c104HalfEjLi1EEEvNS_4cuda6detail10TensorInfoIKT_T0_EESA_SA_bjSA_NS7_IS8_SA_EESA_NS7_IlSA_EESA_jjPS8_PjSF_j ; -- Begin function _ZN2at6native6mbtopk10gatherTopKIN3c104HalfEjLi1EEEvNS_4cuda6detail10TensorInfoIKT_T0_EESA_SA_bjSA_NS7_IS8_SA_EESA_NS7_IlSA_EESA_jjPS8_PjSF_j
	.globl	_ZN2at6native6mbtopk10gatherTopKIN3c104HalfEjLi1EEEvNS_4cuda6detail10TensorInfoIKT_T0_EESA_SA_bjSA_NS7_IS8_SA_EESA_NS7_IlSA_EESA_jjPS8_PjSF_j
	.p2align	8
	.type	_ZN2at6native6mbtopk10gatherTopKIN3c104HalfEjLi1EEEvNS_4cuda6detail10TensorInfoIKT_T0_EESA_SA_bjSA_NS7_IS8_SA_EESA_NS7_IlSA_EESA_jjPS8_PjSF_j,@function
_ZN2at6native6mbtopk10gatherTopKIN3c104HalfEjLi1EEEvNS_4cuda6detail10TensorInfoIKT_T0_EESA_SA_bjSA_NS7_IS8_SA_EESA_NS7_IlSA_EESA_jjPS8_PjSF_j: ; @_ZN2at6native6mbtopk10gatherTopKIN3c104HalfEjLi1EEEvNS_4cuda6detail10TensorInfoIKT_T0_EESA_SA_bjSA_NS7_IS8_SA_EESA_NS7_IlSA_EESA_jjPS8_PjSF_j
; %bb.0:
	s_bfe_u32 s2, ttmp6, 0x40010
	s_and_b32 s4, ttmp7, 0xffff
	s_add_co_i32 s5, s2, 1
	s_clause 0x1
	s_load_b32 s6, s[0:1], 0x2d0
	s_load_b64 s[2:3], s[0:1], 0x2d8
	s_bfe_u32 s8, ttmp6, 0x4000c
	s_mul_i32 s5, s4, s5
	s_bfe_u32 s7, ttmp6, 0x40004
	s_add_co_i32 s8, s8, 1
	s_bfe_u32 s9, ttmp6, 0x40014
	s_add_co_i32 s7, s7, s5
	s_and_b32 s5, ttmp6, 15
	s_mul_i32 s8, ttmp9, s8
	s_lshr_b32 s10, ttmp7, 16
	s_add_co_i32 s9, s9, 1
	s_add_co_i32 s5, s5, s8
	s_mul_i32 s8, s10, s9
	s_bfe_u32 s9, ttmp6, 0x40008
	s_getreg_b32 s11, hwreg(HW_REG_IB_STS2, 6, 4)
	s_add_co_i32 s9, s9, s8
	s_cmp_eq_u32 s11, 0
	s_cselect_b32 s8, s10, s9
	s_cselect_b32 s4, s4, s7
	s_wait_kmcnt 0x0
	s_mul_i32 s3, s3, s8
	s_cselect_b32 s5, ttmp9, s5
	s_add_co_i32 s3, s3, s4
	s_delay_alu instid0(SALU_CYCLE_1) | instskip(NEXT) | instid1(SALU_CYCLE_1)
	s_mul_i32 s8, s3, s2
	s_add_co_i32 s8, s8, s5
	s_delay_alu instid0(SALU_CYCLE_1)
	s_cmp_ge_u32 s8, s6
	s_cbranch_scc1 .LBB94_40
; %bb.1:
	s_clause 0x1
	s_load_b96 s[12:14], s[0:1], 0x2a8
	s_load_b128 s[4:7], s[0:1], 0x2b8
	s_wait_kmcnt 0x0
	s_cvt_f32_u32 s2, s14
	s_sub_co_i32 s3, 0, s14
	s_delay_alu instid0(SALU_CYCLE_2) | instskip(SKIP_1) | instid1(TRANS32_DEP_1)
	v_rcp_iflag_f32_e32 v1, s2
	v_nop
	v_readfirstlane_b32 s2, v1
	s_mul_f32 s2, s2, 0x4f7ffffe
	s_delay_alu instid0(SALU_CYCLE_3) | instskip(NEXT) | instid1(SALU_CYCLE_3)
	s_cvt_u32_f32 s2, s2
	s_mul_i32 s3, s3, s2
	s_delay_alu instid0(SALU_CYCLE_1) | instskip(NEXT) | instid1(SALU_CYCLE_1)
	s_mul_hi_u32 s3, s2, s3
	s_add_co_i32 s2, s2, s3
	s_delay_alu instid0(SALU_CYCLE_1) | instskip(NEXT) | instid1(SALU_CYCLE_1)
	s_mul_hi_u32 s2, s8, s2
	s_mul_i32 s3, s2, s14
	s_add_co_i32 s9, s2, 1
	s_sub_co_i32 s3, s8, s3
	s_delay_alu instid0(SALU_CYCLE_1)
	s_sub_co_i32 s10, s3, s14
	s_cmp_ge_u32 s3, s14
	s_cselect_b32 s2, s9, s2
	s_cselect_b32 s3, s10, s3
	s_add_co_i32 s9, s2, 1
	s_cmp_ge_u32 s3, s14
	v_cmp_eq_u32_e64 s3, 0, v0
	s_cselect_b32 s24, s9, s2
	v_cmp_ne_u32_e64 s2, 0, v0
	v_mov_b32_e32 v1, s24
	global_load_u16 v1, v1, s[4:5] scale_offset
	s_wait_xcnt 0x0
	s_mul_i32 s4, s24, s14
	s_delay_alu instid0(SALU_CYCLE_1)
	s_sub_co_i32 s25, s8, s4
	s_wait_loadcnt 0x0
	v_readfirstlane_b32 s15, v1
	s_and_saveexec_b32 s26, s3
	s_cbranch_execz .LBB94_17
; %bb.2:
	s_load_b64 s[18:19], s[0:1], 0x2c8
	s_mov_b32 s5, 0
	s_delay_alu instid0(SALU_CYCLE_1)
	s_lshl_b64 s[20:21], s[4:5], 2
	s_cmp_lt_u32 s14, 4
	s_cbranch_scc1 .LBB94_14
; %bb.3:
	s_mov_b64 s[16:17], 0
	s_mov_b32 s4, 0
.LBB94_4:                               ; =>This Inner Loop Header: Depth=1
	s_add_nc_u64 s[22:23], s[6:7], s[20:21]
	s_cmp_ge_u32 s4, s25
	s_load_b128 s[8:11], s[22:23], 0x0
	s_wait_kmcnt 0x0
	s_add_nc_u64 s[22:23], s[18:19], s[20:21]
	s_cbranch_scc0 .LBB94_11
; %bb.5:                                ;   in Loop: Header=BB94_4 Depth=1
	s_add_co_i32 s27, s4, 1
	s_delay_alu instid0(SALU_CYCLE_1)
	s_cmp_ge_u32 s27, s25
	s_cbranch_scc0 .LBB94_12
.LBB94_6:                               ;   in Loop: Header=BB94_4 Depth=1
	s_add_co_i32 s27, s27, 1
	s_delay_alu instid0(SALU_CYCLE_1)
	s_cmp_ge_u32 s27, s25
	s_cbranch_scc0 .LBB94_13
.LBB94_7:                               ;   in Loop: Header=BB94_4 Depth=1
	s_add_co_i32 s27, s27, 1
	s_delay_alu instid0(SALU_CYCLE_1)
	s_cmp_ge_u32 s27, s25
	s_cbranch_scc1 .LBB94_9
.LBB94_8:                               ;   in Loop: Header=BB94_4 Depth=1
	s_load_b32 s22, s[22:23], 0xc
	s_add_co_i32 s17, s11, s17
	s_wait_kmcnt 0x0
	s_add_co_i32 s16, s22, s16
.LBB94_9:                               ;   in Loop: Header=BB94_4 Depth=1
	s_add_co_i32 s5, s8, s5
	s_add_co_i32 s8, s27, 1
	;; [unrolled: 1-line block ×5, first 2 shown]
	s_add_nc_u64 s[6:7], s[6:7], 16
	s_add_co_i32 s5, s5, s11
	s_cmp_ge_u32 s9, s14
	s_add_nc_u64 s[18:19], s[18:19], 16
	s_cbranch_scc1 .LBB94_15
; %bb.10:                               ;   in Loop: Header=BB94_4 Depth=1
	s_mov_b32 s4, s8
	s_branch .LBB94_4
.LBB94_11:                              ;   in Loop: Header=BB94_4 Depth=1
	s_load_b32 s27, s[22:23], 0x0
	s_add_co_i32 s17, s8, s17
	s_wait_kmcnt 0x0
	s_add_co_i32 s16, s27, s16
	s_add_co_i32 s27, s4, 1
	s_delay_alu instid0(SALU_CYCLE_1)
	s_cmp_ge_u32 s27, s25
	s_cbranch_scc1 .LBB94_6
.LBB94_12:                              ;   in Loop: Header=BB94_4 Depth=1
	s_load_b32 s28, s[22:23], 0x4
	s_add_co_i32 s17, s9, s17
	s_wait_kmcnt 0x0
	s_add_co_i32 s16, s28, s16
	s_add_co_i32 s27, s27, 1
	s_delay_alu instid0(SALU_CYCLE_1)
	s_cmp_ge_u32 s27, s25
	s_cbranch_scc1 .LBB94_7
.LBB94_13:                              ;   in Loop: Header=BB94_4 Depth=1
	s_load_b32 s28, s[22:23], 0x8
	s_add_co_i32 s17, s10, s17
	s_wait_kmcnt 0x0
	s_add_co_i32 s16, s28, s16
	s_add_co_i32 s27, s27, 1
	s_delay_alu instid0(SALU_CYCLE_1)
	s_cmp_ge_u32 s27, s25
	s_cbranch_scc0 .LBB94_8
	s_branch .LBB94_9
.LBB94_14:
	s_mov_b64 s[16:17], 0
	s_add_nc_u64 s[6:7], s[6:7], s[20:21]
	s_wait_kmcnt 0x0
	s_add_nc_u64 s[8:9], s[18:19], s[20:21]
	s_mov_b32 s4, 0
	s_delay_alu instid0(SALU_CYCLE_1)
	s_cmp_ge_u32 s4, s14
	s_cbranch_scc0 .LBB94_38
	s_branch .LBB94_16
.LBB94_15:
	s_add_co_i32 s4, s4, 4
	s_add_nc_u64 s[8:9], s[18:19], s[20:21]
	s_add_nc_u64 s[6:7], s[6:7], s[20:21]
	s_cmp_ge_u32 s4, s14
	s_cbranch_scc0 .LBB94_38
.LBB94_16:
	v_dual_mov_b32 v2, s16 :: v_dual_mov_b32 v3, s5
	v_dual_mov_b32 v4, s17 :: v_dual_mov_b32 v1, 0
	ds_store_b96 v1, v[2:4] offset:1056
.LBB94_17:
	s_or_b32 exec_lo, exec_lo, s26
	s_clause 0x6
	s_load_b32 s20, s[0:1], 0x23c
	s_load_b64 s[16:17], s[0:1], 0x1d0
	s_load_b32 s21, s[0:1], 0x15c
	s_load_b64 s[10:11], s[0:1], 0xf0
	;; [unrolled: 2-line block ×3, first 2 shown]
	s_load_b96 s[4:6], s[0:1], 0xd8
	s_mul_i32 s7, s13, s25
	s_mov_b32 s19, 0
	s_lshl_b32 s7, s7, 8
	s_add_co_i32 s25, s25, 1
	s_wait_dscnt 0x0
	s_barrier_signal -1
	s_barrier_wait -1
	s_wait_kmcnt 0x0
	s_sub_co_i32 s18, s4, s7
	s_delay_alu instid0(SALU_CYCLE_1) | instskip(NEXT) | instid1(SALU_CYCLE_1)
	s_add_nc_u64 s[26:27], s[18:19], 0xff
	s_lshr_b64 s[26:27], s[26:27], 8
	s_cmp_lt_u32 s25, s14
	s_cselect_b32 s13, s13, s26
	s_delay_alu instid0(SALU_CYCLE_1)
	s_cmp_eq_u32 s13, 0
	s_cbranch_scc1 .LBB94_40
; %bb.18:
	v_dual_mov_b32 v7, 0 :: v_dual_lshrrev_b32 v1, 3, v0
	s_mul_i32 s18, s24, s22
	s_mul_i32 s22, s24, s21
	;; [unrolled: 1-line block ×3, first 2 shown]
	ds_load_b96 v[2:4], v7 offset:1056
	s_mov_b32 s21, s19
	s_mov_b32 s23, s19
	s_lshl_b64 s[24:25], s[18:19], 1
	s_lshl_b64 s[18:19], s[20:21], 3
	s_load_b32 s21, s[0:1], 0xe8
	s_sext_i32_i16 s14, s15
	s_lshl_b64 s[22:23], s[22:23], 1
	s_and_b32 s20, 0xffff, s15
	s_cmp_gt_i32 s14, -1
	s_mov_b32 s14, 0x8000
	v_dual_add_nc_u32 v5, -1, v0 :: v_dual_bitop2_b32 v6, 28, v1 bitop3:0x40
	s_cselect_b32 s14, s14, 0xffff
	v_and_b32_e32 v9, 0xfc, v0
	s_xor_b32 s14, s14, s20
	s_cmp_o_f16 s15, s15
	s_load_b32 s15, s[0:1], 0x1c8
	v_lshrrev_b32_e32 v8, 3, v5
	s_wait_xcnt 0x0
	v_cmp_gt_u32_e64 s0, 32, v0
	s_wait_dscnt 0x0
	v_add_nc_u32_e32 v1, v2, v3
	v_lshl_add_u32 v2, v0, 2, v6
	v_dual_add_nc_u32 v6, s7, v0 :: v_dual_lshlrev_b32 v10, 5, v0
	v_and_b32_e32 v8, 0x1ffffffc, v8
	v_mbcnt_lo_u32_b32 v3, -1, 0
	v_mov_b32_e32 v12, 0x8000
	s_wait_kmcnt 0x0
	v_mul_lo_u32 v0, s21, v6
	s_cselect_b32 s14, s14, 0xffff
	v_lshl_add_u32 v5, v5, 2, v8
	v_dual_add_nc_u32 v8, v9, v10 :: v_dual_bitop2_b32 v9, 15, v3 bitop3:0x40
	v_bfe_i32 v10, v3, 4, 1
	v_add_nc_u32_e32 v11, -1, v3
	s_bitcmp1_b32 s6, 0
	s_add_nc_u64 s[8:9], s[8:9], s[24:25]
	s_add_nc_u64 s[10:11], s[10:11], s[22:23]
	;; [unrolled: 1-line block ×3, first 2 shown]
	s_cselect_b32 s1, -1, 0
	s_lshl_b32 s16, s21, 8
                                        ; implicit-def: $vgpr13
	s_branch .LBB94_21
.LBB94_19:                              ;   in Loop: Header=BB94_21 Depth=1
	s_wait_xcnt 0x0
	s_or_b32 exec_lo, exec_lo, s17
	v_add_nc_u32_e32 v1, v16, v1
.LBB94_20:                              ;   in Loop: Header=BB94_21 Depth=1
	v_add_nc_u32_e32 v4, v15, v4
	v_add_nc_u32_e32 v0, s16, v0
	v_add_nc_u32_e32 v6, 0x100, v6
	s_add_co_i32 s13, s13, -1
	s_delay_alu instid0(SALU_CYCLE_1)
	s_cmp_lg_u32 s13, 0
	s_cbranch_scc0 .LBB94_40
.LBB94_21:                              ; =>This Inner Loop Header: Depth=1
	v_dual_mov_b32 v16, 0 :: v_dual_mov_b32 v14, 0
	s_mov_b32 s17, exec_lo
	v_cmpx_gt_u32_e64 s4, v6
	s_cbranch_execz .LBB94_23
; %bb.22:                               ;   in Loop: Header=BB94_21 Depth=1
	global_load_u16 v13, v0, s[8:9] scale_offset
	s_wait_loadcnt 0x0
	v_cmp_lt_i16_e32 vcc_lo, -1, v13
	v_and_b32_e32 v14, 0xffff, v13
	v_cndmask_b32_e32 v15, 0xffff, v12, vcc_lo
	v_cmp_o_f16_e32 vcc_lo, v13, v13
	s_delay_alu instid0(VALU_DEP_2) | instskip(NEXT) | instid1(VALU_DEP_1)
	v_xor_b32_e32 v14, v15, v14
	v_cndmask_b32_e32 v14, 0xffff, v14, vcc_lo
	s_delay_alu instid0(VALU_DEP_1) | instskip(SKIP_4) | instid1(VALU_DEP_2)
	v_cmp_lt_u32_e32 vcc_lo, s14, v14
	v_cndmask_b32_e64 v15, 0, 1, vcc_lo
	v_cmp_gt_u32_e32 vcc_lo, s14, v14
	v_cndmask_b32_e64 v16, 0, 1, vcc_lo
	v_cmp_eq_u32_e32 vcc_lo, s14, v14
	v_cndmask_b32_e64 v15, v16, v15, s1
	v_cndmask_b32_e64 v14, 0, 1, vcc_lo
	s_delay_alu instid0(VALU_DEP_2)
	v_and_b32_e32 v16, 1, v15
.LBB94_23:                              ;   in Loop: Header=BB94_21 Depth=1
	s_wait_xcnt 0x0
	s_or_b32 exec_lo, exec_lo, s17
	ds_store_b32 v2, v16
	s_wait_dscnt 0x0
	s_barrier_signal -1
	s_barrier_wait -1
	s_and_saveexec_b32 s17, s0
	s_cbranch_execz .LBB94_25
; %bb.24:                               ;   in Loop: Header=BB94_21 Depth=1
	ds_load_2addr_b32 v[18:19], v8 offset1:1
	ds_load_2addr_b32 v[20:21], v8 offset0:2 offset1:3
	ds_load_2addr_b32 v[22:23], v8 offset0:4 offset1:5
	;; [unrolled: 1-line block ×3, first 2 shown]
	v_cmp_ne_u32_e32 vcc_lo, 0, v9
	; wave barrier
	s_wait_dscnt 0x3
	v_add_nc_u32_e32 v15, v19, v18
	s_wait_dscnt 0x2
	s_delay_alu instid0(VALU_DEP_1) | instskip(SKIP_1) | instid1(VALU_DEP_1)
	v_add3_u32 v15, v15, v20, v21
	s_wait_dscnt 0x1
	v_add3_u32 v15, v15, v22, v23
	s_wait_dscnt 0x0
	s_delay_alu instid0(VALU_DEP_1) | instskip(NEXT) | instid1(VALU_DEP_1)
	v_add3_u32 v15, v15, v24, v25
	v_mov_b32_dpp v17, v15 row_shr:1 row_mask:0xf bank_mask:0xf
	s_delay_alu instid0(VALU_DEP_1) | instskip(SKIP_1) | instid1(VALU_DEP_2)
	v_cndmask_b32_e32 v17, 0, v17, vcc_lo
	v_cmp_lt_u32_e32 vcc_lo, 1, v9
	v_add_nc_u32_e32 v15, v17, v15
	s_delay_alu instid0(VALU_DEP_1) | instskip(NEXT) | instid1(VALU_DEP_1)
	v_mov_b32_dpp v17, v15 row_shr:2 row_mask:0xf bank_mask:0xf
	v_cndmask_b32_e32 v17, 0, v17, vcc_lo
	v_cmp_lt_u32_e32 vcc_lo, 3, v9
	s_delay_alu instid0(VALU_DEP_2) | instskip(NEXT) | instid1(VALU_DEP_1)
	v_add_nc_u32_e32 v15, v15, v17
	v_mov_b32_dpp v17, v15 row_shr:4 row_mask:0xf bank_mask:0xf
	s_delay_alu instid0(VALU_DEP_1) | instskip(SKIP_1) | instid1(VALU_DEP_2)
	v_cndmask_b32_e32 v17, 0, v17, vcc_lo
	v_cmp_lt_u32_e32 vcc_lo, 7, v9
	v_add_nc_u32_e32 v15, v15, v17
	s_delay_alu instid0(VALU_DEP_1) | instskip(NEXT) | instid1(VALU_DEP_1)
	v_mov_b32_dpp v17, v15 row_shr:8 row_mask:0xf bank_mask:0xf
	v_cndmask_b32_e32 v17, 0, v17, vcc_lo
	v_cmp_gt_i32_e32 vcc_lo, 0, v11
	s_delay_alu instid0(VALU_DEP_2) | instskip(SKIP_4) | instid1(VALU_DEP_1)
	v_add_nc_u32_e32 v15, v15, v17
	v_cndmask_b32_e32 v19, v11, v3, vcc_lo
	ds_swizzle_b32 v17, v15 offset:swizzle(BROADCAST,32,15)
	s_wait_dscnt 0x0
	v_dual_lshlrev_b32 v19, 2, v19 :: v_dual_bitop2_b32 v17, v10, v17 bitop3:0x40
	v_add_nc_u32_e32 v15, v15, v17
	ds_bpermute_b32 v15, v19, v15
	s_wait_dscnt 0x0
	v_add_nc_u32_e32 v15, v15, v18
	s_delay_alu instid0(VALU_DEP_1)
	v_cndmask_b32_e64 v15, v15, v16, s3
	ds_store_b32 v8, v15
	; wave barrier
	ds_load_2addr_b32 v[18:19], v8 offset0:1 offset1:2
	ds_load_2addr_b32 v[20:21], v8 offset0:3 offset1:4
	;; [unrolled: 1-line block ×3, first 2 shown]
	ds_load_b32 v17, v8 offset:28
	s_wait_dscnt 0x3
	v_add_nc_u32_e32 v15, v18, v15
	s_delay_alu instid0(VALU_DEP_1) | instskip(SKIP_1) | instid1(VALU_DEP_1)
	v_add_nc_u32_e32 v18, v19, v15
	s_wait_dscnt 0x2
	v_add_nc_u32_e32 v19, v20, v18
	s_delay_alu instid0(VALU_DEP_1) | instskip(SKIP_1) | instid1(VALU_DEP_1)
	v_add_nc_u32_e32 v20, v21, v19
	;; [unrolled: 4-line block ×3, first 2 shown]
	s_wait_dscnt 0x0
	v_add_nc_u32_e32 v17, v17, v22
	ds_store_2addr_b32 v8, v15, v18 offset0:1 offset1:2
	ds_store_2addr_b32 v8, v19, v20 offset0:3 offset1:4
	;; [unrolled: 1-line block ×3, first 2 shown]
	ds_store_b32 v8, v17 offset:28
.LBB94_25:                              ;   in Loop: Header=BB94_21 Depth=1
	s_or_b32 exec_lo, exec_lo, s17
	v_mov_b32_e32 v17, 0
	s_wait_dscnt 0x0
	s_barrier_signal -1
	s_barrier_wait -1
	s_and_saveexec_b32 s17, s2
; %bb.26:                               ;   in Loop: Header=BB94_21 Depth=1
	ds_load_b32 v17, v5
; %bb.27:                               ;   in Loop: Header=BB94_21 Depth=1
	s_or_b32 exec_lo, exec_lo, s17
	ds_load_b32 v15, v7 offset:1048
	s_mov_b32 s17, exec_lo
	s_wait_dscnt 0x0
	s_barrier_signal -1
	s_barrier_wait -1
	v_cmpx_ne_u32_e32 0, v16
	s_cbranch_execz .LBB94_29
; %bb.28:                               ;   in Loop: Header=BB94_21 Depth=1
	v_add_nc_u32_e32 v16, v17, v4
	s_delay_alu instid0(VALU_DEP_1)
	v_mul_lo_u32 v17, v16, s15
	v_mul_lo_u32 v16, v16, s12
	global_store_b16 v17, v13, s[10:11] scale_offset
	global_store_b64 v16, v[6:7], s[6:7] scale_offset
.LBB94_29:                              ;   in Loop: Header=BB94_21 Depth=1
	s_wait_xcnt 0x0
	s_or_b32 exec_lo, exec_lo, s17
	v_cmp_le_u32_e32 vcc_lo, s5, v1
	s_cbranch_vccnz .LBB94_20
; %bb.30:                               ;   in Loop: Header=BB94_21 Depth=1
	ds_store_b32 v2, v14
	s_wait_storecnt_dscnt 0x0
	s_barrier_signal -1
	s_barrier_wait -1
	s_and_saveexec_b32 s17, s0
	s_cbranch_execz .LBB94_32
; %bb.31:                               ;   in Loop: Header=BB94_21 Depth=1
	ds_load_2addr_b32 v[16:17], v8 offset1:1
	ds_load_2addr_b32 v[18:19], v8 offset0:2 offset1:3
	ds_load_2addr_b32 v[20:21], v8 offset0:4 offset1:5
	ds_load_2addr_b32 v[22:23], v8 offset0:6 offset1:7
	v_cmp_ne_u32_e32 vcc_lo, 0, v9
	; wave barrier
	s_wait_dscnt 0x3
	v_add_nc_u32_e32 v17, v17, v16
	s_wait_dscnt 0x2
	s_delay_alu instid0(VALU_DEP_1) | instskip(SKIP_1) | instid1(VALU_DEP_1)
	v_add3_u32 v17, v17, v18, v19
	s_wait_dscnt 0x1
	v_add3_u32 v17, v17, v20, v21
	s_wait_dscnt 0x0
	s_delay_alu instid0(VALU_DEP_1) | instskip(NEXT) | instid1(VALU_DEP_1)
	v_add3_u32 v17, v17, v22, v23
	v_mov_b32_dpp v18, v17 row_shr:1 row_mask:0xf bank_mask:0xf
	s_delay_alu instid0(VALU_DEP_1) | instskip(SKIP_1) | instid1(VALU_DEP_2)
	v_cndmask_b32_e32 v18, 0, v18, vcc_lo
	v_cmp_lt_u32_e32 vcc_lo, 1, v9
	v_add_nc_u32_e32 v17, v18, v17
	s_delay_alu instid0(VALU_DEP_1) | instskip(NEXT) | instid1(VALU_DEP_1)
	v_mov_b32_dpp v18, v17 row_shr:2 row_mask:0xf bank_mask:0xf
	v_cndmask_b32_e32 v18, 0, v18, vcc_lo
	v_cmp_lt_u32_e32 vcc_lo, 3, v9
	s_delay_alu instid0(VALU_DEP_2) | instskip(NEXT) | instid1(VALU_DEP_1)
	v_add_nc_u32_e32 v17, v17, v18
	v_mov_b32_dpp v18, v17 row_shr:4 row_mask:0xf bank_mask:0xf
	s_delay_alu instid0(VALU_DEP_1) | instskip(SKIP_1) | instid1(VALU_DEP_2)
	v_cndmask_b32_e32 v18, 0, v18, vcc_lo
	v_cmp_lt_u32_e32 vcc_lo, 7, v9
	v_add_nc_u32_e32 v17, v17, v18
	s_delay_alu instid0(VALU_DEP_1) | instskip(NEXT) | instid1(VALU_DEP_1)
	v_mov_b32_dpp v18, v17 row_shr:8 row_mask:0xf bank_mask:0xf
	v_cndmask_b32_e32 v18, 0, v18, vcc_lo
	v_cmp_gt_i32_e32 vcc_lo, 0, v11
	s_delay_alu instid0(VALU_DEP_2) | instskip(SKIP_3) | instid1(VALU_DEP_1)
	v_dual_add_nc_u32 v17, v17, v18 :: v_dual_cndmask_b32 v19, v11, v3, vcc_lo
	ds_swizzle_b32 v18, v17 offset:swizzle(BROADCAST,32,15)
	s_wait_dscnt 0x0
	v_dual_lshlrev_b32 v19, 2, v19 :: v_dual_bitop2_b32 v18, v10, v18 bitop3:0x40
	v_add_nc_u32_e32 v17, v17, v18
	ds_bpermute_b32 v17, v19, v17
	s_wait_dscnt 0x0
	v_add_nc_u32_e32 v16, v17, v16
	s_delay_alu instid0(VALU_DEP_1)
	v_cndmask_b32_e64 v22, v16, v14, s3
	ds_store_b32 v8, v22
	; wave barrier
	ds_load_2addr_b32 v[16:17], v8 offset0:1 offset1:2
	ds_load_2addr_b32 v[18:19], v8 offset0:3 offset1:4
	;; [unrolled: 1-line block ×3, first 2 shown]
	ds_load_b32 v23, v8 offset:28
	s_wait_dscnt 0x3
	v_add_nc_u32_e32 v16, v16, v22
	s_delay_alu instid0(VALU_DEP_1) | instskip(SKIP_1) | instid1(VALU_DEP_1)
	v_add_nc_u32_e32 v17, v17, v16
	s_wait_dscnt 0x2
	v_add_nc_u32_e32 v18, v18, v17
	s_delay_alu instid0(VALU_DEP_1) | instskip(SKIP_1) | instid1(VALU_DEP_1)
	v_add_nc_u32_e32 v19, v19, v18
	;; [unrolled: 4-line block ×3, first 2 shown]
	s_wait_dscnt 0x0
	v_add_nc_u32_e32 v22, v23, v21
	ds_store_2addr_b32 v8, v16, v17 offset0:1 offset1:2
	ds_store_2addr_b32 v8, v18, v19 offset0:3 offset1:4
	;; [unrolled: 1-line block ×3, first 2 shown]
	ds_store_b32 v8, v22 offset:28
.LBB94_32:                              ;   in Loop: Header=BB94_21 Depth=1
	s_or_b32 exec_lo, exec_lo, s17
	v_mov_b32_e32 v17, 0
	s_wait_dscnt 0x0
	s_barrier_signal -1
	s_barrier_wait -1
	s_and_saveexec_b32 s17, s2
; %bb.33:                               ;   in Loop: Header=BB94_21 Depth=1
	ds_load_b32 v17, v5
; %bb.34:                               ;   in Loop: Header=BB94_21 Depth=1
	s_or_b32 exec_lo, exec_lo, s17
	ds_load_b32 v16, v7 offset:1048
	s_mov_b32 s17, exec_lo
	s_wait_dscnt 0x0
	s_barrier_signal -1
	s_barrier_wait -1
	v_cmpx_ne_u32_e32 0, v14
	s_cbranch_execz .LBB94_19
; %bb.35:                               ;   in Loop: Header=BB94_21 Depth=1
	v_add_nc_u32_e32 v14, v17, v1
	s_delay_alu instid0(VALU_DEP_1)
	v_cmp_gt_u32_e32 vcc_lo, s5, v14
	s_and_b32 exec_lo, exec_lo, vcc_lo
	s_cbranch_execz .LBB94_19
; %bb.36:                               ;   in Loop: Header=BB94_21 Depth=1
	v_mul_lo_u32 v17, v14, s15
	v_mul_lo_u32 v14, v14, s12
	global_store_b16 v17, v13, s[10:11] scale_offset
	global_store_b64 v14, v[6:7], s[6:7] scale_offset
	s_branch .LBB94_19
.LBB94_37:                              ;   in Loop: Header=BB94_38 Depth=1
	s_add_co_i32 s4, s4, 1
	s_wait_kmcnt 0x0
	s_add_co_i32 s5, s10, s5
	s_add_nc_u64 s[6:7], s[6:7], 4
	s_cmp_lt_u32 s4, s14
	s_add_nc_u64 s[8:9], s[8:9], 4
	s_cbranch_scc0 .LBB94_16
.LBB94_38:                              ; =>This Inner Loop Header: Depth=1
	s_load_b32 s10, s[6:7], 0x0
	s_cmp_ge_u32 s4, s25
	s_cbranch_scc1 .LBB94_37
; %bb.39:                               ;   in Loop: Header=BB94_38 Depth=1
	s_load_b32 s11, s[8:9], 0x0
	s_wait_kmcnt 0x0
	s_add_co_i32 s17, s10, s17
	s_add_co_i32 s16, s11, s16
	s_branch .LBB94_37
.LBB94_40:
	s_endpgm
	.section	.rodata,"a",@progbits
	.p2align	6, 0x0
	.amdhsa_kernel _ZN2at6native6mbtopk10gatherTopKIN3c104HalfEjLi1EEEvNS_4cuda6detail10TensorInfoIKT_T0_EESA_SA_bjSA_NS7_IS8_SA_EESA_NS7_IlSA_EESA_jjPS8_PjSF_j
		.amdhsa_group_segment_fixed_size 1068
		.amdhsa_private_segment_fixed_size 0
		.amdhsa_kernarg_size 984
		.amdhsa_user_sgpr_count 2
		.amdhsa_user_sgpr_dispatch_ptr 0
		.amdhsa_user_sgpr_queue_ptr 0
		.amdhsa_user_sgpr_kernarg_segment_ptr 1
		.amdhsa_user_sgpr_dispatch_id 0
		.amdhsa_user_sgpr_kernarg_preload_length 0
		.amdhsa_user_sgpr_kernarg_preload_offset 0
		.amdhsa_user_sgpr_private_segment_size 0
		.amdhsa_wavefront_size32 1
		.amdhsa_uses_dynamic_stack 0
		.amdhsa_enable_private_segment 0
		.amdhsa_system_sgpr_workgroup_id_x 1
		.amdhsa_system_sgpr_workgroup_id_y 1
		.amdhsa_system_sgpr_workgroup_id_z 1
		.amdhsa_system_sgpr_workgroup_info 0
		.amdhsa_system_vgpr_workitem_id 0
		.amdhsa_next_free_vgpr 26
		.amdhsa_next_free_sgpr 29
		.amdhsa_named_barrier_count 0
		.amdhsa_reserve_vcc 1
		.amdhsa_float_round_mode_32 0
		.amdhsa_float_round_mode_16_64 0
		.amdhsa_float_denorm_mode_32 3
		.amdhsa_float_denorm_mode_16_64 3
		.amdhsa_fp16_overflow 0
		.amdhsa_memory_ordered 1
		.amdhsa_forward_progress 1
		.amdhsa_inst_pref_size 20
		.amdhsa_round_robin_scheduling 0
		.amdhsa_exception_fp_ieee_invalid_op 0
		.amdhsa_exception_fp_denorm_src 0
		.amdhsa_exception_fp_ieee_div_zero 0
		.amdhsa_exception_fp_ieee_overflow 0
		.amdhsa_exception_fp_ieee_underflow 0
		.amdhsa_exception_fp_ieee_inexact 0
		.amdhsa_exception_int_div_zero 0
	.end_amdhsa_kernel
	.section	.text._ZN2at6native6mbtopk10gatherTopKIN3c104HalfEjLi1EEEvNS_4cuda6detail10TensorInfoIKT_T0_EESA_SA_bjSA_NS7_IS8_SA_EESA_NS7_IlSA_EESA_jjPS8_PjSF_j,"axG",@progbits,_ZN2at6native6mbtopk10gatherTopKIN3c104HalfEjLi1EEEvNS_4cuda6detail10TensorInfoIKT_T0_EESA_SA_bjSA_NS7_IS8_SA_EESA_NS7_IlSA_EESA_jjPS8_PjSF_j,comdat
.Lfunc_end94:
	.size	_ZN2at6native6mbtopk10gatherTopKIN3c104HalfEjLi1EEEvNS_4cuda6detail10TensorInfoIKT_T0_EESA_SA_bjSA_NS7_IS8_SA_EESA_NS7_IlSA_EESA_jjPS8_PjSF_j, .Lfunc_end94-_ZN2at6native6mbtopk10gatherTopKIN3c104HalfEjLi1EEEvNS_4cuda6detail10TensorInfoIKT_T0_EESA_SA_bjSA_NS7_IS8_SA_EESA_NS7_IlSA_EESA_jjPS8_PjSF_j
                                        ; -- End function
	.set _ZN2at6native6mbtopk10gatherTopKIN3c104HalfEjLi1EEEvNS_4cuda6detail10TensorInfoIKT_T0_EESA_SA_bjSA_NS7_IS8_SA_EESA_NS7_IlSA_EESA_jjPS8_PjSF_j.num_vgpr, 26
	.set _ZN2at6native6mbtopk10gatherTopKIN3c104HalfEjLi1EEEvNS_4cuda6detail10TensorInfoIKT_T0_EESA_SA_bjSA_NS7_IS8_SA_EESA_NS7_IlSA_EESA_jjPS8_PjSF_j.num_agpr, 0
	.set _ZN2at6native6mbtopk10gatherTopKIN3c104HalfEjLi1EEEvNS_4cuda6detail10TensorInfoIKT_T0_EESA_SA_bjSA_NS7_IS8_SA_EESA_NS7_IlSA_EESA_jjPS8_PjSF_j.numbered_sgpr, 29
	.set _ZN2at6native6mbtopk10gatherTopKIN3c104HalfEjLi1EEEvNS_4cuda6detail10TensorInfoIKT_T0_EESA_SA_bjSA_NS7_IS8_SA_EESA_NS7_IlSA_EESA_jjPS8_PjSF_j.num_named_barrier, 0
	.set _ZN2at6native6mbtopk10gatherTopKIN3c104HalfEjLi1EEEvNS_4cuda6detail10TensorInfoIKT_T0_EESA_SA_bjSA_NS7_IS8_SA_EESA_NS7_IlSA_EESA_jjPS8_PjSF_j.private_seg_size, 0
	.set _ZN2at6native6mbtopk10gatherTopKIN3c104HalfEjLi1EEEvNS_4cuda6detail10TensorInfoIKT_T0_EESA_SA_bjSA_NS7_IS8_SA_EESA_NS7_IlSA_EESA_jjPS8_PjSF_j.uses_vcc, 1
	.set _ZN2at6native6mbtopk10gatherTopKIN3c104HalfEjLi1EEEvNS_4cuda6detail10TensorInfoIKT_T0_EESA_SA_bjSA_NS7_IS8_SA_EESA_NS7_IlSA_EESA_jjPS8_PjSF_j.uses_flat_scratch, 0
	.set _ZN2at6native6mbtopk10gatherTopKIN3c104HalfEjLi1EEEvNS_4cuda6detail10TensorInfoIKT_T0_EESA_SA_bjSA_NS7_IS8_SA_EESA_NS7_IlSA_EESA_jjPS8_PjSF_j.has_dyn_sized_stack, 0
	.set _ZN2at6native6mbtopk10gatherTopKIN3c104HalfEjLi1EEEvNS_4cuda6detail10TensorInfoIKT_T0_EESA_SA_bjSA_NS7_IS8_SA_EESA_NS7_IlSA_EESA_jjPS8_PjSF_j.has_recursion, 0
	.set _ZN2at6native6mbtopk10gatherTopKIN3c104HalfEjLi1EEEvNS_4cuda6detail10TensorInfoIKT_T0_EESA_SA_bjSA_NS7_IS8_SA_EESA_NS7_IlSA_EESA_jjPS8_PjSF_j.has_indirect_call, 0
	.section	.AMDGPU.csdata,"",@progbits
; Kernel info:
; codeLenInByte = 2496
; TotalNumSgprs: 31
; NumVgprs: 26
; ScratchSize: 0
; MemoryBound: 0
; FloatMode: 240
; IeeeMode: 1
; LDSByteSize: 1068 bytes/workgroup (compile time only)
; SGPRBlocks: 0
; VGPRBlocks: 1
; NumSGPRsForWavesPerEU: 31
; NumVGPRsForWavesPerEU: 26
; NamedBarCnt: 0
; Occupancy: 16
; WaveLimiterHint : 1
; COMPUTE_PGM_RSRC2:SCRATCH_EN: 0
; COMPUTE_PGM_RSRC2:USER_SGPR: 2
; COMPUTE_PGM_RSRC2:TRAP_HANDLER: 0
; COMPUTE_PGM_RSRC2:TGID_X_EN: 1
; COMPUTE_PGM_RSRC2:TGID_Y_EN: 1
; COMPUTE_PGM_RSRC2:TGID_Z_EN: 1
; COMPUTE_PGM_RSRC2:TIDIG_COMP_CNT: 0
	.section	.text._ZN2at6native6sbtopk10gatherTopKIN3c104HalfEjLi1ELb0EEEvNS_4cuda6detail10TensorInfoIKT_T0_EESA_SA_bSA_SA_NS7_IS8_SA_EESA_NS7_IlSA_EESA_PS8_,"axG",@progbits,_ZN2at6native6sbtopk10gatherTopKIN3c104HalfEjLi1ELb0EEEvNS_4cuda6detail10TensorInfoIKT_T0_EESA_SA_bSA_SA_NS7_IS8_SA_EESA_NS7_IlSA_EESA_PS8_,comdat
	.protected	_ZN2at6native6sbtopk10gatherTopKIN3c104HalfEjLi1ELb0EEEvNS_4cuda6detail10TensorInfoIKT_T0_EESA_SA_bSA_SA_NS7_IS8_SA_EESA_NS7_IlSA_EESA_PS8_ ; -- Begin function _ZN2at6native6sbtopk10gatherTopKIN3c104HalfEjLi1ELb0EEEvNS_4cuda6detail10TensorInfoIKT_T0_EESA_SA_bSA_SA_NS7_IS8_SA_EESA_NS7_IlSA_EESA_PS8_
	.globl	_ZN2at6native6sbtopk10gatherTopKIN3c104HalfEjLi1ELb0EEEvNS_4cuda6detail10TensorInfoIKT_T0_EESA_SA_bSA_SA_NS7_IS8_SA_EESA_NS7_IlSA_EESA_PS8_
	.p2align	8
	.type	_ZN2at6native6sbtopk10gatherTopKIN3c104HalfEjLi1ELb0EEEvNS_4cuda6detail10TensorInfoIKT_T0_EESA_SA_bSA_SA_NS7_IS8_SA_EESA_NS7_IlSA_EESA_PS8_,@function
_ZN2at6native6sbtopk10gatherTopKIN3c104HalfEjLi1ELb0EEEvNS_4cuda6detail10TensorInfoIKT_T0_EESA_SA_bSA_SA_NS7_IS8_SA_EESA_NS7_IlSA_EESA_PS8_: ; @_ZN2at6native6sbtopk10gatherTopKIN3c104HalfEjLi1ELb0EEEvNS_4cuda6detail10TensorInfoIKT_T0_EESA_SA_bSA_SA_NS7_IS8_SA_EESA_NS7_IlSA_EESA_PS8_
; %bb.0:
	s_clause 0x1
	s_load_b128 s[36:39], s[0:1], 0xd8
	s_load_b64 s[8:9], s[0:1], 0x2b8
	s_bfe_u32 s2, ttmp6, 0x40010
	s_and_b32 s3, ttmp7, 0xffff
	s_add_co_i32 s2, s2, 1
	s_bfe_u32 s5, ttmp6, 0x4000c
	s_mul_i32 s2, s3, s2
	s_bfe_u32 s4, ttmp6, 0x40004
	s_add_co_i32 s5, s5, 1
	s_bfe_u32 s6, ttmp6, 0x40014
	s_add_co_i32 s4, s4, s2
	s_and_b32 s2, ttmp6, 15
	s_mul_i32 s5, ttmp9, s5
	s_lshr_b32 s7, ttmp7, 16
	s_add_co_i32 s6, s6, 1
	s_add_co_i32 s2, s2, s5
	s_mul_i32 s5, s7, s6
	s_bfe_u32 s6, ttmp6, 0x40008
	s_getreg_b32 s10, hwreg(HW_REG_IB_STS2, 6, 4)
	s_add_co_i32 s6, s6, s5
	s_cmp_eq_u32 s10, 0
	s_cselect_b32 s5, s7, s6
	s_cselect_b32 s3, s3, s4
	s_wait_kmcnt 0x0
	s_mul_i32 s5, s9, s5
	s_cselect_b32 s7, ttmp9, s2
	s_add_co_i32 s2, s5, s3
	s_delay_alu instid0(SALU_CYCLE_1) | instskip(NEXT) | instid1(SALU_CYCLE_1)
	s_mul_i32 s57, s2, s8
	s_add_co_i32 s57, s57, s7
	s_delay_alu instid0(SALU_CYCLE_1)
	s_cmp_ge_u32 s57, s39
	s_cbranch_scc1 .LBB95_430
; %bb.1:
	s_clause 0x2
	s_load_b32 s55, s[0:1], 0xe8
	s_load_b32 s4, s[0:1], 0x6c
	s_load_b64 s[2:3], s[0:1], 0x0
	v_cmp_eq_u32_e64 s5, 0, v0
	s_add_nc_u64 s[14:15], s[0:1], 0x2b8
	s_and_saveexec_b32 s6, s5
; %bb.2:
	v_dual_mov_b32 v2, 0 :: v_dual_mov_b32 v3, s36
	s_delay_alu instid0(VALU_DEP_1)
	v_mov_b32_e32 v4, v2
	ds_store_b96 v2, v[2:4] offset:4096
; %bb.3:
	s_or_b32 exec_lo, exec_lo, s6
	s_wait_dscnt 0x0
	s_barrier_signal -1
	s_barrier_wait -1
	s_load_b32 s9, s[14:15], 0xc
	s_clause 0x3
	s_load_b32 s58, s[0:1], 0x23c
	s_load_b64 s[40:41], s[0:1], 0x1d0
	s_load_b32 s59, s[0:1], 0x15c
	s_load_b64 s[42:43], s[0:1], 0xf0
	v_mbcnt_lo_u32_b32 v1, -1, 0
	s_wait_kmcnt 0x0
	s_mul_i32 s44, s4, s57
	s_mov_b32 s45, 0
	v_cmp_gt_u32_e32 vcc_lo, 32, v0
	s_lshl_b64 s[10:11], s[44:45], 1
	s_bitcmp1_b32 s38, 0
	s_add_nc_u64 s[34:35], s[2:3], s[10:11]
	v_cmp_gt_i32_e64 s2, 4, v1
	s_cselect_b32 s4, -1, 0
	v_lshlrev_b64_e64 v[2:3], v1, -1
	s_xor_b32 s60, s4, -1
	v_dual_mov_b32 v17, 0 :: v_dual_lshlrev_b32 v11, 2, v0
	s_and_b32 s62, vcc_lo, s2
	v_mul_lo_u32 v14, s55, v0
	s_and_b32 s54, s9, 0xffff
	s_delay_alu instid0(VALU_DEP_2)
	v_mov_b32_e32 v15, v17
	s_lshl_b32 s61, s54, 2
	s_cmp_gt_u32 s36, 0x600
	v_not_b32_e32 v10, v2
	s_cselect_b32 s63, -1, 0
	s_cmp_gt_u32 s54, 31
	v_lshrrev_b32_e32 v2, 1, v0
	s_cselect_b32 s64, -1, 0
	s_add_co_i32 s65, s54, -1
	v_add_max_u32_e64 v3, v0, 2, s36
	s_add_co_i32 s13, s65, s36
	s_cmp_lt_u32 s7, s8
	s_movk_i32 s7, 0x1f0
	s_cselect_b32 s44, 12, 18
	s_bfe_u32 s66, s9, 0xb0005
	s_cvt_f32_u32 s9, s61
	s_add_co_i32 s8, s66, -2
	v_and_or_b32 v21, v2, s7, 0xc00
	s_lshr_b32 s10, s8, 1
	v_rcp_iflag_f32_e32 v4, s9
	s_add_co_i32 s10, s10, 1
	s_cmp_gt_u32 s54, 63
	s_cvt_f32_u32 s9, s54
	s_cselect_b32 s67, -1, 0
	s_and_b32 s68, s66, 0x7fe
	s_and_b32 s69, s10, 7
	v_nop
	v_readfirstlane_b32 s7, v4
	s_cmp_gt_u32 s8, 13
	v_rcp_iflag_f32_e32 v5, s9
	s_cselect_b32 s70, -1, 0
	s_and_b32 s71, s10, -8
	s_mul_f32 s7, s7, 0x4f7ffffe
	s_cmp_lg_u32 s69, 0
	v_xad_u32 v3, v0, -1, v3
	s_cselect_b32 s72, -1, 0
	s_cmp_lg_u32 s68, s66
	s_cvt_u32_f32 s7, s7
	s_cselect_b32 s73, -1, 0
	s_sub_co_i32 s8, 0, s61
	v_readfirstlane_b32 s9, v5
	s_mul_i32 s8, s8, s7
	v_lshl_add_u64 v[12:13], v[14:15], 1, s[34:35]
	s_mul_hi_u32 s8, s7, s8
	v_dual_lshlrev_b32 v15, 1, v0 :: v_dual_add_nc_u32 v2, -4, v3
	s_add_co_i32 s38, s7, s8
	s_mul_f32 s9, s9, 0x4f7ffffe
	s_mul_hi_u32 s8, s36, s38
	s_delay_alu instid0(VALU_DEP_1)
	v_dual_lshrrev_b32 v4, 2, v2 :: v_dual_bitop2_b32 v22, -4, v3 bitop3:0x40
	s_mul_i32 s8, s8, s61
	s_cvt_u32_f32 s9, s9
	s_sub_co_i32 s8, s36, s8
	v_cmp_lt_u32_e64 s7, 31, v3
	s_sub_co_i32 s10, s8, s61
	s_cmp_ge_u32 s8, s61
	v_add_nc_u32_e32 v4, 1, v4
	s_cselect_b32 s8, s10, s8
	v_cmp_eq_u32_e64 s2, 0, v1
	s_sub_co_i32 s10, s8, s61
	s_cmp_ge_u32 s8, s61
	v_cmp_gt_u32_e64 s3, s36, v0
	s_cselect_b32 s16, s10, s8
	s_sub_co_i32 s10, 0, s54
	s_sub_co_i32 s77, s36, s16
	s_mul_i32 s10, s10, s9
	v_cmp_lt_u32_e64 s8, 11, v2
	s_mul_hi_u32 s10, s9, s10
	v_add_nc_u32_e32 v23, s77, v0
	s_add_co_i32 s46, s9, s10
	v_add3_u32 v2, s54, s36, v0
	s_mul_hi_u32 s10, s13, s46
	v_cmp_gt_u32_e64 s6, 2, v0
	s_mul_i32 s10, s10, s54
	v_dual_mov_b32 v33, s37 :: v_dual_add_nc_u32 v20, 0xc00, v15
	s_sub_co_i32 s11, s13, s10
	v_cmp_ne_u32_e64 s10, v3, v22
	s_sub_co_i32 s12, s11, s54
	s_cmp_ge_u32 s11, s54
	v_or_b32_e32 v3, 2, v11
	v_dual_mov_b32 v32, 0 :: v_dual_bitop2_b32 v5, 3, v4 bitop3:0x40
	v_and_b32_e32 v24, 0x7ffffffc, v4
	v_or_b32_e32 v4, 3, v11
	v_mul_lo_u32 v16, v23, s55
	v_subrev_nc_u32_e32 v2, s16, v2
	s_cselect_b32 s17, s12, s11
	v_mul_lo_u32 v27, s55, v3
	s_sub_co_i32 s18, s17, s54
	s_cmp_ge_u32 s17, s54
	v_mul_lo_u32 v28, s55, v4
	v_mul_lo_u32 v29, s55, v2
	s_cselect_b32 s17, s18, s17
	v_cmp_ne_u32_e64 s9, 0, v5
	s_sub_co_i32 s78, s13, s17
	v_cmp_gt_u32_e64 s11, s77, v11
	v_cmp_gt_u32_e64 s12, s36, v23
	v_lshl_add_u64 v[18:19], v[16:17], 1, s[34:35]
	v_cmp_gt_u32_e64 s13, s78, v0
	v_dual_mov_b32 v25, 0 :: v_dual_lshlrev_b32 v26, 3, v5
	v_dual_mov_b32 v30, 0x8000 :: v_dual_mov_b32 v31, 0
	s_mul_i32 s56, s55, s54
	s_mov_b32 s74, s55
	s_mov_b32 s75, s55
	;; [unrolled: 1-line block ×5, first 2 shown]
	s_lshl_b32 s79, s56, 2
	s_lshl_b32 s80, s54, 3
	;; [unrolled: 1-line block ×3, first 2 shown]
	s_mov_b32 s82, 14
	s_add_nc_u64 s[48:49], s[14:15], s[44:45]
	s_movk_i32 s84, 0x3c00
	s_mov_b32 s83, 0
	s_mov_b32 s86, 0
                                        ; implicit-def: $sgpr85
                                        ; implicit-def: $sgpr89
                                        ; implicit-def: $sgpr88
                                        ; implicit-def: $sgpr90
                                        ; implicit-def: $sgpr87
                                        ; implicit-def: $sgpr94
                                        ; implicit-def: $sgpr95
                                        ; implicit-def: $sgpr91
                                        ; implicit-def: $sgpr93
                                        ; implicit-def: $sgpr92
	s_branch .LBB95_6
.LBB95_4:                               ;   in Loop: Header=BB95_6 Depth=1
	s_or_b32 exec_lo, exec_lo, s17
	v_mov_b32_e32 v33, v5
	s_and_not1_b32 s17, s92, exec_lo
	s_and_b32 s16, s16, exec_lo
	s_and_not1_b32 s93, s93, exec_lo
	s_or_b32 s92, s17, s16
	s_and_not1_b32 s91, s91, exec_lo
	s_and_not1_b32 s95, s95, exec_lo
	;; [unrolled: 1-line block ×3, first 2 shown]
	s_or_not1_b32 s17, s15, exec_lo
.LBB95_5:                               ;   in Loop: Header=BB95_6 Depth=1
	s_or_b32 exec_lo, exec_lo, s14
	s_delay_alu instid0(SALU_CYCLE_1) | instskip(NEXT) | instid1(SALU_CYCLE_1)
	s_and_b32 s14, exec_lo, s17
	s_or_b32 s83, s14, s83
	s_and_not1_b32 s14, s87, exec_lo
	s_and_b32 s15, s92, exec_lo
	s_and_not1_b32 s16, s90, exec_lo
	s_or_b32 s87, s14, s15
	s_and_b32 s14, s93, exec_lo
	s_and_not1_b32 s15, s88, exec_lo
	s_and_b32 s17, s91, exec_lo
	s_or_b32 s90, s16, s14
	s_or_b32 s88, s15, s17
	s_and_not1_b32 s14, s89, exec_lo
	s_and_b32 s15, s95, exec_lo
	s_and_not1_b32 s16, s85, exec_lo
	s_and_b32 s17, s94, exec_lo
	s_or_b32 s89, s14, s15
	s_or_b32 s85, s16, s17
	s_and_not1_b32 exec_lo, exec_lo, s83
	s_cbranch_execz .LBB95_426
.LBB95_6:                               ; =>This Loop Header: Depth=1
                                        ;     Child Loop BB95_11 Depth 2
                                        ;     Child Loop BB95_32 Depth 2
	;; [unrolled: 1-line block ×27, first 2 shown]
	ds_load_b64 v[2:3], v17 offset:4096
	s_wait_dscnt 0x0
	v_readfirstlane_b32 s44, v2
	s_cmp_lg_u32 s44, 0
	s_cbranch_scc1 .LBB95_51
; %bb.7:                                ;   in Loop: Header=BB95_6 Depth=1
	s_and_b32 vcc_lo, exec_lo, s63
	s_cbranch_vccz .LBB95_19
; %bb.8:                                ;   in Loop: Header=BB95_6 Depth=1
	v_cmp_gt_u32_e32 vcc_lo, 0x601, v3
	s_mov_b32 s16, 0
	s_mov_b32 s14, 0
	s_cbranch_vccz .LBB95_20
; %bb.9:                                ;   in Loop: Header=BB95_6 Depth=1
	global_load_u16 v3, v[12:13], off
	s_load_u16 s17, s[48:49], 0x0
	s_mov_b32 s18, 0
	s_wait_kmcnt 0x0
	v_dual_mov_b32 v4, v0 :: v_dual_add_nc_u32 v2, s17, v0
	s_mul_i32 s19, s55, s17
	s_delay_alu instid0(VALU_DEP_1)
	v_mul_lo_u32 v2, s55, v2
	s_branch .LBB95_11
.LBB95_10:                              ;   in Loop: Header=BB95_11 Depth=2
	s_or_b32 exec_lo, exec_lo, s15
	v_dual_mov_b32 v3, v5 :: v_dual_add_nc_u32 v2, s19, v2
	s_and_not1_b32 exec_lo, exec_lo, s18
	s_cbranch_execz .LBB95_26
.LBB95_11:                              ;   Parent Loop BB95_6 Depth=1
                                        ; =>  This Inner Loop Header: Depth=2
	s_wait_dscnt 0x0
	v_dual_add_nc_u32 v4, s17, v4 :: v_dual_mov_b32 v6, 0
	v_mov_b32_e32 v5, 0
	s_mov_b32 s15, exec_lo
	s_delay_alu instid0(VALU_DEP_2)
	v_cmp_le_u32_e32 vcc_lo, s36, v4
	v_cmpx_gt_u32_e64 s36, v4
	s_cbranch_execz .LBB95_13
; %bb.12:                               ;   in Loop: Header=BB95_11 Depth=2
	global_load_u16 v5, v2, s[34:35] scale_offset
.LBB95_13:                              ;   in Loop: Header=BB95_11 Depth=2
	s_wait_xcnt 0x0
	s_or_b32 exec_lo, exec_lo, s15
	s_wait_loadcnt 0x0
	v_cmp_lt_i16_e64 s14, -1, v3
	v_and_b32_e32 v7, 0xffff, v3
	s_delay_alu instid0(VALU_DEP_2) | instskip(SKIP_1) | instid1(VALU_DEP_2)
	v_cndmask_b32_e64 v8, 0xffff, v30, s14
	v_cmp_o_f16_e64 s14, v3, v3
	v_xor_b32_e32 v7, v8, v7
	s_delay_alu instid0(VALU_DEP_1) | instskip(NEXT) | instid1(VALU_DEP_1)
	v_cndmask_b32_e64 v7, 0xffff, v7, s14
	v_and_b32_e32 v7, v7, v31
	s_delay_alu instid0(VALU_DEP_1) | instskip(SKIP_2) | instid1(SALU_CYCLE_1)
	v_cmp_eq_u32_e64 s14, v7, v25
	s_cmp_lg_u32 s14, 0
	s_cselect_b32 s15, -1, 0
	s_and_b32 s15, s2, s15
	s_delay_alu instid0(SALU_CYCLE_1)
	s_and_saveexec_b32 s20, s15
	s_cbranch_execz .LBB95_17
; %bb.14:                               ;   in Loop: Header=BB95_11 Depth=2
	s_mov_b32 s23, exec_lo
	s_bcnt1_i32_b32 s21, s14
	v_mbcnt_lo_u32_b32 v6, s23, 0
	s_mov_b32 s22, exec_lo
                                        ; implicit-def: $vgpr7
	s_delay_alu instid0(VALU_DEP_1)
	v_cmpx_eq_u32_e32 0, v6
; %bb.15:                               ;   in Loop: Header=BB95_11 Depth=2
	s_bcnt1_i32_b32 s15, s23
	s_delay_alu instid0(SALU_CYCLE_1) | instskip(NEXT) | instid1(SALU_CYCLE_1)
	s_mul_i32 s15, s21, s15
	v_mov_b32_e32 v7, s15
	ds_add_rtn_u32 v7, v17, v7 offset:4104
; %bb.16:                               ;   in Loop: Header=BB95_11 Depth=2
	s_or_b32 exec_lo, exec_lo, s22
	s_wait_dscnt 0x0
	v_readfirstlane_b32 s15, v7
	s_delay_alu instid0(VALU_DEP_1)
	v_mad_u32_u24 v6, s21, v6, s15
.LBB95_17:                              ;   in Loop: Header=BB95_11 Depth=2
	s_or_b32 exec_lo, exec_lo, s20
	ds_bpermute_b32 v6, v17, v6
	s_and_b32 s15, exec_lo, vcc_lo
	s_delay_alu instid0(SALU_CYCLE_1)
	s_or_b32 s18, s15, s18
	s_and_saveexec_b32 s15, s14
	s_cbranch_execz .LBB95_10
; %bb.18:                               ;   in Loop: Header=BB95_11 Depth=2
	v_and_b32_e32 v7, s14, v10
	s_delay_alu instid0(VALU_DEP_1) | instskip(NEXT) | instid1(VALU_DEP_1)
	v_bcnt_u32_b32 v7, v7, 0
	v_lshlrev_b32_e32 v7, 1, v7
	s_wait_dscnt 0x0
	s_delay_alu instid0(VALU_DEP_1)
	v_lshl_add_u32 v6, v6, 1, v7
	ds_store_b16 v6, v3
	s_branch .LBB95_10
.LBB95_19:                              ;   in Loop: Header=BB95_6 Depth=1
	s_mov_b32 s16, -1
	s_mov_b32 s14, 0
.LBB95_20:                              ;   in Loop: Header=BB95_6 Depth=1
	s_and_b32 vcc_lo, exec_lo, s16
	s_cbranch_vccz .LBB95_49
.LBB95_21:                              ;   in Loop: Header=BB95_6 Depth=1
	s_and_saveexec_b32 s15, s3
	s_cbranch_execz .LBB95_46
; %bb.22:                               ;   in Loop: Header=BB95_6 Depth=1
	global_load_u16 v16, v[12:13], off
	s_load_u16 s17, s[48:49], 0x0
	s_mov_b32 s16, exec_lo
	s_wait_kmcnt 0x0
	v_dual_mov_b32 v4, v0 :: v_dual_add_nc_u32 v2, s17, v0
	s_delay_alu instid0(VALU_DEP_1)
	v_cmpx_gt_u32_e64 s36, v2
	s_cbranch_execz .LBB95_45
; %bb.23:                               ;   in Loop: Header=BB95_6 Depth=1
	s_mov_b32 s14, 0
	s_mul_i32 s18, s55, s17
                                        ; implicit-def: $vgpr4
                                        ; implicit-def: $vgpr3
                                        ; implicit-def: $vgpr5
	s_and_saveexec_b32 s19, s7
	s_delay_alu instid0(SALU_CYCLE_1)
	s_xor_b32 s19, exec_lo, s19
	s_cbranch_execnz .LBB95_29
; %bb.24:                               ;   in Loop: Header=BB95_6 Depth=1
	s_and_not1_saveexec_b32 s19, s19
	s_cbranch_execnz .LBB95_40
.LBB95_25:                              ;   in Loop: Header=BB95_6 Depth=1
	s_or_b32 exec_lo, exec_lo, s19
	s_and_saveexec_b32 s18, s14
	s_cbranch_execnz .LBB95_41
	s_branch .LBB95_44
.LBB95_26:                              ;   in Loop: Header=BB95_6 Depth=1
	s_or_b32 exec_lo, exec_lo, s18
	s_wait_dscnt 0x0
	s_barrier_signal -1
	s_barrier_wait -1
	s_and_saveexec_b32 s14, s5
	s_cbranch_execz .LBB95_28
; %bb.27:                               ;   in Loop: Header=BB95_6 Depth=1
	ds_load_b32 v2, v17 offset:4104
	s_wait_dscnt 0x0
	ds_store_b32 v17, v2 offset:4096
.LBB95_28:                              ;   in Loop: Header=BB95_6 Depth=1
	s_or_b32 exec_lo, exec_lo, s14
	s_wait_dscnt 0x0
	s_barrier_signal -1
	s_mov_b32 s14, -1
	s_barrier_wait -1
	s_and_b32 vcc_lo, exec_lo, s16
	s_cbranch_vccnz .LBB95_21
	s_branch .LBB95_49
.LBB95_29:                              ;   in Loop: Header=BB95_6 Depth=1
	s_cvt_f32_u32 s14, s17
	v_add_max_u32_e64 v3, v2, s17, s36
	s_delay_alu instid0(SALU_CYCLE_2) | instskip(SKIP_1) | instid1(VALU_DEP_1)
	v_rcp_iflag_f32_e32 v4, s14
	s_lshl_b32 s14, s17, 1
	v_sub_nc_u32_e32 v3, v3, v0
	s_delay_alu instid0(VALU_DEP_1) | instskip(NEXT) | instid1(TRANS32_DEP_1)
	v_cmp_ne_u32_e32 vcc_lo, s14, v3
	v_readfirstlane_b32 s20, v4
	v_cndmask_b32_e64 v4, 0, 1, vcc_lo
	s_mul_f32 s20, s20, 0x4f7ffffe
	s_delay_alu instid0(VALU_DEP_1) | instskip(NEXT) | instid1(SALU_CYCLE_2)
	v_or_b32_e32 v4, s14, v4
	s_cvt_u32_f32 s14, s20
	s_sub_co_i32 s20, 0, s17
	s_delay_alu instid0(SALU_CYCLE_2) | instskip(NEXT) | instid1(VALU_DEP_1)
	s_mul_i32 s20, s20, s14
	v_sub_nc_u32_e32 v3, v3, v4
	s_mul_hi_u32 s20, s14, s20
	s_delay_alu instid0(SALU_CYCLE_1)
	s_add_co_i32 s14, s14, s20
	s_delay_alu instid0(VALU_DEP_1) | instid1(SALU_CYCLE_1)
	v_mul_hi_u32 v4, v3, s14
	s_delay_alu instid0(VALU_DEP_1) | instskip(NEXT) | instid1(VALU_DEP_1)
	v_mul_lo_u32 v5, v4, s17
	v_dual_sub_nc_u32 v3, v3, v5 :: v_dual_add_nc_u32 v5, 1, v4
	s_delay_alu instid0(VALU_DEP_1) | instskip(SKIP_1) | instid1(VALU_DEP_1)
	v_subrev_nc_u32_e32 v6, s17, v3
	v_cmp_le_u32_e64 s14, s17, v3
	v_dual_cndmask_b32 v4, v4, v5, s14 :: v_dual_cndmask_b32 v3, v3, v6, s14
	s_delay_alu instid0(VALU_DEP_1) | instskip(NEXT) | instid1(VALU_DEP_2)
	v_add_nc_u32_e32 v5, 1, v4
	v_cmp_le_u32_e64 s14, s17, v3
	s_delay_alu instid0(VALU_DEP_1) | instskip(SKIP_2) | instid1(VALU_DEP_2)
	v_cndmask_b32_e64 v3, v4, v5, s14
	v_mul_lo_u32 v4, s55, v2
	s_abs_i32 s14, s18
	v_add_co_ci_u32_e64 v3, null, 0, v3, vcc_lo
	s_delay_alu instid0(VALU_DEP_1) | instskip(SKIP_2) | instid1(SALU_CYCLE_1)
	v_mul_hi_u32 v5, s14, v3
	v_mul_lo_u32 v3, s14, v3
	s_not_b32 s14, s18
	s_ashr_i32 s14, s14, 31
	s_cmp_eq_u32 s17, 1
	s_delay_alu instid0(VALU_DEP_4) | instskip(SKIP_1) | instid1(VALU_DEP_3)
	v_xor_b32_e32 v4, s14, v4
	s_cselect_b32 s20, -1, 0
	v_cmp_eq_u32_e32 vcc_lo, 0, v5
	s_delay_alu instid0(VALU_DEP_2) | instskip(SKIP_2) | instid1(SALU_CYCLE_1)
	v_cmp_le_u32_e64 s14, v3, v4
	v_mov_b32_e32 v3, v0
                                        ; implicit-def: $vgpr4
	s_and_b32 s20, vcc_lo, s20
	s_and_b32 s21, s20, s14
	s_mov_b32 s20, -1
	s_and_saveexec_b32 s14, s21
	s_cbranch_execz .LBB95_39
; %bb.30:                               ;   in Loop: Header=BB95_6 Depth=1
	v_dual_add_nc_u32 v5, 3, v2 :: v_dual_add_nc_u32 v4, 2, v2
	s_wait_loadcnt 0x0
	v_dual_add_nc_u32 v3, 1, v2 :: v_dual_lshlrev_b32 v34, 16, v16
	v_mov_b32_e32 v37, 0
                                        ; implicit-def: $vgpr16
	s_delay_alu instid0(VALU_DEP_3) | instskip(NEXT) | instid1(VALU_DEP_3)
	v_mov_b64_e32 v[8:9], v[4:5]
	v_mov_b64_e32 v[6:7], v[2:3]
	s_and_saveexec_b32 s20, s8
	s_cbranch_execz .LBB95_34
; %bb.31:                               ;   in Loop: Header=BB95_6 Depth=1
	v_mov_b64_e32 v[8:9], v[4:5]
	v_mov_b64_e32 v[6:7], v[2:3]
	v_dual_mov_b32 v35, v24 :: v_dual_mov_b32 v36, v15
	s_mov_b32 s21, 0
	s_mov_b32 s22, 0
.LBB95_32:                              ;   Parent Loop BB95_6 Depth=1
                                        ; =>  This Inner Loop Header: Depth=2
	s_delay_alu instid0(VALU_DEP_2) | instskip(SKIP_1) | instid1(VALU_DEP_4)
	v_mul_lo_u32 v16, v6, s55
	v_dual_mov_b32 v5, v17 :: v_dual_add_nc_u32 v3, 4, v6
	v_dual_add_nc_u32 v37, 4, v7 :: v_dual_add_nc_u32 v42, 4, v8
	v_dual_mov_b32 v43, v17 :: v_dual_add_nc_u32 v44, 4, v9
	v_mul_lo_u32 v40, v7, s74
	v_dual_mov_b32 v41, v17 :: v_dual_mov_b32 v39, v17
	s_delay_alu instid0(VALU_DEP_3)
	v_mul_lo_u32 v46, v44, s76
	v_mul_lo_u32 v44, v42, s75
	;; [unrolled: 1-line block ×3, first 2 shown]
	v_lshl_add_u64 v[60:61], v[16:17], 1, s[34:35]
	v_mul_lo_u32 v16, v3, s55
	v_dual_add_nc_u32 v62, 8, v6 :: v_dual_add_nc_u32 v48, 8, v7
	v_dual_add_nc_u32 v50, 8, v8 :: v_dual_add_nc_u32 v52, 8, v9
	v_lshl_add_u64 v[40:41], v[40:41], 1, s[34:35]
	s_clause 0x1
	global_load_u16 v3, v[60:61], off
	global_load_u16 v64, v[40:41], off
	s_wait_xcnt 0x0
	v_lshl_add_u64 v[40:41], v[42:43], 1, s[34:35]
	v_lshl_add_u64 v[42:43], v[16:17], 1, s[34:35]
	v_mul_lo_u32 v16, v62, s55
	v_dual_add_nc_u32 v54, 12, v7 :: v_dual_add_nc_u32 v56, 12, v8
	v_mul_lo_u32 v38, v8, s75
	v_dual_mov_b32 v53, v17 :: v_dual_add_nc_u32 v63, 12, v6
	v_mul_lo_u32 v4, v9, s76
	v_dual_mov_b32 v55, v17 :: v_dual_add_nc_u32 v58, 12, v9
	v_mul_lo_u32 v52, v52, s76
	v_mul_lo_u32 v54, v54, s74
	;; [unrolled: 1-line block ×5, first 2 shown]
	v_lshl_add_u64 v[60:61], v[16:17], 1, s[34:35]
	v_mul_lo_u32 v16, v63, s55
	v_mul_lo_u32 v58, v58, s76
	v_dual_mov_b32 v45, v17 :: v_dual_mov_b32 v47, v17
	v_dual_mov_b32 v57, v17 :: v_dual_mov_b32 v59, v17
	;; [unrolled: 1-line block ×3, first 2 shown]
	v_lshl_add_u64 v[38:39], v[38:39], 1, s[34:35]
	v_lshl_add_u64 v[4:5], v[4:5], 1, s[34:35]
	;; [unrolled: 1-line block ×9, first 2 shown]
	s_clause 0x8
	global_load_u16 v38, v[38:39], off
	global_load_u16 v62, v[4:5], off
	global_load_u16 v42, v[42:43], off
	global_load_u16 v40, v[40:41], off
	global_load_u16 v41, v[44:45], off
	global_load_u16 v44, v[46:47], off
	global_load_u16 v45, v[60:61], off
	global_load_u16 v43, v[48:49], off
	global_load_u16 v46, v[50:51], off
	v_lshl_add_u64 v[4:5], v[16:17], 1, s[34:35]
	v_lshl_add_u64 v[58:59], v[58:59], 1, s[34:35]
	s_clause 0x4
	global_load_u16 v47, v[52:53], off
	global_load_u16 v48, v[54:55], off
	;; [unrolled: 1-line block ×5, first 2 shown]
	s_add_co_i32 s22, s22, 16
	s_delay_alu instid0(SALU_CYCLE_1) | instskip(SKIP_2) | instid1(VALU_DEP_3)
	v_dual_add_nc_u32 v35, -4, v35 :: v_dual_mov_b32 v37, s22
	v_dual_add_nc_u32 v9, 16, v9 :: v_dual_add_nc_u32 v8, 16, v8
	v_dual_add_nc_u32 v7, 16, v7 :: v_dual_add_nc_u32 v6, 16, v6
	v_cmp_eq_u32_e32 vcc_lo, 0, v35
	s_or_b32 s21, vcc_lo, s21
	s_wait_loadcnt 0xd
	v_perm_b32 v39, v38, v64, 0x5040100
	v_alignbit_b32 v38, v3, v34, 16
	s_wait_loadcnt 0x9
	v_perm_b32 v41, v41, v40, 0x5040100
	v_perm_b32 v40, v42, v62, 0x5040100
	s_wait_loadcnt 0x7
	v_perm_b32 v42, v45, v44, 0x5040100
	s_wait_loadcnt 0x5
	;; [unrolled: 2-line block ×5, first 2 shown]
	v_perm_b32 v34, v16, v49, 0x5040100
	ds_store_b128 v36, v[38:41]
	ds_store_b128 v36, v[42:45] offset:16
	v_add_nc_u32_e32 v36, 32, v36
	s_wait_xcnt 0x0
	s_and_not1_b32 exec_lo, exec_lo, s21
	s_cbranch_execnz .LBB95_32
; %bb.33:                               ;   in Loop: Header=BB95_6 Depth=1
	s_or_b32 exec_lo, exec_lo, s21
.LBB95_34:                              ;   in Loop: Header=BB95_6 Depth=1
	s_delay_alu instid0(SALU_CYCLE_1)
	s_or_b32 exec_lo, exec_lo, s20
	s_and_saveexec_b32 s20, s9
	s_cbranch_execz .LBB95_38
; %bb.35:                               ;   in Loop: Header=BB95_6 Depth=1
	v_lshl_add_u32 v3, v37, 1, v15
	v_mov_b32_e32 v4, v26
	s_mov_b32 s21, 0
.LBB95_36:                              ;   Parent Loop BB95_6 Depth=1
                                        ; =>  This Inner Loop Header: Depth=2
	v_mul_lo_u32 v36, v7, s74
	v_mul_lo_u32 v38, v8, s75
	;; [unrolled: 1-line block ×4, first 2 shown]
	v_dual_mov_b32 v37, v17 :: v_dual_mov_b32 v39, v17
	v_dual_mov_b32 v41, v17 :: v_dual_add_nc_u32 v9, 4, v9
	v_dual_add_nc_u32 v4, -8, v4 :: v_dual_add_nc_u32 v6, 4, v6
	v_dual_add_nc_u32 v8, 4, v8 :: v_dual_add_nc_u32 v7, 4, v7
	s_delay_alu instid0(VALU_DEP_4)
	v_lshl_add_u64 v[36:37], v[36:37], 1, s[34:35]
	v_lshl_add_u64 v[38:39], v[38:39], 1, s[34:35]
	;; [unrolled: 1-line block ×4, first 2 shown]
	s_clause 0x3
	global_load_u16 v5, v[36:37], off
	global_load_u16 v36, v[38:39], off
	;; [unrolled: 1-line block ×4, first 2 shown]
	v_cmp_eq_u32_e32 vcc_lo, 0, v4
	s_or_b32 s21, vcc_lo, s21
	s_wait_loadcnt 0x2
	v_perm_b32 v35, v36, v5, 0x5040100
	s_wait_loadcnt 0x1
	v_perm_b32 v5, v16, v36, 0x5040100
	s_wait_loadcnt 0x0
	v_alignbit_b32 v34, v37, v34, 16
	ds_store_b64 v3, v[34:35]
	v_dual_mov_b32 v34, v5 :: v_dual_add_nc_u32 v3, 8, v3
	s_and_not1_b32 exec_lo, exec_lo, s21
	s_cbranch_execnz .LBB95_36
; %bb.37:                               ;   in Loop: Header=BB95_6 Depth=1
	s_or_b32 exec_lo, exec_lo, s21
.LBB95_38:                              ;   in Loop: Header=BB95_6 Depth=1
	s_delay_alu instid0(SALU_CYCLE_1) | instskip(SKIP_2) | instid1(VALU_DEP_1)
	s_or_b32 exec_lo, exec_lo, s20
	v_dual_add_nc_u32 v2, v2, v22 :: v_dual_add_nc_u32 v3, v0, v22
	s_or_not1_b32 s20, s10, exec_lo
	v_add_nc_u32_e32 v4, -1, v2
.LBB95_39:                              ;   in Loop: Header=BB95_6 Depth=1
	s_or_b32 exec_lo, exec_lo, s14
	v_mov_b32_e32 v5, s18
	s_and_b32 s14, s20, exec_lo
	s_and_not1_saveexec_b32 s19, s19
	s_cbranch_execz .LBB95_25
.LBB95_40:                              ;   in Loop: Header=BB95_6 Depth=1
	v_dual_mov_b32 v5, s18 :: v_dual_mov_b32 v3, v0
	s_or_b32 s14, s14, exec_lo
	s_or_b32 exec_lo, exec_lo, s19
	s_and_saveexec_b32 s18, s14
	s_cbranch_execz .LBB95_44
.LBB95_41:                              ;   in Loop: Header=BB95_6 Depth=1
	v_mul_lo_u32 v4, s55, v2
	s_mov_b32 s19, 0
	s_sub_co_i32 s14, 0, s17
.LBB95_42:                              ;   Parent Loop BB95_6 Depth=1
                                        ; =>  This Inner Loop Header: Depth=2
	s_wait_loadcnt 0x0
	v_dual_mov_b32 v6, v16 :: v_dual_mov_b32 v7, v2
	global_load_u16 v16, v4, s[34:35] scale_offset
	s_wait_xcnt 0x0
	v_dual_lshlrev_b32 v8, 1, v3 :: v_dual_add_nc_u32 v4, v4, v5
	v_dual_mov_b32 v3, v7 :: v_dual_add_nc_u32 v2, s17, v7
	ds_store_b16 v8, v6
	v_cmp_le_u32_e32 vcc_lo, s36, v2
	s_or_b32 s19, vcc_lo, s19
	s_delay_alu instid0(SALU_CYCLE_1)
	s_and_not1_b32 exec_lo, exec_lo, s19
	s_cbranch_execnz .LBB95_42
; %bb.43:                               ;   in Loop: Header=BB95_6 Depth=1
	s_or_b32 exec_lo, exec_lo, s19
	v_add_nc_u32_e32 v4, s14, v2
.LBB95_44:                              ;   in Loop: Header=BB95_6 Depth=1
	s_or_b32 exec_lo, exec_lo, s18
.LBB95_45:                              ;   in Loop: Header=BB95_6 Depth=1
	s_delay_alu instid0(SALU_CYCLE_1) | instskip(NEXT) | instid1(VALU_DEP_1)
	s_or_b32 exec_lo, exec_lo, s16
	v_lshlrev_b32_e32 v2, 1, v4
	s_wait_loadcnt 0x0
	ds_store_b16 v2, v16
.LBB95_46:                              ;   in Loop: Header=BB95_6 Depth=1
	s_or_b32 exec_lo, exec_lo, s15
	s_wait_dscnt 0x0
	s_barrier_signal -1
	s_barrier_wait -1
	s_and_saveexec_b32 s14, s5
; %bb.47:                               ;   in Loop: Header=BB95_6 Depth=1
	v_mov_b32_e32 v2, s36
	ds_store_b32 v17, v2 offset:4096
; %bb.48:                               ;   in Loop: Header=BB95_6 Depth=1
	s_or_b32 exec_lo, exec_lo, s14
	s_mov_b32 s14, -1
	s_wait_dscnt 0x0
	s_barrier_signal -1
	s_barrier_wait -1
.LBB95_49:                              ;   in Loop: Header=BB95_6 Depth=1
	s_and_b32 vcc_lo, exec_lo, s14
	s_mov_b32 s44, 0
	s_cbranch_vccz .LBB95_51
; %bb.50:                               ;   in Loop: Header=BB95_6 Depth=1
	ds_load_b32 v2, v17 offset:4096
	s_wait_dscnt 0x0
	v_readfirstlane_b32 s44, v2
.LBB95_51:                              ;   in Loop: Header=BB95_6 Depth=1
	s_delay_alu instid0(VALU_DEP_1)
	s_cmp_lt_i32 s44, 1
	s_mov_b32 s14, -1
                                        ; implicit-def: $vgpr4_vgpr5
	s_cbranch_scc1 .LBB95_64
; %bb.52:                               ;   in Loop: Header=BB95_6 Depth=1
	s_and_b32 vcc_lo, exec_lo, s14
	s_cbranch_vccnz .LBB95_75
.LBB95_53:                              ;   in Loop: Header=BB95_6 Depth=1
	s_lshl_b32 s16, s86, 7
	s_and_saveexec_b32 s14, s2
.LBB95_54:                              ;   in Loop: Header=BB95_6 Depth=1
	v_lshl_add_u32 v6, s16, 2, v21
	ds_store_b128 v6, v[2:5]
.LBB95_55:                              ;   in Loop: Header=BB95_6 Depth=1
	s_or_b32 exec_lo, exec_lo, s14
	s_wait_dscnt 0x0
	s_barrier_signal -1
	s_barrier_wait -1
	s_and_saveexec_b32 s17, s62
	s_cbranch_execz .LBB95_88
; %bb.56:                               ;   in Loop: Header=BB95_6 Depth=1
	v_dual_add_nc_u32 v4, s16, v1 :: v_dual_mov_b32 v2, 0
	s_and_not1_b32 vcc_lo, exec_lo, s64
	s_cbranch_vccnz .LBB95_87
; %bb.57:                               ;   in Loop: Header=BB95_6 Depth=1
	s_and_not1_b32 vcc_lo, exec_lo, s67
	s_cbranch_vccnz .LBB95_84
; %bb.58:                               ;   in Loop: Header=BB95_6 Depth=1
	v_lshl_add_u32 v5, v4, 2, 0xc00
	s_and_not1_b32 vcc_lo, exec_lo, s70
	s_cbranch_vccnz .LBB95_114
; %bb.59:                               ;   in Loop: Header=BB95_6 Depth=1
	v_dual_mov_b32 v2, 0 :: v_dual_mov_b32 v3, 0
	s_mov_b32 s15, 1
	s_mov_b32 s14, 0
	;; [unrolled: 1-line block ×3, first 2 shown]
.LBB95_60:                              ;   Parent Loop BB95_6 Depth=1
                                        ; =>  This Inner Loop Header: Depth=2
	v_lshl_add_u32 v16, s15, 4, v5
	v_lshl_add_u32 v44, s14, 4, v5
	s_add_co_i32 s18, s18, -8
	s_add_co_i32 s15, s15, 16
	s_add_co_i32 s14, s14, 16
	ds_load_2addr_b32 v[6:7], v16 offset1:8
	ds_load_2addr_b32 v[8:9], v44 offset1:8
	ds_load_2addr_b32 v[34:35], v16 offset0:16 offset1:24
	ds_load_2addr_b32 v[36:37], v44 offset0:16 offset1:24
	ds_load_2addr_b32 v[38:39], v16 offset0:32 offset1:40
	ds_load_2addr_b32 v[40:41], v44 offset0:32 offset1:40
	ds_load_2addr_b32 v[42:43], v16 offset0:48 offset1:56
	ds_load_2addr_b32 v[44:45], v44 offset0:48 offset1:56
	s_cmp_lg_u32 s18, 0
	s_wait_dscnt 0x7
	v_add3_u32 v3, v6, v3, v7
	s_wait_dscnt 0x6
	v_add3_u32 v2, v8, v2, v9
	s_wait_dscnt 0x5
	s_delay_alu instid0(VALU_DEP_2) | instskip(SKIP_1) | instid1(VALU_DEP_2)
	v_add3_u32 v3, v34, v3, v35
	s_wait_dscnt 0x4
	v_add3_u32 v2, v36, v2, v37
	s_wait_dscnt 0x3
	s_delay_alu instid0(VALU_DEP_2) | instskip(SKIP_1) | instid1(VALU_DEP_2)
	;; [unrolled: 5-line block ×3, first 2 shown]
	v_add3_u32 v3, v42, v3, v43
	s_wait_dscnt 0x0
	v_add3_u32 v2, v44, v2, v45
	s_cbranch_scc1 .LBB95_60
; %bb.61:                               ;   in Loop: Header=BB95_6 Depth=1
	s_and_not1_b32 vcc_lo, exec_lo, s72
	s_mov_b32 s18, s69
	s_cbranch_vccnz .LBB95_63
.LBB95_62:                              ;   Parent Loop BB95_6 Depth=1
                                        ; =>  This Inner Loop Header: Depth=2
	v_lshl_add_u32 v6, s15, 4, v5
	v_lshl_add_u32 v7, s14, 4, v5
	s_add_co_i32 s18, s18, -1
	s_add_co_i32 s15, s15, 2
	s_add_co_i32 s14, s14, 2
	ds_load_b32 v6, v6
	ds_load_b32 v7, v7
	s_cmp_lg_u32 s18, 0
	s_wait_dscnt 0x0
	v_dual_add_nc_u32 v3, v6, v3 :: v_dual_add_nc_u32 v2, v7, v2
	s_cbranch_scc1 .LBB95_62
.LBB95_63:                              ;   in Loop: Header=BB95_6 Depth=1
	s_delay_alu instid0(VALU_DEP_1) | instskip(SKIP_2) | instid1(SALU_CYCLE_1)
	v_add_nc_u32_e32 v2, v2, v3
	s_mov_b32 s14, s68
	s_mov_b32 s15, s73
	s_and_b32 vcc_lo, exec_lo, s15
	s_cbranch_vccnz .LBB95_85
	s_branch .LBB95_87
.LBB95_64:                              ;   in Loop: Header=BB95_6 Depth=1
	v_mov_b64_e32 v[4:5], 0
	v_mov_b64_e32 v[2:3], 0
	s_and_saveexec_b32 s96, s11
	s_cbranch_execz .LBB95_68
; %bb.65:                               ;   in Loop: Header=BB95_6 Depth=1
	v_mov_b32_e32 v6, v11
	s_mov_b32 s97, 0
	s_mov_b32 s98, 0
	;; [unrolled: 1-line block ×6, first 2 shown]
.LBB95_66:                              ;   Parent Loop BB95_6 Depth=1
                                        ; =>  This Inner Loop Header: Depth=2
	v_dual_lshlrev_b32 v2, 2, v14 :: v_dual_add_nc_u32 v4, s98, v27
	v_mad_u32 v3, s55, v11, s55
	v_dual_add_nc_u32 v5, s98, v28 :: v_dual_add_nc_u32 v6, s61, v6
	s_delay_alu instid0(VALU_DEP_3) | instskip(NEXT) | instid1(VALU_DEP_2)
	v_add_nc_u32_e32 v2, s98, v2
	v_cmp_le_u32_e32 vcc_lo, s77, v6
	global_load_u16 v2, v2, s[34:35] scale_offset
	v_add_nc_u32_e32 v3, s98, v3
	s_clause 0x2
	global_load_u16 v3, v3, s[34:35] scale_offset
	global_load_u16 v4, v4, s[34:35] scale_offset
	;; [unrolled: 1-line block ×3, first 2 shown]
	s_add_co_i32 s98, s98, s79
	s_wait_loadcnt 0x3
	v_cmp_lt_i16_e64 s14, -1, v2
	v_and_b32_e32 v7, 0xffff, v2
	s_delay_alu instid0(VALU_DEP_2)
	v_cndmask_b32_e64 v8, 0xffff, v30, s14
	s_wait_loadcnt 0x2
	v_cmp_lt_i16_e64 s15, -1, v3
	v_cmp_o_f16_e64 s14, v2, v2
	v_and_b32_e32 v2, 0xffff, v3
	s_wait_loadcnt 0x1
	v_and_b32_e32 v9, 0xffff, v4
	v_xor_b32_e32 v7, v8, v7
	v_cndmask_b32_e64 v8, 0xffff, v30, s15
	v_cmp_lt_i16_e64 s15, -1, v4
	s_wait_loadcnt 0x0
	v_and_b32_e32 v34, 0xffff, v5
	v_cmp_o_f16_e64 s16, v5, v5
	v_cndmask_b32_e64 v7, 0xffff, v7, s14
	v_xor_b32_e32 v2, v8, v2
	v_cndmask_b32_e64 v16, 0xffff, v30, s15
	v_cmp_lt_i16_e64 s15, -1, v5
	v_cmp_o_f16_e64 s14, v3, v3
	v_and_b32_e32 v5, v7, v31
	v_bfe_u32 v7, v7, s82, 2
	v_xor_b32_e32 v3, v16, v9
	v_cndmask_b32_e64 v35, 0xffff, v30, s15
	v_cmp_o_f16_e64 s15, v4, v4
	v_cndmask_b32_e64 v2, 0xffff, v2, s14
	v_cmp_eq_u32_e64 s14, v5, v25
	v_cmp_eq_u32_e64 s17, 2, v7
	v_xor_b32_e32 v4, v35, v34
	v_cndmask_b32_e64 v3, 0xffff, v3, s15
	v_cmp_eq_u32_e64 s15, 0, v7
	v_cmp_eq_u32_e64 s18, 3, v7
	v_and_b32_e32 v5, v2, v31
	v_cndmask_b32_e64 v4, 0xffff, v4, s16
	v_cmp_eq_u32_e64 s16, 1, v7
	s_and_b32 s15, s14, s15
	v_bfe_u32 v2, v2, s82, 2
	v_cndmask_b32_e64 v9, 0, 1, s15
	v_and_b32_e32 v7, v3, v31
	s_and_b32 s15, s14, s16
	v_bfe_u32 v3, v3, s82, 2
	v_cndmask_b32_e64 v16, 0, 1, s15
	s_and_b32 s15, s14, s17
	s_and_b32 s14, s14, s18
	v_and_b32_e32 v8, v4, v31
	v_bfe_u32 v4, v4, s82, 2
	v_cndmask_b32_e64 v35, 0, 1, s14
	v_cmp_eq_u32_e64 s14, v5, v25
	v_cmp_eq_u32_e64 s17, 0, v2
	v_cndmask_b32_e64 v34, 0, 1, s15
	v_cmp_eq_u32_e64 s15, v7, v25
	v_cmp_eq_u32_e64 s18, 0, v3
	;; [unrolled: 1-line block ×4, first 2 shown]
	s_and_b32 s17, s14, s17
	v_cmp_eq_u32_e64 s20, 1, v2
	v_cmp_eq_u32_e64 s23, 2, v2
	v_cmp_eq_u32_e64 s26, 3, v2
	v_cndmask_b32_e64 v2, 0, 1, s17
	s_and_b32 s17, s15, s18
	v_cmp_eq_u32_e64 s21, 1, v3
	v_cmp_eq_u32_e64 s24, 2, v3
	v_cmp_eq_u32_e64 s27, 3, v3
	v_cndmask_b32_e64 v3, 0, 1, s17
	;; [unrolled: 5-line block ×3, first 2 shown]
	s_and_b32 s17, s14, s20
	v_cmp_ne_u32_e64 s29, 0, v9
	v_cndmask_b32_e64 v5, 0, 1, s17
	s_and_b32 s17, s15, s21
	v_cmp_ne_u32_e64 s33, 0, v35
	v_cndmask_b32_e64 v7, 0, 1, s17
	s_and_b32 s17, s16, s22
	v_cmp_ne_u32_e64 s30, 0, v16
	v_cndmask_b32_e64 v8, 0, 1, s17
	s_and_b32 s17, s14, s23
	s_and_b32 s14, s14, s26
	v_cndmask_b32_e64 v9, 0, 1, s17
	s_and_b32 s17, s15, s24
	v_cndmask_b32_e64 v35, 0, 1, s14
	;; [unrolled: 2-line block ×4, first 2 shown]
	s_and_b32 s14, s16, s28
	v_cmp_ne_u32_e64 s31, 0, v34
	v_cndmask_b32_e64 v34, 0, 1, s17
	v_cndmask_b32_e64 v37, 0, 1, s14
	v_cmp_ne_u32_e64 s14, 0, v2
	v_cmp_ne_u32_e64 s17, 0, v5
	;; [unrolled: 1-line block ×8, first 2 shown]
	s_bcnt1_i32_b32 s26, s29
	s_bcnt1_i32_b32 s27, s30
	s_bcnt1_i32_b32 s28, s31
	s_bcnt1_i32_b32 s29, s33
	v_cmp_ne_u32_e64 s16, 0, v4
	v_cmp_ne_u32_e64 s19, 0, v8
	;; [unrolled: 1-line block ×4, first 2 shown]
	s_add_co_i32 s26, s26, s50
	s_add_co_i32 s27, s27, s51
	;; [unrolled: 1-line block ×4, first 2 shown]
	s_bcnt1_i32_b32 s14, s14
	s_bcnt1_i32_b32 s17, s17
	;; [unrolled: 1-line block ×8, first 2 shown]
	s_add_co_i32 s17, s27, s17
	s_add_co_i32 s14, s26, s14
	;; [unrolled: 1-line block ×4, first 2 shown]
	s_bcnt1_i32_b32 s16, s16
	s_bcnt1_i32_b32 s19, s19
	;; [unrolled: 1-line block ×4, first 2 shown]
	s_add_co_i32 s14, s14, s15
	s_add_co_i32 s15, s17, s18
	;; [unrolled: 1-line block ×8, first 2 shown]
	v_mov_b64_e32 v[2:3], s[50:51]
	v_mov_b64_e32 v[4:5], s[52:53]
	s_or_b32 s97, vcc_lo, s97
	s_delay_alu instid0(SALU_CYCLE_1)
	s_and_not1_b32 exec_lo, exec_lo, s97
	s_cbranch_execnz .LBB95_66
; %bb.67:                               ;   in Loop: Header=BB95_6 Depth=1
	s_or_b32 exec_lo, exec_lo, s97
.LBB95_68:                              ;   in Loop: Header=BB95_6 Depth=1
	s_delay_alu instid0(SALU_CYCLE_1)
	s_or_b32 exec_lo, exec_lo, s96
	s_and_saveexec_b32 s18, s12
	s_cbranch_execz .LBB95_74
; %bb.69:                               ;   in Loop: Header=BB95_6 Depth=1
	global_load_u16 v9, v[18:19], off
	v_dual_mov_b32 v6, v29 :: v_dual_mov_b32 v7, v23
	s_mov_b32 s19, 0
	s_branch .LBB95_71
.LBB95_70:                              ;   in Loop: Header=BB95_71 Depth=2
	s_wait_xcnt 0x0
	s_or_b32 exec_lo, exec_lo, s15
	s_wait_loadcnt 0x0
	v_cmp_lt_i16_e64 s14, -1, v9
	v_and_b32_e32 v16, 0xffff, v9
	s_and_b32 s15, exec_lo, vcc_lo
	v_add_nc_u32_e32 v6, s56, v6
	s_or_b32 s19, s15, s19
	v_cndmask_b32_e64 v34, 0xffff, v30, s14
	v_cmp_o_f16_e64 s14, v9, v9
	s_delay_alu instid0(VALU_DEP_2) | instskip(NEXT) | instid1(VALU_DEP_1)
	v_xor_b32_e32 v16, v34, v16
	v_cndmask_b32_e64 v9, 0xffff, v16, s14
	s_delay_alu instid0(VALU_DEP_1) | instskip(SKIP_1) | instid1(VALU_DEP_2)
	v_and_b32_e32 v16, v9, v31
	v_bfe_u32 v9, v9, s82, 2
	v_cmp_eq_u32_e32 vcc_lo, v16, v25
	s_delay_alu instid0(VALU_DEP_2) | instskip(SKIP_4) | instid1(SALU_CYCLE_1)
	v_cmp_eq_u32_e64 s14, 0, v9
	v_cmp_eq_u32_e64 s15, 1, v9
	;; [unrolled: 1-line block ×4, first 2 shown]
	s_and_b32 s14, vcc_lo, s14
	v_cndmask_b32_e64 v9, 0, 1, s14
	s_and_b32 s14, vcc_lo, s15
	s_delay_alu instid0(SALU_CYCLE_1) | instskip(SKIP_1) | instid1(SALU_CYCLE_1)
	v_cndmask_b32_e64 v16, 0, 1, s14
	s_and_b32 s14, vcc_lo, s16
	v_cndmask_b32_e64 v34, 0, 1, s14
	s_and_b32 s14, vcc_lo, s17
	v_cmp_ne_u32_e32 vcc_lo, 0, v9
	v_cndmask_b32_e64 v35, 0, 1, s14
	v_cmp_ne_u32_e64 s14, 0, v16
	v_cmp_ne_u32_e64 s15, 0, v34
	v_mov_b32_e32 v9, v8
	s_bcnt1_i32_b32 s17, vcc_lo
	v_cmp_ne_u32_e64 s16, 0, v35
	s_bcnt1_i32_b32 s14, s14
	s_bcnt1_i32_b32 s15, s15
	s_delay_alu instid0(SALU_CYCLE_1) | instskip(SKIP_1) | instid1(SALU_CYCLE_1)
	v_dual_add_nc_u32 v2, s17, v2 :: v_dual_add_nc_u32 v4, s15, v4
	s_bcnt1_i32_b32 s16, s16
	v_dual_add_nc_u32 v3, s14, v3 :: v_dual_add_nc_u32 v5, s16, v5
	s_and_not1_b32 exec_lo, exec_lo, s19
	s_cbranch_execz .LBB95_73
.LBB95_71:                              ;   Parent Loop BB95_6 Depth=1
                                        ; =>  This Inner Loop Header: Depth=2
	s_delay_alu instid0(VALU_DEP_1) | instskip(SKIP_1) | instid1(VALU_DEP_1)
	v_dual_mov_b32 v8, 0 :: v_dual_add_nc_u32 v7, s54, v7
	s_mov_b32 s15, exec_lo
	v_cmp_le_u32_e32 vcc_lo, s36, v7
	s_wait_xcnt 0x0
	v_cmpx_gt_u32_e64 s36, v7
	s_cbranch_execz .LBB95_70
; %bb.72:                               ;   in Loop: Header=BB95_71 Depth=2
	global_load_u16 v8, v6, s[34:35] scale_offset
	s_branch .LBB95_70
.LBB95_73:                              ;   in Loop: Header=BB95_6 Depth=1
	s_or_b32 exec_lo, exec_lo, s19
.LBB95_74:                              ;   in Loop: Header=BB95_6 Depth=1
	s_delay_alu instid0(SALU_CYCLE_1)
	s_or_b32 exec_lo, exec_lo, s18
	s_branch .LBB95_53
.LBB95_75:                              ;   in Loop: Header=BB95_6 Depth=1
	s_mul_u64 s[14:15], s[44:45], s[38:39]
	v_mov_b64_e32 v[4:5], 0
	s_mul_i32 s14, s15, s61
	v_mov_b64_e32 v[2:3], 0
	s_sub_co_i32 s14, s44, s14
	s_mov_b32 s50, exec_lo
	s_sub_co_i32 s15, s14, s61
	s_cmp_ge_u32 s14, s61
	s_cselect_b32 s14, s15, s14
	s_delay_alu instid0(SALU_CYCLE_1) | instskip(SKIP_2) | instid1(SALU_CYCLE_1)
	s_sub_co_i32 s15, s14, s61
	s_cmp_ge_u32 s14, s61
	s_cselect_b32 s14, s15, s14
	s_sub_co_i32 s33, s44, s14
	s_delay_alu instid0(SALU_CYCLE_1)
	v_cmpx_gt_u32_e64 s33, v11
	s_cbranch_execz .LBB95_79
; %bb.76:                               ;   in Loop: Header=BB95_6 Depth=1
	v_dual_mov_b32 v6, v11 :: v_dual_lshlrev_b32 v7, 3, v0
	s_mov_b32 s51, 0
	s_mov_b32 s28, 0
	;; [unrolled: 1-line block ×5, first 2 shown]
.LBB95_77:                              ;   Parent Loop BB95_6 Depth=1
                                        ; =>  This Inner Loop Header: Depth=2
	ds_load_b64 v[2:3], v7
	v_dual_add_nc_u32 v6, s61, v6 :: v_dual_add_nc_u32 v7, s80, v7
	s_delay_alu instid0(VALU_DEP_1) | instskip(SKIP_3) | instid1(VALU_DEP_2)
	v_cmp_le_u32_e32 vcc_lo, s33, v6
	s_wait_dscnt 0x0
	v_cmp_lt_i16_e64 s14, -1, v2
	v_dual_lshrrev_b32 v5, 16, v2 :: v_dual_lshrrev_b32 v9, 16, v3
	v_cndmask_b32_e64 v4, 0xffff, v30, s14
	v_cmp_lt_i16_e64 s14, -1, v3
	s_delay_alu instid0(VALU_DEP_3) | instskip(NEXT) | instid1(VALU_DEP_3)
	v_cmp_lt_i16_e64 s15, -1, v9
	v_bitop3_b32 v4, v4, v2, 0xffff bitop3:0x78
	s_delay_alu instid0(VALU_DEP_3) | instskip(SKIP_1) | instid1(VALU_DEP_2)
	v_cndmask_b32_e64 v8, 0xffff, v30, s14
	v_cmp_lt_i16_e64 s14, -1, v5
	v_bitop3_b32 v8, v8, v3, 0xffff bitop3:0x78
	s_delay_alu instid0(VALU_DEP_2) | instskip(SKIP_3) | instid1(VALU_DEP_3)
	v_cndmask_b32_e64 v16, 0xffff, v30, s14
	v_cmp_o_f16_e64 s14, v3, v3
	v_cndmask_b32_e64 v3, 0xffff, v30, s15
	v_cmp_o_f16_e64 s15, v2, v2
	v_cndmask_b32_e64 v8, 0xffff, v8, s14
	s_delay_alu instid0(VALU_DEP_3) | instskip(NEXT) | instid1(VALU_DEP_3)
	v_xor_b32_e32 v3, v3, v9
	v_cndmask_b32_e64 v2, 0xffff, v4, s15
	v_xor_b32_e32 v4, v16, v5
	v_cmp_o_f16_e64 s14, v9, v9
	v_cmp_o_f16_e64 s15, v5, v5
	v_and_b32_e32 v9, v8, v31
	v_and_b32_e32 v5, v2, v31
	v_bfe_u32 v2, v2, s82, 2
	v_bfe_u32 v8, v8, s82, 2
	v_cndmask_b32_e64 v4, 0xffff, v4, s15
	v_cndmask_b32_e64 v3, 0xffff, v3, s14
	v_cmp_eq_u32_e64 s14, v5, v25
	v_cmp_eq_u32_e64 s16, 0, v2
	;; [unrolled: 1-line block ×8, first 2 shown]
	v_and_b32_e32 v5, v4, v31
	v_and_b32_e32 v9, v3, v31
	v_bfe_u32 v4, v4, s82, 2
	v_bfe_u32 v3, v3, s82, 2
	v_cmp_eq_u32_e64 s22, 3, v2
	s_and_b32 s16, s14, s16
	s_and_b32 s18, s14, s18
	s_and_b32 s20, s14, s20
	v_cmp_eq_u32_e64 s23, 3, v8
	v_cndmask_b32_e64 v2, 0, 1, s16
	s_and_b32 s16, s15, s17
	v_cndmask_b32_e64 v8, 0, 1, s18
	s_and_b32 s18, s15, s19
	v_cndmask_b32_e64 v16, 0, 1, s20
	s_and_b32 s20, s15, s21
	v_cmp_eq_u32_e64 s24, v5, v25
	v_cmp_eq_u32_e64 s25, v9, v25
	v_cmp_eq_u32_e64 s26, 0, v4
	v_cmp_eq_u32_e64 s27, 0, v3
	v_cndmask_b32_e64 v5, 0, 1, s16
	v_cmp_eq_u32_e64 s16, 1, v4
	v_cmp_eq_u32_e64 s17, 1, v3
	v_cndmask_b32_e64 v9, 0, 1, s18
	v_cmp_eq_u32_e64 s18, 2, v4
	v_cmp_eq_u32_e64 s19, 2, v3
	v_cndmask_b32_e64 v34, 0, 1, s20
	v_cmp_eq_u32_e64 s20, 3, v4
	s_and_b32 s14, s14, s22
	v_cmp_eq_u32_e64 s21, 3, v3
	v_cndmask_b32_e64 v3, 0, 1, s14
	s_and_b32 s14, s15, s23
	s_and_b32 s15, s24, s26
	s_and_b32 s22, s25, s27
	s_and_b32 s16, s24, s16
	s_and_b32 s17, s25, s17
	s_and_b32 s18, s24, s18
	s_and_b32 s19, s25, s19
	s_and_b32 s20, s24, s20
	v_cndmask_b32_e64 v4, 0, 1, s14
	v_cmp_ne_u32_e64 s14, 0, v2
	v_cndmask_b32_e64 v2, 0, 1, s15
	v_cmp_ne_u32_e64 s15, 0, v5
	v_cndmask_b32_e64 v5, 0, 1, s22
	v_cmp_ne_u32_e64 s22, 0, v8
	v_cndmask_b32_e64 v8, 0, 1, s16
	v_cmp_ne_u32_e64 s16, 0, v9
	v_cndmask_b32_e64 v9, 0, 1, s17
	v_cmp_ne_u32_e64 s17, 0, v16
	v_cndmask_b32_e64 v16, 0, 1, s18
	v_cmp_ne_u32_e64 s18, 0, v34
	v_cndmask_b32_e64 v34, 0, 1, s19
	v_cmp_ne_u32_e64 s19, 0, v3
	v_cndmask_b32_e64 v3, 0, 1, s20
	s_and_b32 s21, s25, s21
	v_cmp_ne_u32_e64 s20, 0, v4
	v_cndmask_b32_e64 v4, 0, 1, s21
	s_bcnt1_i32_b32 s23, s14
	v_cmp_ne_u32_e64 s14, 0, v2
	v_cmp_ne_u32_e64 s21, 0, v8
	s_bcnt1_i32_b32 s26, s17
	v_cmp_ne_u32_e64 s17, 0, v16
	s_bcnt1_i32_b32 s52, s19
	;; [unrolled: 2-line block ×3, first 2 shown]
	s_bcnt1_i32_b32 s24, s15
	v_cmp_ne_u32_e64 s15, 0, v5
	s_bcnt1_i32_b32 s25, s16
	v_cmp_ne_u32_e64 s16, 0, v9
	;; [unrolled: 2-line block ×4, first 2 shown]
	s_add_co_i32 s23, s23, s28
	s_add_co_i32 s22, s22, s29
	;; [unrolled: 1-line block ×4, first 2 shown]
	s_bcnt1_i32_b32 s14, s14
	s_bcnt1_i32_b32 s21, s21
	;; [unrolled: 1-line block ×4, first 2 shown]
	s_add_co_i32 s21, s22, s21
	s_add_co_i32 s14, s23, s14
	;; [unrolled: 1-line block ×4, first 2 shown]
	s_bcnt1_i32_b32 s15, s15
	s_bcnt1_i32_b32 s16, s16
	;; [unrolled: 1-line block ×4, first 2 shown]
	s_add_co_i32 s14, s14, s24
	s_add_co_i32 s21, s21, s25
	;; [unrolled: 1-line block ×8, first 2 shown]
	v_mov_b64_e32 v[2:3], s[28:29]
	v_mov_b64_e32 v[4:5], s[30:31]
	s_or_b32 s51, vcc_lo, s51
	s_delay_alu instid0(SALU_CYCLE_1)
	s_and_not1_b32 exec_lo, exec_lo, s51
	s_cbranch_execnz .LBB95_77
; %bb.78:                               ;   in Loop: Header=BB95_6 Depth=1
	s_or_b32 exec_lo, exec_lo, s51
.LBB95_79:                              ;   in Loop: Header=BB95_6 Depth=1
	s_delay_alu instid0(SALU_CYCLE_1) | instskip(SKIP_2) | instid1(VALU_DEP_1)
	s_or_b32 exec_lo, exec_lo, s50
	v_add_nc_u32_e32 v6, s33, v0
	s_mov_b32 s19, exec_lo
	v_cmpx_gt_u32_e64 s44, v6
	s_cbranch_execz .LBB95_83
; %bb.80:                               ;   in Loop: Header=BB95_6 Depth=1
	v_lshlrev_b32_e32 v7, 1, v6
	s_mov_b32 s20, 0
.LBB95_81:                              ;   Parent Loop BB95_6 Depth=1
                                        ; =>  This Inner Loop Header: Depth=2
	ds_load_u16 v8, v7
	v_dual_add_nc_u32 v6, s54, v6 :: v_dual_add_nc_u32 v7, s81, v7
	s_delay_alu instid0(VALU_DEP_1) | instskip(SKIP_3) | instid1(VALU_DEP_2)
	v_cmp_le_u32_e32 vcc_lo, s44, v6
	s_wait_dscnt 0x0
	v_cmp_lt_i16_e64 s14, -1, v8
	v_and_b32_e32 v9, 0xffff, v8
	v_cndmask_b32_e64 v16, 0xffff, v30, s14
	v_cmp_o_f16_e64 s14, v8, v8
	s_delay_alu instid0(VALU_DEP_2) | instskip(NEXT) | instid1(VALU_DEP_1)
	v_xor_b32_e32 v9, v16, v9
	v_cndmask_b32_e64 v8, 0xffff, v9, s14
	s_delay_alu instid0(VALU_DEP_1) | instskip(SKIP_1) | instid1(VALU_DEP_2)
	v_and_b32_e32 v9, v8, v31
	v_bfe_u32 v8, v8, s82, 2
	v_cmp_eq_u32_e64 s14, v9, v25
	s_delay_alu instid0(VALU_DEP_2) | instskip(SKIP_4) | instid1(SALU_CYCLE_1)
	v_cmp_eq_u32_e64 s15, 0, v8
	v_cmp_eq_u32_e64 s16, 1, v8
	;; [unrolled: 1-line block ×4, first 2 shown]
	s_and_b32 s15, s14, s15
	v_cndmask_b32_e64 v8, 0, 1, s15
	s_and_b32 s15, s14, s16
	s_delay_alu instid0(SALU_CYCLE_1)
	v_cndmask_b32_e64 v9, 0, 1, s15
	s_and_b32 s15, s14, s17
	s_and_b32 s14, s14, s18
	v_cndmask_b32_e64 v16, 0, 1, s15
	v_cndmask_b32_e64 v34, 0, 1, s14
	v_cmp_ne_u32_e64 s14, 0, v8
	v_cmp_ne_u32_e64 s15, 0, v9
	s_delay_alu instid0(VALU_DEP_4) | instskip(NEXT) | instid1(VALU_DEP_4)
	v_cmp_ne_u32_e64 s16, 0, v16
	v_cmp_ne_u32_e64 s17, 0, v34
	s_bcnt1_i32_b32 s14, s14
	s_bcnt1_i32_b32 s15, s15
	v_add_nc_u32_e32 v2, s14, v2
	s_bcnt1_i32_b32 s16, s16
	s_bcnt1_i32_b32 s17, s17
	s_delay_alu instid0(SALU_CYCLE_1) | instskip(SKIP_2) | instid1(SALU_CYCLE_1)
	v_dual_add_nc_u32 v3, s15, v3 :: v_dual_add_nc_u32 v5, s17, v5
	v_add_nc_u32_e32 v4, s16, v4
	s_or_b32 s20, vcc_lo, s20
	s_and_not1_b32 exec_lo, exec_lo, s20
	s_cbranch_execnz .LBB95_81
; %bb.82:                               ;   in Loop: Header=BB95_6 Depth=1
	s_or_b32 exec_lo, exec_lo, s20
.LBB95_83:                              ;   in Loop: Header=BB95_6 Depth=1
	s_delay_alu instid0(SALU_CYCLE_1)
	s_or_b32 exec_lo, exec_lo, s19
	s_lshl_b32 s16, s86, 7
	s_and_saveexec_b32 s14, s2
	s_cbranch_execnz .LBB95_54
	s_branch .LBB95_55
.LBB95_84:                              ;   in Loop: Header=BB95_6 Depth=1
	v_mov_b32_e32 v2, 0
	s_mov_b32 s14, 0
	s_cbranch_execz .LBB95_87
.LBB95_85:                              ;   in Loop: Header=BB95_6 Depth=1
	v_lshl_or_b32 v3, v1, 2, 0xc00
	s_lshl_b32 s15, s86, 9
	s_lshl_b32 s18, s14, 4
	s_sub_co_i32 s14, s66, s14
	s_delay_alu instid0(VALU_DEP_1)
	v_add3_u32 v3, s15, s18, v3
.LBB95_86:                              ;   Parent Loop BB95_6 Depth=1
                                        ; =>  This Inner Loop Header: Depth=2
	ds_load_b32 v5, v3
	v_add_nc_u32_e32 v3, 16, v3
	s_add_co_i32 s14, s14, -1
	s_delay_alu instid0(SALU_CYCLE_1)
	s_cmp_eq_u32 s14, 0
	s_wait_dscnt 0x0
	v_add_nc_u32_e32 v2, v5, v2
	s_cbranch_scc0 .LBB95_86
.LBB95_87:                              ;   in Loop: Header=BB95_6 Depth=1
	s_delay_alu instid0(VALU_DEP_1)
	v_lshlrev_b32_e32 v3, 2, v4
	ds_store_b32 v3, v2 offset:3072
.LBB95_88:                              ;   in Loop: Header=BB95_6 Depth=1
	s_or_b32 exec_lo, exec_lo, s17
	s_lshl_b32 s14, s16, 2
	s_wait_dscnt 0x0
	v_mov_b32_e32 v2, s14
	s_barrier_signal -1
	s_barrier_wait -1
	v_cmp_eq_u32_e64 s14, 1, v33
	ds_load_b128 v[2:5], v2 offset:3072
	s_lshl_b32 s18, 3, s82
	s_mov_b32 s26, -1
	s_not_b32 s19, s18
	s_mov_b32 s16, 0
	s_and_not1_b32 vcc_lo, exec_lo, s60
	s_mov_b32 s23, 0
	s_mov_b32 s15, 0
                                        ; implicit-def: $sgpr24
                                        ; implicit-def: $sgpr25
                                        ; implicit-def: $vgpr6
	s_wait_dscnt 0x0
	v_readfirstlane_b32 s17, v2
	v_readfirstlane_b32 s20, v3
	;; [unrolled: 1-line block ×4, first 2 shown]
                                        ; implicit-def: $vgpr5
                                        ; implicit-def: $vgpr2
                                        ; implicit-def: $vgpr3
                                        ; implicit-def: $vgpr4
	s_cbranch_vccnz .LBB95_255
; %bb.89:                               ;   in Loop: Header=BB95_6 Depth=1
	s_cmp_eq_u32 s17, 1
	v_dual_mov_b32 v3, v25 :: v_dual_mov_b32 v4, v31
	v_mov_b32_e32 v6, v32
	s_cselect_b32 s15, -1, 0
	s_mov_b32 s29, -1
	s_and_b32 s28, s15, s14
                                        ; implicit-def: $sgpr25
                                        ; implicit-def: $sgpr24
	s_delay_alu instid0(SALU_CYCLE_1)
	s_and_saveexec_b32 s15, s28
	s_cbranch_execz .LBB95_118
; %bb.90:                               ;   in Loop: Header=BB95_6 Depth=1
	ds_load_b32 v2, v17 offset:4096
	s_wait_dscnt 0x0
	s_barrier_signal -1
	s_barrier_wait -1
	v_readfirstlane_b32 s26, v2
	s_and_saveexec_b32 s23, s6
; %bb.91:                               ;   in Loop: Header=BB95_6 Depth=1
	ds_store_b16 v20, v17
; %bb.92:                               ;   in Loop: Header=BB95_6 Depth=1
	s_or_b32 exec_lo, exec_lo, s23
	v_and_b32_e32 v3, s19, v25
	v_or_b32_e32 v4, s18, v31
	s_mov_b32 s24, -1
	s_mov_b32 s25, 0
	s_cmp_eq_u32 s26, 0
	s_mov_b32 s23, 0
	s_mov_b32 s27, -1
	s_wait_dscnt 0x0
	s_barrier_signal -1
	s_barrier_wait -1
                                        ; implicit-def: $vgpr6
	s_cbranch_scc1 .LBB95_104
; %bb.93:                               ;   in Loop: Header=BB95_6 Depth=1
	s_add_co_i32 s44, s26, s65
	s_mov_b32 s29, exec_lo
	s_mul_u64 s[30:31], s[44:45], s[46:47]
                                        ; implicit-def: $vgpr6
	s_delay_alu instid0(SALU_CYCLE_1) | instskip(NEXT) | instid1(SALU_CYCLE_1)
	s_mul_i32 s23, s31, s54
	s_sub_co_i32 s23, s44, s23
	s_delay_alu instid0(SALU_CYCLE_1) | instskip(SKIP_2) | instid1(SALU_CYCLE_1)
	s_sub_co_i32 s27, s23, s54
	s_cmp_ge_u32 s23, s54
	s_cselect_b32 s23, s27, s23
	s_sub_co_i32 s27, s23, s54
	s_cmp_ge_u32 s23, s54
	s_cselect_b32 s23, s27, s23
	s_mov_b32 s27, 0
	s_sub_co_i32 s30, s44, s23
	s_mov_b32 s23, 0
	v_cmpx_gt_u32_e64 s30, v0
	s_cbranch_execz .LBB95_103
; %bb.94:                               ;   in Loop: Header=BB95_6 Depth=1
	v_dual_mov_b32 v2, v15 :: v_dual_mov_b32 v5, v0
                                        ; implicit-def: $sgpr31
	s_branch .LBB95_98
.LBB95_95:                              ;   in Loop: Header=BB95_98 Depth=2
	s_or_b32 exec_lo, exec_lo, s33
	s_wait_dscnt 0x0
	s_barrier_signal -1
	s_barrier_wait -1
	ds_load_b32 v6, v17 offset:3072
	s_wait_dscnt 0x0
	s_barrier_signal -1
	s_barrier_wait -1
	v_cmp_neq_f16_e32 vcc_lo, 0, v6
	s_cbranch_vccnz .LBB95_101
; %bb.96:                               ;   in Loop: Header=BB95_98 Depth=2
	v_dual_add_nc_u32 v5, s54, v5 :: v_dual_add_nc_u32 v2, s81, v2
	s_mov_b32 s33, 0
	s_delay_alu instid0(VALU_DEP_1)
	v_cmp_le_u32_e32 vcc_lo, s30, v5
	s_or_not1_b32 s44, vcc_lo, exec_lo
.LBB95_97:                              ;   in Loop: Header=BB95_98 Depth=2
	s_delay_alu instid0(SALU_CYCLE_1) | instskip(NEXT) | instid1(SALU_CYCLE_1)
	s_and_b32 s44, exec_lo, s44
	s_or_b32 s23, s44, s23
	s_and_not1_b32 s31, s31, exec_lo
	s_and_b32 s33, s33, exec_lo
	s_delay_alu instid0(SALU_CYCLE_1)
	s_or_b32 s31, s31, s33
	s_and_not1_b32 exec_lo, exec_lo, s23
	s_cbranch_execz .LBB95_102
.LBB95_98:                              ;   Parent Loop BB95_6 Depth=1
                                        ; =>  This Inner Loop Header: Depth=2
	s_mov_b32 s33, exec_lo
	s_delay_alu instid0(VALU_DEP_1)
	v_cmpx_gt_u32_e64 s26, v5
	s_cbranch_execz .LBB95_95
; %bb.99:                               ;   in Loop: Header=BB95_98 Depth=2
	ds_load_u16 v6, v2
	s_wait_dscnt 0x0
	v_cmp_lt_i16_e32 vcc_lo, -1, v6
	v_and_b32_e32 v7, 0xffff, v6
	v_cndmask_b32_e32 v8, 0xffff, v30, vcc_lo
	v_cmp_o_f16_e32 vcc_lo, v6, v6
	s_delay_alu instid0(VALU_DEP_2) | instskip(NEXT) | instid1(VALU_DEP_1)
	v_xor_b32_e32 v7, v8, v7
	v_cndmask_b32_e32 v7, 0xffff, v7, vcc_lo
	s_delay_alu instid0(VALU_DEP_1) | instskip(NEXT) | instid1(VALU_DEP_1)
	v_and_b32_e32 v7, v7, v4
	v_cmp_eq_u32_e32 vcc_lo, v7, v3
	s_and_b32 exec_lo, exec_lo, vcc_lo
	s_cbranch_execz .LBB95_95
; %bb.100:                              ;   in Loop: Header=BB95_98 Depth=2
	v_perm_b32 v6, v6, s84, 0x5040100
	ds_store_b32 v17, v6 offset:3072
	s_branch .LBB95_95
.LBB95_101:                             ;   in Loop: Header=BB95_98 Depth=2
	s_mov_b32 s44, -1
	s_mov_b32 s33, -1
                                        ; implicit-def: $vgpr5
                                        ; implicit-def: $vgpr2
	s_branch .LBB95_97
.LBB95_102:                             ;   in Loop: Header=BB95_6 Depth=1
	s_or_b32 exec_lo, exec_lo, s23
	v_lshrrev_b32_e32 v6, 16, v6
	s_and_b32 s23, s31, exec_lo
.LBB95_103:                             ;   in Loop: Header=BB95_6 Depth=1
	s_or_b32 exec_lo, exec_lo, s29
.LBB95_104:                             ;   in Loop: Header=BB95_6 Depth=1
	s_delay_alu instid0(SALU_CYCLE_1)
	s_and_b32 vcc_lo, exec_lo, s27
	s_cbranch_vccz .LBB95_117
; %bb.105:                              ;   in Loop: Header=BB95_6 Depth=1
                                        ; implicit-def: $vgpr6
	s_and_saveexec_b32 s24, s13
	s_cbranch_execz .LBB95_116
; %bb.106:                              ;   in Loop: Header=BB95_6 Depth=1
	v_dual_mov_b32 v2, v14 :: v_dual_mov_b32 v5, v0
	s_mov_b32 s25, 0
                                        ; implicit-def: $sgpr26
	s_branch .LBB95_110
.LBB95_107:                             ;   in Loop: Header=BB95_110 Depth=2
	s_or_b32 exec_lo, exec_lo, s27
	s_wait_dscnt 0x0
	s_barrier_signal -1
	s_barrier_wait -1
	ds_load_b32 v6, v17 offset:3072
	s_wait_dscnt 0x0
	s_barrier_signal -1
	s_barrier_wait -1
	v_cmp_neq_f16_e32 vcc_lo, 0, v6
	s_cbranch_vccnz .LBB95_113
; %bb.108:                              ;   in Loop: Header=BB95_110 Depth=2
	v_dual_add_nc_u32 v5, s54, v5 :: v_dual_add_nc_u32 v2, s56, v2
	s_mov_b32 s27, 0
	s_delay_alu instid0(VALU_DEP_1)
	v_cmp_le_u32_e32 vcc_lo, s78, v5
	s_or_not1_b32 s29, vcc_lo, exec_lo
.LBB95_109:                             ;   in Loop: Header=BB95_110 Depth=2
	s_delay_alu instid0(SALU_CYCLE_1) | instskip(NEXT) | instid1(SALU_CYCLE_1)
	s_and_b32 s29, exec_lo, s29
	s_or_b32 s25, s29, s25
	s_and_not1_b32 s26, s26, exec_lo
	s_and_b32 s27, s27, exec_lo
	s_delay_alu instid0(SALU_CYCLE_1)
	s_or_b32 s26, s26, s27
	s_and_not1_b32 exec_lo, exec_lo, s25
	s_cbranch_execz .LBB95_115
.LBB95_110:                             ;   Parent Loop BB95_6 Depth=1
                                        ; =>  This Inner Loop Header: Depth=2
	s_mov_b32 s27, exec_lo
	s_delay_alu instid0(VALU_DEP_1)
	v_cmpx_gt_u32_e64 s36, v5
	s_cbranch_execz .LBB95_107
; %bb.111:                              ;   in Loop: Header=BB95_110 Depth=2
	global_load_u16 v6, v2, s[34:35] scale_offset
	s_wait_loadcnt 0x0
	v_cmp_lt_i16_e32 vcc_lo, -1, v6
	v_and_b32_e32 v7, 0xffff, v6
	v_cndmask_b32_e32 v8, 0xffff, v30, vcc_lo
	v_cmp_o_f16_e32 vcc_lo, v6, v6
	s_delay_alu instid0(VALU_DEP_2) | instskip(NEXT) | instid1(VALU_DEP_1)
	v_xor_b32_e32 v7, v8, v7
	v_cndmask_b32_e32 v7, 0xffff, v7, vcc_lo
	s_delay_alu instid0(VALU_DEP_1) | instskip(NEXT) | instid1(VALU_DEP_1)
	v_and_b32_e32 v7, v7, v4
	v_cmp_eq_u32_e32 vcc_lo, v7, v3
	s_and_b32 exec_lo, exec_lo, vcc_lo
	s_cbranch_execz .LBB95_107
; %bb.112:                              ;   in Loop: Header=BB95_110 Depth=2
	v_perm_b32 v6, v6, s84, 0x5040100
	ds_store_b32 v17, v6 offset:3072
	s_branch .LBB95_107
.LBB95_113:                             ;   in Loop: Header=BB95_110 Depth=2
	s_mov_b32 s29, -1
	s_mov_b32 s27, -1
                                        ; implicit-def: $vgpr5
                                        ; implicit-def: $vgpr2
	s_branch .LBB95_109
.LBB95_114:                             ;   in Loop: Header=BB95_6 Depth=1
	s_mov_b64 s[14:15], 0x100000000
	v_mov_b64_e32 v[2:3], 0
	s_and_not1_b32 vcc_lo, exec_lo, s72
	s_mov_b32 s18, s69
	s_cbranch_vccz .LBB95_62
	s_branch .LBB95_63
.LBB95_115:                             ;   in Loop: Header=BB95_6 Depth=1
	s_or_b32 exec_lo, exec_lo, s25
	v_lshrrev_b32_e32 v6, 16, v6
	s_and_not1_b32 s23, s23, exec_lo
	s_and_b32 s25, s26, exec_lo
	s_delay_alu instid0(SALU_CYCLE_1)
	s_or_b32 s23, s23, s25
.LBB95_116:                             ;   in Loop: Header=BB95_6 Depth=1
	s_or_b32 exec_lo, exec_lo, s24
	s_mov_b32 s24, 0
	s_mov_b32 s25, -1
.LBB95_117:                             ;   in Loop: Header=BB95_6 Depth=1
	s_or_not1_b32 s29, s23, exec_lo
.LBB95_118:                             ;   in Loop: Header=BB95_6 Depth=1
	s_or_b32 exec_lo, exec_lo, s15
	s_mov_b32 s26, 0
	s_mov_b32 s23, 0
	;; [unrolled: 1-line block ×3, first 2 shown]
                                        ; implicit-def: $vgpr5
                                        ; implicit-def: $vgpr2
	s_and_saveexec_b32 s27, s29
	s_cbranch_execz .LBB95_254
; %bb.119:                              ;   in Loop: Header=BB95_6 Depth=1
	v_dual_mov_b32 v5, 1 :: v_dual_mov_b32 v2, 1
	s_xor_b32 s23, s28, -1
	s_mov_b32 s30, 0
	s_and_saveexec_b32 s15, s23
	s_cbranch_execz .LBB95_128
; %bb.120:                              ;   in Loop: Header=BB95_6 Depth=1
	s_mov_b32 s23, exec_lo
	v_cmpx_ge_u32_e64 s17, v33
	s_xor_b32 s23, exec_lo, s23
	s_cbranch_execz .LBB95_125
; %bb.121:                              ;   in Loop: Header=BB95_6 Depth=1
	ds_load_b32 v2, v17 offset:4096
	v_and_b32_e32 v3, s19, v3
	v_or_b32_e32 v4, s18, v4
	s_wait_dscnt 0x0
	v_cmp_ne_u32_e32 vcc_lo, 0, v2
	s_cbranch_vccnz .LBB95_125
; %bb.122:                              ;   in Loop: Header=BB95_6 Depth=1
	s_and_saveexec_b32 s28, s5
; %bb.123:                              ;   in Loop: Header=BB95_6 Depth=1
	v_mov_b32_e32 v2, s17
	ds_store_b32 v17, v2 offset:4100
; %bb.124:                              ;   in Loop: Header=BB95_6 Depth=1
	s_or_b32 exec_lo, exec_lo, s28
	s_wait_dscnt 0x0
	s_barrier_signal -1
	s_barrier_wait -1
.LBB95_125:                             ;   in Loop: Header=BB95_6 Depth=1
	s_or_saveexec_b32 s23, s23
	v_dual_mov_b32 v2, 8 :: v_dual_mov_b32 v5, v33
	s_mov_b32 s28, 0
	s_xor_b32 exec_lo, exec_lo, s23
; %bb.126:                              ;   in Loop: Header=BB95_6 Depth=1
	v_subrev_nc_u32_e32 v5, s17, v33
	v_mov_b32_e32 v2, 0
	s_mov_b32 s28, exec_lo
; %bb.127:                              ;   in Loop: Header=BB95_6 Depth=1
	s_or_b32 exec_lo, exec_lo, s23
	s_delay_alu instid0(SALU_CYCLE_1)
	s_and_b32 s30, s28, exec_lo
.LBB95_128:                             ;   in Loop: Header=BB95_6 Depth=1
	s_or_b32 exec_lo, exec_lo, s15
	s_mov_b32 s29, -1
                                        ; implicit-def: $sgpr23
                                        ; implicit-def: $sgpr28
	s_and_saveexec_b32 s15, s30
	s_delay_alu instid0(SALU_CYCLE_1)
	s_xor_b32 s15, exec_lo, s15
	s_cbranch_execz .LBB95_251
; %bb.129:                              ;   in Loop: Header=BB95_6 Depth=1
	v_cmp_eq_u32_e32 vcc_lo, 1, v5
	s_cmp_eq_u32 s20, 1
	s_mov_b32 s31, -1
	s_cselect_b32 s23, -1, 0
                                        ; implicit-def: $sgpr28
	s_delay_alu instid0(SALU_CYCLE_1) | instskip(NEXT) | instid1(SALU_CYCLE_1)
	s_and_b32 s30, s23, vcc_lo
                                        ; implicit-def: $sgpr23
	s_and_saveexec_b32 s29, s30
	s_cbranch_execz .LBB95_157
; %bb.130:                              ;   in Loop: Header=BB95_6 Depth=1
	ds_load_b32 v6, v17 offset:4096
	s_wait_dscnt 0x0
	s_barrier_signal -1
	s_barrier_wait -1
	v_readfirstlane_b32 s33, v6
	s_and_saveexec_b32 s23, s6
; %bb.131:                              ;   in Loop: Header=BB95_6 Depth=1
	ds_store_b16 v20, v17
; %bb.132:                              ;   in Loop: Header=BB95_6 Depth=1
	s_or_b32 exec_lo, exec_lo, s23
	s_lshl_b32 s23, 1, s82
	v_or_b32_e32 v4, s18, v4
	v_and_or_b32 v3, v3, s19, s23
	s_mov_b32 s23, -1
	s_mov_b32 s28, 0
	s_cmp_eq_u32 s33, 0
	s_mov_b32 s31, 0
	s_mov_b32 s44, -1
	s_wait_dscnt 0x0
	s_barrier_signal -1
	s_barrier_wait -1
                                        ; implicit-def: $vgpr6
	s_cbranch_scc1 .LBB95_144
; %bb.133:                              ;   in Loop: Header=BB95_6 Depth=1
	s_add_co_i32 s44, s33, s65
                                        ; implicit-def: $vgpr6
	s_delay_alu instid0(SALU_CYCLE_1) | instskip(NEXT) | instid1(SALU_CYCLE_1)
	s_mul_u64 s[50:51], s[44:45], s[46:47]
	s_mul_i32 s31, s51, s54
	s_delay_alu instid0(SALU_CYCLE_1) | instskip(NEXT) | instid1(SALU_CYCLE_1)
	s_sub_co_i32 s31, s44, s31
	s_sub_co_i32 s50, s31, s54
	s_cmp_ge_u32 s31, s54
	s_cselect_b32 s31, s50, s31
	s_delay_alu instid0(SALU_CYCLE_1)
	s_sub_co_i32 s50, s31, s54
	s_cmp_ge_u32 s31, s54
	s_cselect_b32 s31, s50, s31
	s_mov_b32 s50, exec_lo
	s_sub_co_i32 s51, s44, s31
	s_mov_b32 s44, 0
	s_mov_b32 s31, 0
	v_cmpx_gt_u32_e64 s51, v0
	s_cbranch_execz .LBB95_143
; %bb.134:                              ;   in Loop: Header=BB95_6 Depth=1
	v_dual_mov_b32 v6, v15 :: v_dual_mov_b32 v7, v0
                                        ; implicit-def: $sgpr52
	s_branch .LBB95_138
.LBB95_135:                             ;   in Loop: Header=BB95_138 Depth=2
	s_or_b32 exec_lo, exec_lo, s53
	s_wait_dscnt 0x0
	s_barrier_signal -1
	s_barrier_wait -1
	ds_load_b32 v8, v17 offset:3072
	s_wait_dscnt 0x0
	s_barrier_signal -1
	s_barrier_wait -1
	v_cmp_neq_f16_e32 vcc_lo, 0, v8
	s_cbranch_vccnz .LBB95_141
; %bb.136:                              ;   in Loop: Header=BB95_138 Depth=2
	v_dual_add_nc_u32 v7, s54, v7 :: v_dual_add_nc_u32 v6, s81, v6
	s_mov_b32 s53, 0
	s_delay_alu instid0(VALU_DEP_1)
	v_cmp_le_u32_e32 vcc_lo, s51, v7
	s_or_not1_b32 s96, vcc_lo, exec_lo
.LBB95_137:                             ;   in Loop: Header=BB95_138 Depth=2
	s_delay_alu instid0(SALU_CYCLE_1) | instskip(NEXT) | instid1(SALU_CYCLE_1)
	s_and_b32 s96, exec_lo, s96
	s_or_b32 s31, s96, s31
	s_and_not1_b32 s52, s52, exec_lo
	s_and_b32 s53, s53, exec_lo
	s_delay_alu instid0(SALU_CYCLE_1)
	s_or_b32 s52, s52, s53
	s_and_not1_b32 exec_lo, exec_lo, s31
	s_cbranch_execz .LBB95_142
.LBB95_138:                             ;   Parent Loop BB95_6 Depth=1
                                        ; =>  This Inner Loop Header: Depth=2
	s_mov_b32 s53, exec_lo
	s_delay_alu instid0(VALU_DEP_1)
	v_cmpx_gt_u32_e64 s33, v7
	s_cbranch_execz .LBB95_135
; %bb.139:                              ;   in Loop: Header=BB95_138 Depth=2
	ds_load_u16 v8, v6
	s_wait_dscnt 0x0
	v_cmp_lt_i16_e32 vcc_lo, -1, v8
	v_and_b32_e32 v9, 0xffff, v8
	v_cndmask_b32_e32 v16, 0xffff, v30, vcc_lo
	v_cmp_o_f16_e32 vcc_lo, v8, v8
	s_delay_alu instid0(VALU_DEP_2) | instskip(NEXT) | instid1(VALU_DEP_1)
	v_xor_b32_e32 v9, v16, v9
	v_cndmask_b32_e32 v9, 0xffff, v9, vcc_lo
	s_delay_alu instid0(VALU_DEP_1) | instskip(NEXT) | instid1(VALU_DEP_1)
	v_and_b32_e32 v9, v9, v4
	v_cmp_eq_u32_e32 vcc_lo, v9, v3
	s_and_b32 exec_lo, exec_lo, vcc_lo
	s_cbranch_execz .LBB95_135
; %bb.140:                              ;   in Loop: Header=BB95_138 Depth=2
	v_perm_b32 v8, v8, s84, 0x5040100
	ds_store_b32 v17, v8 offset:3072
	s_branch .LBB95_135
.LBB95_141:                             ;   in Loop: Header=BB95_138 Depth=2
	s_mov_b32 s96, -1
	s_mov_b32 s53, -1
                                        ; implicit-def: $vgpr7
                                        ; implicit-def: $vgpr6
	s_branch .LBB95_137
.LBB95_142:                             ;   in Loop: Header=BB95_6 Depth=1
	s_or_b32 exec_lo, exec_lo, s31
	v_lshrrev_b32_e32 v6, 16, v8
	s_and_b32 s31, s52, exec_lo
.LBB95_143:                             ;   in Loop: Header=BB95_6 Depth=1
	s_or_b32 exec_lo, exec_lo, s50
.LBB95_144:                             ;   in Loop: Header=BB95_6 Depth=1
	s_delay_alu instid0(SALU_CYCLE_1)
	s_and_b32 vcc_lo, exec_lo, s44
	s_cbranch_vccz .LBB95_156
; %bb.145:                              ;   in Loop: Header=BB95_6 Depth=1
                                        ; implicit-def: $vgpr6
	s_and_saveexec_b32 s23, s13
	s_cbranch_execz .LBB95_155
; %bb.146:                              ;   in Loop: Header=BB95_6 Depth=1
	v_dual_mov_b32 v6, v14 :: v_dual_mov_b32 v7, v0
	s_mov_b32 s28, 0
                                        ; implicit-def: $sgpr33
	s_branch .LBB95_150
.LBB95_147:                             ;   in Loop: Header=BB95_150 Depth=2
	s_or_b32 exec_lo, exec_lo, s44
	s_wait_dscnt 0x0
	s_barrier_signal -1
	s_barrier_wait -1
	ds_load_b32 v8, v17 offset:3072
	s_wait_dscnt 0x0
	s_barrier_signal -1
	s_barrier_wait -1
	v_cmp_eq_f16_e32 vcc_lo, 0, v8
	s_cbranch_vccz .LBB95_153
; %bb.148:                              ;   in Loop: Header=BB95_150 Depth=2
	v_dual_add_nc_u32 v7, s54, v7 :: v_dual_add_nc_u32 v6, s56, v6
	s_mov_b32 s44, 0
	s_delay_alu instid0(VALU_DEP_1)
	v_cmp_le_u32_e32 vcc_lo, s78, v7
	s_or_not1_b32 s50, vcc_lo, exec_lo
.LBB95_149:                             ;   in Loop: Header=BB95_150 Depth=2
	s_delay_alu instid0(SALU_CYCLE_1) | instskip(NEXT) | instid1(SALU_CYCLE_1)
	s_and_b32 s50, exec_lo, s50
	s_or_b32 s28, s50, s28
	s_and_not1_b32 s33, s33, exec_lo
	s_and_b32 s44, s44, exec_lo
	s_delay_alu instid0(SALU_CYCLE_1)
	s_or_b32 s33, s33, s44
	s_and_not1_b32 exec_lo, exec_lo, s28
	s_cbranch_execz .LBB95_154
.LBB95_150:                             ;   Parent Loop BB95_6 Depth=1
                                        ; =>  This Inner Loop Header: Depth=2
	s_mov_b32 s44, exec_lo
	s_delay_alu instid0(VALU_DEP_1)
	v_cmpx_gt_u32_e64 s36, v7
	s_cbranch_execz .LBB95_147
; %bb.151:                              ;   in Loop: Header=BB95_150 Depth=2
	global_load_u16 v8, v6, s[34:35] scale_offset
	s_wait_loadcnt 0x0
	v_cmp_lt_i16_e32 vcc_lo, -1, v8
	v_and_b32_e32 v9, 0xffff, v8
	v_cndmask_b32_e32 v16, 0xffff, v30, vcc_lo
	v_cmp_o_f16_e32 vcc_lo, v8, v8
	s_delay_alu instid0(VALU_DEP_2) | instskip(NEXT) | instid1(VALU_DEP_1)
	v_xor_b32_e32 v9, v16, v9
	v_cndmask_b32_e32 v9, 0xffff, v9, vcc_lo
	s_delay_alu instid0(VALU_DEP_1) | instskip(NEXT) | instid1(VALU_DEP_1)
	v_and_b32_e32 v9, v9, v4
	v_cmp_eq_u32_e32 vcc_lo, v9, v3
	s_and_b32 exec_lo, exec_lo, vcc_lo
	s_cbranch_execz .LBB95_147
; %bb.152:                              ;   in Loop: Header=BB95_150 Depth=2
	v_perm_b32 v8, v8, s84, 0x5040100
	ds_store_b32 v17, v8 offset:3072
	s_branch .LBB95_147
.LBB95_153:                             ;   in Loop: Header=BB95_150 Depth=2
	s_mov_b32 s50, -1
	s_mov_b32 s44, -1
                                        ; implicit-def: $vgpr7
                                        ; implicit-def: $vgpr6
	s_branch .LBB95_149
.LBB95_154:                             ;   in Loop: Header=BB95_6 Depth=1
	s_or_b32 exec_lo, exec_lo, s28
	v_lshrrev_b32_e32 v6, 16, v8
	s_and_not1_b32 s28, s31, exec_lo
	s_and_b32 s31, s33, exec_lo
	s_delay_alu instid0(SALU_CYCLE_1)
	s_or_b32 s31, s28, s31
.LBB95_155:                             ;   in Loop: Header=BB95_6 Depth=1
	s_or_b32 exec_lo, exec_lo, s23
	s_mov_b32 s23, 0
	s_mov_b32 s28, -1
.LBB95_156:                             ;   in Loop: Header=BB95_6 Depth=1
	s_or_not1_b32 s31, s31, exec_lo
.LBB95_157:                             ;   in Loop: Header=BB95_6 Depth=1
	s_or_b32 exec_lo, exec_lo, s29
	s_mov_b32 s33, 0
	s_and_saveexec_b32 s29, s31
	s_cbranch_execz .LBB95_250
; %bb.158:                              ;   in Loop: Header=BB95_6 Depth=1
	v_dual_mov_b32 v7, 1 :: v_dual_mov_b32 v2, 1
	s_xor_b32 s31, s30, -1
	s_mov_b32 s50, 0
	s_and_saveexec_b32 s30, s31
	s_cbranch_execz .LBB95_167
; %bb.159:                              ;   in Loop: Header=BB95_6 Depth=1
	s_mov_b32 s31, exec_lo
	v_cmpx_ge_u32_e64 s20, v5
	s_xor_b32 s31, exec_lo, s31
	s_cbranch_execz .LBB95_164
; %bb.160:                              ;   in Loop: Header=BB95_6 Depth=1
	ds_load_b32 v2, v17 offset:4096
	s_lshl_b32 s33, 1, s82
	v_or_b32_e32 v4, s18, v4
	v_and_or_b32 v3, v3, s19, s33
	s_wait_dscnt 0x0
	v_cmp_ne_u32_e32 vcc_lo, 0, v2
	s_cbranch_vccnz .LBB95_164
; %bb.161:                              ;   in Loop: Header=BB95_6 Depth=1
	s_and_saveexec_b32 s33, s5
; %bb.162:                              ;   in Loop: Header=BB95_6 Depth=1
	v_mov_b32_e32 v2, s20
	ds_store_b32 v17, v2 offset:4100
; %bb.163:                              ;   in Loop: Header=BB95_6 Depth=1
	s_or_b32 exec_lo, exec_lo, s33
	s_wait_dscnt 0x0
	s_barrier_signal -1
	s_barrier_wait -1
.LBB95_164:                             ;   in Loop: Header=BB95_6 Depth=1
	s_or_saveexec_b32 s31, s31
	v_mov_b32_e32 v2, 8
	s_mov_b32 s33, 0
	s_xor_b32 exec_lo, exec_lo, s31
; %bb.165:                              ;   in Loop: Header=BB95_6 Depth=1
	v_subrev_nc_u32_e32 v5, s20, v5
	v_mov_b32_e32 v2, 0
	s_mov_b32 s33, exec_lo
; %bb.166:                              ;   in Loop: Header=BB95_6 Depth=1
	s_or_b32 exec_lo, exec_lo, s31
	s_delay_alu instid0(VALU_DEP_2)
	v_mov_b32_e32 v7, v5
	s_and_b32 s50, s33, exec_lo
.LBB95_167:                             ;   in Loop: Header=BB95_6 Depth=1
	s_or_b32 exec_lo, exec_lo, s30
	s_mov_b32 s44, -1
                                        ; implicit-def: $sgpr31
                                        ; implicit-def: $sgpr33
	s_and_saveexec_b32 s30, s50
	s_cbranch_execz .LBB95_249
; %bb.168:                              ;   in Loop: Header=BB95_6 Depth=1
	v_cmp_eq_u32_e32 vcc_lo, 1, v7
	s_cmp_eq_u32 s21, 1
                                        ; implicit-def: $sgpr33
	s_cselect_b32 s31, -1, 0
	s_delay_alu instid0(SALU_CYCLE_1) | instskip(NEXT) | instid1(SALU_CYCLE_1)
	s_and_b32 s51, s31, vcc_lo
                                        ; implicit-def: $sgpr31
	s_and_saveexec_b32 s50, s51
	s_cbranch_execz .LBB95_196
; %bb.169:                              ;   in Loop: Header=BB95_6 Depth=1
	ds_load_b32 v5, v17 offset:4096
	s_wait_dscnt 0x0
	s_barrier_signal -1
	s_barrier_wait -1
	v_readfirstlane_b32 s52, v5
	s_and_saveexec_b32 s31, s6
; %bb.170:                              ;   in Loop: Header=BB95_6 Depth=1
	ds_store_b16 v20, v17
; %bb.171:                              ;   in Loop: Header=BB95_6 Depth=1
	s_or_b32 exec_lo, exec_lo, s31
	s_lshl_b32 s31, 2, s82
	v_or_b32_e32 v4, s18, v4
	v_and_or_b32 v3, v3, s19, s31
	s_mov_b32 s31, -1
	s_mov_b32 s33, 0
	s_cmp_eq_u32 s52, 0
	s_mov_b32 s44, 0
	s_mov_b32 s53, -1
	s_wait_dscnt 0x0
	s_barrier_signal -1
	s_barrier_wait -1
                                        ; implicit-def: $vgpr6
	s_cbranch_scc1 .LBB95_183
; %bb.172:                              ;   in Loop: Header=BB95_6 Depth=1
	s_add_co_i32 s44, s52, s65
                                        ; implicit-def: $vgpr6
	s_delay_alu instid0(SALU_CYCLE_1) | instskip(NEXT) | instid1(SALU_CYCLE_1)
	s_mul_u64 s[96:97], s[44:45], s[46:47]
	s_mul_i32 s53, s97, s54
	s_delay_alu instid0(SALU_CYCLE_1) | instskip(NEXT) | instid1(SALU_CYCLE_1)
	s_sub_co_i32 s53, s44, s53
	s_sub_co_i32 s96, s53, s54
	s_cmp_ge_u32 s53, s54
	s_cselect_b32 s53, s96, s53
	s_delay_alu instid0(SALU_CYCLE_1)
	s_sub_co_i32 s96, s53, s54
	s_cmp_ge_u32 s53, s54
	s_cselect_b32 s53, s96, s53
	s_mov_b32 s96, exec_lo
	s_sub_co_i32 s97, s44, s53
	s_mov_b32 s53, 0
	s_mov_b32 s44, 0
	v_cmpx_gt_u32_e64 s97, v0
	s_cbranch_execz .LBB95_182
; %bb.173:                              ;   in Loop: Header=BB95_6 Depth=1
	v_dual_mov_b32 v5, v15 :: v_dual_mov_b32 v6, v0
                                        ; implicit-def: $sgpr98
	s_branch .LBB95_177
.LBB95_174:                             ;   in Loop: Header=BB95_177 Depth=2
	s_or_b32 exec_lo, exec_lo, s99
	s_wait_dscnt 0x0
	s_barrier_signal -1
	s_barrier_wait -1
	ds_load_b32 v8, v17 offset:3072
	s_wait_dscnt 0x0
	s_barrier_signal -1
	s_barrier_wait -1
	v_cmp_neq_f16_e32 vcc_lo, 0, v8
	s_cbranch_vccnz .LBB95_180
; %bb.175:                              ;   in Loop: Header=BB95_177 Depth=2
	v_dual_add_nc_u32 v6, s54, v6 :: v_dual_add_nc_u32 v5, s81, v5
	s_mov_b32 s99, 0
	s_delay_alu instid0(VALU_DEP_1)
	v_cmp_le_u32_e32 vcc_lo, s97, v6
	s_or_not1_b32 s100, vcc_lo, exec_lo
.LBB95_176:                             ;   in Loop: Header=BB95_177 Depth=2
	s_delay_alu instid0(SALU_CYCLE_1) | instskip(NEXT) | instid1(SALU_CYCLE_1)
	s_and_b32 s100, exec_lo, s100
	s_or_b32 s44, s100, s44
	s_and_not1_b32 s98, s98, exec_lo
	s_and_b32 s99, s99, exec_lo
	s_delay_alu instid0(SALU_CYCLE_1)
	s_or_b32 s98, s98, s99
	s_and_not1_b32 exec_lo, exec_lo, s44
	s_cbranch_execz .LBB95_181
.LBB95_177:                             ;   Parent Loop BB95_6 Depth=1
                                        ; =>  This Inner Loop Header: Depth=2
	s_mov_b32 s99, exec_lo
	s_delay_alu instid0(VALU_DEP_1)
	v_cmpx_gt_u32_e64 s52, v6
	s_cbranch_execz .LBB95_174
; %bb.178:                              ;   in Loop: Header=BB95_177 Depth=2
	ds_load_u16 v8, v5
	s_wait_dscnt 0x0
	v_cmp_lt_i16_e32 vcc_lo, -1, v8
	v_and_b32_e32 v9, 0xffff, v8
	v_cndmask_b32_e32 v16, 0xffff, v30, vcc_lo
	v_cmp_o_f16_e32 vcc_lo, v8, v8
	s_delay_alu instid0(VALU_DEP_2) | instskip(NEXT) | instid1(VALU_DEP_1)
	v_xor_b32_e32 v9, v16, v9
	v_cndmask_b32_e32 v9, 0xffff, v9, vcc_lo
	s_delay_alu instid0(VALU_DEP_1) | instskip(NEXT) | instid1(VALU_DEP_1)
	v_and_b32_e32 v9, v9, v4
	v_cmp_eq_u32_e32 vcc_lo, v9, v3
	s_and_b32 exec_lo, exec_lo, vcc_lo
	s_cbranch_execz .LBB95_174
; %bb.179:                              ;   in Loop: Header=BB95_177 Depth=2
	v_perm_b32 v8, v8, s84, 0x5040100
	ds_store_b32 v17, v8 offset:3072
	s_branch .LBB95_174
.LBB95_180:                             ;   in Loop: Header=BB95_177 Depth=2
	s_mov_b32 s100, -1
	s_mov_b32 s99, -1
                                        ; implicit-def: $vgpr6
                                        ; implicit-def: $vgpr5
	s_branch .LBB95_176
.LBB95_181:                             ;   in Loop: Header=BB95_6 Depth=1
	s_or_b32 exec_lo, exec_lo, s44
	v_lshrrev_b32_e32 v6, 16, v8
	s_and_b32 s44, s98, exec_lo
.LBB95_182:                             ;   in Loop: Header=BB95_6 Depth=1
	s_or_b32 exec_lo, exec_lo, s96
.LBB95_183:                             ;   in Loop: Header=BB95_6 Depth=1
	s_delay_alu instid0(SALU_CYCLE_1)
	s_and_b32 vcc_lo, exec_lo, s53
	s_cbranch_vccz .LBB95_195
; %bb.184:                              ;   in Loop: Header=BB95_6 Depth=1
                                        ; implicit-def: $vgpr6
	s_and_saveexec_b32 s31, s13
	s_cbranch_execz .LBB95_194
; %bb.185:                              ;   in Loop: Header=BB95_6 Depth=1
	v_dual_mov_b32 v5, v14 :: v_dual_mov_b32 v6, v0
	s_mov_b32 s33, 0
                                        ; implicit-def: $sgpr52
	s_branch .LBB95_189
.LBB95_186:                             ;   in Loop: Header=BB95_189 Depth=2
	s_or_b32 exec_lo, exec_lo, s53
	s_wait_dscnt 0x0
	s_barrier_signal -1
	s_barrier_wait -1
	ds_load_b32 v8, v17 offset:3072
	s_wait_dscnt 0x0
	s_barrier_signal -1
	s_barrier_wait -1
	v_cmp_eq_f16_e32 vcc_lo, 0, v8
	s_cbranch_vccz .LBB95_192
; %bb.187:                              ;   in Loop: Header=BB95_189 Depth=2
	v_dual_add_nc_u32 v6, s54, v6 :: v_dual_add_nc_u32 v5, s56, v5
	s_mov_b32 s53, 0
	s_delay_alu instid0(VALU_DEP_1)
	v_cmp_le_u32_e32 vcc_lo, s78, v6
	s_or_not1_b32 s96, vcc_lo, exec_lo
.LBB95_188:                             ;   in Loop: Header=BB95_189 Depth=2
	s_delay_alu instid0(SALU_CYCLE_1) | instskip(NEXT) | instid1(SALU_CYCLE_1)
	s_and_b32 s96, exec_lo, s96
	s_or_b32 s33, s96, s33
	s_and_not1_b32 s52, s52, exec_lo
	s_and_b32 s53, s53, exec_lo
	s_delay_alu instid0(SALU_CYCLE_1)
	s_or_b32 s52, s52, s53
	s_and_not1_b32 exec_lo, exec_lo, s33
	s_cbranch_execz .LBB95_193
.LBB95_189:                             ;   Parent Loop BB95_6 Depth=1
                                        ; =>  This Inner Loop Header: Depth=2
	s_mov_b32 s53, exec_lo
	s_delay_alu instid0(VALU_DEP_1)
	v_cmpx_gt_u32_e64 s36, v6
	s_cbranch_execz .LBB95_186
; %bb.190:                              ;   in Loop: Header=BB95_189 Depth=2
	global_load_u16 v8, v5, s[34:35] scale_offset
	s_wait_loadcnt 0x0
	v_cmp_lt_i16_e32 vcc_lo, -1, v8
	v_and_b32_e32 v9, 0xffff, v8
	v_cndmask_b32_e32 v16, 0xffff, v30, vcc_lo
	v_cmp_o_f16_e32 vcc_lo, v8, v8
	s_delay_alu instid0(VALU_DEP_2) | instskip(NEXT) | instid1(VALU_DEP_1)
	v_xor_b32_e32 v9, v16, v9
	v_cndmask_b32_e32 v9, 0xffff, v9, vcc_lo
	s_delay_alu instid0(VALU_DEP_1) | instskip(NEXT) | instid1(VALU_DEP_1)
	v_and_b32_e32 v9, v9, v4
	v_cmp_eq_u32_e32 vcc_lo, v9, v3
	s_and_b32 exec_lo, exec_lo, vcc_lo
	s_cbranch_execz .LBB95_186
; %bb.191:                              ;   in Loop: Header=BB95_189 Depth=2
	v_perm_b32 v8, v8, s84, 0x5040100
	ds_store_b32 v17, v8 offset:3072
	s_branch .LBB95_186
.LBB95_192:                             ;   in Loop: Header=BB95_189 Depth=2
	s_mov_b32 s96, -1
	s_mov_b32 s53, -1
                                        ; implicit-def: $vgpr6
                                        ; implicit-def: $vgpr5
	s_branch .LBB95_188
.LBB95_193:                             ;   in Loop: Header=BB95_6 Depth=1
	s_or_b32 exec_lo, exec_lo, s33
	v_lshrrev_b32_e32 v6, 16, v8
	s_and_not1_b32 s33, s44, exec_lo
	s_and_b32 s44, s52, exec_lo
	s_delay_alu instid0(SALU_CYCLE_1)
	s_or_b32 s44, s33, s44
.LBB95_194:                             ;   in Loop: Header=BB95_6 Depth=1
	s_or_b32 exec_lo, exec_lo, s31
	s_mov_b32 s31, 0
	s_mov_b32 s33, -1
.LBB95_195:                             ;   in Loop: Header=BB95_6 Depth=1
	s_or_not1_b32 s44, s44, exec_lo
.LBB95_196:                             ;   in Loop: Header=BB95_6 Depth=1
	s_or_b32 exec_lo, exec_lo, s50
	s_mov_b32 s52, 0
	s_and_saveexec_b32 s50, s44
	s_cbranch_execz .LBB95_248
; %bb.197:                              ;   in Loop: Header=BB95_6 Depth=1
	v_dual_mov_b32 v5, 1 :: v_dual_mov_b32 v2, 1
	s_xor_b32 s51, s51, -1
	s_delay_alu instid0(SALU_CYCLE_1)
	s_and_saveexec_b32 s44, s51
	s_cbranch_execz .LBB95_206
; %bb.198:                              ;   in Loop: Header=BB95_6 Depth=1
	s_mov_b32 s51, exec_lo
	v_cmpx_ge_u32_e64 s21, v7
	s_xor_b32 s51, exec_lo, s51
	s_cbranch_execz .LBB95_203
; %bb.199:                              ;   in Loop: Header=BB95_6 Depth=1
	ds_load_b32 v2, v17 offset:4096
	s_lshl_b32 s52, 2, s82
	v_or_b32_e32 v4, s18, v4
	v_and_or_b32 v3, v3, s19, s52
	s_wait_dscnt 0x0
	v_cmp_ne_u32_e32 vcc_lo, 0, v2
	s_cbranch_vccnz .LBB95_203
; %bb.200:                              ;   in Loop: Header=BB95_6 Depth=1
	s_and_saveexec_b32 s52, s5
; %bb.201:                              ;   in Loop: Header=BB95_6 Depth=1
	v_mov_b32_e32 v2, s21
	ds_store_b32 v17, v2 offset:4100
; %bb.202:                              ;   in Loop: Header=BB95_6 Depth=1
	s_or_b32 exec_lo, exec_lo, s52
	s_wait_dscnt 0x0
	s_barrier_signal -1
	s_barrier_wait -1
.LBB95_203:                             ;   in Loop: Header=BB95_6 Depth=1
	s_or_saveexec_b32 s51, s51
	v_mov_b32_e32 v2, 8
	s_mov_b32 s52, 0
	s_xor_b32 exec_lo, exec_lo, s51
; %bb.204:                              ;   in Loop: Header=BB95_6 Depth=1
	v_subrev_nc_u32_e32 v7, s21, v7
	v_mov_b32_e32 v2, 0
	s_mov_b32 s52, exec_lo
; %bb.205:                              ;   in Loop: Header=BB95_6 Depth=1
	s_or_b32 exec_lo, exec_lo, s51
	s_delay_alu instid0(VALU_DEP_2)
	v_mov_b32_e32 v5, v7
	s_and_b32 s52, s52, exec_lo
.LBB95_206:                             ;   in Loop: Header=BB95_6 Depth=1
	s_or_b32 exec_lo, exec_lo, s44
	s_mov_b32 s44, -1
                                        ; implicit-def: $sgpr96
                                        ; implicit-def: $sgpr53
	s_and_saveexec_b32 s51, s52
	s_cbranch_execz .LBB95_247
; %bb.207:                              ;   in Loop: Header=BB95_6 Depth=1
	v_cmp_eq_u32_e32 vcc_lo, 1, v5
	s_cmp_eq_u32 s22, 1
	s_mov_b32 s98, -1
	s_cselect_b32 s44, -1, 0
                                        ; implicit-def: $sgpr96
                                        ; implicit-def: $sgpr53
	s_delay_alu instid0(SALU_CYCLE_1) | instskip(NEXT) | instid1(SALU_CYCLE_1)
	s_and_b32 s52, s44, vcc_lo
	s_and_saveexec_b32 s97, s52
	s_cbranch_execz .LBB95_235
; %bb.208:                              ;   in Loop: Header=BB95_6 Depth=1
	ds_load_b32 v6, v17 offset:4096
	s_wait_dscnt 0x0
	s_barrier_signal -1
	s_barrier_wait -1
	v_readfirstlane_b32 s98, v6
	s_and_saveexec_b32 s44, s6
; %bb.209:                              ;   in Loop: Header=BB95_6 Depth=1
	ds_store_b16 v20, v17
; %bb.210:                              ;   in Loop: Header=BB95_6 Depth=1
	s_or_b32 exec_lo, exec_lo, s44
	v_or_b32_e32 v3, s18, v3
	v_or_b32_e32 v4, s18, v4
	s_mov_b32 s53, -1
	s_mov_b32 s96, 0
	s_cmp_eq_u32 s98, 0
	s_mov_b32 s44, 0
	s_mov_b32 s99, -1
	s_wait_dscnt 0x0
	s_barrier_signal -1
	s_barrier_wait -1
                                        ; implicit-def: $vgpr6
	s_cbranch_scc1 .LBB95_222
; %bb.211:                              ;   in Loop: Header=BB95_6 Depth=1
	s_add_co_i32 s44, s98, s65
                                        ; implicit-def: $vgpr6
	s_delay_alu instid0(SALU_CYCLE_1) | instskip(NEXT) | instid1(SALU_CYCLE_1)
	s_mul_u64 s[100:101], s[44:45], s[46:47]
	s_mul_i32 s99, s101, s54
	s_delay_alu instid0(SALU_CYCLE_1) | instskip(NEXT) | instid1(SALU_CYCLE_1)
	s_sub_co_i32 s99, s44, s99
	s_sub_co_i32 s100, s99, s54
	s_cmp_ge_u32 s99, s54
	s_cselect_b32 s99, s100, s99
	s_delay_alu instid0(SALU_CYCLE_1)
	s_sub_co_i32 s100, s99, s54
	s_cmp_ge_u32 s99, s54
	s_cselect_b32 s99, s100, s99
	s_mov_b32 s100, exec_lo
	s_sub_co_i32 s101, s44, s99
	s_mov_b32 s99, 0
	s_mov_b32 s44, 0
	v_cmpx_gt_u32_e64 s101, v0
	s_cbranch_execz .LBB95_221
; %bb.212:                              ;   in Loop: Header=BB95_6 Depth=1
	v_dual_mov_b32 v6, v15 :: v_dual_mov_b32 v7, v0
                                        ; implicit-def: $sgpr102
	s_branch .LBB95_216
.LBB95_213:                             ;   in Loop: Header=BB95_216 Depth=2
	s_or_b32 exec_lo, exec_lo, s103
	s_wait_dscnt 0x0
	s_barrier_signal -1
	s_barrier_wait -1
	ds_load_b32 v8, v17 offset:3072
	s_wait_dscnt 0x0
	s_barrier_signal -1
	s_barrier_wait -1
	v_cmp_neq_f16_e32 vcc_lo, 0, v8
	s_cbranch_vccnz .LBB95_219
; %bb.214:                              ;   in Loop: Header=BB95_216 Depth=2
	v_dual_add_nc_u32 v7, s54, v7 :: v_dual_add_nc_u32 v6, s81, v6
	s_mov_b32 s103, 0
	s_delay_alu instid0(VALU_DEP_1)
	v_cmp_le_u32_e32 vcc_lo, s101, v7
	s_or_not1_b32 s104, vcc_lo, exec_lo
.LBB95_215:                             ;   in Loop: Header=BB95_216 Depth=2
	s_delay_alu instid0(SALU_CYCLE_1) | instskip(NEXT) | instid1(SALU_CYCLE_1)
	s_and_b32 s104, exec_lo, s104
	s_or_b32 s44, s104, s44
	s_and_not1_b32 s102, s102, exec_lo
	s_and_b32 s103, s103, exec_lo
	s_delay_alu instid0(SALU_CYCLE_1)
	s_or_b32 s102, s102, s103
	s_and_not1_b32 exec_lo, exec_lo, s44
	s_cbranch_execz .LBB95_220
.LBB95_216:                             ;   Parent Loop BB95_6 Depth=1
                                        ; =>  This Inner Loop Header: Depth=2
	s_mov_b32 s103, exec_lo
	s_delay_alu instid0(VALU_DEP_1)
	v_cmpx_gt_u32_e64 s98, v7
	s_cbranch_execz .LBB95_213
; %bb.217:                              ;   in Loop: Header=BB95_216 Depth=2
	ds_load_u16 v8, v6
	s_wait_dscnt 0x0
	v_cmp_lt_i16_e32 vcc_lo, -1, v8
	v_and_b32_e32 v9, 0xffff, v8
	v_cndmask_b32_e32 v16, 0xffff, v30, vcc_lo
	v_cmp_o_f16_e32 vcc_lo, v8, v8
	s_delay_alu instid0(VALU_DEP_2) | instskip(NEXT) | instid1(VALU_DEP_1)
	v_xor_b32_e32 v9, v16, v9
	v_cndmask_b32_e32 v9, 0xffff, v9, vcc_lo
	s_delay_alu instid0(VALU_DEP_1) | instskip(NEXT) | instid1(VALU_DEP_1)
	v_and_b32_e32 v9, v9, v4
	v_cmp_eq_u32_e32 vcc_lo, v9, v3
	s_and_b32 exec_lo, exec_lo, vcc_lo
	s_cbranch_execz .LBB95_213
; %bb.218:                              ;   in Loop: Header=BB95_216 Depth=2
	v_perm_b32 v8, v8, s84, 0x5040100
	ds_store_b32 v17, v8 offset:3072
	s_branch .LBB95_213
.LBB95_219:                             ;   in Loop: Header=BB95_216 Depth=2
	s_mov_b32 s104, -1
	s_mov_b32 s103, -1
                                        ; implicit-def: $vgpr7
                                        ; implicit-def: $vgpr6
	s_branch .LBB95_215
.LBB95_220:                             ;   in Loop: Header=BB95_6 Depth=1
	s_or_b32 exec_lo, exec_lo, s44
	v_lshrrev_b32_e32 v6, 16, v8
	s_and_b32 s44, s102, exec_lo
.LBB95_221:                             ;   in Loop: Header=BB95_6 Depth=1
	s_or_b32 exec_lo, exec_lo, s100
.LBB95_222:                             ;   in Loop: Header=BB95_6 Depth=1
	s_delay_alu instid0(SALU_CYCLE_1)
	s_and_b32 vcc_lo, exec_lo, s99
	s_cbranch_vccz .LBB95_234
; %bb.223:                              ;   in Loop: Header=BB95_6 Depth=1
                                        ; implicit-def: $vgpr6
	s_and_saveexec_b32 s53, s13
	s_cbranch_execz .LBB95_233
; %bb.224:                              ;   in Loop: Header=BB95_6 Depth=1
	v_dual_mov_b32 v6, v14 :: v_dual_mov_b32 v7, v0
	s_mov_b32 s96, 0
                                        ; implicit-def: $sgpr98
	s_branch .LBB95_228
.LBB95_225:                             ;   in Loop: Header=BB95_228 Depth=2
	s_or_b32 exec_lo, exec_lo, s99
	s_wait_dscnt 0x0
	s_barrier_signal -1
	s_barrier_wait -1
	ds_load_b32 v8, v17 offset:3072
	s_wait_dscnt 0x0
	s_barrier_signal -1
	s_barrier_wait -1
	v_cmp_eq_f16_e32 vcc_lo, 0, v8
	s_cbranch_vccz .LBB95_231
; %bb.226:                              ;   in Loop: Header=BB95_228 Depth=2
	v_dual_add_nc_u32 v7, s54, v7 :: v_dual_add_nc_u32 v6, s56, v6
	s_mov_b32 s99, 0
	s_delay_alu instid0(VALU_DEP_1)
	v_cmp_le_u32_e32 vcc_lo, s78, v7
	s_or_not1_b32 s100, vcc_lo, exec_lo
.LBB95_227:                             ;   in Loop: Header=BB95_228 Depth=2
	s_delay_alu instid0(SALU_CYCLE_1) | instskip(NEXT) | instid1(SALU_CYCLE_1)
	s_and_b32 s100, exec_lo, s100
	s_or_b32 s96, s100, s96
	s_and_not1_b32 s98, s98, exec_lo
	s_and_b32 s99, s99, exec_lo
	s_delay_alu instid0(SALU_CYCLE_1)
	s_or_b32 s98, s98, s99
	s_and_not1_b32 exec_lo, exec_lo, s96
	s_cbranch_execz .LBB95_232
.LBB95_228:                             ;   Parent Loop BB95_6 Depth=1
                                        ; =>  This Inner Loop Header: Depth=2
	s_mov_b32 s99, exec_lo
	s_delay_alu instid0(VALU_DEP_1)
	v_cmpx_gt_u32_e64 s36, v7
	s_cbranch_execz .LBB95_225
; %bb.229:                              ;   in Loop: Header=BB95_228 Depth=2
	global_load_u16 v8, v6, s[34:35] scale_offset
	s_wait_loadcnt 0x0
	v_cmp_lt_i16_e32 vcc_lo, -1, v8
	v_and_b32_e32 v9, 0xffff, v8
	v_cndmask_b32_e32 v16, 0xffff, v30, vcc_lo
	v_cmp_o_f16_e32 vcc_lo, v8, v8
	s_delay_alu instid0(VALU_DEP_2) | instskip(NEXT) | instid1(VALU_DEP_1)
	v_xor_b32_e32 v9, v16, v9
	v_cndmask_b32_e32 v9, 0xffff, v9, vcc_lo
	s_delay_alu instid0(VALU_DEP_1) | instskip(NEXT) | instid1(VALU_DEP_1)
	v_and_b32_e32 v9, v9, v4
	v_cmp_eq_u32_e32 vcc_lo, v9, v3
	s_and_b32 exec_lo, exec_lo, vcc_lo
	s_cbranch_execz .LBB95_225
; %bb.230:                              ;   in Loop: Header=BB95_228 Depth=2
	v_perm_b32 v8, v8, s84, 0x5040100
	ds_store_b32 v17, v8 offset:3072
	s_branch .LBB95_225
.LBB95_231:                             ;   in Loop: Header=BB95_228 Depth=2
	s_mov_b32 s100, -1
	s_mov_b32 s99, -1
                                        ; implicit-def: $vgpr7
                                        ; implicit-def: $vgpr6
	s_branch .LBB95_227
.LBB95_232:                             ;   in Loop: Header=BB95_6 Depth=1
	s_or_b32 exec_lo, exec_lo, s96
	v_lshrrev_b32_e32 v6, 16, v8
	s_and_not1_b32 s44, s44, exec_lo
	s_and_b32 s96, s98, exec_lo
	s_delay_alu instid0(SALU_CYCLE_1)
	s_or_b32 s44, s44, s96
.LBB95_233:                             ;   in Loop: Header=BB95_6 Depth=1
	s_or_b32 exec_lo, exec_lo, s53
	s_mov_b32 s53, 0
	s_mov_b32 s96, -1
.LBB95_234:                             ;   in Loop: Header=BB95_6 Depth=1
	s_or_not1_b32 s98, s44, exec_lo
.LBB95_235:                             ;   in Loop: Header=BB95_6 Depth=1
	s_or_b32 exec_lo, exec_lo, s97
	s_mov_b32 s97, 0
	s_and_saveexec_b32 s44, s98
	s_cbranch_execz .LBB95_246
; %bb.236:                              ;   in Loop: Header=BB95_6 Depth=1
	v_dual_mov_b32 v2, 1 :: v_dual_mov_b32 v7, 1
	s_xor_b32 s97, s52, -1
	s_delay_alu instid0(SALU_CYCLE_1)
	s_and_saveexec_b32 s52, s97
	s_cbranch_execz .LBB95_245
; %bb.237:                              ;   in Loop: Header=BB95_6 Depth=1
	s_mov_b32 s97, exec_lo
	v_cmpx_ge_u32_e64 s22, v5
	s_xor_b32 s97, exec_lo, s97
	s_cbranch_execz .LBB95_242
; %bb.238:                              ;   in Loop: Header=BB95_6 Depth=1
	ds_load_b32 v2, v17 offset:4096
	v_or_b32_e32 v3, s18, v3
	v_or_b32_e32 v4, s18, v4
	s_wait_dscnt 0x0
	v_cmp_ne_u32_e32 vcc_lo, 0, v2
	s_cbranch_vccnz .LBB95_242
; %bb.239:                              ;   in Loop: Header=BB95_6 Depth=1
	s_and_saveexec_b32 s98, s5
; %bb.240:                              ;   in Loop: Header=BB95_6 Depth=1
	v_mov_b32_e32 v2, s22
	ds_store_b32 v17, v2 offset:4100
; %bb.241:                              ;   in Loop: Header=BB95_6 Depth=1
	s_or_b32 exec_lo, exec_lo, s98
	s_wait_dscnt 0x0
	s_barrier_signal -1
	s_barrier_wait -1
.LBB95_242:                             ;   in Loop: Header=BB95_6 Depth=1
	s_and_not1_saveexec_b32 s97, s97
; %bb.243:                              ;   in Loop: Header=BB95_6 Depth=1
	v_subrev_nc_u32_e32 v5, s22, v5
; %bb.244:                              ;   in Loop: Header=BB95_6 Depth=1
	s_or_b32 exec_lo, exec_lo, s97
	s_delay_alu instid0(VALU_DEP_1)
	v_dual_mov_b32 v2, 8 :: v_dual_mov_b32 v7, v5
.LBB95_245:                             ;   in Loop: Header=BB95_6 Depth=1
	s_or_b32 exec_lo, exec_lo, s52
	s_delay_alu instid0(VALU_DEP_1)
	v_mov_b32_e32 v5, v7
	s_mov_b32 s97, exec_lo
.LBB95_246:                             ;   in Loop: Header=BB95_6 Depth=1
	s_or_b32 exec_lo, exec_lo, s44
	s_delay_alu instid0(SALU_CYCLE_1)
	s_or_not1_b32 s44, s97, exec_lo
.LBB95_247:                             ;   in Loop: Header=BB95_6 Depth=1
	s_or_b32 exec_lo, exec_lo, s51
	v_mov_b32_e32 v7, v5
	s_and_not1_b32 s33, s33, exec_lo
	s_and_b32 s51, s96, exec_lo
	s_and_not1_b32 s31, s31, exec_lo
	s_and_b32 s52, s53, exec_lo
	s_or_b32 s33, s33, s51
	s_or_b32 s31, s31, s52
	s_and_b32 s52, s44, exec_lo
.LBB95_248:                             ;   in Loop: Header=BB95_6 Depth=1
	s_or_b32 exec_lo, exec_lo, s50
	s_delay_alu instid0(SALU_CYCLE_1)
	s_or_not1_b32 s44, s52, exec_lo
.LBB95_249:                             ;   in Loop: Header=BB95_6 Depth=1
	s_or_b32 exec_lo, exec_lo, s30
	v_mov_b32_e32 v5, v7
	s_and_not1_b32 s28, s28, exec_lo
	s_and_b32 s30, s33, exec_lo
	s_and_not1_b32 s23, s23, exec_lo
	s_and_b32 s31, s31, exec_lo
	s_or_b32 s28, s28, s30
	s_or_b32 s23, s23, s31
	s_and_b32 s33, s44, exec_lo
.LBB95_250:                             ;   in Loop: Header=BB95_6 Depth=1
	s_or_b32 exec_lo, exec_lo, s29
	s_delay_alu instid0(SALU_CYCLE_1)
	s_or_not1_b32 s29, s33, exec_lo
.LBB95_251:                             ;   in Loop: Header=BB95_6 Depth=1
	s_or_b32 exec_lo, exec_lo, s15
	s_mov_b32 s30, 0
	s_mov_b32 s31, 0
	s_and_saveexec_b32 s15, s29
	s_delay_alu instid0(SALU_CYCLE_1)
	s_xor_b32 s29, exec_lo, s15
; %bb.252:                              ;   in Loop: Header=BB95_6 Depth=1
	v_cmp_ne_u32_e32 vcc_lo, 8, v2
	v_cmp_eq_u32_e64 s15, 8, v2
	s_and_b32 s31, vcc_lo, exec_lo
	s_and_b32 s30, s15, exec_lo
; %bb.253:                              ;   in Loop: Header=BB95_6 Depth=1
	s_or_b32 exec_lo, exec_lo, s29
	s_delay_alu instid0(SALU_CYCLE_1)
	s_and_not1_b32 s15, s25, exec_lo
	s_and_b32 s25, s28, exec_lo
	s_and_not1_b32 s24, s24, exec_lo
	s_and_b32 s23, s23, exec_lo
	s_or_b32 s25, s15, s25
	s_or_b32 s24, s24, s23
	s_and_b32 s15, s31, exec_lo
	s_and_b32 s23, s30, exec_lo
.LBB95_254:                             ;   in Loop: Header=BB95_6 Depth=1
	s_or_b32 exec_lo, exec_lo, s27
.LBB95_255:                             ;   in Loop: Header=BB95_6 Depth=1
	s_delay_alu instid0(SALU_CYCLE_1)
	s_and_b32 vcc_lo, exec_lo, s26
	s_cbranch_vccz .LBB95_269
; %bb.256:                              ;   in Loop: Header=BB95_6 Depth=1
	s_cmp_eq_u32 s22, 1
	s_mov_b32 s25, -1
	s_cselect_b32 s16, -1, 0
                                        ; implicit-def: $sgpr26
	s_delay_alu instid0(SALU_CYCLE_1) | instskip(NEXT) | instid1(SALU_CYCLE_1)
	s_and_b32 s14, s16, s14
                                        ; implicit-def: $sgpr16
	s_and_saveexec_b32 s24, s14
	s_cbranch_execz .LBB95_285
; %bb.257:                              ;   in Loop: Header=BB95_6 Depth=1
	ds_load_b32 v2, v17 offset:4096
	s_wait_dscnt 0x0
	s_barrier_signal -1
	s_barrier_wait -1
	v_readfirstlane_b32 s27, v2
	s_and_saveexec_b32 s16, s6
; %bb.258:                              ;   in Loop: Header=BB95_6 Depth=1
	ds_store_b16 v20, v17
; %bb.259:                              ;   in Loop: Header=BB95_6 Depth=1
	s_or_b32 exec_lo, exec_lo, s16
	v_or_b32_e32 v25, s18, v25
	v_or_b32_e32 v31, s18, v31
	s_mov_b32 s16, -1
	s_mov_b32 s26, 0
	s_cmp_eq_u32 s27, 0
	s_mov_b32 s25, 0
	s_mov_b32 s28, -1
	s_wait_dscnt 0x0
	s_barrier_signal -1
	s_barrier_wait -1
                                        ; implicit-def: $vgpr32
	s_cbranch_scc1 .LBB95_272
; %bb.260:                              ;   in Loop: Header=BB95_6 Depth=1
	s_add_co_i32 s44, s27, s65
                                        ; implicit-def: $vgpr32
	s_delay_alu instid0(SALU_CYCLE_1) | instskip(NEXT) | instid1(SALU_CYCLE_1)
	s_mul_u64 s[28:29], s[44:45], s[46:47]
	s_mul_i32 s25, s29, s54
	s_mov_b32 s29, exec_lo
	s_sub_co_i32 s25, s44, s25
	s_delay_alu instid0(SALU_CYCLE_1) | instskip(SKIP_2) | instid1(SALU_CYCLE_1)
	s_sub_co_i32 s28, s25, s54
	s_cmp_ge_u32 s25, s54
	s_cselect_b32 s25, s28, s25
	s_sub_co_i32 s28, s25, s54
	s_cmp_ge_u32 s25, s54
	s_cselect_b32 s25, s28, s25
	s_mov_b32 s28, 0
	s_sub_co_i32 s30, s44, s25
	s_mov_b32 s25, 0
	v_cmpx_gt_u32_e64 s30, v0
	s_cbranch_execz .LBB95_271
; %bb.261:                              ;   in Loop: Header=BB95_6 Depth=1
	v_dual_mov_b32 v2, v15 :: v_dual_mov_b32 v3, v0
                                        ; implicit-def: $sgpr31
	s_branch .LBB95_265
.LBB95_262:                             ;   in Loop: Header=BB95_265 Depth=2
	s_or_b32 exec_lo, exec_lo, s33
	s_wait_dscnt 0x0
	s_barrier_signal -1
	s_barrier_wait -1
	ds_load_b32 v4, v17 offset:3072
	s_wait_dscnt 0x0
	s_barrier_signal -1
	s_barrier_wait -1
	v_cmp_neq_f16_e32 vcc_lo, 0, v4
	s_cbranch_vccnz .LBB95_268
; %bb.263:                              ;   in Loop: Header=BB95_265 Depth=2
	v_dual_add_nc_u32 v3, s54, v3 :: v_dual_add_nc_u32 v2, s81, v2
	s_mov_b32 s33, 0
	s_delay_alu instid0(VALU_DEP_1)
	v_cmp_le_u32_e32 vcc_lo, s30, v3
	s_or_not1_b32 s44, vcc_lo, exec_lo
.LBB95_264:                             ;   in Loop: Header=BB95_265 Depth=2
	s_delay_alu instid0(SALU_CYCLE_1) | instskip(NEXT) | instid1(SALU_CYCLE_1)
	s_and_b32 s44, exec_lo, s44
	s_or_b32 s25, s44, s25
	s_and_not1_b32 s31, s31, exec_lo
	s_and_b32 s33, s33, exec_lo
	s_delay_alu instid0(SALU_CYCLE_1)
	s_or_b32 s31, s31, s33
	s_and_not1_b32 exec_lo, exec_lo, s25
	s_cbranch_execz .LBB95_270
.LBB95_265:                             ;   Parent Loop BB95_6 Depth=1
                                        ; =>  This Inner Loop Header: Depth=2
	s_mov_b32 s33, exec_lo
	s_delay_alu instid0(VALU_DEP_1)
	v_cmpx_gt_u32_e64 s27, v3
	s_cbranch_execz .LBB95_262
; %bb.266:                              ;   in Loop: Header=BB95_265 Depth=2
	ds_load_u16 v4, v2
	s_wait_dscnt 0x0
	v_cmp_lt_i16_e32 vcc_lo, -1, v4
	v_and_b32_e32 v5, 0xffff, v4
	v_cndmask_b32_e32 v6, 0xffff, v30, vcc_lo
	v_cmp_o_f16_e32 vcc_lo, v4, v4
	s_delay_alu instid0(VALU_DEP_2) | instskip(NEXT) | instid1(VALU_DEP_1)
	v_xor_b32_e32 v5, v6, v5
	v_cndmask_b32_e32 v5, 0xffff, v5, vcc_lo
	s_delay_alu instid0(VALU_DEP_1) | instskip(NEXT) | instid1(VALU_DEP_1)
	v_and_b32_e32 v5, v5, v31
	v_cmp_eq_u32_e32 vcc_lo, v5, v25
	s_and_b32 exec_lo, exec_lo, vcc_lo
	s_cbranch_execz .LBB95_262
; %bb.267:                              ;   in Loop: Header=BB95_265 Depth=2
	v_perm_b32 v4, v4, s84, 0x5040100
	ds_store_b32 v17, v4 offset:3072
	s_branch .LBB95_262
.LBB95_268:                             ;   in Loop: Header=BB95_265 Depth=2
	s_mov_b32 s44, -1
	s_mov_b32 s33, -1
                                        ; implicit-def: $vgpr3
                                        ; implicit-def: $vgpr2
	s_branch .LBB95_264
.LBB95_269:                             ;   in Loop: Header=BB95_6 Depth=1
	v_dual_mov_b32 v25, v3 :: v_dual_mov_b32 v31, v4
	v_mov_b32_e32 v32, v6
	s_mov_b32 s26, 0
	s_and_saveexec_b32 s14, s23
	s_cbranch_execnz .LBB95_422
	s_branch .LBB95_423
.LBB95_270:                             ;   in Loop: Header=BB95_6 Depth=1
	s_or_b32 exec_lo, exec_lo, s25
	v_lshrrev_b32_e32 v32, 16, v4
	s_and_b32 s25, s31, exec_lo
.LBB95_271:                             ;   in Loop: Header=BB95_6 Depth=1
	s_or_b32 exec_lo, exec_lo, s29
.LBB95_272:                             ;   in Loop: Header=BB95_6 Depth=1
	s_delay_alu instid0(SALU_CYCLE_1)
	s_and_b32 vcc_lo, exec_lo, s28
	s_cbranch_vccz .LBB95_284
; %bb.273:                              ;   in Loop: Header=BB95_6 Depth=1
                                        ; implicit-def: $vgpr32
	s_and_saveexec_b32 s16, s13
	s_cbranch_execz .LBB95_283
; %bb.274:                              ;   in Loop: Header=BB95_6 Depth=1
	v_dual_mov_b32 v2, v14 :: v_dual_mov_b32 v3, v0
	s_mov_b32 s26, 0
                                        ; implicit-def: $sgpr27
	s_branch .LBB95_278
.LBB95_275:                             ;   in Loop: Header=BB95_278 Depth=2
	s_or_b32 exec_lo, exec_lo, s28
	s_wait_dscnt 0x0
	s_barrier_signal -1
	s_barrier_wait -1
	ds_load_b32 v4, v17 offset:3072
	s_wait_dscnt 0x0
	s_barrier_signal -1
	s_barrier_wait -1
	v_cmp_neq_f16_e32 vcc_lo, 0, v4
	s_cbranch_vccnz .LBB95_281
; %bb.276:                              ;   in Loop: Header=BB95_278 Depth=2
	v_dual_add_nc_u32 v3, s54, v3 :: v_dual_add_nc_u32 v2, s56, v2
	s_mov_b32 s28, 0
	s_delay_alu instid0(VALU_DEP_1)
	v_cmp_le_u32_e32 vcc_lo, s78, v3
	s_or_not1_b32 s29, vcc_lo, exec_lo
.LBB95_277:                             ;   in Loop: Header=BB95_278 Depth=2
	s_delay_alu instid0(SALU_CYCLE_1) | instskip(NEXT) | instid1(SALU_CYCLE_1)
	s_and_b32 s29, exec_lo, s29
	s_or_b32 s26, s29, s26
	s_and_not1_b32 s27, s27, exec_lo
	s_and_b32 s28, s28, exec_lo
	s_delay_alu instid0(SALU_CYCLE_1)
	s_or_b32 s27, s27, s28
	s_and_not1_b32 exec_lo, exec_lo, s26
	s_cbranch_execz .LBB95_282
.LBB95_278:                             ;   Parent Loop BB95_6 Depth=1
                                        ; =>  This Inner Loop Header: Depth=2
	s_mov_b32 s28, exec_lo
	s_delay_alu instid0(VALU_DEP_1)
	v_cmpx_gt_u32_e64 s36, v3
	s_cbranch_execz .LBB95_275
; %bb.279:                              ;   in Loop: Header=BB95_278 Depth=2
	global_load_u16 v4, v2, s[34:35] scale_offset
	s_wait_loadcnt 0x0
	v_cmp_lt_i16_e32 vcc_lo, -1, v4
	v_and_b32_e32 v5, 0xffff, v4
	v_cndmask_b32_e32 v6, 0xffff, v30, vcc_lo
	v_cmp_o_f16_e32 vcc_lo, v4, v4
	s_delay_alu instid0(VALU_DEP_2) | instskip(NEXT) | instid1(VALU_DEP_1)
	v_xor_b32_e32 v5, v6, v5
	v_cndmask_b32_e32 v5, 0xffff, v5, vcc_lo
	s_delay_alu instid0(VALU_DEP_1) | instskip(NEXT) | instid1(VALU_DEP_1)
	v_and_b32_e32 v5, v5, v31
	v_cmp_eq_u32_e32 vcc_lo, v5, v25
	s_and_b32 exec_lo, exec_lo, vcc_lo
	s_cbranch_execz .LBB95_275
; %bb.280:                              ;   in Loop: Header=BB95_278 Depth=2
	v_perm_b32 v4, v4, s84, 0x5040100
	ds_store_b32 v17, v4 offset:3072
	s_branch .LBB95_275
.LBB95_281:                             ;   in Loop: Header=BB95_278 Depth=2
	s_mov_b32 s29, -1
	s_mov_b32 s28, -1
                                        ; implicit-def: $vgpr3
                                        ; implicit-def: $vgpr2
	s_branch .LBB95_277
.LBB95_282:                             ;   in Loop: Header=BB95_6 Depth=1
	s_or_b32 exec_lo, exec_lo, s26
	s_delay_alu instid0(SALU_CYCLE_1)
	s_and_not1_b32 s25, s25, exec_lo
	s_and_b32 s26, s27, exec_lo
	v_lshrrev_b32_e32 v32, 16, v4
	s_or_b32 s25, s25, s26
.LBB95_283:                             ;   in Loop: Header=BB95_6 Depth=1
	s_or_b32 exec_lo, exec_lo, s16
	s_mov_b32 s16, 0
	s_mov_b32 s26, -1
.LBB95_284:                             ;   in Loop: Header=BB95_6 Depth=1
	s_or_not1_b32 s25, s25, exec_lo
.LBB95_285:                             ;   in Loop: Header=BB95_6 Depth=1
	s_or_b32 exec_lo, exec_lo, s24
                                        ; implicit-def: $vgpr5
                                        ; implicit-def: $vgpr2
	s_and_saveexec_b32 s24, s25
	s_cbranch_execz .LBB95_421
; %bb.286:                              ;   in Loop: Header=BB95_6 Depth=1
	v_dual_mov_b32 v5, 1 :: v_dual_mov_b32 v2, 1
	s_xor_b32 s25, s14, -1
	s_mov_b32 s28, 0
	s_and_saveexec_b32 s14, s25
	s_cbranch_execz .LBB95_295
; %bb.287:                              ;   in Loop: Header=BB95_6 Depth=1
	s_mov_b32 s25, exec_lo
	v_cmpx_ge_u32_e64 s22, v33
	s_xor_b32 s25, exec_lo, s25
	s_cbranch_execz .LBB95_292
; %bb.288:                              ;   in Loop: Header=BB95_6 Depth=1
	ds_load_b32 v2, v17 offset:4096
	v_or_b32_e32 v25, s18, v25
	v_or_b32_e32 v31, s18, v31
	s_wait_dscnt 0x0
	v_cmp_ne_u32_e32 vcc_lo, 0, v2
	s_cbranch_vccnz .LBB95_292
; %bb.289:                              ;   in Loop: Header=BB95_6 Depth=1
	s_and_saveexec_b32 s27, s5
; %bb.290:                              ;   in Loop: Header=BB95_6 Depth=1
	v_mov_b32_e32 v2, s22
	ds_store_b32 v17, v2 offset:4100
; %bb.291:                              ;   in Loop: Header=BB95_6 Depth=1
	s_or_b32 exec_lo, exec_lo, s27
	s_wait_dscnt 0x0
	s_barrier_signal -1
	s_barrier_wait -1
.LBB95_292:                             ;   in Loop: Header=BB95_6 Depth=1
	s_or_saveexec_b32 s25, s25
	v_mov_b32_e32 v2, 5
	s_mov_b32 s27, 0
	s_xor_b32 exec_lo, exec_lo, s25
; %bb.293:                              ;   in Loop: Header=BB95_6 Depth=1
	v_subrev_nc_u32_e32 v33, s22, v33
	v_mov_b32_e32 v2, 0
	s_mov_b32 s27, exec_lo
; %bb.294:                              ;   in Loop: Header=BB95_6 Depth=1
	s_or_b32 exec_lo, exec_lo, s25
	s_delay_alu instid0(VALU_DEP_2)
	v_mov_b32_e32 v5, v33
	s_and_b32 s28, s27, exec_lo
.LBB95_295:                             ;   in Loop: Header=BB95_6 Depth=1
	s_or_b32 exec_lo, exec_lo, s14
	s_mov_b32 s27, -1
                                        ; implicit-def: $sgpr22
                                        ; implicit-def: $sgpr25
	s_and_saveexec_b32 s14, s28
	s_delay_alu instid0(SALU_CYCLE_1)
	s_xor_b32 s14, exec_lo, s14
	s_cbranch_execz .LBB95_418
; %bb.296:                              ;   in Loop: Header=BB95_6 Depth=1
	v_cmp_eq_u32_e32 vcc_lo, 1, v5
	s_cmp_eq_u32 s21, 1
	s_mov_b32 s29, -1
	s_cselect_b32 s22, -1, 0
                                        ; implicit-def: $sgpr25
	s_delay_alu instid0(SALU_CYCLE_1) | instskip(NEXT) | instid1(SALU_CYCLE_1)
	s_and_b32 s28, s22, vcc_lo
                                        ; implicit-def: $sgpr22
	s_and_saveexec_b32 s27, s28
	s_cbranch_execz .LBB95_324
; %bb.297:                              ;   in Loop: Header=BB95_6 Depth=1
	ds_load_b32 v3, v17 offset:4096
	s_wait_dscnt 0x0
	s_barrier_signal -1
	s_barrier_wait -1
	v_readfirstlane_b32 s30, v3
	s_and_saveexec_b32 s22, s6
; %bb.298:                              ;   in Loop: Header=BB95_6 Depth=1
	ds_store_b16 v20, v17
; %bb.299:                              ;   in Loop: Header=BB95_6 Depth=1
	s_or_b32 exec_lo, exec_lo, s22
	s_lshl_b32 s22, 2, s82
	v_or_b32_e32 v31, s18, v31
	v_and_or_b32 v25, v25, s19, s22
	s_mov_b32 s22, -1
	s_mov_b32 s25, 0
	s_cmp_eq_u32 s30, 0
	s_mov_b32 s29, 0
	s_mov_b32 s31, -1
	s_wait_dscnt 0x0
	s_barrier_signal -1
	s_barrier_wait -1
                                        ; implicit-def: $vgpr32
	s_cbranch_scc1 .LBB95_311
; %bb.300:                              ;   in Loop: Header=BB95_6 Depth=1
	s_add_co_i32 s44, s30, s65
	s_mov_b32 s33, exec_lo
	s_mul_u64 s[50:51], s[44:45], s[46:47]
                                        ; implicit-def: $vgpr32
	s_delay_alu instid0(SALU_CYCLE_1) | instskip(NEXT) | instid1(SALU_CYCLE_1)
	s_mul_i32 s29, s51, s54
	s_sub_co_i32 s29, s44, s29
	s_delay_alu instid0(SALU_CYCLE_1) | instskip(SKIP_2) | instid1(SALU_CYCLE_1)
	s_sub_co_i32 s31, s29, s54
	s_cmp_ge_u32 s29, s54
	s_cselect_b32 s29, s31, s29
	s_sub_co_i32 s31, s29, s54
	s_cmp_ge_u32 s29, s54
	s_cselect_b32 s29, s31, s29
	s_mov_b32 s31, 0
	s_sub_co_i32 s44, s44, s29
	s_mov_b32 s29, 0
	v_cmpx_gt_u32_e64 s44, v0
	s_cbranch_execz .LBB95_310
; %bb.301:                              ;   in Loop: Header=BB95_6 Depth=1
	v_dual_mov_b32 v3, v15 :: v_dual_mov_b32 v4, v0
                                        ; implicit-def: $sgpr50
	s_branch .LBB95_305
.LBB95_302:                             ;   in Loop: Header=BB95_305 Depth=2
	s_or_b32 exec_lo, exec_lo, s51
	s_wait_dscnt 0x0
	s_barrier_signal -1
	s_barrier_wait -1
	ds_load_b32 v6, v17 offset:3072
	s_wait_dscnt 0x0
	s_barrier_signal -1
	s_barrier_wait -1
	v_cmp_neq_f16_e32 vcc_lo, 0, v6
	s_cbranch_vccnz .LBB95_308
; %bb.303:                              ;   in Loop: Header=BB95_305 Depth=2
	v_dual_add_nc_u32 v4, s54, v4 :: v_dual_add_nc_u32 v3, s81, v3
	s_mov_b32 s51, 0
	s_delay_alu instid0(VALU_DEP_1)
	v_cmp_le_u32_e32 vcc_lo, s44, v4
	s_or_not1_b32 s52, vcc_lo, exec_lo
.LBB95_304:                             ;   in Loop: Header=BB95_305 Depth=2
	s_delay_alu instid0(SALU_CYCLE_1) | instskip(NEXT) | instid1(SALU_CYCLE_1)
	s_and_b32 s52, exec_lo, s52
	s_or_b32 s29, s52, s29
	s_and_not1_b32 s50, s50, exec_lo
	s_and_b32 s51, s51, exec_lo
	s_delay_alu instid0(SALU_CYCLE_1)
	s_or_b32 s50, s50, s51
	s_and_not1_b32 exec_lo, exec_lo, s29
	s_cbranch_execz .LBB95_309
.LBB95_305:                             ;   Parent Loop BB95_6 Depth=1
                                        ; =>  This Inner Loop Header: Depth=2
	s_mov_b32 s51, exec_lo
	s_delay_alu instid0(VALU_DEP_1)
	v_cmpx_gt_u32_e64 s30, v4
	s_cbranch_execz .LBB95_302
; %bb.306:                              ;   in Loop: Header=BB95_305 Depth=2
	ds_load_u16 v6, v3
	s_wait_dscnt 0x0
	v_cmp_lt_i16_e32 vcc_lo, -1, v6
	v_and_b32_e32 v7, 0xffff, v6
	v_cndmask_b32_e32 v8, 0xffff, v30, vcc_lo
	v_cmp_o_f16_e32 vcc_lo, v6, v6
	s_delay_alu instid0(VALU_DEP_2) | instskip(NEXT) | instid1(VALU_DEP_1)
	v_xor_b32_e32 v7, v8, v7
	v_cndmask_b32_e32 v7, 0xffff, v7, vcc_lo
	s_delay_alu instid0(VALU_DEP_1) | instskip(NEXT) | instid1(VALU_DEP_1)
	v_and_b32_e32 v7, v7, v31
	v_cmp_eq_u32_e32 vcc_lo, v7, v25
	s_and_b32 exec_lo, exec_lo, vcc_lo
	s_cbranch_execz .LBB95_302
; %bb.307:                              ;   in Loop: Header=BB95_305 Depth=2
	v_perm_b32 v6, v6, s84, 0x5040100
	ds_store_b32 v17, v6 offset:3072
	s_branch .LBB95_302
.LBB95_308:                             ;   in Loop: Header=BB95_305 Depth=2
	s_mov_b32 s52, -1
	s_mov_b32 s51, -1
                                        ; implicit-def: $vgpr4
                                        ; implicit-def: $vgpr3
	s_branch .LBB95_304
.LBB95_309:                             ;   in Loop: Header=BB95_6 Depth=1
	s_or_b32 exec_lo, exec_lo, s29
	v_lshrrev_b32_e32 v32, 16, v6
	s_and_b32 s29, s50, exec_lo
.LBB95_310:                             ;   in Loop: Header=BB95_6 Depth=1
	s_or_b32 exec_lo, exec_lo, s33
.LBB95_311:                             ;   in Loop: Header=BB95_6 Depth=1
	s_delay_alu instid0(SALU_CYCLE_1)
	s_and_b32 vcc_lo, exec_lo, s31
	s_cbranch_vccz .LBB95_323
; %bb.312:                              ;   in Loop: Header=BB95_6 Depth=1
                                        ; implicit-def: $vgpr32
	s_and_saveexec_b32 s22, s13
	s_cbranch_execz .LBB95_322
; %bb.313:                              ;   in Loop: Header=BB95_6 Depth=1
	v_dual_mov_b32 v3, v14 :: v_dual_mov_b32 v4, v0
	s_mov_b32 s25, 0
                                        ; implicit-def: $sgpr30
	s_branch .LBB95_317
.LBB95_314:                             ;   in Loop: Header=BB95_317 Depth=2
	s_or_b32 exec_lo, exec_lo, s31
	s_wait_dscnt 0x0
	s_barrier_signal -1
	s_barrier_wait -1
	ds_load_b32 v6, v17 offset:3072
	s_wait_dscnt 0x0
	s_barrier_signal -1
	s_barrier_wait -1
	v_cmp_eq_f16_e32 vcc_lo, 0, v6
	s_cbranch_vccz .LBB95_320
; %bb.315:                              ;   in Loop: Header=BB95_317 Depth=2
	v_dual_add_nc_u32 v4, s54, v4 :: v_dual_add_nc_u32 v3, s56, v3
	s_mov_b32 s31, 0
	s_delay_alu instid0(VALU_DEP_1)
	v_cmp_le_u32_e32 vcc_lo, s78, v4
	s_or_not1_b32 s33, vcc_lo, exec_lo
.LBB95_316:                             ;   in Loop: Header=BB95_317 Depth=2
	s_delay_alu instid0(SALU_CYCLE_1) | instskip(NEXT) | instid1(SALU_CYCLE_1)
	s_and_b32 s33, exec_lo, s33
	s_or_b32 s25, s33, s25
	s_and_not1_b32 s30, s30, exec_lo
	s_and_b32 s31, s31, exec_lo
	s_delay_alu instid0(SALU_CYCLE_1)
	s_or_b32 s30, s30, s31
	s_and_not1_b32 exec_lo, exec_lo, s25
	s_cbranch_execz .LBB95_321
.LBB95_317:                             ;   Parent Loop BB95_6 Depth=1
                                        ; =>  This Inner Loop Header: Depth=2
	s_mov_b32 s31, exec_lo
	s_delay_alu instid0(VALU_DEP_1)
	v_cmpx_gt_u32_e64 s36, v4
	s_cbranch_execz .LBB95_314
; %bb.318:                              ;   in Loop: Header=BB95_317 Depth=2
	global_load_u16 v6, v3, s[34:35] scale_offset
	s_wait_loadcnt 0x0
	v_cmp_lt_i16_e32 vcc_lo, -1, v6
	v_and_b32_e32 v7, 0xffff, v6
	v_cndmask_b32_e32 v8, 0xffff, v30, vcc_lo
	v_cmp_o_f16_e32 vcc_lo, v6, v6
	s_delay_alu instid0(VALU_DEP_2) | instskip(NEXT) | instid1(VALU_DEP_1)
	v_xor_b32_e32 v7, v8, v7
	v_cndmask_b32_e32 v7, 0xffff, v7, vcc_lo
	s_delay_alu instid0(VALU_DEP_1) | instskip(NEXT) | instid1(VALU_DEP_1)
	v_and_b32_e32 v7, v7, v31
	v_cmp_eq_u32_e32 vcc_lo, v7, v25
	s_and_b32 exec_lo, exec_lo, vcc_lo
	s_cbranch_execz .LBB95_314
; %bb.319:                              ;   in Loop: Header=BB95_317 Depth=2
	v_perm_b32 v6, v6, s84, 0x5040100
	ds_store_b32 v17, v6 offset:3072
	s_branch .LBB95_314
.LBB95_320:                             ;   in Loop: Header=BB95_317 Depth=2
	s_mov_b32 s33, -1
	s_mov_b32 s31, -1
                                        ; implicit-def: $vgpr4
                                        ; implicit-def: $vgpr3
	s_branch .LBB95_316
.LBB95_321:                             ;   in Loop: Header=BB95_6 Depth=1
	s_or_b32 exec_lo, exec_lo, s25
	v_lshrrev_b32_e32 v32, 16, v6
	s_and_not1_b32 s25, s29, exec_lo
	s_and_b32 s29, s30, exec_lo
	s_delay_alu instid0(SALU_CYCLE_1)
	s_or_b32 s29, s25, s29
.LBB95_322:                             ;   in Loop: Header=BB95_6 Depth=1
	s_or_b32 exec_lo, exec_lo, s22
	s_mov_b32 s22, 0
	s_mov_b32 s25, -1
.LBB95_323:                             ;   in Loop: Header=BB95_6 Depth=1
	s_or_not1_b32 s29, s29, exec_lo
.LBB95_324:                             ;   in Loop: Header=BB95_6 Depth=1
	s_or_b32 exec_lo, exec_lo, s27
	s_mov_b32 s30, 0
	s_and_saveexec_b32 s27, s29
	s_cbranch_execz .LBB95_417
; %bb.325:                              ;   in Loop: Header=BB95_6 Depth=1
	v_dual_mov_b32 v3, 1 :: v_dual_mov_b32 v2, 1
	s_xor_b32 s29, s28, -1
	s_mov_b32 s31, 0
	s_and_saveexec_b32 s28, s29
	s_cbranch_execz .LBB95_334
; %bb.326:                              ;   in Loop: Header=BB95_6 Depth=1
	s_mov_b32 s29, exec_lo
	v_cmpx_ge_u32_e64 s21, v5
	s_xor_b32 s29, exec_lo, s29
	s_cbranch_execz .LBB95_331
; %bb.327:                              ;   in Loop: Header=BB95_6 Depth=1
	ds_load_b32 v2, v17 offset:4096
	s_lshl_b32 s30, 2, s82
	v_or_b32_e32 v31, s18, v31
	v_and_or_b32 v25, v25, s19, s30
	s_wait_dscnt 0x0
	v_cmp_ne_u32_e32 vcc_lo, 0, v2
	s_cbranch_vccnz .LBB95_331
; %bb.328:                              ;   in Loop: Header=BB95_6 Depth=1
	s_and_saveexec_b32 s30, s5
; %bb.329:                              ;   in Loop: Header=BB95_6 Depth=1
	v_mov_b32_e32 v2, s21
	ds_store_b32 v17, v2 offset:4100
; %bb.330:                              ;   in Loop: Header=BB95_6 Depth=1
	s_or_b32 exec_lo, exec_lo, s30
	s_wait_dscnt 0x0
	s_barrier_signal -1
	s_barrier_wait -1
.LBB95_331:                             ;   in Loop: Header=BB95_6 Depth=1
	s_or_saveexec_b32 s29, s29
	v_mov_b32_e32 v2, 5
	s_mov_b32 s30, 0
	s_xor_b32 exec_lo, exec_lo, s29
; %bb.332:                              ;   in Loop: Header=BB95_6 Depth=1
	v_subrev_nc_u32_e32 v5, s21, v5
	v_mov_b32_e32 v2, 0
	s_mov_b32 s30, exec_lo
; %bb.333:                              ;   in Loop: Header=BB95_6 Depth=1
	s_or_b32 exec_lo, exec_lo, s29
	s_delay_alu instid0(VALU_DEP_2)
	v_mov_b32_e32 v3, v5
	s_and_b32 s31, s30, exec_lo
.LBB95_334:                             ;   in Loop: Header=BB95_6 Depth=1
	s_or_b32 exec_lo, exec_lo, s28
	s_mov_b32 s30, -1
                                        ; implicit-def: $sgpr28
                                        ; implicit-def: $sgpr29
	s_and_saveexec_b32 s21, s31
	s_cbranch_execz .LBB95_416
; %bb.335:                              ;   in Loop: Header=BB95_6 Depth=1
	v_cmp_eq_u32_e32 vcc_lo, 1, v3
	s_cmp_eq_u32 s20, 1
	s_mov_b32 s33, -1
	s_cselect_b32 s28, -1, 0
                                        ; implicit-def: $sgpr29
	s_delay_alu instid0(SALU_CYCLE_1) | instskip(NEXT) | instid1(SALU_CYCLE_1)
	s_and_b32 s31, s28, vcc_lo
                                        ; implicit-def: $sgpr28
	s_and_saveexec_b32 s30, s31
	s_cbranch_execz .LBB95_363
; %bb.336:                              ;   in Loop: Header=BB95_6 Depth=1
	ds_load_b32 v4, v17 offset:4096
	s_wait_dscnt 0x0
	s_barrier_signal -1
	s_barrier_wait -1
	v_readfirstlane_b32 s50, v4
	s_and_saveexec_b32 s28, s6
; %bb.337:                              ;   in Loop: Header=BB95_6 Depth=1
	ds_store_b16 v20, v17
; %bb.338:                              ;   in Loop: Header=BB95_6 Depth=1
	s_or_b32 exec_lo, exec_lo, s28
	s_lshl_b32 s28, 1, s82
	v_or_b32_e32 v31, s18, v31
	v_and_or_b32 v25, v25, s19, s28
	s_mov_b32 s28, -1
	s_mov_b32 s29, 0
	s_cmp_eq_u32 s50, 0
	s_mov_b32 s33, 0
	s_mov_b32 s44, -1
	s_wait_dscnt 0x0
	s_barrier_signal -1
	s_barrier_wait -1
                                        ; implicit-def: $vgpr32
	s_cbranch_scc1 .LBB95_350
; %bb.339:                              ;   in Loop: Header=BB95_6 Depth=1
	s_add_co_i32 s44, s50, s65
                                        ; implicit-def: $vgpr32
	s_delay_alu instid0(SALU_CYCLE_1) | instskip(NEXT) | instid1(SALU_CYCLE_1)
	s_mul_u64 s[52:53], s[44:45], s[46:47]
	s_mul_i32 s33, s53, s54
	s_delay_alu instid0(SALU_CYCLE_1) | instskip(NEXT) | instid1(SALU_CYCLE_1)
	s_sub_co_i32 s33, s44, s33
	s_sub_co_i32 s51, s33, s54
	s_cmp_ge_u32 s33, s54
	s_cselect_b32 s33, s51, s33
	s_delay_alu instid0(SALU_CYCLE_1)
	s_sub_co_i32 s51, s33, s54
	s_cmp_ge_u32 s33, s54
	s_cselect_b32 s33, s51, s33
	s_mov_b32 s51, exec_lo
	s_sub_co_i32 s52, s44, s33
	s_mov_b32 s44, 0
	s_mov_b32 s33, 0
	v_cmpx_gt_u32_e64 s52, v0
	s_cbranch_execz .LBB95_349
; %bb.340:                              ;   in Loop: Header=BB95_6 Depth=1
	v_dual_mov_b32 v4, v15 :: v_dual_mov_b32 v5, v0
                                        ; implicit-def: $sgpr53
	s_branch .LBB95_344
.LBB95_341:                             ;   in Loop: Header=BB95_344 Depth=2
	s_or_b32 exec_lo, exec_lo, s96
	s_wait_dscnt 0x0
	s_barrier_signal -1
	s_barrier_wait -1
	ds_load_b32 v6, v17 offset:3072
	s_wait_dscnt 0x0
	s_barrier_signal -1
	s_barrier_wait -1
	v_cmp_neq_f16_e32 vcc_lo, 0, v6
	s_cbranch_vccnz .LBB95_347
; %bb.342:                              ;   in Loop: Header=BB95_344 Depth=2
	v_dual_add_nc_u32 v5, s54, v5 :: v_dual_add_nc_u32 v4, s81, v4
	s_mov_b32 s96, 0
	s_delay_alu instid0(VALU_DEP_1)
	v_cmp_le_u32_e32 vcc_lo, s52, v5
	s_or_not1_b32 s97, vcc_lo, exec_lo
.LBB95_343:                             ;   in Loop: Header=BB95_344 Depth=2
	s_delay_alu instid0(SALU_CYCLE_1) | instskip(NEXT) | instid1(SALU_CYCLE_1)
	s_and_b32 s97, exec_lo, s97
	s_or_b32 s33, s97, s33
	s_and_not1_b32 s53, s53, exec_lo
	s_and_b32 s96, s96, exec_lo
	s_delay_alu instid0(SALU_CYCLE_1)
	s_or_b32 s53, s53, s96
	s_and_not1_b32 exec_lo, exec_lo, s33
	s_cbranch_execz .LBB95_348
.LBB95_344:                             ;   Parent Loop BB95_6 Depth=1
                                        ; =>  This Inner Loop Header: Depth=2
	s_mov_b32 s96, exec_lo
	s_delay_alu instid0(VALU_DEP_1)
	v_cmpx_gt_u32_e64 s50, v5
	s_cbranch_execz .LBB95_341
; %bb.345:                              ;   in Loop: Header=BB95_344 Depth=2
	ds_load_u16 v6, v4
	s_wait_dscnt 0x0
	v_cmp_lt_i16_e32 vcc_lo, -1, v6
	v_and_b32_e32 v7, 0xffff, v6
	v_cndmask_b32_e32 v8, 0xffff, v30, vcc_lo
	v_cmp_o_f16_e32 vcc_lo, v6, v6
	s_delay_alu instid0(VALU_DEP_2) | instskip(NEXT) | instid1(VALU_DEP_1)
	v_xor_b32_e32 v7, v8, v7
	v_cndmask_b32_e32 v7, 0xffff, v7, vcc_lo
	s_delay_alu instid0(VALU_DEP_1) | instskip(NEXT) | instid1(VALU_DEP_1)
	v_and_b32_e32 v7, v7, v31
	v_cmp_eq_u32_e32 vcc_lo, v7, v25
	s_and_b32 exec_lo, exec_lo, vcc_lo
	s_cbranch_execz .LBB95_341
; %bb.346:                              ;   in Loop: Header=BB95_344 Depth=2
	v_perm_b32 v6, v6, s84, 0x5040100
	ds_store_b32 v17, v6 offset:3072
	s_branch .LBB95_341
.LBB95_347:                             ;   in Loop: Header=BB95_344 Depth=2
	s_mov_b32 s97, -1
	s_mov_b32 s96, -1
                                        ; implicit-def: $vgpr5
                                        ; implicit-def: $vgpr4
	s_branch .LBB95_343
.LBB95_348:                             ;   in Loop: Header=BB95_6 Depth=1
	s_or_b32 exec_lo, exec_lo, s33
	v_lshrrev_b32_e32 v32, 16, v6
	s_and_b32 s33, s53, exec_lo
.LBB95_349:                             ;   in Loop: Header=BB95_6 Depth=1
	s_or_b32 exec_lo, exec_lo, s51
.LBB95_350:                             ;   in Loop: Header=BB95_6 Depth=1
	s_delay_alu instid0(SALU_CYCLE_1)
	s_and_b32 vcc_lo, exec_lo, s44
	s_cbranch_vccz .LBB95_362
; %bb.351:                              ;   in Loop: Header=BB95_6 Depth=1
                                        ; implicit-def: $vgpr32
	s_and_saveexec_b32 s28, s13
	s_cbranch_execz .LBB95_361
; %bb.352:                              ;   in Loop: Header=BB95_6 Depth=1
	v_dual_mov_b32 v4, v14 :: v_dual_mov_b32 v5, v0
	s_mov_b32 s29, 0
                                        ; implicit-def: $sgpr44
	s_branch .LBB95_356
.LBB95_353:                             ;   in Loop: Header=BB95_356 Depth=2
	s_or_b32 exec_lo, exec_lo, s50
	s_wait_dscnt 0x0
	s_barrier_signal -1
	s_barrier_wait -1
	ds_load_b32 v6, v17 offset:3072
	s_wait_dscnt 0x0
	s_barrier_signal -1
	s_barrier_wait -1
	v_cmp_eq_f16_e32 vcc_lo, 0, v6
	s_cbranch_vccz .LBB95_359
; %bb.354:                              ;   in Loop: Header=BB95_356 Depth=2
	v_dual_add_nc_u32 v5, s54, v5 :: v_dual_add_nc_u32 v4, s56, v4
	s_mov_b32 s50, 0
	s_delay_alu instid0(VALU_DEP_1)
	v_cmp_le_u32_e32 vcc_lo, s78, v5
	s_or_not1_b32 s51, vcc_lo, exec_lo
.LBB95_355:                             ;   in Loop: Header=BB95_356 Depth=2
	s_delay_alu instid0(SALU_CYCLE_1) | instskip(NEXT) | instid1(SALU_CYCLE_1)
	s_and_b32 s51, exec_lo, s51
	s_or_b32 s29, s51, s29
	s_and_not1_b32 s44, s44, exec_lo
	s_and_b32 s50, s50, exec_lo
	s_delay_alu instid0(SALU_CYCLE_1)
	s_or_b32 s44, s44, s50
	s_and_not1_b32 exec_lo, exec_lo, s29
	s_cbranch_execz .LBB95_360
.LBB95_356:                             ;   Parent Loop BB95_6 Depth=1
                                        ; =>  This Inner Loop Header: Depth=2
	s_mov_b32 s50, exec_lo
	s_delay_alu instid0(VALU_DEP_1)
	v_cmpx_gt_u32_e64 s36, v5
	s_cbranch_execz .LBB95_353
; %bb.357:                              ;   in Loop: Header=BB95_356 Depth=2
	global_load_u16 v6, v4, s[34:35] scale_offset
	s_wait_loadcnt 0x0
	v_cmp_lt_i16_e32 vcc_lo, -1, v6
	v_and_b32_e32 v7, 0xffff, v6
	v_cndmask_b32_e32 v8, 0xffff, v30, vcc_lo
	v_cmp_o_f16_e32 vcc_lo, v6, v6
	s_delay_alu instid0(VALU_DEP_2) | instskip(NEXT) | instid1(VALU_DEP_1)
	v_xor_b32_e32 v7, v8, v7
	v_cndmask_b32_e32 v7, 0xffff, v7, vcc_lo
	s_delay_alu instid0(VALU_DEP_1) | instskip(NEXT) | instid1(VALU_DEP_1)
	v_and_b32_e32 v7, v7, v31
	v_cmp_eq_u32_e32 vcc_lo, v7, v25
	s_and_b32 exec_lo, exec_lo, vcc_lo
	s_cbranch_execz .LBB95_353
; %bb.358:                              ;   in Loop: Header=BB95_356 Depth=2
	v_perm_b32 v6, v6, s84, 0x5040100
	ds_store_b32 v17, v6 offset:3072
	s_branch .LBB95_353
.LBB95_359:                             ;   in Loop: Header=BB95_356 Depth=2
	s_mov_b32 s51, -1
	s_mov_b32 s50, -1
                                        ; implicit-def: $vgpr5
                                        ; implicit-def: $vgpr4
	s_branch .LBB95_355
.LBB95_360:                             ;   in Loop: Header=BB95_6 Depth=1
	s_or_b32 exec_lo, exec_lo, s29
	v_lshrrev_b32_e32 v32, 16, v6
	s_and_not1_b32 s29, s33, exec_lo
	s_and_b32 s33, s44, exec_lo
	s_delay_alu instid0(SALU_CYCLE_1)
	s_or_b32 s33, s29, s33
.LBB95_361:                             ;   in Loop: Header=BB95_6 Depth=1
	s_or_b32 exec_lo, exec_lo, s28
	s_mov_b32 s28, 0
	s_mov_b32 s29, -1
.LBB95_362:                             ;   in Loop: Header=BB95_6 Depth=1
	s_or_not1_b32 s33, s33, exec_lo
.LBB95_363:                             ;   in Loop: Header=BB95_6 Depth=1
	s_or_b32 exec_lo, exec_lo, s30
	s_mov_b32 s44, 0
	s_and_saveexec_b32 s30, s33
	s_cbranch_execz .LBB95_415
; %bb.364:                              ;   in Loop: Header=BB95_6 Depth=1
	v_dual_mov_b32 v4, 1 :: v_dual_mov_b32 v2, 1
	s_xor_b32 s33, s31, -1
	s_delay_alu instid0(SALU_CYCLE_1)
	s_and_saveexec_b32 s31, s33
	s_cbranch_execz .LBB95_373
; %bb.365:                              ;   in Loop: Header=BB95_6 Depth=1
	s_mov_b32 s33, exec_lo
	v_cmpx_ge_u32_e64 s20, v3
	s_xor_b32 s33, exec_lo, s33
	s_cbranch_execz .LBB95_370
; %bb.366:                              ;   in Loop: Header=BB95_6 Depth=1
	ds_load_b32 v2, v17 offset:4096
	s_lshl_b32 s44, 1, s82
	v_or_b32_e32 v31, s18, v31
	v_and_or_b32 v25, v25, s19, s44
	s_wait_dscnt 0x0
	v_cmp_ne_u32_e32 vcc_lo, 0, v2
	s_cbranch_vccnz .LBB95_370
; %bb.367:                              ;   in Loop: Header=BB95_6 Depth=1
	s_and_saveexec_b32 s44, s5
; %bb.368:                              ;   in Loop: Header=BB95_6 Depth=1
	v_mov_b32_e32 v2, s20
	ds_store_b32 v17, v2 offset:4100
; %bb.369:                              ;   in Loop: Header=BB95_6 Depth=1
	s_or_b32 exec_lo, exec_lo, s44
	s_wait_dscnt 0x0
	s_barrier_signal -1
	s_barrier_wait -1
.LBB95_370:                             ;   in Loop: Header=BB95_6 Depth=1
	s_or_saveexec_b32 s33, s33
	v_mov_b32_e32 v2, 5
	s_mov_b32 s44, 0
	s_xor_b32 exec_lo, exec_lo, s33
; %bb.371:                              ;   in Loop: Header=BB95_6 Depth=1
	v_subrev_nc_u32_e32 v3, s20, v3
	v_mov_b32_e32 v2, 0
	s_mov_b32 s44, exec_lo
; %bb.372:                              ;   in Loop: Header=BB95_6 Depth=1
	s_or_b32 exec_lo, exec_lo, s33
	s_delay_alu instid0(VALU_DEP_2)
	v_mov_b32_e32 v4, v3
	s_and_b32 s44, s44, exec_lo
.LBB95_373:                             ;   in Loop: Header=BB95_6 Depth=1
	s_or_b32 exec_lo, exec_lo, s31
	s_mov_b32 s31, -1
                                        ; implicit-def: $sgpr50
                                        ; implicit-def: $sgpr33
	s_and_saveexec_b32 s20, s44
	s_cbranch_execz .LBB95_414
; %bb.374:                              ;   in Loop: Header=BB95_6 Depth=1
	v_cmp_eq_u32_e32 vcc_lo, 1, v4
	s_cmp_eq_u32 s17, 1
	s_mov_b32 s52, -1
	s_cselect_b32 s31, -1, 0
                                        ; implicit-def: $sgpr50
                                        ; implicit-def: $sgpr33
	s_delay_alu instid0(SALU_CYCLE_1) | instskip(NEXT) | instid1(SALU_CYCLE_1)
	s_and_b32 s31, s31, vcc_lo
	s_and_saveexec_b32 s51, s31
	s_cbranch_execz .LBB95_402
; %bb.375:                              ;   in Loop: Header=BB95_6 Depth=1
	ds_load_b32 v3, v17 offset:4096
	s_wait_dscnt 0x0
	s_barrier_signal -1
	s_barrier_wait -1
	v_readfirstlane_b32 s52, v3
	s_and_saveexec_b32 s33, s6
; %bb.376:                              ;   in Loop: Header=BB95_6 Depth=1
	ds_store_b16 v20, v17
; %bb.377:                              ;   in Loop: Header=BB95_6 Depth=1
	s_or_b32 exec_lo, exec_lo, s33
	v_and_b32_e32 v25, s19, v25
	v_or_b32_e32 v31, s18, v31
	s_mov_b32 s33, -1
	s_mov_b32 s50, 0
	s_cmp_eq_u32 s52, 0
	s_mov_b32 s44, 0
	s_mov_b32 s53, -1
	s_wait_dscnt 0x0
	s_barrier_signal -1
	s_barrier_wait -1
                                        ; implicit-def: $vgpr32
	s_cbranch_scc1 .LBB95_389
; %bb.378:                              ;   in Loop: Header=BB95_6 Depth=1
	s_add_co_i32 s44, s52, s65
                                        ; implicit-def: $vgpr32
	s_delay_alu instid0(SALU_CYCLE_1) | instskip(NEXT) | instid1(SALU_CYCLE_1)
	s_mul_u64 s[96:97], s[44:45], s[46:47]
	s_mul_i32 s53, s97, s54
	s_delay_alu instid0(SALU_CYCLE_1) | instskip(NEXT) | instid1(SALU_CYCLE_1)
	s_sub_co_i32 s53, s44, s53
	s_sub_co_i32 s96, s53, s54
	s_cmp_ge_u32 s53, s54
	s_cselect_b32 s53, s96, s53
	s_delay_alu instid0(SALU_CYCLE_1)
	s_sub_co_i32 s96, s53, s54
	s_cmp_ge_u32 s53, s54
	s_cselect_b32 s53, s96, s53
	s_mov_b32 s96, exec_lo
	s_sub_co_i32 s97, s44, s53
	s_mov_b32 s53, 0
	s_mov_b32 s44, 0
	v_cmpx_gt_u32_e64 s97, v0
	s_cbranch_execz .LBB95_388
; %bb.379:                              ;   in Loop: Header=BB95_6 Depth=1
	v_dual_mov_b32 v3, v15 :: v_dual_mov_b32 v5, v0
                                        ; implicit-def: $sgpr98
	s_branch .LBB95_383
.LBB95_380:                             ;   in Loop: Header=BB95_383 Depth=2
	s_or_b32 exec_lo, exec_lo, s99
	s_wait_dscnt 0x0
	s_barrier_signal -1
	s_barrier_wait -1
	ds_load_b32 v6, v17 offset:3072
	s_wait_dscnt 0x0
	s_barrier_signal -1
	s_barrier_wait -1
	v_cmp_neq_f16_e32 vcc_lo, 0, v6
	s_cbranch_vccnz .LBB95_386
; %bb.381:                              ;   in Loop: Header=BB95_383 Depth=2
	v_dual_add_nc_u32 v5, s54, v5 :: v_dual_add_nc_u32 v3, s81, v3
	s_mov_b32 s99, 0
	s_delay_alu instid0(VALU_DEP_1)
	v_cmp_le_u32_e32 vcc_lo, s97, v5
	s_or_not1_b32 s100, vcc_lo, exec_lo
.LBB95_382:                             ;   in Loop: Header=BB95_383 Depth=2
	s_delay_alu instid0(SALU_CYCLE_1) | instskip(NEXT) | instid1(SALU_CYCLE_1)
	s_and_b32 s100, exec_lo, s100
	s_or_b32 s44, s100, s44
	s_and_not1_b32 s98, s98, exec_lo
	s_and_b32 s99, s99, exec_lo
	s_delay_alu instid0(SALU_CYCLE_1)
	s_or_b32 s98, s98, s99
	s_and_not1_b32 exec_lo, exec_lo, s44
	s_cbranch_execz .LBB95_387
.LBB95_383:                             ;   Parent Loop BB95_6 Depth=1
                                        ; =>  This Inner Loop Header: Depth=2
	s_mov_b32 s99, exec_lo
	s_delay_alu instid0(VALU_DEP_1)
	v_cmpx_gt_u32_e64 s52, v5
	s_cbranch_execz .LBB95_380
; %bb.384:                              ;   in Loop: Header=BB95_383 Depth=2
	ds_load_u16 v6, v3
	s_wait_dscnt 0x0
	v_cmp_lt_i16_e32 vcc_lo, -1, v6
	v_and_b32_e32 v7, 0xffff, v6
	v_cndmask_b32_e32 v8, 0xffff, v30, vcc_lo
	v_cmp_o_f16_e32 vcc_lo, v6, v6
	s_delay_alu instid0(VALU_DEP_2) | instskip(NEXT) | instid1(VALU_DEP_1)
	v_xor_b32_e32 v7, v8, v7
	v_cndmask_b32_e32 v7, 0xffff, v7, vcc_lo
	s_delay_alu instid0(VALU_DEP_1) | instskip(NEXT) | instid1(VALU_DEP_1)
	v_and_b32_e32 v7, v7, v31
	v_cmp_eq_u32_e32 vcc_lo, v7, v25
	s_and_b32 exec_lo, exec_lo, vcc_lo
	s_cbranch_execz .LBB95_380
; %bb.385:                              ;   in Loop: Header=BB95_383 Depth=2
	v_perm_b32 v6, v6, s84, 0x5040100
	ds_store_b32 v17, v6 offset:3072
	s_branch .LBB95_380
.LBB95_386:                             ;   in Loop: Header=BB95_383 Depth=2
	s_mov_b32 s100, -1
	s_mov_b32 s99, -1
                                        ; implicit-def: $vgpr5
                                        ; implicit-def: $vgpr3
	s_branch .LBB95_382
.LBB95_387:                             ;   in Loop: Header=BB95_6 Depth=1
	s_or_b32 exec_lo, exec_lo, s44
	v_lshrrev_b32_e32 v32, 16, v6
	s_and_b32 s44, s98, exec_lo
.LBB95_388:                             ;   in Loop: Header=BB95_6 Depth=1
	s_or_b32 exec_lo, exec_lo, s96
.LBB95_389:                             ;   in Loop: Header=BB95_6 Depth=1
	s_delay_alu instid0(SALU_CYCLE_1)
	s_and_b32 vcc_lo, exec_lo, s53
	s_cbranch_vccz .LBB95_401
; %bb.390:                              ;   in Loop: Header=BB95_6 Depth=1
                                        ; implicit-def: $vgpr32
	s_and_saveexec_b32 s33, s13
	s_cbranch_execz .LBB95_400
; %bb.391:                              ;   in Loop: Header=BB95_6 Depth=1
	v_dual_mov_b32 v3, v14 :: v_dual_mov_b32 v5, v0
	s_mov_b32 s50, 0
                                        ; implicit-def: $sgpr52
	s_branch .LBB95_395
.LBB95_392:                             ;   in Loop: Header=BB95_395 Depth=2
	s_or_b32 exec_lo, exec_lo, s53
	s_wait_dscnt 0x0
	s_barrier_signal -1
	s_barrier_wait -1
	ds_load_b32 v6, v17 offset:3072
	s_wait_dscnt 0x0
	s_barrier_signal -1
	s_barrier_wait -1
	v_cmp_eq_f16_e32 vcc_lo, 0, v6
	s_cbranch_vccz .LBB95_398
; %bb.393:                              ;   in Loop: Header=BB95_395 Depth=2
	v_dual_add_nc_u32 v5, s54, v5 :: v_dual_add_nc_u32 v3, s56, v3
	s_mov_b32 s53, 0
	s_delay_alu instid0(VALU_DEP_1)
	v_cmp_le_u32_e32 vcc_lo, s78, v5
	s_or_not1_b32 s96, vcc_lo, exec_lo
.LBB95_394:                             ;   in Loop: Header=BB95_395 Depth=2
	s_delay_alu instid0(SALU_CYCLE_1) | instskip(NEXT) | instid1(SALU_CYCLE_1)
	s_and_b32 s96, exec_lo, s96
	s_or_b32 s50, s96, s50
	s_and_not1_b32 s52, s52, exec_lo
	s_and_b32 s53, s53, exec_lo
	s_delay_alu instid0(SALU_CYCLE_1)
	s_or_b32 s52, s52, s53
	s_and_not1_b32 exec_lo, exec_lo, s50
	s_cbranch_execz .LBB95_399
.LBB95_395:                             ;   Parent Loop BB95_6 Depth=1
                                        ; =>  This Inner Loop Header: Depth=2
	s_mov_b32 s53, exec_lo
	s_delay_alu instid0(VALU_DEP_1)
	v_cmpx_gt_u32_e64 s36, v5
	s_cbranch_execz .LBB95_392
; %bb.396:                              ;   in Loop: Header=BB95_395 Depth=2
	global_load_u16 v6, v3, s[34:35] scale_offset
	s_wait_loadcnt 0x0
	v_cmp_lt_i16_e32 vcc_lo, -1, v6
	v_and_b32_e32 v7, 0xffff, v6
	v_cndmask_b32_e32 v8, 0xffff, v30, vcc_lo
	v_cmp_o_f16_e32 vcc_lo, v6, v6
	s_delay_alu instid0(VALU_DEP_2) | instskip(NEXT) | instid1(VALU_DEP_1)
	v_xor_b32_e32 v7, v8, v7
	v_cndmask_b32_e32 v7, 0xffff, v7, vcc_lo
	s_delay_alu instid0(VALU_DEP_1) | instskip(NEXT) | instid1(VALU_DEP_1)
	v_and_b32_e32 v7, v7, v31
	v_cmp_eq_u32_e32 vcc_lo, v7, v25
	s_and_b32 exec_lo, exec_lo, vcc_lo
	s_cbranch_execz .LBB95_392
; %bb.397:                              ;   in Loop: Header=BB95_395 Depth=2
	v_perm_b32 v6, v6, s84, 0x5040100
	ds_store_b32 v17, v6 offset:3072
	s_branch .LBB95_392
.LBB95_398:                             ;   in Loop: Header=BB95_395 Depth=2
	s_mov_b32 s96, -1
	s_mov_b32 s53, -1
                                        ; implicit-def: $vgpr5
                                        ; implicit-def: $vgpr3
	s_branch .LBB95_394
.LBB95_399:                             ;   in Loop: Header=BB95_6 Depth=1
	s_or_b32 exec_lo, exec_lo, s50
	v_lshrrev_b32_e32 v32, 16, v6
	s_and_not1_b32 s44, s44, exec_lo
	s_and_b32 s50, s52, exec_lo
	s_delay_alu instid0(SALU_CYCLE_1)
	s_or_b32 s44, s44, s50
.LBB95_400:                             ;   in Loop: Header=BB95_6 Depth=1
	s_or_b32 exec_lo, exec_lo, s33
	s_mov_b32 s33, 0
	s_mov_b32 s50, -1
.LBB95_401:                             ;   in Loop: Header=BB95_6 Depth=1
	s_or_not1_b32 s52, s44, exec_lo
.LBB95_402:                             ;   in Loop: Header=BB95_6 Depth=1
	s_or_b32 exec_lo, exec_lo, s51
	s_mov_b32 s51, 0
	s_and_saveexec_b32 s44, s52
	s_cbranch_execz .LBB95_413
; %bb.403:                              ;   in Loop: Header=BB95_6 Depth=1
	v_dual_mov_b32 v2, 1 :: v_dual_mov_b32 v3, 1
	s_xor_b32 s51, s31, -1
	s_delay_alu instid0(SALU_CYCLE_1)
	s_and_saveexec_b32 s31, s51
	s_cbranch_execz .LBB95_412
; %bb.404:                              ;   in Loop: Header=BB95_6 Depth=1
	s_mov_b32 s51, exec_lo
	v_cmpx_ge_u32_e64 s17, v4
	s_xor_b32 s51, exec_lo, s51
	s_cbranch_execz .LBB95_409
; %bb.405:                              ;   in Loop: Header=BB95_6 Depth=1
	ds_load_b32 v2, v17 offset:4096
	v_and_b32_e32 v25, s19, v25
	v_or_b32_e32 v31, s18, v31
	s_wait_dscnt 0x0
	v_cmp_ne_u32_e32 vcc_lo, 0, v2
	s_cbranch_vccnz .LBB95_409
; %bb.406:                              ;   in Loop: Header=BB95_6 Depth=1
	s_and_saveexec_b32 s18, s5
; %bb.407:                              ;   in Loop: Header=BB95_6 Depth=1
	v_mov_b32_e32 v2, s17
	ds_store_b32 v17, v2 offset:4100
; %bb.408:                              ;   in Loop: Header=BB95_6 Depth=1
	s_or_b32 exec_lo, exec_lo, s18
	s_wait_dscnt 0x0
	s_barrier_signal -1
	s_barrier_wait -1
.LBB95_409:                             ;   in Loop: Header=BB95_6 Depth=1
	s_and_not1_saveexec_b32 s18, s51
; %bb.410:                              ;   in Loop: Header=BB95_6 Depth=1
	v_subrev_nc_u32_e32 v4, s17, v4
; %bb.411:                              ;   in Loop: Header=BB95_6 Depth=1
	s_or_b32 exec_lo, exec_lo, s18
	s_delay_alu instid0(VALU_DEP_1)
	v_dual_mov_b32 v2, 5 :: v_dual_mov_b32 v3, v4
.LBB95_412:                             ;   in Loop: Header=BB95_6 Depth=1
	s_or_b32 exec_lo, exec_lo, s31
	s_delay_alu instid0(VALU_DEP_1)
	v_mov_b32_e32 v4, v3
	s_mov_b32 s51, exec_lo
.LBB95_413:                             ;   in Loop: Header=BB95_6 Depth=1
	s_or_b32 exec_lo, exec_lo, s44
	s_delay_alu instid0(SALU_CYCLE_1)
	s_or_not1_b32 s31, s51, exec_lo
.LBB95_414:                             ;   in Loop: Header=BB95_6 Depth=1
	s_or_b32 exec_lo, exec_lo, s20
	s_delay_alu instid0(SALU_CYCLE_1)
	s_and_not1_b32 s17, s29, exec_lo
	s_and_b32 s18, s50, exec_lo
	s_and_not1_b32 s19, s28, exec_lo
	s_and_b32 s20, s33, exec_lo
	v_mov_b32_e32 v3, v4
	s_or_b32 s29, s17, s18
	s_or_b32 s28, s19, s20
	s_and_b32 s44, s31, exec_lo
.LBB95_415:                             ;   in Loop: Header=BB95_6 Depth=1
	s_or_b32 exec_lo, exec_lo, s30
	s_delay_alu instid0(SALU_CYCLE_1)
	s_or_not1_b32 s30, s44, exec_lo
.LBB95_416:                             ;   in Loop: Header=BB95_6 Depth=1
	s_or_b32 exec_lo, exec_lo, s21
	s_delay_alu instid0(SALU_CYCLE_1)
	s_and_not1_b32 s17, s25, exec_lo
	s_and_b32 s18, s29, exec_lo
	s_and_not1_b32 s19, s22, exec_lo
	s_and_b32 s20, s28, exec_lo
	v_mov_b32_e32 v5, v3
	s_or_b32 s25, s17, s18
	s_or_b32 s22, s19, s20
	s_and_b32 s30, s30, exec_lo
.LBB95_417:                             ;   in Loop: Header=BB95_6 Depth=1
	s_or_b32 exec_lo, exec_lo, s27
	s_delay_alu instid0(SALU_CYCLE_1)
	s_or_not1_b32 s27, s30, exec_lo
.LBB95_418:                             ;   in Loop: Header=BB95_6 Depth=1
	s_or_b32 exec_lo, exec_lo, s14
	s_mov_b32 s14, s23
	s_mov_b32 s17, s15
	s_and_saveexec_b32 s18, s27
; %bb.419:                              ;   in Loop: Header=BB95_6 Depth=1
	v_cmp_ne_u32_e32 vcc_lo, 5, v2
	v_cmp_eq_u32_e64 s14, 5, v2
	s_and_not1_b32 s17, s15, exec_lo
	s_and_not1_b32 s19, s23, exec_lo
	s_and_b32 s20, vcc_lo, exec_lo
	s_and_b32 s14, s14, exec_lo
	s_or_b32 s17, s17, s20
	s_or_b32 s14, s19, s14
; %bb.420:                              ;   in Loop: Header=BB95_6 Depth=1
	s_or_b32 exec_lo, exec_lo, s18
	s_delay_alu instid0(SALU_CYCLE_1)
	s_and_not1_b32 s18, s26, exec_lo
	s_and_b32 s19, s25, exec_lo
	s_and_not1_b32 s16, s16, exec_lo
	s_and_b32 s20, s22, exec_lo
	s_or_b32 s26, s18, s19
	s_and_not1_b32 s15, s15, exec_lo
	s_and_b32 s17, s17, exec_lo
	s_and_not1_b32 s18, s23, exec_lo
	s_and_b32 s14, s14, exec_lo
	s_or_b32 s16, s16, s20
	s_or_b32 s15, s15, s17
	;; [unrolled: 1-line block ×3, first 2 shown]
.LBB95_421:                             ;   in Loop: Header=BB95_6 Depth=1
	s_or_b32 exec_lo, exec_lo, s24
	s_mov_b32 s24, 0
	s_mov_b32 s25, 0
	s_and_saveexec_b32 s14, s23
.LBB95_422:                             ;   in Loop: Header=BB95_6 Depth=1
	v_mov_b32_e32 v2, 0
	s_or_b32 s15, s15, exec_lo
.LBB95_423:                             ;   in Loop: Header=BB95_6 Depth=1
	s_or_b32 exec_lo, exec_lo, s14
	s_delay_alu instid0(SALU_CYCLE_1)
	s_and_not1_b32 s14, s93, exec_lo
	s_and_b32 s18, s26, exec_lo
	s_and_not1_b32 s19, s91, exec_lo
	s_and_b32 s16, s16, exec_lo
	v_mov_b32_e32 v33, v5
	s_or_b32 s93, s14, s18
	s_or_b32 s91, s19, s16
	s_and_not1_b32 s14, s95, exec_lo
	s_and_b32 s16, s25, exec_lo
	s_and_not1_b32 s18, s94, exec_lo
	s_and_b32 s19, s24, exec_lo
	s_mov_b32 s17, -1
	s_and_not1_b32 s92, s92, exec_lo
	s_or_b32 s95, s14, s16
	s_or_b32 s94, s18, s19
	s_and_saveexec_b32 s14, s15
	s_delay_alu instid0(SALU_CYCLE_1)
	s_xor_b32 s14, exec_lo, s14
	s_cbranch_execz .LBB95_5
; %bb.424:                              ;   in Loop: Header=BB95_6 Depth=1
	s_mov_b32 s15, -1
	s_mov_b32 s16, -1
	s_mov_b32 s17, exec_lo
	v_cmpx_eq_u32_e32 0, v2
	s_cbranch_execz .LBB95_4
; %bb.425:                              ;   in Loop: Header=BB95_6 Depth=1
	s_xor_b32 s86, s86, 1
	s_add_co_i32 s18, s82, -2
	s_cmp_eq_u32 s82, 0
	s_mov_b32 s82, s18
	s_cselect_b32 s15, -1, 0
	s_xor_b32 s16, exec_lo, -1
	s_or_not1_b32 s15, s15, exec_lo
	s_branch .LBB95_4
.LBB95_426:
	s_or_b32 exec_lo, exec_lo, s83
	s_xor_b32 s7, s90, -1
	s_xor_b32 s9, s88, -1
	;; [unrolled: 1-line block ×5, first 2 shown]
	s_mov_b32 s8, 0
	s_and_saveexec_b32 s12, s11
	s_delay_alu instid0(SALU_CYCLE_1)
	s_xor_b32 s12, exec_lo, s12
	s_cbranch_execnz .LBB95_431
; %bb.427:
	s_and_not1_saveexec_b32 s0, s12
	s_cbranch_execnz .LBB95_450
.LBB95_428:
	s_or_b32 exec_lo, exec_lo, s0
	s_and_saveexec_b32 s0, s8
.LBB95_429:
	; divergent unreachable
.LBB95_430:
	s_sendmsg sendmsg(MSG_DEALLOC_VGPRS)
	s_endpgm
.LBB95_431:
	s_and_saveexec_b32 s11, s10
	s_delay_alu instid0(SALU_CYCLE_1)
	s_xor_b32 s13, exec_lo, s11
	s_cbranch_execz .LBB95_448
; %bb.432:
	s_and_saveexec_b32 s10, s9
	s_delay_alu instid0(SALU_CYCLE_1)
	s_xor_b32 s14, exec_lo, s10
	s_cbranch_execz .LBB95_446
; %bb.433:
	;; [unrolled: 5-line block ×3, first 2 shown]
	s_and_saveexec_b32 s7, s6
	s_delay_alu instid0(SALU_CYCLE_1)
	s_xor_b32 s6, exec_lo, s7
; %bb.435:
	v_and_b32_e32 v1, 0x8000, v25
	v_mov_b32_e32 v2, 0xffff
	s_delay_alu instid0(VALU_DEP_2) | instskip(NEXT) | instid1(VALU_DEP_2)
	v_cmp_eq_u32_e32 vcc_lo, 0, v1
	v_cndmask_b32_e32 v1, 0x8000, v2, vcc_lo
	s_delay_alu instid0(VALU_DEP_1)
	v_xor_b32_e32 v32, v1, v25
; %bb.436:
	s_or_b32 exec_lo, exec_lo, s6
	s_and_saveexec_b32 s6, s5
; %bb.437:
	v_mov_b32_e32 v1, 0
	ds_store_b32 v1, v1 offset:4108
; %bb.438:
	s_or_b32 exec_lo, exec_lo, s6
	v_mov_b32_e32 v5, 0
	s_wait_dscnt 0x0
	s_barrier_signal -1
	s_barrier_wait -1
	s_and_saveexec_b32 s5, s3
	s_cbranch_execz .LBB95_440
; %bb.439:
	global_load_u16 v5, v[12:13], off
.LBB95_440:
	s_wait_xcnt 0x0
	s_or_b32 exec_lo, exec_lo, s5
	v_mov_b32_e32 v1, 0x8000
	s_clause 0x1
	s_load_b32 s5, s[0:1], 0x1c8
	s_load_b32 s16, s[0:1], 0x2a8
	v_cmp_lt_i16_e32 vcc_lo, -1, v32
	v_and_b32_e32 v2, 0xffff, v32
	s_add_co_i32 s17, s36, 31
	s_mov_b32 s11, 0
	s_and_not1_b32 s17, s17, 31
	v_cndmask_b32_e32 v3, 0xffff, v1, vcc_lo
	v_cmp_o_f16_e32 vcc_lo, v32, v32
	s_mul_i32 s10, s59, s57
	s_mul_i32 s6, s58, s57
	s_mov_b32 s7, s11
	v_xor_b32_e32 v2, v3, v2
	s_lshl_b64 s[8:9], s[10:11], 1
	s_lshl_b64 s[18:19], s[6:7], 3
	s_wait_xcnt 0x0
	s_mov_b32 s0, -1
	s_add_nc_u64 s[6:7], s[42:43], s[8:9]
	v_cndmask_b32_e32 v4, 0xffff, v2, vcc_lo
	v_cmp_gt_u32_e32 vcc_lo, s17, v0
	s_add_nc_u64 s[8:9], s[40:41], s[18:19]
	s_mov_b32 s1, 0
	s_and_saveexec_b32 s10, vcc_lo
	s_cbranch_execnz .LBB95_451
; %bb.441:
	s_or_b32 exec_lo, exec_lo, s10
	s_and_saveexec_b32 s4, s0
	s_cbranch_execnz .LBB95_468
.LBB95_442:
	s_or_b32 exec_lo, exec_lo, s4
	s_and_saveexec_b32 s0, s1
	s_delay_alu instid0(SALU_CYCLE_1)
	s_xor_b32 s0, exec_lo, s0
	s_cbranch_execnz .LBB95_491
.LBB95_443:
	s_or_b32 exec_lo, exec_lo, s0
	s_delay_alu instid0(SALU_CYCLE_1)
	s_and_b32 s8, s11, exec_lo
.LBB95_444:
	s_and_not1_saveexec_b32 s0, s15
	s_cbranch_execnz .LBB95_493
.LBB95_445:
	s_or_b32 exec_lo, exec_lo, s0
	s_delay_alu instid0(SALU_CYCLE_1)
	s_and_b32 s8, s8, exec_lo
.LBB95_446:
	s_and_not1_saveexec_b32 s0, s14
	s_cbranch_execnz .LBB95_492
.LBB95_447:
	s_or_b32 exec_lo, exec_lo, s0
	s_delay_alu instid0(SALU_CYCLE_1)
	s_and_b32 s8, s8, exec_lo
.LBB95_448:
	s_and_not1_saveexec_b32 s0, s13
	s_cbranch_execnz .LBB95_487
.LBB95_449:
	s_or_b32 exec_lo, exec_lo, s0
	s_delay_alu instid0(SALU_CYCLE_1)
	s_and_b32 s8, s8, exec_lo
	s_and_not1_saveexec_b32 s0, s12
	s_cbranch_execz .LBB95_428
.LBB95_450:
	s_or_b32 s8, s8, exec_lo
	s_trap 2
	s_or_b32 exec_lo, exec_lo, s0
	s_and_saveexec_b32 s0, s8
	s_cbranch_execnz .LBB95_429
	s_branch .LBB95_430
.LBB95_451:
	v_dual_mov_b32 v3, 0 :: v_dual_add_nc_u32 v2, s54, v0
	s_mov_b32 s18, 0
                                        ; implicit-def: $sgpr19
                                        ; implicit-def: $vgpr9
	s_delay_alu instid0(VALU_DEP_1)
	v_mul_lo_u32 v6, s55, v2
	v_mov_b32_e32 v2, v0
	s_branch .LBB95_453
.LBB95_452:                             ;   in Loop: Header=BB95_453 Depth=1
	s_or_b32 exec_lo, exec_lo, s21
	s_xor_b32 s0, s20, -1
	s_and_b32 s1, exec_lo, s1
	s_wait_loadcnt 0x0
	v_dual_mov_b32 v2, v7 :: v_dual_mov_b32 v5, v8
	s_or_b32 s18, s1, s18
	s_and_not1_b32 s1, s19, exec_lo
	s_and_b32 s0, s0, exec_lo
	s_delay_alu instid0(SALU_CYCLE_1)
	s_or_b32 s19, s1, s0
	s_and_not1_b32 exec_lo, exec_lo, s18
	s_cbranch_execz .LBB95_467
.LBB95_453:                             ; =>This Inner Loop Header: Depth=1
	s_delay_alu instid0(VALU_DEP_1) | instskip(SKIP_1) | instid1(VALU_DEP_1)
	v_dual_mov_b32 v8, 0 :: v_dual_add_nc_u32 v7, s54, v2
	s_mov_b32 s1, exec_lo
	v_cmpx_gt_u32_e64 s36, v7
	s_cbranch_execz .LBB95_455
; %bb.454:                              ;   in Loop: Header=BB95_453 Depth=1
	global_load_u16 v8, v6, s[34:35] scale_offset
.LBB95_455:                             ;   in Loop: Header=BB95_453 Depth=1
	s_wait_xcnt 0x0
	s_or_b32 exec_lo, exec_lo, s1
	s_mov_b32 s20, 0
	s_mov_b32 s1, exec_lo
	v_cmpx_gt_u32_e64 s36, v2
	s_cbranch_execz .LBB95_457
; %bb.456:                              ;   in Loop: Header=BB95_453 Depth=1
	s_wait_loadcnt 0x0
	v_cmp_lt_i16_e64 s0, -1, v5
	v_and_b32_e32 v11, 0xffff, v5
	s_delay_alu instid0(VALU_DEP_2) | instskip(SKIP_1) | instid1(VALU_DEP_2)
	v_cndmask_b32_e64 v14, 0xffff, v1, s0
	v_cmp_o_f16_e64 s0, v5, v5
	v_xor_b32_e32 v11, v14, v11
	s_delay_alu instid0(VALU_DEP_1) | instskip(NEXT) | instid1(VALU_DEP_1)
	v_cndmask_b32_e64 v11, 0xffff, v11, s0
	v_cmp_gt_u32_e64 s0, v11, v4
	s_delay_alu instid0(VALU_DEP_1) | instskip(SKIP_1) | instid1(VALU_DEP_1)
	v_cndmask_b32_e64 v14, 0, 1, s0
	v_cmp_lt_u32_e64 s0, v11, v4
	v_cndmask_b32_e64 v11, 0, 1, s0
	s_delay_alu instid0(VALU_DEP_1) | instskip(NEXT) | instid1(VALU_DEP_1)
	v_cndmask_b32_e64 v11, v11, v14, s4
	v_and_b32_e32 v11, 1, v11
	s_delay_alu instid0(VALU_DEP_1)
	v_cmp_eq_u32_e64 s0, 1, v11
	s_and_b32 s20, s0, exec_lo
.LBB95_457:                             ;   in Loop: Header=BB95_453 Depth=1
	s_or_b32 exec_lo, exec_lo, s1
	v_cndmask_b32_e64 v11, 0, 1, s20
	s_delay_alu instid0(VALU_DEP_1) | instskip(SKIP_2) | instid1(SALU_CYCLE_1)
	v_cmp_ne_u32_e64 s0, 0, v11
	s_cmp_lg_u32 s0, 0
	s_cselect_b32 s1, -1, 0
	s_and_b32 s1, s2, s1
	s_delay_alu instid0(SALU_CYCLE_1)
	s_and_saveexec_b32 s21, s1
	s_cbranch_execz .LBB95_461
; %bb.458:                              ;   in Loop: Header=BB95_453 Depth=1
	s_mov_b32 s24, exec_lo
	s_bcnt1_i32_b32 s22, s0
	s_wait_dscnt 0x0
	v_mbcnt_lo_u32_b32 v9, s24, 0
	s_mov_b32 s23, exec_lo
                                        ; implicit-def: $vgpr11
	s_delay_alu instid0(VALU_DEP_1)
	v_cmpx_eq_u32_e32 0, v9
; %bb.459:                              ;   in Loop: Header=BB95_453 Depth=1
	s_bcnt1_i32_b32 s1, s24
	s_delay_alu instid0(SALU_CYCLE_1) | instskip(NEXT) | instid1(SALU_CYCLE_1)
	s_mul_i32 s1, s22, s1
	v_mov_b32_e32 v11, s1
	ds_add_rtn_u32 v11, v3, v11 offset:4108
; %bb.460:                              ;   in Loop: Header=BB95_453 Depth=1
	s_or_b32 exec_lo, exec_lo, s23
	s_wait_dscnt 0x0
	v_readfirstlane_b32 s1, v11
	s_delay_alu instid0(VALU_DEP_1)
	v_mad_u32_u24 v9, s22, v9, s1
.LBB95_461:                             ;   in Loop: Header=BB95_453 Depth=1
	s_or_b32 exec_lo, exec_lo, s21
	s_wait_dscnt 0x0
	ds_bpermute_b32 v9, v3, v9
	s_mov_b32 s1, -1
	s_mov_b32 s22, -1
	s_and_saveexec_b32 s21, s20
	s_cbranch_execz .LBB95_465
; %bb.462:                              ;   in Loop: Header=BB95_453 Depth=1
	v_and_b32_e32 v11, s0, v10
	s_mov_b32 s20, 0
	s_mov_b32 s22, exec_lo
	s_wait_dscnt 0x0
	s_delay_alu instid0(VALU_DEP_1) | instskip(NEXT) | instid1(VALU_DEP_1)
	v_bcnt_u32_b32 v11, v11, v9
	v_cmpx_gt_u32_e64 s37, v11
	s_cbranch_execz .LBB95_464
; %bb.463:                              ;   in Loop: Header=BB95_453 Depth=1
	s_wait_kmcnt 0x0
	v_mul_lo_u32 v14, v11, s5
	v_mul_lo_u32 v11, v11, s16
	s_mov_b32 s20, exec_lo
	s_wait_loadcnt 0x0
	global_store_b16 v14, v5, s[6:7] scale_offset
	global_store_b64 v11, v[2:3], s[8:9] scale_offset
.LBB95_464:                             ;   in Loop: Header=BB95_453 Depth=1
	s_wait_xcnt 0x0
	s_or_b32 exec_lo, exec_lo, s22
	s_delay_alu instid0(SALU_CYCLE_1)
	s_or_not1_b32 s22, s20, exec_lo
.LBB95_465:                             ;   in Loop: Header=BB95_453 Depth=1
	s_or_b32 exec_lo, exec_lo, s21
	s_mov_b32 s20, -1
	s_and_saveexec_b32 s21, s22
	s_cbranch_execz .LBB95_452
; %bb.466:                              ;   in Loop: Header=BB95_453 Depth=1
	v_cmp_le_u32_e64 s0, s17, v7
	v_add_nc_u32_e32 v6, s56, v6
	s_xor_b32 s20, exec_lo, -1
	s_or_not1_b32 s1, s0, exec_lo
	s_branch .LBB95_452
.LBB95_467:
	s_or_b32 exec_lo, exec_lo, s18
	s_delay_alu instid0(SALU_CYCLE_1)
	s_mov_b32 s1, exec_lo
	s_or_not1_b32 s0, s19, exec_lo
	s_or_b32 exec_lo, exec_lo, s10
	s_and_saveexec_b32 s4, s0
	s_cbranch_execz .LBB95_442
.LBB95_468:
	v_mov_b32_e32 v8, 0
	s_wait_storecnt 0x0
	s_wait_loadcnt_dscnt 0x0
	s_barrier_signal -1
	s_barrier_wait -1
	s_and_saveexec_b32 s0, s3
	s_cbranch_execz .LBB95_470
; %bb.469:
	global_load_u16 v8, v[12:13], off
.LBB95_470:
	s_wait_xcnt 0x0
	s_or_b32 exec_lo, exec_lo, s0
	s_mov_b32 s0, 0
	s_and_saveexec_b32 s3, vcc_lo
	s_cbranch_execz .LBB95_490
; %bb.471:
	v_add_nc_u32_e32 v1, s54, v0
	v_mov_b32_e32 v3, 0x8000
	s_mov_b32 s10, 0
                                        ; implicit-def: $sgpr11
                                        ; implicit-def: $vgpr7
	s_delay_alu instid0(VALU_DEP_2)
	v_mul_lo_u32 v2, s55, v1
	v_mov_b32_e32 v1, 0
	s_branch .LBB95_474
.LBB95_472:                             ;   in Loop: Header=BB95_474 Depth=1
	s_or_b32 exec_lo, exec_lo, s20
	s_delay_alu instid0(SALU_CYCLE_1)
	s_or_not1_b32 s20, s18, exec_lo
	s_or_not1_b32 s19, s19, exec_lo
.LBB95_473:                             ;   in Loop: Header=BB95_474 Depth=1
	s_or_b32 exec_lo, exec_lo, s0
	s_xor_b32 s0, s20, -1
	s_and_b32 s18, exec_lo, s19
	v_dual_mov_b32 v0, v6 :: v_dual_mov_b32 v8, v5
	s_or_b32 s10, s18, s10
	s_and_not1_b32 s11, s11, exec_lo
	s_and_b32 s0, s0, exec_lo
	s_delay_alu instid0(SALU_CYCLE_1)
	s_or_b32 s11, s11, s0
	s_and_not1_b32 exec_lo, exec_lo, s10
	s_cbranch_execz .LBB95_488
.LBB95_474:                             ; =>This Inner Loop Header: Depth=1
	v_dual_mov_b32 v5, 0 :: v_dual_add_nc_u32 v6, s54, v0
	s_mov_b32 s0, exec_lo
	s_delay_alu instid0(VALU_DEP_1)
	v_cmpx_gt_u32_e64 s36, v6
	s_cbranch_execz .LBB95_476
; %bb.475:                              ;   in Loop: Header=BB95_474 Depth=1
	global_load_u16 v5, v2, s[34:35] scale_offset
.LBB95_476:                             ;   in Loop: Header=BB95_474 Depth=1
	s_wait_xcnt 0x0
	s_or_b32 exec_lo, exec_lo, s0
	s_wait_loadcnt 0x0
	v_cmp_lt_i16_e32 vcc_lo, -1, v8
	v_and_b32_e32 v9, 0xffff, v8
	v_cndmask_b32_e32 v11, 0xffff, v3, vcc_lo
	v_cmp_o_f16_e32 vcc_lo, v8, v8
	s_delay_alu instid0(VALU_DEP_2) | instskip(NEXT) | instid1(VALU_DEP_1)
	v_xor_b32_e32 v9, v11, v9
	v_cndmask_b32_e32 v9, 0xffff, v9, vcc_lo
	v_cmp_gt_u32_e32 vcc_lo, s36, v0
	s_delay_alu instid0(VALU_DEP_2) | instskip(SKIP_1) | instid1(SALU_CYCLE_1)
	v_cmp_eq_u32_e64 s0, v9, v4
	s_and_b32 s18, vcc_lo, s0
	v_cndmask_b32_e64 v9, 0, 1, s18
	s_delay_alu instid0(VALU_DEP_1) | instskip(SKIP_2) | instid1(SALU_CYCLE_1)
	v_cmp_ne_u32_e32 vcc_lo, 0, v9
	s_cmp_lg_u32 vcc_lo, 0
	s_cselect_b32 s0, -1, 0
	s_and_b32 s0, s2, s0
	s_delay_alu instid0(SALU_CYCLE_1)
	s_and_saveexec_b32 s19, s0
	s_cbranch_execz .LBB95_480
; %bb.477:                              ;   in Loop: Header=BB95_474 Depth=1
	s_mov_b32 s22, exec_lo
	s_bcnt1_i32_b32 s20, vcc_lo
	v_mbcnt_lo_u32_b32 v7, s22, 0
	s_mov_b32 s21, exec_lo
                                        ; implicit-def: $vgpr9
	s_delay_alu instid0(VALU_DEP_1)
	v_cmpx_eq_u32_e32 0, v7
; %bb.478:                              ;   in Loop: Header=BB95_474 Depth=1
	s_bcnt1_i32_b32 s0, s22
	s_delay_alu instid0(SALU_CYCLE_1) | instskip(NEXT) | instid1(SALU_CYCLE_1)
	s_mul_i32 s0, s20, s0
	v_mov_b32_e32 v9, s0
	ds_add_rtn_u32 v9, v1, v9 offset:4108
; %bb.479:                              ;   in Loop: Header=BB95_474 Depth=1
	s_or_b32 exec_lo, exec_lo, s21
	s_wait_dscnt 0x0
	v_readfirstlane_b32 s0, v9
	s_delay_alu instid0(VALU_DEP_1)
	v_mad_u32_u24 v7, s20, v7, s0
.LBB95_480:                             ;   in Loop: Header=BB95_474 Depth=1
	s_or_b32 exec_lo, exec_lo, s19
	ds_bpermute_b32 v7, v1, v7
	s_cmp_eq_u32 vcc_lo, 0
	s_mov_b32 s19, -1
	s_cselect_b32 s20, -1, 0
	s_wait_dscnt 0x0
	v_cmp_gt_u32_e64 s0, s37, v7
	s_or_b32 s21, s20, s0
	s_mov_b32 s20, -1
	s_and_saveexec_b32 s0, s21
	s_cbranch_execz .LBB95_473
; %bb.481:                              ;   in Loop: Header=BB95_474 Depth=1
	v_dual_sub_nc_u32 v11, s37, v7 :: v_dual_bitop2_b32 v9, vcc_lo, v10 bitop3:0x40
	s_mov_b32 s21, -1
	s_delay_alu instid0(VALU_DEP_1) | instskip(NEXT) | instid1(VALU_DEP_1)
	v_bcnt_u32_b32 v9, v9, 0
	v_bcnt_u32_b32 v9, 0, v9
	s_delay_alu instid0(VALU_DEP_1)
	v_cmp_gt_u32_e32 vcc_lo, v11, v9
	s_and_b32 s22, s18, vcc_lo
	s_mov_b32 s18, -1
	s_and_saveexec_b32 s20, s22
	s_cbranch_execz .LBB95_485
; %bb.482:                              ;   in Loop: Header=BB95_474 Depth=1
	v_add_nc_u32_e32 v9, v7, v9
	s_mov_b32 s21, 0
	s_mov_b32 s18, exec_lo
	s_delay_alu instid0(VALU_DEP_1)
	v_cmpx_gt_u32_e64 s37, v9
	s_cbranch_execz .LBB95_484
; %bb.483:                              ;   in Loop: Header=BB95_474 Depth=1
	s_wait_kmcnt 0x0
	v_mul_lo_u32 v11, v9, s5
	v_mul_lo_u32 v9, v9, s16
	s_mov_b32 s21, exec_lo
	global_store_b16 v11, v8, s[6:7] scale_offset
	global_store_b64 v9, v[0:1], s[8:9] scale_offset
.LBB95_484:                             ;   in Loop: Header=BB95_474 Depth=1
	s_wait_xcnt 0x0
	s_or_b32 exec_lo, exec_lo, s18
	s_delay_alu instid0(SALU_CYCLE_1)
	s_xor_b32 s18, exec_lo, -1
	s_or_not1_b32 s21, s21, exec_lo
.LBB95_485:                             ;   in Loop: Header=BB95_474 Depth=1
	s_or_b32 exec_lo, exec_lo, s20
	s_and_saveexec_b32 s20, s21
	s_cbranch_execz .LBB95_472
; %bb.486:                              ;   in Loop: Header=BB95_474 Depth=1
	v_cmp_le_u32_e32 vcc_lo, s17, v6
	v_add_nc_u32_e32 v2, s56, v2
	s_or_b32 s18, s18, exec_lo
	s_or_not1_b32 s19, vcc_lo, exec_lo
	s_branch .LBB95_472
.LBB95_487:
	s_or_b32 s8, s8, exec_lo
	s_trap 2
	s_branch .LBB95_449
.LBB95_488:
	s_or_b32 exec_lo, exec_lo, s10
	s_mov_b32 s0, 0
	s_and_saveexec_b32 s2, s11
	s_delay_alu instid0(SALU_CYCLE_1)
	s_xor_b32 s2, exec_lo, s2
	s_cbranch_execnz .LBB95_494
.LBB95_489:
	s_or_b32 exec_lo, exec_lo, s2
	s_delay_alu instid0(SALU_CYCLE_1)
	s_and_b32 s0, s0, exec_lo
.LBB95_490:
	s_or_b32 exec_lo, exec_lo, s3
	s_delay_alu instid0(SALU_CYCLE_1) | instskip(SKIP_3) | instid1(SALU_CYCLE_1)
	s_and_b32 s11, s0, exec_lo
	s_and_not1_b32 s1, s1, exec_lo
	s_or_b32 exec_lo, exec_lo, s4
	s_and_saveexec_b32 s0, s1
	s_xor_b32 s0, exec_lo, s0
	s_cbranch_execz .LBB95_443
.LBB95_491:
	s_or_b32 s11, s11, exec_lo
	s_trap 2
	s_branch .LBB95_443
.LBB95_492:
	s_or_b32 s8, s8, exec_lo
	s_trap 2
	s_branch .LBB95_447
.LBB95_493:
	s_or_b32 s8, s8, exec_lo
	s_trap 2
	s_branch .LBB95_445
.LBB95_494:
	s_mov_b32 s0, exec_lo
	s_trap 2
	s_branch .LBB95_489
	.section	.rodata,"a",@progbits
	.p2align	6, 0x0
	.amdhsa_kernel _ZN2at6native6sbtopk10gatherTopKIN3c104HalfEjLi1ELb0EEEvNS_4cuda6detail10TensorInfoIKT_T0_EESA_SA_bSA_SA_NS7_IS8_SA_EESA_NS7_IlSA_EESA_PS8_
		.amdhsa_group_segment_fixed_size 4112
		.amdhsa_private_segment_fixed_size 0
		.amdhsa_kernarg_size 952
		.amdhsa_user_sgpr_count 2
		.amdhsa_user_sgpr_dispatch_ptr 0
		.amdhsa_user_sgpr_queue_ptr 0
		.amdhsa_user_sgpr_kernarg_segment_ptr 1
		.amdhsa_user_sgpr_dispatch_id 0
		.amdhsa_user_sgpr_kernarg_preload_length 0
		.amdhsa_user_sgpr_kernarg_preload_offset 0
		.amdhsa_user_sgpr_private_segment_size 0
		.amdhsa_wavefront_size32 1
		.amdhsa_uses_dynamic_stack 0
		.amdhsa_enable_private_segment 0
		.amdhsa_system_sgpr_workgroup_id_x 1
		.amdhsa_system_sgpr_workgroup_id_y 1
		.amdhsa_system_sgpr_workgroup_id_z 1
		.amdhsa_system_sgpr_workgroup_info 0
		.amdhsa_system_vgpr_workitem_id 0
		.amdhsa_next_free_vgpr 65
		.amdhsa_next_free_sgpr 105
		.amdhsa_named_barrier_count 0
		.amdhsa_reserve_vcc 1
		.amdhsa_float_round_mode_32 0
		.amdhsa_float_round_mode_16_64 0
		.amdhsa_float_denorm_mode_32 3
		.amdhsa_float_denorm_mode_16_64 3
		.amdhsa_fp16_overflow 0
		.amdhsa_memory_ordered 1
		.amdhsa_forward_progress 1
		.amdhsa_inst_pref_size 135
		.amdhsa_round_robin_scheduling 0
		.amdhsa_exception_fp_ieee_invalid_op 0
		.amdhsa_exception_fp_denorm_src 0
		.amdhsa_exception_fp_ieee_div_zero 0
		.amdhsa_exception_fp_ieee_overflow 0
		.amdhsa_exception_fp_ieee_underflow 0
		.amdhsa_exception_fp_ieee_inexact 0
		.amdhsa_exception_int_div_zero 0
	.end_amdhsa_kernel
	.section	.text._ZN2at6native6sbtopk10gatherTopKIN3c104HalfEjLi1ELb0EEEvNS_4cuda6detail10TensorInfoIKT_T0_EESA_SA_bSA_SA_NS7_IS8_SA_EESA_NS7_IlSA_EESA_PS8_,"axG",@progbits,_ZN2at6native6sbtopk10gatherTopKIN3c104HalfEjLi1ELb0EEEvNS_4cuda6detail10TensorInfoIKT_T0_EESA_SA_bSA_SA_NS7_IS8_SA_EESA_NS7_IlSA_EESA_PS8_,comdat
.Lfunc_end95:
	.size	_ZN2at6native6sbtopk10gatherTopKIN3c104HalfEjLi1ELb0EEEvNS_4cuda6detail10TensorInfoIKT_T0_EESA_SA_bSA_SA_NS7_IS8_SA_EESA_NS7_IlSA_EESA_PS8_, .Lfunc_end95-_ZN2at6native6sbtopk10gatherTopKIN3c104HalfEjLi1ELb0EEEvNS_4cuda6detail10TensorInfoIKT_T0_EESA_SA_bSA_SA_NS7_IS8_SA_EESA_NS7_IlSA_EESA_PS8_
                                        ; -- End function
	.set _ZN2at6native6sbtopk10gatherTopKIN3c104HalfEjLi1ELb0EEEvNS_4cuda6detail10TensorInfoIKT_T0_EESA_SA_bSA_SA_NS7_IS8_SA_EESA_NS7_IlSA_EESA_PS8_.num_vgpr, 65
	.set _ZN2at6native6sbtopk10gatherTopKIN3c104HalfEjLi1ELb0EEEvNS_4cuda6detail10TensorInfoIKT_T0_EESA_SA_bSA_SA_NS7_IS8_SA_EESA_NS7_IlSA_EESA_PS8_.num_agpr, 0
	.set _ZN2at6native6sbtopk10gatherTopKIN3c104HalfEjLi1ELb0EEEvNS_4cuda6detail10TensorInfoIKT_T0_EESA_SA_bSA_SA_NS7_IS8_SA_EESA_NS7_IlSA_EESA_PS8_.numbered_sgpr, 105
	.set _ZN2at6native6sbtopk10gatherTopKIN3c104HalfEjLi1ELb0EEEvNS_4cuda6detail10TensorInfoIKT_T0_EESA_SA_bSA_SA_NS7_IS8_SA_EESA_NS7_IlSA_EESA_PS8_.num_named_barrier, 0
	.set _ZN2at6native6sbtopk10gatherTopKIN3c104HalfEjLi1ELb0EEEvNS_4cuda6detail10TensorInfoIKT_T0_EESA_SA_bSA_SA_NS7_IS8_SA_EESA_NS7_IlSA_EESA_PS8_.private_seg_size, 0
	.set _ZN2at6native6sbtopk10gatherTopKIN3c104HalfEjLi1ELb0EEEvNS_4cuda6detail10TensorInfoIKT_T0_EESA_SA_bSA_SA_NS7_IS8_SA_EESA_NS7_IlSA_EESA_PS8_.uses_vcc, 1
	.set _ZN2at6native6sbtopk10gatherTopKIN3c104HalfEjLi1ELb0EEEvNS_4cuda6detail10TensorInfoIKT_T0_EESA_SA_bSA_SA_NS7_IS8_SA_EESA_NS7_IlSA_EESA_PS8_.uses_flat_scratch, 0
	.set _ZN2at6native6sbtopk10gatherTopKIN3c104HalfEjLi1ELb0EEEvNS_4cuda6detail10TensorInfoIKT_T0_EESA_SA_bSA_SA_NS7_IS8_SA_EESA_NS7_IlSA_EESA_PS8_.has_dyn_sized_stack, 0
	.set _ZN2at6native6sbtopk10gatherTopKIN3c104HalfEjLi1ELb0EEEvNS_4cuda6detail10TensorInfoIKT_T0_EESA_SA_bSA_SA_NS7_IS8_SA_EESA_NS7_IlSA_EESA_PS8_.has_recursion, 0
	.set _ZN2at6native6sbtopk10gatherTopKIN3c104HalfEjLi1ELb0EEEvNS_4cuda6detail10TensorInfoIKT_T0_EESA_SA_bSA_SA_NS7_IS8_SA_EESA_NS7_IlSA_EESA_PS8_.has_indirect_call, 0
	.section	.AMDGPU.csdata,"",@progbits
; Kernel info:
; codeLenInByte = 17260
; TotalNumSgprs: 107
; NumVgprs: 65
; ScratchSize: 0
; MemoryBound: 0
; FloatMode: 240
; IeeeMode: 1
; LDSByteSize: 4112 bytes/workgroup (compile time only)
; SGPRBlocks: 0
; VGPRBlocks: 4
; NumSGPRsForWavesPerEU: 107
; NumVGPRsForWavesPerEU: 65
; NamedBarCnt: 0
; Occupancy: 12
; WaveLimiterHint : 1
; COMPUTE_PGM_RSRC2:SCRATCH_EN: 0
; COMPUTE_PGM_RSRC2:USER_SGPR: 2
; COMPUTE_PGM_RSRC2:TRAP_HANDLER: 0
; COMPUTE_PGM_RSRC2:TGID_X_EN: 1
; COMPUTE_PGM_RSRC2:TGID_Y_EN: 1
; COMPUTE_PGM_RSRC2:TGID_Z_EN: 1
; COMPUTE_PGM_RSRC2:TIDIG_COMP_CNT: 0
	.section	.text._ZN2at6native6mbtopk23computeBlockDigitCountsIN3c104HalfEjjLi2EEEvNS_4cuda6detail10TensorInfoIKT_T0_EEjPjjSA_iijT1_PSD_Ps,"axG",@progbits,_ZN2at6native6mbtopk23computeBlockDigitCountsIN3c104HalfEjjLi2EEEvNS_4cuda6detail10TensorInfoIKT_T0_EEjPjjSA_iijT1_PSD_Ps,comdat
	.protected	_ZN2at6native6mbtopk23computeBlockDigitCountsIN3c104HalfEjjLi2EEEvNS_4cuda6detail10TensorInfoIKT_T0_EEjPjjSA_iijT1_PSD_Ps ; -- Begin function _ZN2at6native6mbtopk23computeBlockDigitCountsIN3c104HalfEjjLi2EEEvNS_4cuda6detail10TensorInfoIKT_T0_EEjPjjSA_iijT1_PSD_Ps
	.globl	_ZN2at6native6mbtopk23computeBlockDigitCountsIN3c104HalfEjjLi2EEEvNS_4cuda6detail10TensorInfoIKT_T0_EEjPjjSA_iijT1_PSD_Ps
	.p2align	8
	.type	_ZN2at6native6mbtopk23computeBlockDigitCountsIN3c104HalfEjjLi2EEEvNS_4cuda6detail10TensorInfoIKT_T0_EEjPjjSA_iijT1_PSD_Ps,@function
_ZN2at6native6mbtopk23computeBlockDigitCountsIN3c104HalfEjjLi2EEEvNS_4cuda6detail10TensorInfoIKT_T0_EEjPjjSA_iijT1_PSD_Ps: ; @_ZN2at6native6mbtopk23computeBlockDigitCountsIN3c104HalfEjjLi2EEEvNS_4cuda6detail10TensorInfoIKT_T0_EEjPjjSA_iijT1_PSD_Ps
; %bb.0:
	s_load_b64 s[2:3], s[0:1], 0xf8
	s_bfe_u32 s4, ttmp6, 0x40010
	s_and_b32 s6, ttmp7, 0xffff
	s_add_co_i32 s7, s4, 1
	s_bfe_u32 s8, ttmp6, 0x40004
	s_mul_i32 s7, s6, s7
	s_load_b64 s[4:5], s[0:1], 0x110
	s_add_co_i32 s7, s8, s7
	s_bfe_u32 s9, ttmp6, 0x4000c
	s_bfe_u32 s11, ttmp6, 0x40014
	s_add_co_i32 s9, s9, 1
	s_and_b32 s10, ttmp6, 15
	s_mul_i32 s9, ttmp9, s9
	s_add_co_i32 s11, s11, 1
	s_add_co_i32 s12, s10, s9
	s_bfe_u32 s10, ttmp6, 0x40008
	s_mov_b32 s15, 0
	s_wait_kmcnt 0x0
	s_cvt_f32_u32 s8, s2
	s_delay_alu instid0(SALU_CYCLE_3) | instskip(SKIP_1) | instid1(SALU_CYCLE_1)
	v_rcp_iflag_f32_e32 v1, s8
	s_lshr_b32 s8, ttmp7, 16
	s_mul_i32 s9, s8, s11
	s_getreg_b32 s11, hwreg(HW_REG_IB_STS2, 6, 4)
	s_add_co_i32 s10, s10, s9
	s_cmp_eq_u32 s11, 0
	v_nop
	v_readfirstlane_b32 s13, v1
	s_cselect_b32 s14, s8, s10
	s_load_b128 s[8:11], s[0:1], 0xe8
	s_mul_i32 s5, s5, s14
	s_cselect_b32 s12, ttmp9, s12
	s_mul_f32 s13, s13, 0x4f7ffffe
	s_cselect_b32 s6, s6, s7
	s_sub_co_i32 s7, 0, s2
	s_add_co_i32 s5, s5, s6
	s_cvt_u32_f32 s13, s13
	s_mul_i32 s16, s5, s4
	s_delay_alu instid0(SALU_CYCLE_1) | instskip(NEXT) | instid1(SALU_CYCLE_1)
	s_add_co_i32 s16, s16, s12
	s_mul_i32 s7, s7, s13
	s_delay_alu instid0(SALU_CYCLE_1) | instskip(NEXT) | instid1(SALU_CYCLE_1)
	s_mul_hi_u32 s4, s13, s7
	s_add_co_i32 s13, s13, s4
	s_delay_alu instid0(SALU_CYCLE_1) | instskip(NEXT) | instid1(SALU_CYCLE_1)
	s_mul_hi_u32 s4, s16, s13
	s_mul_i32 s5, s4, s2
	s_add_co_i32 s6, s4, 1
	s_sub_co_i32 s5, s16, s5
	s_delay_alu instid0(SALU_CYCLE_1)
	s_sub_co_i32 s7, s5, s2
	s_cmp_ge_u32 s5, s2
	s_cselect_b32 s4, s6, s4
	s_cselect_b32 s5, s7, s5
	s_add_co_i32 s6, s4, 1
	s_cmp_ge_u32 s5, s2
	s_cselect_b32 s14, s6, s4
	s_wait_kmcnt 0x0
	s_cmp_ge_u32 s14, s8
	s_cbranch_scc1 .LBB96_27
; %bb.1:
	s_load_b32 s18, s[0:1], 0xc
	v_cmp_gt_u32_e32 vcc_lo, 0x100, v0
	s_wait_kmcnt 0x0
	s_cvt_f32_u32 s4, s18
	s_delay_alu instid0(SALU_CYCLE_3) | instskip(SKIP_1) | instid1(TRANS32_DEP_1)
	v_rcp_iflag_f32_e32 v1, s4
	v_nop
	v_readfirstlane_b32 s19, v1
	v_lshlrev_b32_e32 v1, 2, v0
	s_and_saveexec_b32 s4, vcc_lo
; %bb.2:
	v_mov_b32_e32 v2, 0
	ds_store_b32 v1, v2
; %bb.3:
	s_or_b32 exec_lo, exec_lo, s4
	s_clause 0x1
	s_load_b32 s8, s[0:1], 0xd8
	s_load_b128 s[4:7], s[0:1], 0x100
	s_mul_i32 s12, s14, s2
	s_mov_b32 s13, 0
	s_sub_co_i32 s22, s16, s12
	s_wait_dscnt 0x0
	s_mul_i32 s12, s11, s22
	s_add_co_i32 s22, s22, 1
	s_lshl_b32 s17, s12, 8
	s_barrier_signal -1
	s_barrier_wait -1
	s_wait_kmcnt 0x0
	s_sub_co_i32 s12, s8, s17
	s_delay_alu instid0(SALU_CYCLE_1) | instskip(NEXT) | instid1(SALU_CYCLE_1)
	s_add_nc_u64 s[20:21], s[12:13], 0xff
	s_lshr_b64 s[20:21], s[20:21], 8
	s_cmp_lt_u32 s22, s2
	s_cselect_b32 s11, s11, s20
	s_delay_alu instid0(SALU_CYCLE_1)
	s_cmp_lt_i32 s11, 1
	s_cbranch_scc1 .LBB96_25
; %bb.4:
	s_mul_f32 s2, s19, 0x4f7ffffe
	s_sub_co_i32 s12, 0, s18
	s_mov_b32 s21, s15
	s_clause 0x1
	s_load_b64 s[22:23], s[0:1], 0x6c
	s_load_b64 s[24:25], s[0:1], 0x0
	s_cvt_u32_f32 s2, s2
	s_wait_xcnt 0x0
	s_load_b32 s1, s[4:5], s14 offset:0x0 scale_offset
	s_delay_alu instid0(SALU_CYCLE_1) | instskip(NEXT) | instid1(SALU_CYCLE_1)
	s_mul_i32 s12, s12, s2
	s_mul_hi_u32 s12, s2, s12
	s_delay_alu instid0(SALU_CYCLE_1) | instskip(NEXT) | instid1(SALU_CYCLE_1)
	s_add_co_i32 s20, s2, s12
	s_mul_u64 s[20:21], s[14:15], s[20:21]
	s_delay_alu instid0(SALU_CYCLE_1) | instskip(NEXT) | instid1(SALU_CYCLE_1)
	s_mul_i32 s2, s21, s18
	s_sub_co_i32 s0, s14, s2
	s_add_co_i32 s2, s21, 1
	s_sub_co_i32 s12, s0, s18
	s_cmp_ge_u32 s0, s18
	s_cselect_b32 s2, s2, s21
	s_cselect_b32 s0, s12, s0
	s_wait_xcnt 0x0
	s_add_co_i32 s4, s2, 1
	s_cmp_ge_u32 s0, s18
	s_cselect_b32 s0, s4, s2
	s_delay_alu instid0(SALU_CYCLE_1) | instskip(SKIP_3) | instid1(SALU_CYCLE_1)
	s_mul_i32 s2, s0, s18
	s_wait_kmcnt 0x0
	s_mul_i32 s0, s0, s22
	s_sub_co_i32 s2, s14, s2
	s_mul_i32 s2, s2, s23
	s_delay_alu instid0(SALU_CYCLE_1)
	s_add_co_i32 s12, s0, s2
	s_and_b32 s2, s10, 0xff
	s_lshl_b64 s[4:5], s[12:13], 1
	s_cmp_lt_u32 s11, 4
	s_add_nc_u64 s[4:5], s[24:25], s[4:5]
	s_cbranch_scc1 .LBB96_19
; %bb.5:
	v_dual_mov_b32 v7, 1 :: v_dual_add_nc_u32 v6, s17, v0
	v_mov_b32_e32 v8, 0x8000
	s_and_b32 s13, s11, 0x7ffffffc
	s_lshl_b32 s10, s9, 10
	s_delay_alu instid0(VALU_DEP_2)
	v_add_nc_u32_e32 v2, 0x300, v6
	v_add_nc_u32_e32 v4, 0x200, v6
	;; [unrolled: 1-line block ×3, first 2 shown]
	v_mul_lo_u32 v6, s9, v6
	s_mov_b32 s12, 0
	v_mul_lo_u32 v3, s9, v2
	v_mul_lo_u32 v4, s9, v4
	;; [unrolled: 1-line block ×3, first 2 shown]
	s_mov_b32 s14, 0
	s_branch .LBB96_7
.LBB96_6:                               ;   in Loop: Header=BB96_7 Depth=1
	s_or_b32 exec_lo, exec_lo, s15
	v_add_nc_u32_e32 v2, 0x400, v2
	s_add_co_i32 s14, s14, 4
	s_add_co_i32 s12, s12, s10
	s_cmp_eq_u32 s13, s14
	s_cbranch_scc1 .LBB96_19
.LBB96_7:                               ; =>This Inner Loop Header: Depth=1
	v_add_nc_u32_e32 v9, 0xfffffd00, v2
	s_mov_b32 s15, exec_lo
	s_delay_alu instid0(VALU_DEP_1)
	v_cmpx_gt_u32_e64 s8, v9
	s_cbranch_execz .LBB96_10
; %bb.8:                                ;   in Loop: Header=BB96_7 Depth=1
	v_add_nc_u32_e32 v9, s12, v6
	global_load_u16 v9, v9, s[4:5] scale_offset
	s_wait_loadcnt 0x0
	v_cmp_lt_i16_e64 s0, -1, v9
	v_and_b32_e32 v10, 0xffff, v9
	s_delay_alu instid0(VALU_DEP_2) | instskip(SKIP_1) | instid1(VALU_DEP_2)
	v_cndmask_b32_e64 v11, 0xffff, v8, s0
	v_cmp_o_f16_e64 s0, v9, v9
	v_xor_b32_e32 v10, v11, v10
	s_wait_xcnt 0x0
	s_delay_alu instid0(VALU_DEP_1) | instskip(NEXT) | instid1(VALU_DEP_1)
	v_cndmask_b32_e64 v9, 0xffff, v10, s0
	v_bitop3_b32 v10, v9, s3, s1 bitop3:0x48
	s_delay_alu instid0(VALU_DEP_1)
	v_cmp_eq_u32_e64 s0, 0, v10
	s_and_b32 exec_lo, exec_lo, s0
; %bb.9:                                ;   in Loop: Header=BB96_7 Depth=1
	v_bfe_u32 v9, v9, s2, 8
	s_delay_alu instid0(VALU_DEP_1)
	v_lshlrev_b32_e32 v9, 2, v9
	ds_add_u32 v9, v7
.LBB96_10:                              ;   in Loop: Header=BB96_7 Depth=1
	s_or_b32 exec_lo, exec_lo, s15
	v_add_nc_u32_e32 v9, 0xfffffe00, v2
	s_mov_b32 s15, exec_lo
	s_delay_alu instid0(VALU_DEP_1)
	v_cmpx_gt_u32_e64 s8, v9
	s_cbranch_execz .LBB96_13
; %bb.11:                               ;   in Loop: Header=BB96_7 Depth=1
	v_add_nc_u32_e32 v9, s12, v5
	global_load_u16 v9, v9, s[4:5] scale_offset
	s_wait_loadcnt 0x0
	v_cmp_lt_i16_e64 s0, -1, v9
	v_and_b32_e32 v10, 0xffff, v9
	s_delay_alu instid0(VALU_DEP_2) | instskip(SKIP_1) | instid1(VALU_DEP_2)
	v_cndmask_b32_e64 v11, 0xffff, v8, s0
	v_cmp_o_f16_e64 s0, v9, v9
	v_xor_b32_e32 v10, v11, v10
	s_delay_alu instid0(VALU_DEP_1) | instskip(NEXT) | instid1(VALU_DEP_1)
	v_cndmask_b32_e64 v9, 0xffff, v10, s0
	v_bitop3_b32 v10, v9, s3, s1 bitop3:0x48
	s_delay_alu instid0(VALU_DEP_1)
	v_cmp_eq_u32_e64 s0, 0, v10
	s_and_b32 exec_lo, exec_lo, s0
; %bb.12:                               ;   in Loop: Header=BB96_7 Depth=1
	v_bfe_u32 v9, v9, s2, 8
	s_delay_alu instid0(VALU_DEP_1)
	v_lshlrev_b32_e32 v9, 2, v9
	ds_add_u32 v9, v7
.LBB96_13:                              ;   in Loop: Header=BB96_7 Depth=1
	s_or_b32 exec_lo, exec_lo, s15
	v_add_nc_u32_e32 v9, 0xffffff00, v2
	s_mov_b32 s15, exec_lo
	s_delay_alu instid0(VALU_DEP_1)
	v_cmpx_gt_u32_e64 s8, v9
	s_cbranch_execz .LBB96_16
; %bb.14:                               ;   in Loop: Header=BB96_7 Depth=1
	v_add_nc_u32_e32 v9, s12, v4
	global_load_u16 v9, v9, s[4:5] scale_offset
	s_wait_loadcnt 0x0
	v_cmp_lt_i16_e64 s0, -1, v9
	v_and_b32_e32 v10, 0xffff, v9
	s_delay_alu instid0(VALU_DEP_2) | instskip(SKIP_1) | instid1(VALU_DEP_2)
	v_cndmask_b32_e64 v11, 0xffff, v8, s0
	v_cmp_o_f16_e64 s0, v9, v9
	v_xor_b32_e32 v10, v11, v10
	s_delay_alu instid0(VALU_DEP_1) | instskip(NEXT) | instid1(VALU_DEP_1)
	v_cndmask_b32_e64 v9, 0xffff, v10, s0
	v_bitop3_b32 v10, v9, s3, s1 bitop3:0x48
	s_delay_alu instid0(VALU_DEP_1)
	v_cmp_eq_u32_e64 s0, 0, v10
	s_and_b32 exec_lo, exec_lo, s0
; %bb.15:                               ;   in Loop: Header=BB96_7 Depth=1
	v_bfe_u32 v9, v9, s2, 8
	s_delay_alu instid0(VALU_DEP_1)
	v_lshlrev_b32_e32 v9, 2, v9
	ds_add_u32 v9, v7
.LBB96_16:                              ;   in Loop: Header=BB96_7 Depth=1
	s_or_b32 exec_lo, exec_lo, s15
	s_delay_alu instid0(SALU_CYCLE_1)
	s_mov_b32 s15, exec_lo
	v_cmpx_gt_u32_e64 s8, v2
	s_cbranch_execz .LBB96_6
; %bb.17:                               ;   in Loop: Header=BB96_7 Depth=1
	v_add_nc_u32_e32 v9, s12, v3
	global_load_u16 v9, v9, s[4:5] scale_offset
	s_wait_loadcnt 0x0
	v_cmp_lt_i16_e64 s0, -1, v9
	v_and_b32_e32 v10, 0xffff, v9
	s_delay_alu instid0(VALU_DEP_2) | instskip(SKIP_1) | instid1(VALU_DEP_2)
	v_cndmask_b32_e64 v11, 0xffff, v8, s0
	v_cmp_o_f16_e64 s0, v9, v9
	v_xor_b32_e32 v10, v11, v10
	s_delay_alu instid0(VALU_DEP_1) | instskip(NEXT) | instid1(VALU_DEP_1)
	v_cndmask_b32_e64 v9, 0xffff, v10, s0
	v_bitop3_b32 v10, v9, s3, s1 bitop3:0x48
	s_delay_alu instid0(VALU_DEP_1)
	v_cmp_eq_u32_e64 s0, 0, v10
	s_and_b32 exec_lo, exec_lo, s0
	s_cbranch_execz .LBB96_6
; %bb.18:                               ;   in Loop: Header=BB96_7 Depth=1
	v_bfe_u32 v9, v9, s2, 8
	s_delay_alu instid0(VALU_DEP_1)
	v_lshlrev_b32_e32 v9, 2, v9
	ds_add_u32 v9, v7
	s_branch .LBB96_6
.LBB96_19:
	s_and_b32 s10, s11, 3
	s_delay_alu instid0(SALU_CYCLE_1)
	s_cmp_eq_u32 s10, 0
	s_cbranch_scc1 .LBB96_25
; %bb.20:
	s_lshl_b32 s0, s13, 8
	v_dual_mov_b32 v4, 1 :: v_dual_mov_b32 v5, 0x8000
	v_add3_u32 v2, s0, s17, v0
	s_delay_alu instid0(VALU_DEP_1)
	v_mul_lo_u32 v3, s9, v2
	s_lshl_b32 s9, s9, 8
	s_branch .LBB96_22
.LBB96_21:                              ;   in Loop: Header=BB96_22 Depth=1
	s_or_b32 exec_lo, exec_lo, s11
	s_delay_alu instid0(VALU_DEP_2) | instskip(SKIP_2) | instid1(SALU_CYCLE_1)
	v_add_nc_u32_e32 v3, s9, v3
	v_add_nc_u32_e32 v2, 0x100, v2
	s_add_co_i32 s10, s10, -1
	s_cmp_lg_u32 s10, 0
	s_cbranch_scc0 .LBB96_25
.LBB96_22:                              ; =>This Inner Loop Header: Depth=1
	s_mov_b32 s11, exec_lo
	v_cmpx_gt_u32_e64 s8, v2
	s_cbranch_execz .LBB96_21
; %bb.23:                               ;   in Loop: Header=BB96_22 Depth=1
	global_load_u16 v6, v3, s[4:5] scale_offset
	s_wait_loadcnt 0x0
	v_cmp_lt_i16_e64 s0, -1, v6
	v_and_b32_e32 v7, 0xffff, v6
	s_delay_alu instid0(VALU_DEP_2) | instskip(SKIP_1) | instid1(VALU_DEP_2)
	v_cndmask_b32_e64 v8, 0xffff, v5, s0
	v_cmp_o_f16_e64 s0, v6, v6
	v_xor_b32_e32 v7, v8, v7
	s_delay_alu instid0(VALU_DEP_1) | instskip(NEXT) | instid1(VALU_DEP_1)
	v_cndmask_b32_e64 v6, 0xffff, v7, s0
	v_bitop3_b32 v7, v6, s3, s1 bitop3:0x48
	s_delay_alu instid0(VALU_DEP_1)
	v_cmp_eq_u32_e64 s0, 0, v7
	s_and_b32 exec_lo, exec_lo, s0
	s_cbranch_execz .LBB96_21
; %bb.24:                               ;   in Loop: Header=BB96_22 Depth=1
	v_bfe_u32 v6, v6, s2, 8
	s_delay_alu instid0(VALU_DEP_1)
	v_lshlrev_b32_e32 v6, 2, v6
	ds_add_u32 v6, v4
	s_branch .LBB96_21
.LBB96_25:
	s_wait_dscnt 0x0
	s_barrier_signal -1
	s_barrier_wait -1
	s_and_saveexec_b32 s0, vcc_lo
	s_cbranch_execz .LBB96_27
; %bb.26:
	ds_load_b32 v1, v1
	v_lshl_or_b32 v0, s16, 8, v0
	s_wait_dscnt 0x0
	global_store_b16 v0, v1, s[6:7] scale_offset
.LBB96_27:
	s_endpgm
	.section	.rodata,"a",@progbits
	.p2align	6, 0x0
	.amdhsa_kernel _ZN2at6native6mbtopk23computeBlockDigitCountsIN3c104HalfEjjLi2EEEvNS_4cuda6detail10TensorInfoIKT_T0_EEjPjjSA_iijT1_PSD_Ps
		.amdhsa_group_segment_fixed_size 1024
		.amdhsa_private_segment_fixed_size 0
		.amdhsa_kernarg_size 528
		.amdhsa_user_sgpr_count 2
		.amdhsa_user_sgpr_dispatch_ptr 0
		.amdhsa_user_sgpr_queue_ptr 0
		.amdhsa_user_sgpr_kernarg_segment_ptr 1
		.amdhsa_user_sgpr_dispatch_id 0
		.amdhsa_user_sgpr_kernarg_preload_length 0
		.amdhsa_user_sgpr_kernarg_preload_offset 0
		.amdhsa_user_sgpr_private_segment_size 0
		.amdhsa_wavefront_size32 1
		.amdhsa_uses_dynamic_stack 0
		.amdhsa_enable_private_segment 0
		.amdhsa_system_sgpr_workgroup_id_x 1
		.amdhsa_system_sgpr_workgroup_id_y 1
		.amdhsa_system_sgpr_workgroup_id_z 1
		.amdhsa_system_sgpr_workgroup_info 0
		.amdhsa_system_vgpr_workitem_id 0
		.amdhsa_next_free_vgpr 12
		.amdhsa_next_free_sgpr 26
		.amdhsa_named_barrier_count 0
		.amdhsa_reserve_vcc 1
		.amdhsa_float_round_mode_32 0
		.amdhsa_float_round_mode_16_64 0
		.amdhsa_float_denorm_mode_32 3
		.amdhsa_float_denorm_mode_16_64 3
		.amdhsa_fp16_overflow 0
		.amdhsa_memory_ordered 1
		.amdhsa_forward_progress 1
		.amdhsa_inst_pref_size 14
		.amdhsa_round_robin_scheduling 0
		.amdhsa_exception_fp_ieee_invalid_op 0
		.amdhsa_exception_fp_denorm_src 0
		.amdhsa_exception_fp_ieee_div_zero 0
		.amdhsa_exception_fp_ieee_overflow 0
		.amdhsa_exception_fp_ieee_underflow 0
		.amdhsa_exception_fp_ieee_inexact 0
		.amdhsa_exception_int_div_zero 0
	.end_amdhsa_kernel
	.section	.text._ZN2at6native6mbtopk23computeBlockDigitCountsIN3c104HalfEjjLi2EEEvNS_4cuda6detail10TensorInfoIKT_T0_EEjPjjSA_iijT1_PSD_Ps,"axG",@progbits,_ZN2at6native6mbtopk23computeBlockDigitCountsIN3c104HalfEjjLi2EEEvNS_4cuda6detail10TensorInfoIKT_T0_EEjPjjSA_iijT1_PSD_Ps,comdat
.Lfunc_end96:
	.size	_ZN2at6native6mbtopk23computeBlockDigitCountsIN3c104HalfEjjLi2EEEvNS_4cuda6detail10TensorInfoIKT_T0_EEjPjjSA_iijT1_PSD_Ps, .Lfunc_end96-_ZN2at6native6mbtopk23computeBlockDigitCountsIN3c104HalfEjjLi2EEEvNS_4cuda6detail10TensorInfoIKT_T0_EEjPjjSA_iijT1_PSD_Ps
                                        ; -- End function
	.set _ZN2at6native6mbtopk23computeBlockDigitCountsIN3c104HalfEjjLi2EEEvNS_4cuda6detail10TensorInfoIKT_T0_EEjPjjSA_iijT1_PSD_Ps.num_vgpr, 12
	.set _ZN2at6native6mbtopk23computeBlockDigitCountsIN3c104HalfEjjLi2EEEvNS_4cuda6detail10TensorInfoIKT_T0_EEjPjjSA_iijT1_PSD_Ps.num_agpr, 0
	.set _ZN2at6native6mbtopk23computeBlockDigitCountsIN3c104HalfEjjLi2EEEvNS_4cuda6detail10TensorInfoIKT_T0_EEjPjjSA_iijT1_PSD_Ps.numbered_sgpr, 26
	.set _ZN2at6native6mbtopk23computeBlockDigitCountsIN3c104HalfEjjLi2EEEvNS_4cuda6detail10TensorInfoIKT_T0_EEjPjjSA_iijT1_PSD_Ps.num_named_barrier, 0
	.set _ZN2at6native6mbtopk23computeBlockDigitCountsIN3c104HalfEjjLi2EEEvNS_4cuda6detail10TensorInfoIKT_T0_EEjPjjSA_iijT1_PSD_Ps.private_seg_size, 0
	.set _ZN2at6native6mbtopk23computeBlockDigitCountsIN3c104HalfEjjLi2EEEvNS_4cuda6detail10TensorInfoIKT_T0_EEjPjjSA_iijT1_PSD_Ps.uses_vcc, 1
	.set _ZN2at6native6mbtopk23computeBlockDigitCountsIN3c104HalfEjjLi2EEEvNS_4cuda6detail10TensorInfoIKT_T0_EEjPjjSA_iijT1_PSD_Ps.uses_flat_scratch, 0
	.set _ZN2at6native6mbtopk23computeBlockDigitCountsIN3c104HalfEjjLi2EEEvNS_4cuda6detail10TensorInfoIKT_T0_EEjPjjSA_iijT1_PSD_Ps.has_dyn_sized_stack, 0
	.set _ZN2at6native6mbtopk23computeBlockDigitCountsIN3c104HalfEjjLi2EEEvNS_4cuda6detail10TensorInfoIKT_T0_EEjPjjSA_iijT1_PSD_Ps.has_recursion, 0
	.set _ZN2at6native6mbtopk23computeBlockDigitCountsIN3c104HalfEjjLi2EEEvNS_4cuda6detail10TensorInfoIKT_T0_EEjPjjSA_iijT1_PSD_Ps.has_indirect_call, 0
	.section	.AMDGPU.csdata,"",@progbits
; Kernel info:
; codeLenInByte = 1688
; TotalNumSgprs: 28
; NumVgprs: 12
; ScratchSize: 0
; MemoryBound: 0
; FloatMode: 240
; IeeeMode: 1
; LDSByteSize: 1024 bytes/workgroup (compile time only)
; SGPRBlocks: 0
; VGPRBlocks: 0
; NumSGPRsForWavesPerEU: 28
; NumVGPRsForWavesPerEU: 12
; NamedBarCnt: 0
; Occupancy: 16
; WaveLimiterHint : 1
; COMPUTE_PGM_RSRC2:SCRATCH_EN: 0
; COMPUTE_PGM_RSRC2:USER_SGPR: 2
; COMPUTE_PGM_RSRC2:TRAP_HANDLER: 0
; COMPUTE_PGM_RSRC2:TGID_X_EN: 1
; COMPUTE_PGM_RSRC2:TGID_Y_EN: 1
; COMPUTE_PGM_RSRC2:TGID_Z_EN: 1
; COMPUTE_PGM_RSRC2:TIDIG_COMP_CNT: 0
	.section	.text._ZN2at6native6mbtopk10gatherTopKIN3c104HalfEjLi2EEEvNS_4cuda6detail10TensorInfoIKT_T0_EESA_SA_bjSA_NS7_IS8_SA_EESA_NS7_IlSA_EESA_jjPS8_PjSF_j,"axG",@progbits,_ZN2at6native6mbtopk10gatherTopKIN3c104HalfEjLi2EEEvNS_4cuda6detail10TensorInfoIKT_T0_EESA_SA_bjSA_NS7_IS8_SA_EESA_NS7_IlSA_EESA_jjPS8_PjSF_j,comdat
	.protected	_ZN2at6native6mbtopk10gatherTopKIN3c104HalfEjLi2EEEvNS_4cuda6detail10TensorInfoIKT_T0_EESA_SA_bjSA_NS7_IS8_SA_EESA_NS7_IlSA_EESA_jjPS8_PjSF_j ; -- Begin function _ZN2at6native6mbtopk10gatherTopKIN3c104HalfEjLi2EEEvNS_4cuda6detail10TensorInfoIKT_T0_EESA_SA_bjSA_NS7_IS8_SA_EESA_NS7_IlSA_EESA_jjPS8_PjSF_j
	.globl	_ZN2at6native6mbtopk10gatherTopKIN3c104HalfEjLi2EEEvNS_4cuda6detail10TensorInfoIKT_T0_EESA_SA_bjSA_NS7_IS8_SA_EESA_NS7_IlSA_EESA_jjPS8_PjSF_j
	.p2align	8
	.type	_ZN2at6native6mbtopk10gatherTopKIN3c104HalfEjLi2EEEvNS_4cuda6detail10TensorInfoIKT_T0_EESA_SA_bjSA_NS7_IS8_SA_EESA_NS7_IlSA_EESA_jjPS8_PjSF_j,@function
_ZN2at6native6mbtopk10gatherTopKIN3c104HalfEjLi2EEEvNS_4cuda6detail10TensorInfoIKT_T0_EESA_SA_bjSA_NS7_IS8_SA_EESA_NS7_IlSA_EESA_jjPS8_PjSF_j: ; @_ZN2at6native6mbtopk10gatherTopKIN3c104HalfEjLi2EEEvNS_4cuda6detail10TensorInfoIKT_T0_EESA_SA_bjSA_NS7_IS8_SA_EESA_NS7_IlSA_EESA_jjPS8_PjSF_j
; %bb.0:
	s_bfe_u32 s2, ttmp6, 0x40010
	s_and_b32 s4, ttmp7, 0xffff
	s_add_co_i32 s5, s2, 1
	s_clause 0x1
	s_load_b32 s6, s[0:1], 0x2d0
	s_load_b64 s[2:3], s[0:1], 0x2d8
	s_bfe_u32 s8, ttmp6, 0x4000c
	s_mul_i32 s5, s4, s5
	s_bfe_u32 s7, ttmp6, 0x40004
	s_add_co_i32 s8, s8, 1
	s_bfe_u32 s9, ttmp6, 0x40014
	s_add_co_i32 s7, s7, s5
	s_and_b32 s5, ttmp6, 15
	s_mul_i32 s8, ttmp9, s8
	s_lshr_b32 s10, ttmp7, 16
	s_add_co_i32 s9, s9, 1
	s_add_co_i32 s5, s5, s8
	s_mul_i32 s8, s10, s9
	s_bfe_u32 s9, ttmp6, 0x40008
	s_getreg_b32 s11, hwreg(HW_REG_IB_STS2, 6, 4)
	s_add_co_i32 s9, s9, s8
	s_cmp_eq_u32 s11, 0
	s_mov_b32 s17, 0
	s_cselect_b32 s8, s10, s9
	s_cselect_b32 s4, s4, s7
	s_wait_kmcnt 0x0
	s_mul_i32 s3, s3, s8
	s_cselect_b32 s5, ttmp9, s5
	s_add_co_i32 s3, s3, s4
	s_delay_alu instid0(SALU_CYCLE_1) | instskip(NEXT) | instid1(SALU_CYCLE_1)
	s_mul_i32 s3, s3, s2
	s_add_co_i32 s3, s3, s5
	s_delay_alu instid0(SALU_CYCLE_1)
	s_cmp_ge_u32 s3, s6
	s_cbranch_scc1 .LBB97_40
; %bb.1:
	s_clause 0x1
	s_load_b96 s[12:14], s[0:1], 0x2a8
	s_load_b64 s[18:19], s[0:1], 0x23c
	s_mov_b32 s25, s17
	s_mov_b32 s27, s17
	s_load_b64 s[20:21], s[0:1], 0x15c
	s_wait_kmcnt 0x0
	s_cvt_f32_u32 s2, s14
	s_sub_co_i32 s4, 0, s14
	s_delay_alu instid0(SALU_CYCLE_2) | instskip(SKIP_1) | instid1(TRANS32_DEP_1)
	v_rcp_iflag_f32_e32 v1, s2
	v_nop
	v_readfirstlane_b32 s2, v1
	s_mul_f32 s2, s2, 0x4f7ffffe
	s_delay_alu instid0(SALU_CYCLE_3) | instskip(NEXT) | instid1(SALU_CYCLE_3)
	s_cvt_u32_f32 s2, s2
	s_mul_i32 s4, s4, s2
	s_delay_alu instid0(SALU_CYCLE_1) | instskip(NEXT) | instid1(SALU_CYCLE_1)
	s_mul_hi_u32 s4, s2, s4
	s_add_co_i32 s2, s2, s4
	s_load_b128 s[4:7], s[0:1], 0x2b8
	s_mul_hi_u32 s2, s3, s2
	s_delay_alu instid0(SALU_CYCLE_1) | instskip(SKIP_2) | instid1(SALU_CYCLE_1)
	s_mul_i32 s8, s2, s14
	s_add_co_i32 s9, s2, 1
	s_sub_co_i32 s8, s3, s8
	s_sub_co_i32 s10, s8, s14
	s_cmp_ge_u32 s8, s14
	s_cselect_b32 s2, s9, s2
	s_cselect_b32 s8, s10, s8
	s_add_co_i32 s9, s2, 1
	s_cmp_ge_u32 s8, s14
	s_cselect_b32 s16, s9, s2
	s_delay_alu instid0(SALU_CYCLE_1) | instskip(SKIP_1) | instid1(SALU_CYCLE_1)
	v_mov_b32_e32 v1, s16
	s_mul_i32 s28, s16, s14
	s_sub_co_i32 s42, s3, s28
	s_wait_kmcnt 0x0
	global_load_u16 v1, v1, s[4:5] scale_offset
	s_clause 0x3
	s_load_b32 s41, s[0:1], 0xc
	s_load_b32 s40, s[0:1], 0xfc
	;; [unrolled: 1-line block ×3, first 2 shown]
	s_load_b64 s[22:23], s[0:1], 0x6c
	s_wait_kmcnt 0x0
	s_cvt_f32_u32 s2, s41
	s_cvt_f32_u32 s4, s40
	;; [unrolled: 1-line block ×3, first 2 shown]
	s_sub_co_i32 s11, 0, s40
	v_rcp_iflag_f32_e32 v2, s2
	v_rcp_iflag_f32_e32 v3, s4
	;; [unrolled: 1-line block ×3, first 2 shown]
	s_sub_co_i32 s24, 0, s15
	s_mov_b32 s5, s17
	s_delay_alu instid0(TRANS32_DEP_3) | instskip(NEXT) | instid1(TRANS32_DEP_2)
	v_readfirstlane_b32 s2, v2
	v_readfirstlane_b32 s4, v3
	s_delay_alu instid0(TRANS32_DEP_1)
	v_readfirstlane_b32 s8, v4
	s_mul_f32 s9, s2, 0x4f7ffffe
	s_mul_f32 s4, s4, 0x4f7ffffe
	;; [unrolled: 1-line block ×3, first 2 shown]
	v_cmp_ne_u32_e64 s2, 0, v0
	s_cvt_u32_f32 s9, s9
	s_cvt_u32_f32 s10, s4
	s_sub_co_i32 s4, 0, s41
	s_cvt_u32_f32 s8, s8
	s_mul_i32 s4, s4, s9
	s_mul_i32 s11, s11, s10
	s_mul_hi_u32 s3, s9, s4
	s_mul_i32 s24, s24, s8
	s_add_co_i32 s4, s9, s3
	v_cmp_eq_u32_e64 s3, 0, v0
	s_mul_hi_u32 s11, s10, s11
	s_mul_hi_u32 s26, s8, s24
	s_add_co_i32 s24, s10, s11
	s_add_co_i32 s26, s8, s26
	s_wait_loadcnt 0x0
	v_readfirstlane_b32 s33, v1
	s_and_saveexec_b32 s43, s3
	s_cbranch_execz .LBB97_17
; %bb.2:
	s_load_b64 s[34:35], s[0:1], 0x2c8
	s_mov_b32 s29, 0
	s_delay_alu instid0(SALU_CYCLE_1)
	s_lshl_b64 s[36:37], s[28:29], 2
	s_cmp_lt_u32 s14, 4
	s_cbranch_scc1 .LBB97_14
; %bb.3:
	s_mov_b64 s[30:31], 0
	s_mov_b32 s28, 0
.LBB97_4:                               ; =>This Inner Loop Header: Depth=1
	s_add_nc_u64 s[38:39], s[6:7], s[36:37]
	s_cmp_ge_u32 s28, s42
	s_load_b128 s[8:11], s[38:39], 0x0
	s_wait_kmcnt 0x0
	s_add_nc_u64 s[38:39], s[34:35], s[36:37]
	s_cbranch_scc0 .LBB97_11
; %bb.5:                                ;   in Loop: Header=BB97_4 Depth=1
	s_add_co_i32 s44, s28, 1
	s_delay_alu instid0(SALU_CYCLE_1)
	s_cmp_ge_u32 s44, s42
	s_cbranch_scc0 .LBB97_12
.LBB97_6:                               ;   in Loop: Header=BB97_4 Depth=1
	s_add_co_i32 s44, s44, 1
	s_delay_alu instid0(SALU_CYCLE_1)
	s_cmp_ge_u32 s44, s42
	s_cbranch_scc0 .LBB97_13
.LBB97_7:                               ;   in Loop: Header=BB97_4 Depth=1
	s_add_co_i32 s44, s44, 1
	s_delay_alu instid0(SALU_CYCLE_1)
	s_cmp_ge_u32 s44, s42
	s_cbranch_scc1 .LBB97_9
.LBB97_8:                               ;   in Loop: Header=BB97_4 Depth=1
	s_load_b32 s38, s[38:39], 0xc
	s_add_co_i32 s31, s11, s31
	s_wait_kmcnt 0x0
	s_add_co_i32 s30, s38, s30
.LBB97_9:                               ;   in Loop: Header=BB97_4 Depth=1
	s_add_co_i32 s8, s8, s29
	s_add_nc_u64 s[6:7], s[6:7], 16
	s_add_co_i32 s8, s8, s9
	s_add_co_i32 s9, s44, 4
	;; [unrolled: 1-line block ×3, first 2 shown]
	s_add_nc_u64 s[34:35], s[34:35], 16
	s_add_co_i32 s29, s8, s11
	s_add_co_i32 s8, s44, 1
	s_cmp_ge_u32 s9, s14
	s_cbranch_scc1 .LBB97_15
; %bb.10:                               ;   in Loop: Header=BB97_4 Depth=1
	s_mov_b32 s28, s8
	s_branch .LBB97_4
.LBB97_11:                              ;   in Loop: Header=BB97_4 Depth=1
	s_load_b32 s44, s[38:39], 0x0
	s_add_co_i32 s31, s8, s31
	s_wait_kmcnt 0x0
	s_add_co_i32 s30, s44, s30
	s_add_co_i32 s44, s28, 1
	s_delay_alu instid0(SALU_CYCLE_1)
	s_cmp_ge_u32 s44, s42
	s_cbranch_scc1 .LBB97_6
.LBB97_12:                              ;   in Loop: Header=BB97_4 Depth=1
	s_load_b32 s45, s[38:39], 0x4
	s_add_co_i32 s31, s9, s31
	s_wait_kmcnt 0x0
	s_add_co_i32 s30, s45, s30
	s_add_co_i32 s44, s44, 1
	s_delay_alu instid0(SALU_CYCLE_1)
	s_cmp_ge_u32 s44, s42
	s_cbranch_scc1 .LBB97_7
.LBB97_13:                              ;   in Loop: Header=BB97_4 Depth=1
	s_load_b32 s45, s[38:39], 0x8
	s_add_co_i32 s31, s10, s31
	s_wait_kmcnt 0x0
	s_add_co_i32 s30, s45, s30
	s_add_co_i32 s44, s44, 1
	s_delay_alu instid0(SALU_CYCLE_1)
	s_cmp_ge_u32 s44, s42
	s_cbranch_scc0 .LBB97_8
	s_branch .LBB97_9
.LBB97_14:
	s_mov_b64 s[30:31], 0
	s_add_nc_u64 s[6:7], s[6:7], s[36:37]
	s_wait_kmcnt 0x0
	s_add_nc_u64 s[8:9], s[34:35], s[36:37]
	s_mov_b32 s10, 0
	s_delay_alu instid0(SALU_CYCLE_1)
	s_cmp_ge_u32 s10, s14
	s_cbranch_scc0 .LBB97_38
	s_branch .LBB97_16
.LBB97_15:
	s_add_co_i32 s10, s28, 4
	s_add_nc_u64 s[8:9], s[34:35], s[36:37]
	s_add_nc_u64 s[6:7], s[6:7], s[36:37]
	s_cmp_ge_u32 s10, s14
	s_cbranch_scc0 .LBB97_38
.LBB97_16:
	v_dual_mov_b32 v2, s30 :: v_dual_mov_b32 v3, s29
	v_dual_mov_b32 v4, s31 :: v_dual_mov_b32 v1, 0
	ds_store_b96 v1, v[2:4] offset:1056
.LBB97_17:
	s_or_b32 exec_lo, exec_lo, s43
	s_mul_u64 s[6:7], s[16:17], s[26:27]
	s_mul_u64 s[34:35], s[16:17], s[4:5]
	s_clause 0x3
	s_load_b96 s[4:6], s[0:1], 0xd8
	s_load_b64 s[28:29], s[0:1], 0x1d0
	s_load_b64 s[10:11], s[0:1], 0xf0
	;; [unrolled: 1-line block ×3, first 2 shown]
	s_mul_u64 s[30:31], s[16:17], s[24:25]
	s_mul_i32 s17, s13, s42
	s_mov_b32 s25, 0
	s_lshl_b32 s17, s17, 8
	s_add_co_i32 s42, s42, 1
	s_wait_dscnt 0x0
	s_barrier_signal -1
	s_barrier_wait -1
	s_wait_kmcnt 0x0
	s_sub_co_i32 s24, s4, s17
	s_delay_alu instid0(SALU_CYCLE_1) | instskip(NEXT) | instid1(SALU_CYCLE_1)
	s_add_nc_u64 s[26:27], s[24:25], 0xff
	s_lshr_b64 s[26:27], s[26:27], 8
	s_cmp_lt_u32 s42, s14
	s_cselect_b32 s13, s13, s26
	s_delay_alu instid0(SALU_CYCLE_1)
	s_cmp_eq_u32 s13, 0
	s_cbranch_scc1 .LBB97_40
; %bb.18:
	s_mul_i32 s14, s35, s41
	s_add_co_i32 s24, s35, 1
	s_sub_co_i32 s14, s16, s14
	s_mul_i32 s26, s31, s40
	s_sub_co_i32 s27, s14, s41
	s_cmp_ge_u32 s14, s41
	s_mul_i32 s30, s7, s15
	s_cselect_b32 s24, s24, s35
	s_cselect_b32 s14, s27, s14
	s_add_co_i32 s34, s24, 1
	s_cmp_ge_u32 s14, s41
	v_dual_mov_b32 v7, 0 :: v_dual_lshrrev_b32 v1, 3, v0
	s_cselect_b32 s14, s34, s24
	s_sub_co_i32 s26, s16, s26
	s_mul_i32 s24, s14, s41
	s_mul_i32 s14, s14, s22
	s_sub_co_i32 s24, s16, s24
	s_add_co_i32 s34, s31, 1
	s_mul_i32 s24, s24, s23
	s_sub_co_i32 s22, s26, s40
	s_add_co_i32 s24, s14, s24
	s_cmp_ge_u32 s26, s40
	ds_load_b96 v[2:4], v7 offset:1056
	s_cselect_b32 s14, s34, s31
	s_cselect_b32 s22, s22, s26
	s_add_co_i32 s26, s14, 1
	s_cmp_ge_u32 s22, s40
	v_dual_add_nc_u32 v5, -1, v0 :: v_dual_bitop2_b32 v6, 28, v1 bitop3:0x40
	s_cselect_b32 s14, s26, s14
	s_sub_co_i32 s22, s16, s30
	s_mul_i32 s26, s14, s40
	s_mul_i32 s14, s14, s20
	s_sub_co_i32 s26, s16, s26
	s_add_co_i32 s30, s7, 1
	s_mul_i32 s26, s26, s21
	s_sub_co_i32 s20, s22, s15
	s_add_co_i32 s26, s14, s26
	s_cmp_ge_u32 s22, s15
	s_mov_b32 s27, s25
	s_cselect_b32 s7, s30, s7
	s_cselect_b32 s14, s20, s22
	s_add_co_i32 s20, s7, 1
	s_cmp_ge_u32 s14, s15
	s_mov_b32 s23, s25
	s_cselect_b32 s7, s20, s7
	s_wait_dscnt 0x0
	v_dual_lshrrev_b32 v8, 3, v5 :: v_dual_add_nc_u32 v1, v2, v3
	s_mul_i32 s20, s7, s15
	s_mul_i32 s7, s7, s18
	s_sub_co_i32 s16, s16, s20
	s_lshl_b64 s[14:15], s[24:25], 1
	s_mul_i32 s16, s16, s19
	s_add_nc_u64 s[8:9], s[8:9], s[14:15]
	s_add_co_i32 s22, s7, s16
	s_clause 0x1
	s_load_b32 s16, s[0:1], 0xe8
	s_load_b32 s15, s[0:1], 0x1c8
	v_lshl_add_u32 v2, v0, 2, v6
	v_dual_add_nc_u32 v6, s17, v0 :: v_dual_lshlrev_b32 v10, 5, v0
	s_sext_i32_i16 s31, s33
	s_lshl_b64 s[18:19], s[26:27], 1
	s_and_b32 s7, 0xffff, s33
	s_lshl_b64 s[20:21], s[22:23], 3
	s_mov_b32 s30, 0x8000
	s_cmp_gt_i32 s31, -1
	v_and_b32_e32 v9, 0xfc, v0
	s_cselect_b32 s22, s30, 0xffff
	s_wait_xcnt 0x0
	v_cmp_gt_u32_e64 s0, 32, v0
	v_and_b32_e32 v8, 0x1ffffffc, v8
	v_mbcnt_lo_u32_b32 v3, -1, 0
	s_xor_b32 s7, s22, s7
	s_cmp_o_f16 s33, s33
	v_mov_b32_e32 v12, 0x8000
	v_lshl_add_u32 v5, v5, 2, v8
	s_wait_kmcnt 0x0
	v_mul_lo_u32 v0, s16, v6
	v_dual_add_nc_u32 v8, v9, v10 :: v_dual_bitop2_b32 v9, 15, v3 bitop3:0x40
	v_bfe_i32 v10, v3, 4, 1
	v_add_nc_u32_e32 v11, -1, v3
	s_cselect_b32 s14, s7, 0xffff
	s_bitcmp1_b32 s6, 0
	s_add_nc_u64 s[10:11], s[10:11], s[18:19]
	s_add_nc_u64 s[6:7], s[28:29], s[20:21]
	s_cselect_b32 s1, -1, 0
	s_lshl_b32 s16, s16, 8
                                        ; implicit-def: $vgpr13
	s_branch .LBB97_21
.LBB97_19:                              ;   in Loop: Header=BB97_21 Depth=1
	s_wait_xcnt 0x0
	s_or_b32 exec_lo, exec_lo, s17
	v_add_nc_u32_e32 v1, v16, v1
.LBB97_20:                              ;   in Loop: Header=BB97_21 Depth=1
	v_add_nc_u32_e32 v4, v15, v4
	v_add_nc_u32_e32 v0, s16, v0
	;; [unrolled: 1-line block ×3, first 2 shown]
	s_add_co_i32 s13, s13, -1
	s_delay_alu instid0(SALU_CYCLE_1)
	s_cmp_lg_u32 s13, 0
	s_cbranch_scc0 .LBB97_40
.LBB97_21:                              ; =>This Inner Loop Header: Depth=1
	v_dual_mov_b32 v16, 0 :: v_dual_mov_b32 v14, 0
	s_mov_b32 s17, exec_lo
	v_cmpx_gt_u32_e64 s4, v6
	s_cbranch_execz .LBB97_23
; %bb.22:                               ;   in Loop: Header=BB97_21 Depth=1
	global_load_u16 v13, v0, s[8:9] scale_offset
	s_wait_loadcnt 0x0
	v_cmp_lt_i16_e32 vcc_lo, -1, v13
	v_and_b32_e32 v14, 0xffff, v13
	v_cndmask_b32_e32 v15, 0xffff, v12, vcc_lo
	v_cmp_o_f16_e32 vcc_lo, v13, v13
	s_delay_alu instid0(VALU_DEP_2) | instskip(NEXT) | instid1(VALU_DEP_1)
	v_xor_b32_e32 v14, v15, v14
	v_cndmask_b32_e32 v14, 0xffff, v14, vcc_lo
	s_delay_alu instid0(VALU_DEP_1) | instskip(SKIP_4) | instid1(VALU_DEP_2)
	v_cmp_lt_u32_e32 vcc_lo, s14, v14
	v_cndmask_b32_e64 v15, 0, 1, vcc_lo
	v_cmp_gt_u32_e32 vcc_lo, s14, v14
	v_cndmask_b32_e64 v16, 0, 1, vcc_lo
	v_cmp_eq_u32_e32 vcc_lo, s14, v14
	v_cndmask_b32_e64 v15, v16, v15, s1
	v_cndmask_b32_e64 v14, 0, 1, vcc_lo
	s_delay_alu instid0(VALU_DEP_2)
	v_and_b32_e32 v16, 1, v15
.LBB97_23:                              ;   in Loop: Header=BB97_21 Depth=1
	s_wait_xcnt 0x0
	s_or_b32 exec_lo, exec_lo, s17
	ds_store_b32 v2, v16
	s_wait_dscnt 0x0
	s_barrier_signal -1
	s_barrier_wait -1
	s_and_saveexec_b32 s17, s0
	s_cbranch_execz .LBB97_25
; %bb.24:                               ;   in Loop: Header=BB97_21 Depth=1
	ds_load_2addr_b32 v[18:19], v8 offset1:1
	ds_load_2addr_b32 v[20:21], v8 offset0:2 offset1:3
	ds_load_2addr_b32 v[22:23], v8 offset0:4 offset1:5
	;; [unrolled: 1-line block ×3, first 2 shown]
	v_cmp_ne_u32_e32 vcc_lo, 0, v9
	; wave barrier
	s_wait_dscnt 0x3
	v_add_nc_u32_e32 v15, v19, v18
	s_wait_dscnt 0x2
	s_delay_alu instid0(VALU_DEP_1) | instskip(SKIP_1) | instid1(VALU_DEP_1)
	v_add3_u32 v15, v15, v20, v21
	s_wait_dscnt 0x1
	v_add3_u32 v15, v15, v22, v23
	s_wait_dscnt 0x0
	s_delay_alu instid0(VALU_DEP_1) | instskip(NEXT) | instid1(VALU_DEP_1)
	v_add3_u32 v15, v15, v24, v25
	v_mov_b32_dpp v17, v15 row_shr:1 row_mask:0xf bank_mask:0xf
	s_delay_alu instid0(VALU_DEP_1) | instskip(SKIP_1) | instid1(VALU_DEP_2)
	v_cndmask_b32_e32 v17, 0, v17, vcc_lo
	v_cmp_lt_u32_e32 vcc_lo, 1, v9
	v_add_nc_u32_e32 v15, v17, v15
	s_delay_alu instid0(VALU_DEP_1) | instskip(NEXT) | instid1(VALU_DEP_1)
	v_mov_b32_dpp v17, v15 row_shr:2 row_mask:0xf bank_mask:0xf
	v_cndmask_b32_e32 v17, 0, v17, vcc_lo
	v_cmp_lt_u32_e32 vcc_lo, 3, v9
	s_delay_alu instid0(VALU_DEP_2) | instskip(NEXT) | instid1(VALU_DEP_1)
	v_add_nc_u32_e32 v15, v15, v17
	v_mov_b32_dpp v17, v15 row_shr:4 row_mask:0xf bank_mask:0xf
	s_delay_alu instid0(VALU_DEP_1) | instskip(SKIP_1) | instid1(VALU_DEP_2)
	v_cndmask_b32_e32 v17, 0, v17, vcc_lo
	v_cmp_lt_u32_e32 vcc_lo, 7, v9
	v_add_nc_u32_e32 v15, v15, v17
	s_delay_alu instid0(VALU_DEP_1) | instskip(NEXT) | instid1(VALU_DEP_1)
	v_mov_b32_dpp v17, v15 row_shr:8 row_mask:0xf bank_mask:0xf
	v_cndmask_b32_e32 v17, 0, v17, vcc_lo
	v_cmp_gt_i32_e32 vcc_lo, 0, v11
	s_delay_alu instid0(VALU_DEP_2) | instskip(SKIP_4) | instid1(VALU_DEP_1)
	v_add_nc_u32_e32 v15, v15, v17
	v_cndmask_b32_e32 v19, v11, v3, vcc_lo
	ds_swizzle_b32 v17, v15 offset:swizzle(BROADCAST,32,15)
	s_wait_dscnt 0x0
	v_dual_lshlrev_b32 v19, 2, v19 :: v_dual_bitop2_b32 v17, v10, v17 bitop3:0x40
	v_add_nc_u32_e32 v15, v15, v17
	ds_bpermute_b32 v15, v19, v15
	s_wait_dscnt 0x0
	v_add_nc_u32_e32 v15, v15, v18
	s_delay_alu instid0(VALU_DEP_1)
	v_cndmask_b32_e64 v15, v15, v16, s3
	ds_store_b32 v8, v15
	; wave barrier
	ds_load_2addr_b32 v[18:19], v8 offset0:1 offset1:2
	ds_load_2addr_b32 v[20:21], v8 offset0:3 offset1:4
	;; [unrolled: 1-line block ×3, first 2 shown]
	ds_load_b32 v17, v8 offset:28
	s_wait_dscnt 0x3
	v_add_nc_u32_e32 v15, v18, v15
	s_delay_alu instid0(VALU_DEP_1) | instskip(SKIP_1) | instid1(VALU_DEP_1)
	v_add_nc_u32_e32 v18, v19, v15
	s_wait_dscnt 0x2
	v_add_nc_u32_e32 v19, v20, v18
	s_delay_alu instid0(VALU_DEP_1) | instskip(SKIP_1) | instid1(VALU_DEP_1)
	v_add_nc_u32_e32 v20, v21, v19
	;; [unrolled: 4-line block ×3, first 2 shown]
	s_wait_dscnt 0x0
	v_add_nc_u32_e32 v17, v17, v22
	ds_store_2addr_b32 v8, v15, v18 offset0:1 offset1:2
	ds_store_2addr_b32 v8, v19, v20 offset0:3 offset1:4
	;; [unrolled: 1-line block ×3, first 2 shown]
	ds_store_b32 v8, v17 offset:28
.LBB97_25:                              ;   in Loop: Header=BB97_21 Depth=1
	s_or_b32 exec_lo, exec_lo, s17
	v_mov_b32_e32 v17, 0
	s_wait_dscnt 0x0
	s_barrier_signal -1
	s_barrier_wait -1
	s_and_saveexec_b32 s17, s2
; %bb.26:                               ;   in Loop: Header=BB97_21 Depth=1
	ds_load_b32 v17, v5
; %bb.27:                               ;   in Loop: Header=BB97_21 Depth=1
	s_or_b32 exec_lo, exec_lo, s17
	ds_load_b32 v15, v7 offset:1048
	s_mov_b32 s17, exec_lo
	s_wait_dscnt 0x0
	s_barrier_signal -1
	s_barrier_wait -1
	v_cmpx_ne_u32_e32 0, v16
	s_cbranch_execz .LBB97_29
; %bb.28:                               ;   in Loop: Header=BB97_21 Depth=1
	v_add_nc_u32_e32 v16, v17, v4
	s_delay_alu instid0(VALU_DEP_1)
	v_mul_lo_u32 v17, v16, s15
	v_mul_lo_u32 v16, v16, s12
	global_store_b16 v17, v13, s[10:11] scale_offset
	global_store_b64 v16, v[6:7], s[6:7] scale_offset
.LBB97_29:                              ;   in Loop: Header=BB97_21 Depth=1
	s_wait_xcnt 0x0
	s_or_b32 exec_lo, exec_lo, s17
	v_cmp_le_u32_e32 vcc_lo, s5, v1
	s_cbranch_vccnz .LBB97_20
; %bb.30:                               ;   in Loop: Header=BB97_21 Depth=1
	ds_store_b32 v2, v14
	s_wait_storecnt_dscnt 0x0
	s_barrier_signal -1
	s_barrier_wait -1
	s_and_saveexec_b32 s17, s0
	s_cbranch_execz .LBB97_32
; %bb.31:                               ;   in Loop: Header=BB97_21 Depth=1
	ds_load_2addr_b32 v[16:17], v8 offset1:1
	ds_load_2addr_b32 v[18:19], v8 offset0:2 offset1:3
	ds_load_2addr_b32 v[20:21], v8 offset0:4 offset1:5
	;; [unrolled: 1-line block ×3, first 2 shown]
	v_cmp_ne_u32_e32 vcc_lo, 0, v9
	; wave barrier
	s_wait_dscnt 0x3
	v_add_nc_u32_e32 v17, v17, v16
	s_wait_dscnt 0x2
	s_delay_alu instid0(VALU_DEP_1) | instskip(SKIP_1) | instid1(VALU_DEP_1)
	v_add3_u32 v17, v17, v18, v19
	s_wait_dscnt 0x1
	v_add3_u32 v17, v17, v20, v21
	s_wait_dscnt 0x0
	s_delay_alu instid0(VALU_DEP_1) | instskip(NEXT) | instid1(VALU_DEP_1)
	v_add3_u32 v17, v17, v22, v23
	v_mov_b32_dpp v18, v17 row_shr:1 row_mask:0xf bank_mask:0xf
	s_delay_alu instid0(VALU_DEP_1) | instskip(SKIP_1) | instid1(VALU_DEP_2)
	v_cndmask_b32_e32 v18, 0, v18, vcc_lo
	v_cmp_lt_u32_e32 vcc_lo, 1, v9
	v_add_nc_u32_e32 v17, v18, v17
	s_delay_alu instid0(VALU_DEP_1) | instskip(NEXT) | instid1(VALU_DEP_1)
	v_mov_b32_dpp v18, v17 row_shr:2 row_mask:0xf bank_mask:0xf
	v_cndmask_b32_e32 v18, 0, v18, vcc_lo
	v_cmp_lt_u32_e32 vcc_lo, 3, v9
	s_delay_alu instid0(VALU_DEP_2) | instskip(NEXT) | instid1(VALU_DEP_1)
	v_add_nc_u32_e32 v17, v17, v18
	v_mov_b32_dpp v18, v17 row_shr:4 row_mask:0xf bank_mask:0xf
	s_delay_alu instid0(VALU_DEP_1) | instskip(SKIP_1) | instid1(VALU_DEP_2)
	v_cndmask_b32_e32 v18, 0, v18, vcc_lo
	v_cmp_lt_u32_e32 vcc_lo, 7, v9
	v_add_nc_u32_e32 v17, v17, v18
	s_delay_alu instid0(VALU_DEP_1) | instskip(NEXT) | instid1(VALU_DEP_1)
	v_mov_b32_dpp v18, v17 row_shr:8 row_mask:0xf bank_mask:0xf
	v_cndmask_b32_e32 v18, 0, v18, vcc_lo
	v_cmp_gt_i32_e32 vcc_lo, 0, v11
	s_delay_alu instid0(VALU_DEP_2) | instskip(SKIP_3) | instid1(VALU_DEP_1)
	v_dual_add_nc_u32 v17, v17, v18 :: v_dual_cndmask_b32 v19, v11, v3, vcc_lo
	ds_swizzle_b32 v18, v17 offset:swizzle(BROADCAST,32,15)
	s_wait_dscnt 0x0
	v_dual_lshlrev_b32 v19, 2, v19 :: v_dual_bitop2_b32 v18, v10, v18 bitop3:0x40
	v_add_nc_u32_e32 v17, v17, v18
	ds_bpermute_b32 v17, v19, v17
	s_wait_dscnt 0x0
	v_add_nc_u32_e32 v16, v17, v16
	s_delay_alu instid0(VALU_DEP_1)
	v_cndmask_b32_e64 v22, v16, v14, s3
	ds_store_b32 v8, v22
	; wave barrier
	ds_load_2addr_b32 v[16:17], v8 offset0:1 offset1:2
	ds_load_2addr_b32 v[18:19], v8 offset0:3 offset1:4
	;; [unrolled: 1-line block ×3, first 2 shown]
	ds_load_b32 v23, v8 offset:28
	s_wait_dscnt 0x3
	v_add_nc_u32_e32 v16, v16, v22
	s_delay_alu instid0(VALU_DEP_1) | instskip(SKIP_1) | instid1(VALU_DEP_1)
	v_add_nc_u32_e32 v17, v17, v16
	s_wait_dscnt 0x2
	v_add_nc_u32_e32 v18, v18, v17
	s_delay_alu instid0(VALU_DEP_1) | instskip(SKIP_1) | instid1(VALU_DEP_1)
	v_add_nc_u32_e32 v19, v19, v18
	;; [unrolled: 4-line block ×3, first 2 shown]
	s_wait_dscnt 0x0
	v_add_nc_u32_e32 v22, v23, v21
	ds_store_2addr_b32 v8, v16, v17 offset0:1 offset1:2
	ds_store_2addr_b32 v8, v18, v19 offset0:3 offset1:4
	;; [unrolled: 1-line block ×3, first 2 shown]
	ds_store_b32 v8, v22 offset:28
.LBB97_32:                              ;   in Loop: Header=BB97_21 Depth=1
	s_or_b32 exec_lo, exec_lo, s17
	v_mov_b32_e32 v17, 0
	s_wait_dscnt 0x0
	s_barrier_signal -1
	s_barrier_wait -1
	s_and_saveexec_b32 s17, s2
; %bb.33:                               ;   in Loop: Header=BB97_21 Depth=1
	ds_load_b32 v17, v5
; %bb.34:                               ;   in Loop: Header=BB97_21 Depth=1
	s_or_b32 exec_lo, exec_lo, s17
	ds_load_b32 v16, v7 offset:1048
	s_mov_b32 s17, exec_lo
	s_wait_dscnt 0x0
	s_barrier_signal -1
	s_barrier_wait -1
	v_cmpx_ne_u32_e32 0, v14
	s_cbranch_execz .LBB97_19
; %bb.35:                               ;   in Loop: Header=BB97_21 Depth=1
	v_add_nc_u32_e32 v14, v17, v1
	s_delay_alu instid0(VALU_DEP_1)
	v_cmp_gt_u32_e32 vcc_lo, s5, v14
	s_and_b32 exec_lo, exec_lo, vcc_lo
	s_cbranch_execz .LBB97_19
; %bb.36:                               ;   in Loop: Header=BB97_21 Depth=1
	v_mul_lo_u32 v17, v14, s15
	v_mul_lo_u32 v14, v14, s12
	global_store_b16 v17, v13, s[10:11] scale_offset
	global_store_b64 v14, v[6:7], s[6:7] scale_offset
	s_branch .LBB97_19
.LBB97_37:                              ;   in Loop: Header=BB97_38 Depth=1
	s_add_co_i32 s10, s10, 1
	s_wait_kmcnt 0x0
	s_add_co_i32 s29, s11, s29
	s_add_nc_u64 s[6:7], s[6:7], 4
	s_cmp_lt_u32 s10, s14
	s_add_nc_u64 s[8:9], s[8:9], 4
	s_cbranch_scc0 .LBB97_16
.LBB97_38:                              ; =>This Inner Loop Header: Depth=1
	s_load_b32 s11, s[6:7], 0x0
	s_cmp_ge_u32 s10, s42
	s_cbranch_scc1 .LBB97_37
; %bb.39:                               ;   in Loop: Header=BB97_38 Depth=1
	s_load_b32 s28, s[8:9], 0x0
	s_wait_kmcnt 0x0
	s_add_co_i32 s31, s11, s31
	s_add_co_i32 s30, s28, s30
	s_branch .LBB97_37
.LBB97_40:
	s_endpgm
	.section	.rodata,"a",@progbits
	.p2align	6, 0x0
	.amdhsa_kernel _ZN2at6native6mbtopk10gatherTopKIN3c104HalfEjLi2EEEvNS_4cuda6detail10TensorInfoIKT_T0_EESA_SA_bjSA_NS7_IS8_SA_EESA_NS7_IlSA_EESA_jjPS8_PjSF_j
		.amdhsa_group_segment_fixed_size 1068
		.amdhsa_private_segment_fixed_size 0
		.amdhsa_kernarg_size 984
		.amdhsa_user_sgpr_count 2
		.amdhsa_user_sgpr_dispatch_ptr 0
		.amdhsa_user_sgpr_queue_ptr 0
		.amdhsa_user_sgpr_kernarg_segment_ptr 1
		.amdhsa_user_sgpr_dispatch_id 0
		.amdhsa_user_sgpr_kernarg_preload_length 0
		.amdhsa_user_sgpr_kernarg_preload_offset 0
		.amdhsa_user_sgpr_private_segment_size 0
		.amdhsa_wavefront_size32 1
		.amdhsa_uses_dynamic_stack 0
		.amdhsa_enable_private_segment 0
		.amdhsa_system_sgpr_workgroup_id_x 1
		.amdhsa_system_sgpr_workgroup_id_y 1
		.amdhsa_system_sgpr_workgroup_id_z 1
		.amdhsa_system_sgpr_workgroup_info 0
		.amdhsa_system_vgpr_workitem_id 0
		.amdhsa_next_free_vgpr 26
		.amdhsa_next_free_sgpr 46
		.amdhsa_named_barrier_count 0
		.amdhsa_reserve_vcc 1
		.amdhsa_float_round_mode_32 0
		.amdhsa_float_round_mode_16_64 0
		.amdhsa_float_denorm_mode_32 3
		.amdhsa_float_denorm_mode_16_64 3
		.amdhsa_fp16_overflow 0
		.amdhsa_memory_ordered 1
		.amdhsa_forward_progress 1
		.amdhsa_inst_pref_size 23
		.amdhsa_round_robin_scheduling 0
		.amdhsa_exception_fp_ieee_invalid_op 0
		.amdhsa_exception_fp_denorm_src 0
		.amdhsa_exception_fp_ieee_div_zero 0
		.amdhsa_exception_fp_ieee_overflow 0
		.amdhsa_exception_fp_ieee_underflow 0
		.amdhsa_exception_fp_ieee_inexact 0
		.amdhsa_exception_int_div_zero 0
	.end_amdhsa_kernel
	.section	.text._ZN2at6native6mbtopk10gatherTopKIN3c104HalfEjLi2EEEvNS_4cuda6detail10TensorInfoIKT_T0_EESA_SA_bjSA_NS7_IS8_SA_EESA_NS7_IlSA_EESA_jjPS8_PjSF_j,"axG",@progbits,_ZN2at6native6mbtopk10gatherTopKIN3c104HalfEjLi2EEEvNS_4cuda6detail10TensorInfoIKT_T0_EESA_SA_bjSA_NS7_IS8_SA_EESA_NS7_IlSA_EESA_jjPS8_PjSF_j,comdat
.Lfunc_end97:
	.size	_ZN2at6native6mbtopk10gatherTopKIN3c104HalfEjLi2EEEvNS_4cuda6detail10TensorInfoIKT_T0_EESA_SA_bjSA_NS7_IS8_SA_EESA_NS7_IlSA_EESA_jjPS8_PjSF_j, .Lfunc_end97-_ZN2at6native6mbtopk10gatherTopKIN3c104HalfEjLi2EEEvNS_4cuda6detail10TensorInfoIKT_T0_EESA_SA_bjSA_NS7_IS8_SA_EESA_NS7_IlSA_EESA_jjPS8_PjSF_j
                                        ; -- End function
	.set _ZN2at6native6mbtopk10gatherTopKIN3c104HalfEjLi2EEEvNS_4cuda6detail10TensorInfoIKT_T0_EESA_SA_bjSA_NS7_IS8_SA_EESA_NS7_IlSA_EESA_jjPS8_PjSF_j.num_vgpr, 26
	.set _ZN2at6native6mbtopk10gatherTopKIN3c104HalfEjLi2EEEvNS_4cuda6detail10TensorInfoIKT_T0_EESA_SA_bjSA_NS7_IS8_SA_EESA_NS7_IlSA_EESA_jjPS8_PjSF_j.num_agpr, 0
	.set _ZN2at6native6mbtopk10gatherTopKIN3c104HalfEjLi2EEEvNS_4cuda6detail10TensorInfoIKT_T0_EESA_SA_bjSA_NS7_IS8_SA_EESA_NS7_IlSA_EESA_jjPS8_PjSF_j.numbered_sgpr, 46
	.set _ZN2at6native6mbtopk10gatherTopKIN3c104HalfEjLi2EEEvNS_4cuda6detail10TensorInfoIKT_T0_EESA_SA_bjSA_NS7_IS8_SA_EESA_NS7_IlSA_EESA_jjPS8_PjSF_j.num_named_barrier, 0
	.set _ZN2at6native6mbtopk10gatherTopKIN3c104HalfEjLi2EEEvNS_4cuda6detail10TensorInfoIKT_T0_EESA_SA_bjSA_NS7_IS8_SA_EESA_NS7_IlSA_EESA_jjPS8_PjSF_j.private_seg_size, 0
	.set _ZN2at6native6mbtopk10gatherTopKIN3c104HalfEjLi2EEEvNS_4cuda6detail10TensorInfoIKT_T0_EESA_SA_bjSA_NS7_IS8_SA_EESA_NS7_IlSA_EESA_jjPS8_PjSF_j.uses_vcc, 1
	.set _ZN2at6native6mbtopk10gatherTopKIN3c104HalfEjLi2EEEvNS_4cuda6detail10TensorInfoIKT_T0_EESA_SA_bjSA_NS7_IS8_SA_EESA_NS7_IlSA_EESA_jjPS8_PjSF_j.uses_flat_scratch, 0
	.set _ZN2at6native6mbtopk10gatherTopKIN3c104HalfEjLi2EEEvNS_4cuda6detail10TensorInfoIKT_T0_EESA_SA_bjSA_NS7_IS8_SA_EESA_NS7_IlSA_EESA_jjPS8_PjSF_j.has_dyn_sized_stack, 0
	.set _ZN2at6native6mbtopk10gatherTopKIN3c104HalfEjLi2EEEvNS_4cuda6detail10TensorInfoIKT_T0_EESA_SA_bjSA_NS7_IS8_SA_EESA_NS7_IlSA_EESA_jjPS8_PjSF_j.has_recursion, 0
	.set _ZN2at6native6mbtopk10gatherTopKIN3c104HalfEjLi2EEEvNS_4cuda6detail10TensorInfoIKT_T0_EESA_SA_bjSA_NS7_IS8_SA_EESA_NS7_IlSA_EESA_jjPS8_PjSF_j.has_indirect_call, 0
	.section	.AMDGPU.csdata,"",@progbits
; Kernel info:
; codeLenInByte = 2856
; TotalNumSgprs: 48
; NumVgprs: 26
; ScratchSize: 0
; MemoryBound: 0
; FloatMode: 240
; IeeeMode: 1
; LDSByteSize: 1068 bytes/workgroup (compile time only)
; SGPRBlocks: 0
; VGPRBlocks: 1
; NumSGPRsForWavesPerEU: 48
; NumVGPRsForWavesPerEU: 26
; NamedBarCnt: 0
; Occupancy: 16
; WaveLimiterHint : 1
; COMPUTE_PGM_RSRC2:SCRATCH_EN: 0
; COMPUTE_PGM_RSRC2:USER_SGPR: 2
; COMPUTE_PGM_RSRC2:TRAP_HANDLER: 0
; COMPUTE_PGM_RSRC2:TGID_X_EN: 1
; COMPUTE_PGM_RSRC2:TGID_Y_EN: 1
; COMPUTE_PGM_RSRC2:TGID_Z_EN: 1
; COMPUTE_PGM_RSRC2:TIDIG_COMP_CNT: 0
	.section	.text._ZN2at6native6sbtopk10gatherTopKIN3c104HalfEjLi2ELb0EEEvNS_4cuda6detail10TensorInfoIKT_T0_EESA_SA_bSA_SA_NS7_IS8_SA_EESA_NS7_IlSA_EESA_PS8_,"axG",@progbits,_ZN2at6native6sbtopk10gatherTopKIN3c104HalfEjLi2ELb0EEEvNS_4cuda6detail10TensorInfoIKT_T0_EESA_SA_bSA_SA_NS7_IS8_SA_EESA_NS7_IlSA_EESA_PS8_,comdat
	.protected	_ZN2at6native6sbtopk10gatherTopKIN3c104HalfEjLi2ELb0EEEvNS_4cuda6detail10TensorInfoIKT_T0_EESA_SA_bSA_SA_NS7_IS8_SA_EESA_NS7_IlSA_EESA_PS8_ ; -- Begin function _ZN2at6native6sbtopk10gatherTopKIN3c104HalfEjLi2ELb0EEEvNS_4cuda6detail10TensorInfoIKT_T0_EESA_SA_bSA_SA_NS7_IS8_SA_EESA_NS7_IlSA_EESA_PS8_
	.globl	_ZN2at6native6sbtopk10gatherTopKIN3c104HalfEjLi2ELb0EEEvNS_4cuda6detail10TensorInfoIKT_T0_EESA_SA_bSA_SA_NS7_IS8_SA_EESA_NS7_IlSA_EESA_PS8_
	.p2align	8
	.type	_ZN2at6native6sbtopk10gatherTopKIN3c104HalfEjLi2ELb0EEEvNS_4cuda6detail10TensorInfoIKT_T0_EESA_SA_bSA_SA_NS7_IS8_SA_EESA_NS7_IlSA_EESA_PS8_,@function
_ZN2at6native6sbtopk10gatherTopKIN3c104HalfEjLi2ELb0EEEvNS_4cuda6detail10TensorInfoIKT_T0_EESA_SA_bSA_SA_NS7_IS8_SA_EESA_NS7_IlSA_EESA_PS8_: ; @_ZN2at6native6sbtopk10gatherTopKIN3c104HalfEjLi2ELb0EEEvNS_4cuda6detail10TensorInfoIKT_T0_EESA_SA_bSA_SA_NS7_IS8_SA_EESA_NS7_IlSA_EESA_PS8_
; %bb.0:
	s_clause 0x1
	s_load_b128 s[36:39], s[0:1], 0xd8
	s_load_b64 s[8:9], s[0:1], 0x2b8
	s_bfe_u32 s2, ttmp6, 0x40010
	s_and_b32 s3, ttmp7, 0xffff
	s_add_co_i32 s2, s2, 1
	s_bfe_u32 s5, ttmp6, 0x4000c
	s_mul_i32 s2, s3, s2
	s_bfe_u32 s4, ttmp6, 0x40004
	s_add_co_i32 s5, s5, 1
	s_bfe_u32 s6, ttmp6, 0x40014
	s_add_co_i32 s4, s4, s2
	s_and_b32 s2, ttmp6, 15
	s_mul_i32 s5, ttmp9, s5
	s_lshr_b32 s7, ttmp7, 16
	s_add_co_i32 s6, s6, 1
	s_add_co_i32 s2, s2, s5
	s_mul_i32 s5, s7, s6
	s_bfe_u32 s6, ttmp6, 0x40008
	s_getreg_b32 s10, hwreg(HW_REG_IB_STS2, 6, 4)
	s_add_co_i32 s6, s6, s5
	s_cmp_eq_u32 s10, 0
	s_mov_b32 s41, 0
	s_cselect_b32 s5, s7, s6
	s_cselect_b32 s3, s3, s4
	s_wait_kmcnt 0x0
	s_mul_i32 s5, s9, s5
	s_cselect_b32 s9, ttmp9, s2
	s_add_co_i32 s2, s5, s3
	s_delay_alu instid0(SALU_CYCLE_1) | instskip(NEXT) | instid1(SALU_CYCLE_1)
	s_mul_i32 s2, s2, s8
	s_add_co_i32 s40, s2, s9
	s_delay_alu instid0(SALU_CYCLE_1)
	s_cmp_ge_u32 s40, s39
	s_cbranch_scc1 .LBB98_430
; %bb.1:
	s_clause 0x6
	s_load_b32 s4, s[0:1], 0xc
	s_load_b64 s[42:43], s[0:1], 0x23c
	s_load_b32 s64, s[0:1], 0xfc
	s_load_b32 s63, s[0:1], 0x1dc
	;; [unrolled: 1-line block ×3, first 2 shown]
	s_load_b64 s[12:13], s[0:1], 0x6c
	s_load_b64 s[10:11], s[0:1], 0x0
	s_add_nc_u64 s[14:15], s[0:1], 0x2b8
	v_mov_b32_e32 v17, 0
	s_wait_kmcnt 0x0
	s_cvt_f32_u32 s2, s4
	s_sub_co_i32 s5, 0, s64
	s_cvt_f32_u32 s3, s63
	s_delay_alu instid0(SALU_CYCLE_1) | instskip(SKIP_2) | instid1(TRANS32_DEP_1)
	v_rcp_iflag_f32_e32 v1, s2
	s_sub_co_i32 s2, 0, s4
	v_nop
	v_mul_f32_e32 v1, 0x4f7ffffe, v1
	s_delay_alu instid0(VALU_DEP_1) | instskip(NEXT) | instid1(VALU_DEP_1)
	v_cvt_u32_f32_e32 v1, v1
	v_mul_lo_u32 v2, s2, v1
	s_cvt_f32_u32 s2, s64
	s_delay_alu instid0(VALU_DEP_1) | instskip(NEXT) | instid1(VALU_DEP_1)
	v_mul_hi_u32 v2, v1, v2
	v_add_nc_u32_e32 v16, v1, v2
	s_delay_alu instid0(SALU_CYCLE_1) | instskip(NEXT) | instid1(VALU_DEP_1)
	v_rcp_iflag_f32_e32 v1, s2
	v_mul_u64_e32 v[2:3], s[40:41], v[16:17]
	v_rcp_iflag_f32_e32 v2, s3
	s_delay_alu instid0(TRANS32_DEP_2) | instskip(SKIP_1) | instid1(TRANS32_DEP_1)
	v_readfirstlane_b32 s2, v1
	s_mul_f32 s2, s2, 0x4f7ffffe
	v_readfirstlane_b32 s3, v2
	s_delay_alu instid0(SALU_CYCLE_2) | instskip(SKIP_1) | instid1(SALU_CYCLE_2)
	s_cvt_u32_f32 s2, s2
	s_mul_f32 s3, s3, 0x4f7ffffe
	s_mul_i32 s5, s5, s2
	s_delay_alu instid0(SALU_CYCLE_2) | instskip(SKIP_2) | instid1(SALU_CYCLE_1)
	s_cvt_u32_f32 s6, s3
	s_sub_co_i32 s3, 0, s63
	s_mul_hi_u32 s5, s2, s5
	s_mul_i32 s3, s3, s6
	s_add_co_i32 s2, s2, s5
	v_cmp_eq_u32_e64 s5, 0, v0
	s_mul_hi_u32 s7, s6, s3
	s_mov_b32 s3, s41
	s_add_co_i32 s6, s6, s7
	s_mov_b32 s7, s41
	s_and_saveexec_b32 s16, s5
; %bb.2:
	v_dual_mov_b32 v4, 0 :: v_dual_mov_b32 v5, s36
	s_delay_alu instid0(VALU_DEP_1)
	v_mov_b32_e32 v6, v4
	ds_store_b96 v4, v[4:6] offset:4096
; %bb.3:
	s_or_b32 exec_lo, exec_lo, s16
	v_mul_lo_u32 v1, v3, s4
	s_clause 0x1
	s_load_b64 s[16:17], s[0:1], 0x1d0
	s_load_b64 s[48:49], s[0:1], 0xf0
	v_add_nc_u32_e32 v2, 1, v3
                                        ; implicit-def: $vgpr71 : SGPR spill to VGPR lane
	s_wait_dscnt 0x0
	s_barrier_signal -1
	s_barrier_wait -1
	v_mbcnt_lo_u32_b32 v11, -1, 0
	v_add_max_u32_e64 v7, v0, 2, s36
	s_delay_alu instid0(VALU_DEP_4)
	v_dual_lshlrev_b32 v22, 1, v0 :: v_dual_sub_nc_u32 v4, s40, v1
	s_mul_u64 s[34:35], s[40:41], s[6:7]
	v_cmp_gt_u32_e64 s7, 32, v0
	s_bitcmp1_b32 s38, 0
	s_mul_u64 s[50:51], s[40:41], s[2:3]
	v_subrev_nc_u32_e32 v5, s4, v4
	v_cmp_le_u32_e32 vcc_lo, s4, v4
	v_mul_lo_u32 v18, s62, v0
	v_cmp_gt_u32_e64 s3, s36, v0
	v_cmp_gt_u32_e64 s6, 2, v0
	v_dual_cndmask_b32 v2, v3, v2 :: v_dual_lshlrev_b32 v1, 2, v0
	v_cndmask_b32_e32 v3, v4, v5, vcc_lo
	s_wait_kmcnt 0x0
	v_writelane_b32 v71, s16, 0
	v_lshrrev_b32_e32 v5, 1, v0
	v_mad_u32 v30, s62, v1, s62
	v_add_nc_u32_e32 v4, 1, v2
	v_cmp_le_u32_e32 vcc_lo, s4, v3
	v_mov_b32_e32 v19, v17
	v_writelane_b32 v71, s17, 1
	s_load_b32 s16, s[14:15], 0xc
	s_movk_i32 s17, 0x1f0
	v_cndmask_b32_e32 v4, v2, v4, vcc_lo
	v_lshlrev_b64_e64 v[2:3], v11, -1
	v_cmp_gt_i32_e32 vcc_lo, 4, v11
	v_and_or_b32 v24, v5, s17, 0xc00
	v_cmp_eq_u32_e64 s2, 0, v11
	v_mul_lo_u32 v6, v4, s4
	s_cselect_b32 s4, -1, 0
	v_mul_lo_u32 v4, v4, s12
	s_xor_b32 s65, s4, -1
	s_and_b32 s66, s7, vcc_lo
	v_not_b32_e32 v10, v2
	v_dual_mov_b32 v40, s37 :: v_dual_add_nc_u32 v23, 0xc00, v22
	v_lshl_or_b32 v36, v11, 2, 0xc00
	v_dual_mov_b32 v37, 0x8000 :: v_dual_mov_b32 v28, 0
	v_sub_nc_u32_e32 v3, s40, v6
	v_xad_u32 v6, v0, -1, v7
	s_wait_kmcnt 0x0
	s_and_b32 s41, s16, 0xffff
	v_dual_mov_b32 v39, 0 :: v_dual_mov_b32 v38, 0
	s_lshl_b32 s67, s41, 2
	v_add_nc_u32_e32 v5, -4, v6
	v_mul_lo_u32 v3, v3, s13
	s_cmp_gt_u32 s36, 0x600
	s_cvt_f32_u32 s7, s67
	s_cselect_b32 s68, -1, 0
	s_cmp_gt_u32 s41, 31
	s_mov_b32 s39, 0
	s_cselect_b32 s69, -1, 0
	s_add_co_i32 s70, s41, -1
	v_lshrrev_b32_e32 v7, 2, v5
	s_add_co_i32 s13, s70, s36
	s_cmp_lt_u32 s9, s8
	v_add_nc_u32_e32 v16, v4, v3
	v_rcp_iflag_f32_e32 v4, s7
	s_cselect_b32 s38, 12, 18
	s_bfe_u32 s71, s16, 0xb0005
	v_lshlrev_b32_e32 v35, 3, v0
	s_add_co_i32 s7, s71, -2
	v_lshlrev_b64_e32 v[2:3], 1, v[16:17]
	s_lshr_b32 s8, s7, 1
	v_readfirstlane_b32 s9, v4
	s_add_co_i32 s8, s8, 1
	s_cmp_gt_u32 s41, 63
	v_or_b32_e32 v4, 3, v1
	s_cselect_b32 s72, -1, 0
	s_and_b32 s73, s71, 0x7fe
	s_and_b32 s74, s8, 7
	s_cmp_gt_u32 s7, 13
	s_mul_f32 s7, s9, 0x4f7ffffe
	s_cselect_b32 s75, -1, 0
	s_and_b32 s76, s8, -8
	s_cmp_lg_u32 s74, 0
	s_cvt_u32_f32 s8, s7
	s_cselect_b32 s77, -1, 0
	s_cmp_lg_u32 s73, s71
	s_cvt_f32_u32 s9, s41
	s_cselect_b32 s78, -1, 0
	s_sub_co_i32 s7, 0, s67
	v_add_nc_u64_e32 v[12:13], s[10:11], v[2:3]
	s_mul_i32 s7, s7, s8
	v_rcp_iflag_f32_e32 v3, s9
	s_mul_hi_u32 s10, s8, s7
	v_add_nc_u32_e32 v2, 1, v7
	s_add_co_i32 s52, s8, s10
	v_mul_lo_u32 v32, s62, v4
	s_mul_hi_u32 s8, s36, s52
	v_lshl_add_u64 v[14:15], v[18:19], 1, v[12:13]
	s_mul_i32 s8, s8, s67
	v_readfirstlane_b32 s9, v3
	s_sub_co_i32 s8, s36, s8
	v_and_b32_e32 v19, -4, v6
	s_sub_co_i32 s10, s8, s67
	s_cmp_ge_u32 s8, s67
	s_mul_f32 s9, s9, 0x4f7ffffe
	s_cselect_b32 s8, s10, s8
	v_dual_add_nc_u32 v25, v0, v19 :: v_dual_bitop2_b32 v3, 3, v2 bitop3:0x40
	s_sub_co_i32 s10, s8, s67
	s_cmp_ge_u32 s8, s67
	s_cvt_u32_f32 s9, s9
	s_cselect_b32 s16, s10, s8
	s_sub_co_i32 s10, 0, s41
	s_sub_co_i32 s82, s36, s16
	s_mul_i32 s10, s10, s9
	v_dual_add_nc_u32 v26, s82, v0 :: v_dual_lshlrev_b32 v29, 3, v3
	s_mul_hi_u32 s10, s9, s10
	v_and_b32_e32 v27, 0x7ffffffc, v2
	s_add_co_i32 s54, s9, s10
	v_add3_u32 v2, s41, s36, v0
	s_mul_hi_u32 s10, s13, s54
	v_cmp_ne_u32_e64 s9, 0, v3
	s_mul_i32 s10, s10, s41
	v_mul_lo_u32 v16, v26, s62
	s_sub_co_i32 s11, s13, s10
	v_dual_lshlrev_b32 v33, 2, v18 :: v_dual_bitop2_b32 v3, 2, v1 bitop3:0x54
	s_sub_co_i32 s12, s11, s41
	s_cmp_ge_u32 s11, s41
	v_subrev_nc_u32_e32 v2, s16, v2
	s_cselect_b32 s17, s12, s11
	v_mul_lo_u32 v31, s62, v3
	s_sub_co_i32 s18, s17, s41
	s_cmp_ge_u32 s17, s41
	v_mul_lo_u32 v34, s62, v2
	s_cselect_b32 s17, s18, s17
	v_cmp_lt_u32_e64 s7, 31, v6
	s_sub_co_i32 s83, s13, s17
	v_cmp_lt_u32_e64 s8, 11, v5
	v_cmp_ne_u32_e64 s10, v6, v19
	v_cmp_gt_u32_e64 s11, s82, v1
	v_cmp_gt_u32_e64 s12, s36, v26
	v_lshl_add_u64 v[20:21], v[16:17], 1, v[12:13]
	v_cmp_gt_u32_e64 s13, s83, v0
	s_mul_i32 s50, s62, s41
	s_mov_b32 s79, s62
	s_mov_b32 s80, s62
	;; [unrolled: 1-line block ×5, first 2 shown]
	s_lshl_b32 s84, s50, 2
	s_lshl_b32 s85, s41, 3
	;; [unrolled: 1-line block ×3, first 2 shown]
	s_mov_b32 s87, 14
	s_add_nc_u64 s[56:57], s[14:15], s[38:39]
	s_movk_i32 s89, 0x3c00
	s_mov_b32 s88, 0
	s_mov_b32 s91, 0
                                        ; implicit-def: $sgpr90
                                        ; implicit-def: $sgpr94
                                        ; implicit-def: $sgpr93
                                        ; implicit-def: $sgpr95
                                        ; implicit-def: $sgpr92
                                        ; implicit-def: $sgpr99
                                        ; implicit-def: $sgpr100
                                        ; implicit-def: $sgpr96
                                        ; implicit-def: $sgpr98
                                        ; implicit-def: $sgpr97
	s_branch .LBB98_6
.LBB98_4:                               ;   in Loop: Header=BB98_6 Depth=1
	s_or_b32 exec_lo, exec_lo, s17
	v_mov_b32_e32 v40, v5
	s_and_not1_b32 s17, s97, exec_lo
	s_and_b32 s16, s16, exec_lo
	s_and_not1_b32 s98, s98, exec_lo
	s_or_b32 s97, s17, s16
	s_and_not1_b32 s96, s96, exec_lo
	s_and_not1_b32 s100, s100, exec_lo
	;; [unrolled: 1-line block ×3, first 2 shown]
	s_or_not1_b32 s17, s15, exec_lo
.LBB98_5:                               ;   in Loop: Header=BB98_6 Depth=1
	s_or_b32 exec_lo, exec_lo, s14
	s_delay_alu instid0(SALU_CYCLE_1) | instskip(NEXT) | instid1(SALU_CYCLE_1)
	s_and_b32 s14, exec_lo, s17
	s_or_b32 s88, s14, s88
	s_and_not1_b32 s14, s92, exec_lo
	s_and_b32 s15, s97, exec_lo
	s_and_not1_b32 s16, s95, exec_lo
	s_or_b32 s92, s14, s15
	s_and_b32 s14, s98, exec_lo
	s_and_not1_b32 s15, s93, exec_lo
	s_and_b32 s17, s96, exec_lo
	s_or_b32 s95, s16, s14
	s_or_b32 s93, s15, s17
	s_and_not1_b32 s14, s94, exec_lo
	s_and_b32 s15, s100, exec_lo
	s_and_not1_b32 s16, s90, exec_lo
	s_and_b32 s17, s99, exec_lo
	s_or_b32 s94, s14, s15
	s_or_b32 s90, s16, s17
	s_and_not1_b32 exec_lo, exec_lo, s88
	s_cbranch_execz .LBB98_426
.LBB98_6:                               ; =>This Loop Header: Depth=1
                                        ;     Child Loop BB98_11 Depth 2
                                        ;     Child Loop BB98_32 Depth 2
	;; [unrolled: 1-line block ×27, first 2 shown]
	ds_load_b64 v[2:3], v17 offset:4096
	s_wait_dscnt 0x0
	v_readfirstlane_b32 s38, v2
	s_cmp_lg_u32 s38, 0
	s_cbranch_scc1 .LBB98_51
; %bb.7:                                ;   in Loop: Header=BB98_6 Depth=1
	s_and_b32 vcc_lo, exec_lo, s68
	s_cbranch_vccz .LBB98_19
; %bb.8:                                ;   in Loop: Header=BB98_6 Depth=1
	v_cmp_gt_u32_e32 vcc_lo, 0x601, v3
	s_mov_b32 s16, 0
	s_mov_b32 s14, 0
	s_cbranch_vccz .LBB98_20
; %bb.9:                                ;   in Loop: Header=BB98_6 Depth=1
	global_load_u16 v3, v[14:15], off
	s_load_u16 s17, s[56:57], 0x0
	s_mov_b32 s18, 0
	s_wait_kmcnt 0x0
	v_dual_mov_b32 v4, v0 :: v_dual_add_nc_u32 v2, s17, v0
	s_mul_i32 s19, s62, s17
	s_delay_alu instid0(VALU_DEP_1)
	v_mul_lo_u32 v2, s62, v2
	s_branch .LBB98_11
.LBB98_10:                              ;   in Loop: Header=BB98_11 Depth=2
	s_or_b32 exec_lo, exec_lo, s15
	v_dual_mov_b32 v3, v5 :: v_dual_add_nc_u32 v2, s19, v2
	s_and_not1_b32 exec_lo, exec_lo, s18
	s_cbranch_execz .LBB98_26
.LBB98_11:                              ;   Parent Loop BB98_6 Depth=1
                                        ; =>  This Inner Loop Header: Depth=2
	s_wait_dscnt 0x0
	v_dual_add_nc_u32 v4, s17, v4 :: v_dual_mov_b32 v6, 0
	v_mov_b32_e32 v5, 0
	s_mov_b32 s15, exec_lo
	s_delay_alu instid0(VALU_DEP_2)
	v_cmp_le_u32_e32 vcc_lo, s36, v4
	v_cmpx_gt_u32_e64 s36, v4
	s_cbranch_execz .LBB98_13
; %bb.12:                               ;   in Loop: Header=BB98_11 Depth=2
	v_readfirstlane_b32 s20, v12
	v_readfirstlane_b32 s21, v13
	global_load_u16 v5, v2, s[20:21] scale_offset
.LBB98_13:                              ;   in Loop: Header=BB98_11 Depth=2
	s_wait_xcnt 0x0
	s_or_b32 exec_lo, exec_lo, s15
	s_wait_loadcnt 0x0
	v_cmp_lt_i16_e64 s14, -1, v3
	v_and_b32_e32 v7, 0xffff, v3
	s_delay_alu instid0(VALU_DEP_2) | instskip(SKIP_1) | instid1(VALU_DEP_2)
	v_cndmask_b32_e64 v8, 0xffff, v37, s14
	v_cmp_o_f16_e64 s14, v3, v3
	v_xor_b32_e32 v7, v8, v7
	s_delay_alu instid0(VALU_DEP_1) | instskip(NEXT) | instid1(VALU_DEP_1)
	v_cndmask_b32_e64 v7, 0xffff, v7, s14
	v_and_b32_e32 v7, v7, v38
	s_delay_alu instid0(VALU_DEP_1) | instskip(SKIP_2) | instid1(SALU_CYCLE_1)
	v_cmp_eq_u32_e64 s14, v7, v28
	s_cmp_lg_u32 s14, 0
	s_cselect_b32 s15, -1, 0
	s_and_b32 s15, s2, s15
	s_delay_alu instid0(SALU_CYCLE_1)
	s_and_saveexec_b32 s20, s15
	s_cbranch_execz .LBB98_17
; %bb.14:                               ;   in Loop: Header=BB98_11 Depth=2
	s_mov_b32 s23, exec_lo
	s_bcnt1_i32_b32 s21, s14
	v_mbcnt_lo_u32_b32 v6, s23, 0
	s_mov_b32 s22, exec_lo
                                        ; implicit-def: $vgpr7
	s_delay_alu instid0(VALU_DEP_1)
	v_cmpx_eq_u32_e32 0, v6
; %bb.15:                               ;   in Loop: Header=BB98_11 Depth=2
	s_bcnt1_i32_b32 s15, s23
	s_delay_alu instid0(SALU_CYCLE_1) | instskip(NEXT) | instid1(SALU_CYCLE_1)
	s_mul_i32 s15, s21, s15
	v_mov_b32_e32 v7, s15
	ds_add_rtn_u32 v7, v17, v7 offset:4104
; %bb.16:                               ;   in Loop: Header=BB98_11 Depth=2
	s_or_b32 exec_lo, exec_lo, s22
	s_wait_dscnt 0x0
	v_readfirstlane_b32 s15, v7
	s_delay_alu instid0(VALU_DEP_1)
	v_mad_u32_u24 v6, s21, v6, s15
.LBB98_17:                              ;   in Loop: Header=BB98_11 Depth=2
	s_or_b32 exec_lo, exec_lo, s20
	ds_bpermute_b32 v6, v17, v6
	s_and_b32 s15, exec_lo, vcc_lo
	s_delay_alu instid0(SALU_CYCLE_1)
	s_or_b32 s18, s15, s18
	s_and_saveexec_b32 s15, s14
	s_cbranch_execz .LBB98_10
; %bb.18:                               ;   in Loop: Header=BB98_11 Depth=2
	v_and_b32_e32 v7, s14, v10
	s_delay_alu instid0(VALU_DEP_1) | instskip(NEXT) | instid1(VALU_DEP_1)
	v_bcnt_u32_b32 v7, v7, 0
	v_lshlrev_b32_e32 v7, 1, v7
	s_wait_dscnt 0x0
	s_delay_alu instid0(VALU_DEP_1)
	v_lshl_add_u32 v6, v6, 1, v7
	ds_store_b16 v6, v3
	s_branch .LBB98_10
.LBB98_19:                              ;   in Loop: Header=BB98_6 Depth=1
	s_mov_b32 s16, -1
	s_mov_b32 s14, 0
.LBB98_20:                              ;   in Loop: Header=BB98_6 Depth=1
	s_and_b32 vcc_lo, exec_lo, s16
	s_cbranch_vccz .LBB98_49
.LBB98_21:                              ;   in Loop: Header=BB98_6 Depth=1
	s_and_saveexec_b32 s15, s3
	s_cbranch_execz .LBB98_46
; %bb.22:                               ;   in Loop: Header=BB98_6 Depth=1
	global_load_u16 v16, v[14:15], off
	s_load_u16 s17, s[56:57], 0x0
	s_mov_b32 s16, exec_lo
	s_wait_kmcnt 0x0
	v_dual_mov_b32 v4, v0 :: v_dual_add_nc_u32 v2, s17, v0
	s_delay_alu instid0(VALU_DEP_1)
	v_cmpx_gt_u32_e64 s36, v2
	s_cbranch_execz .LBB98_45
; %bb.23:                               ;   in Loop: Header=BB98_6 Depth=1
	s_mov_b32 s14, 0
	s_mul_i32 s18, s62, s17
                                        ; implicit-def: $vgpr4
                                        ; implicit-def: $vgpr3
                                        ; implicit-def: $vgpr5
	s_and_saveexec_b32 s19, s7
	s_delay_alu instid0(SALU_CYCLE_1)
	s_xor_b32 s19, exec_lo, s19
	s_cbranch_execnz .LBB98_29
; %bb.24:                               ;   in Loop: Header=BB98_6 Depth=1
	s_and_not1_saveexec_b32 s19, s19
	s_cbranch_execnz .LBB98_40
.LBB98_25:                              ;   in Loop: Header=BB98_6 Depth=1
	s_or_b32 exec_lo, exec_lo, s19
	s_and_saveexec_b32 s18, s14
	s_cbranch_execnz .LBB98_41
	s_branch .LBB98_44
.LBB98_26:                              ;   in Loop: Header=BB98_6 Depth=1
	s_or_b32 exec_lo, exec_lo, s18
	s_wait_dscnt 0x0
	s_barrier_signal -1
	s_barrier_wait -1
	s_and_saveexec_b32 s14, s5
	s_cbranch_execz .LBB98_28
; %bb.27:                               ;   in Loop: Header=BB98_6 Depth=1
	ds_load_b32 v2, v17 offset:4104
	s_wait_dscnt 0x0
	ds_store_b32 v17, v2 offset:4096
.LBB98_28:                              ;   in Loop: Header=BB98_6 Depth=1
	s_or_b32 exec_lo, exec_lo, s14
	s_wait_dscnt 0x0
	s_barrier_signal -1
	s_mov_b32 s14, -1
	s_barrier_wait -1
	s_and_b32 vcc_lo, exec_lo, s16
	s_cbranch_vccnz .LBB98_21
	s_branch .LBB98_49
.LBB98_29:                              ;   in Loop: Header=BB98_6 Depth=1
	s_cvt_f32_u32 s14, s17
	v_add_max_u32_e64 v3, v2, s17, s36
	s_delay_alu instid0(SALU_CYCLE_2) | instskip(SKIP_1) | instid1(VALU_DEP_1)
	v_rcp_iflag_f32_e32 v4, s14
	s_lshl_b32 s14, s17, 1
	v_sub_nc_u32_e32 v3, v3, v0
	s_delay_alu instid0(VALU_DEP_1) | instskip(NEXT) | instid1(TRANS32_DEP_1)
	v_cmp_ne_u32_e32 vcc_lo, s14, v3
	v_readfirstlane_b32 s20, v4
	v_cndmask_b32_e64 v4, 0, 1, vcc_lo
	s_mul_f32 s20, s20, 0x4f7ffffe
	s_delay_alu instid0(VALU_DEP_1) | instskip(NEXT) | instid1(SALU_CYCLE_2)
	v_or_b32_e32 v4, s14, v4
	s_cvt_u32_f32 s14, s20
	s_sub_co_i32 s20, 0, s17
	s_delay_alu instid0(SALU_CYCLE_2) | instskip(NEXT) | instid1(VALU_DEP_1)
	s_mul_i32 s20, s20, s14
	v_sub_nc_u32_e32 v3, v3, v4
	s_mul_hi_u32 s20, s14, s20
	s_delay_alu instid0(SALU_CYCLE_1)
	s_add_co_i32 s14, s14, s20
	s_delay_alu instid0(VALU_DEP_1) | instid1(SALU_CYCLE_1)
	v_mul_hi_u32 v4, v3, s14
	s_delay_alu instid0(VALU_DEP_1) | instskip(NEXT) | instid1(VALU_DEP_1)
	v_mul_lo_u32 v5, v4, s17
	v_dual_sub_nc_u32 v3, v3, v5 :: v_dual_add_nc_u32 v5, 1, v4
	s_delay_alu instid0(VALU_DEP_1) | instskip(SKIP_1) | instid1(VALU_DEP_1)
	v_subrev_nc_u32_e32 v6, s17, v3
	v_cmp_le_u32_e64 s14, s17, v3
	v_dual_cndmask_b32 v4, v4, v5, s14 :: v_dual_cndmask_b32 v3, v3, v6, s14
	s_delay_alu instid0(VALU_DEP_1) | instskip(NEXT) | instid1(VALU_DEP_2)
	v_add_nc_u32_e32 v5, 1, v4
	v_cmp_le_u32_e64 s14, s17, v3
	s_delay_alu instid0(VALU_DEP_1) | instskip(SKIP_2) | instid1(VALU_DEP_2)
	v_cndmask_b32_e64 v3, v4, v5, s14
	v_mul_lo_u32 v4, s62, v2
	s_abs_i32 s14, s18
	v_add_co_ci_u32_e64 v3, null, 0, v3, vcc_lo
	s_delay_alu instid0(VALU_DEP_1) | instskip(SKIP_2) | instid1(SALU_CYCLE_1)
	v_mul_hi_u32 v5, s14, v3
	v_mul_lo_u32 v3, s14, v3
	s_not_b32 s14, s18
	s_ashr_i32 s14, s14, 31
	s_cmp_eq_u32 s17, 1
	s_delay_alu instid0(VALU_DEP_4) | instskip(SKIP_1) | instid1(VALU_DEP_3)
	v_xor_b32_e32 v4, s14, v4
	s_cselect_b32 s20, -1, 0
	v_cmp_eq_u32_e32 vcc_lo, 0, v5
	s_delay_alu instid0(VALU_DEP_2) | instskip(SKIP_2) | instid1(SALU_CYCLE_1)
	v_cmp_le_u32_e64 s14, v3, v4
	v_mov_b32_e32 v3, v0
                                        ; implicit-def: $vgpr4
	s_and_b32 s20, vcc_lo, s20
	s_and_b32 s21, s20, s14
	s_mov_b32 s20, -1
	s_and_saveexec_b32 s14, s21
	s_cbranch_execz .LBB98_39
; %bb.30:                               ;   in Loop: Header=BB98_6 Depth=1
	v_dual_add_nc_u32 v5, 3, v2 :: v_dual_add_nc_u32 v4, 2, v2
	s_wait_loadcnt 0x0
	v_dual_add_nc_u32 v3, 1, v2 :: v_dual_lshlrev_b32 v41, 16, v16
	v_mov_b32_e32 v44, 0
                                        ; implicit-def: $vgpr16
	s_delay_alu instid0(VALU_DEP_3) | instskip(NEXT) | instid1(VALU_DEP_3)
	v_mov_b64_e32 v[8:9], v[4:5]
	v_mov_b64_e32 v[6:7], v[2:3]
	s_and_saveexec_b32 s20, s8
	s_cbranch_execz .LBB98_34
; %bb.31:                               ;   in Loop: Header=BB98_6 Depth=1
	v_mov_b64_e32 v[8:9], v[4:5]
	v_mov_b64_e32 v[6:7], v[2:3]
	v_dual_mov_b32 v42, v27 :: v_dual_mov_b32 v43, v22
	s_mov_b32 s21, 0
	s_mov_b32 s22, 0
.LBB98_32:                              ;   Parent Loop BB98_6 Depth=1
                                        ; =>  This Inner Loop Header: Depth=2
	s_delay_alu instid0(VALU_DEP_2) | instskip(SKIP_1) | instid1(VALU_DEP_4)
	v_mul_lo_u32 v16, v6, s62
	v_dual_mov_b32 v5, v17 :: v_dual_add_nc_u32 v3, 4, v6
	v_dual_add_nc_u32 v48, 4, v7 :: v_dual_add_nc_u32 v50, 4, v8
	v_mul_lo_u32 v46, v7, s79
	v_dual_mov_b32 v47, v17 :: v_dual_mov_b32 v45, v17
	s_delay_alu instid0(VALU_DEP_3)
	v_mul_lo_u32 v48, v48, s79
	v_dual_mov_b32 v49, v17 :: v_dual_add_nc_u32 v52, 4, v9
	v_lshl_add_u64 v[66:67], v[16:17], 1, v[12:13]
	v_mul_lo_u32 v16, v3, s62
	v_dual_add_nc_u32 v68, 8, v6 :: v_dual_add_nc_u32 v54, 8, v7
	v_dual_add_nc_u32 v60, 12, v7 :: v_dual_add_nc_u32 v62, 12, v8
	v_lshl_add_u64 v[46:47], v[46:47], 1, v[12:13]
	s_clause 0x1
	global_load_u16 v3, v[66:67], off
	global_load_u16 v70, v[46:47], off
	s_wait_xcnt 0x0
	v_lshl_add_u64 v[46:47], v[48:49], 1, v[12:13]
	v_lshl_add_u64 v[48:49], v[16:17], 1, v[12:13]
	v_mul_lo_u32 v16, v68, s62
	v_mul_lo_u32 v44, v8, s80
	v_dual_add_nc_u32 v56, 8, v8 :: v_dual_add_nc_u32 v58, 8, v9
	v_dual_mov_b32 v59, v17 :: v_dual_add_nc_u32 v69, 12, v6
	v_mul_lo_u32 v4, v9, s81
	v_dual_mov_b32 v61, v17 :: v_dual_add_nc_u32 v64, 12, v9
	v_mul_lo_u32 v62, v62, s80
	v_mul_lo_u32 v50, v50, s80
	;; [unrolled: 1-line block ×7, first 2 shown]
	v_lshl_add_u64 v[66:67], v[16:17], 1, v[12:13]
	v_mul_lo_u32 v16, v69, s62
	v_mul_lo_u32 v64, v64, s81
	v_dual_mov_b32 v63, v17 :: v_dual_mov_b32 v65, v17
	v_dual_mov_b32 v51, v17 :: v_dual_mov_b32 v53, v17
	;; [unrolled: 1-line block ×3, first 2 shown]
	v_lshl_add_u64 v[44:45], v[44:45], 1, v[12:13]
	v_lshl_add_u64 v[4:5], v[4:5], 1, v[12:13]
	;; [unrolled: 1-line block ×9, first 2 shown]
	s_clause 0x8
	global_load_u16 v45, v[44:45], off
	global_load_u16 v68, v[4:5], off
	;; [unrolled: 1-line block ×9, first 2 shown]
	v_lshl_add_u64 v[4:5], v[16:17], 1, v[12:13]
	v_lshl_add_u64 v[64:65], v[64:65], 1, v[12:13]
	s_clause 0x4
	global_load_u16 v56, v[62:63], off
	global_load_u16 v48, v[48:49], off
	;; [unrolled: 1-line block ×5, first 2 shown]
	s_add_co_i32 s22, s22, 16
	s_delay_alu instid0(SALU_CYCLE_1) | instskip(SKIP_2) | instid1(VALU_DEP_3)
	v_dual_add_nc_u32 v42, -4, v42 :: v_dual_mov_b32 v44, s22
	v_dual_add_nc_u32 v9, 16, v9 :: v_dual_add_nc_u32 v8, 16, v8
	v_dual_add_nc_u32 v7, 16, v7 :: v_dual_add_nc_u32 v6, 16, v6
	v_cmp_eq_u32_e32 vcc_lo, 0, v42
	s_or_b32 s21, vcc_lo, s21
	s_wait_loadcnt 0xf
	v_alignbit_b32 v46, v3, v41, 16
	s_wait_loadcnt 0xd
	v_perm_b32 v47, v45, v70, 0x5040100
	s_wait_loadcnt 0xa
	s_wait_xcnt 0x3
	v_perm_b32 v49, v50, v69, 0x5040100
	s_wait_loadcnt 0x7
	v_perm_b32 v51, v53, v51, 0x5040100
	s_wait_loadcnt 0x3
	v_perm_b32 v48, v48, v68, 0x5040100
	v_perm_b32 v53, v56, v55, 0x5040100
	s_wait_loadcnt 0x2
	v_perm_b32 v50, v57, v52, 0x5040100
	s_wait_loadcnt 0x1
	;; [unrolled: 2-line block ×3, first 2 shown]
	v_perm_b32 v41, v16, v56, 0x5040100
	ds_store_b128 v43, v[46:49]
	ds_store_b128 v43, v[50:53] offset:16
	v_add_nc_u32_e32 v43, 32, v43
	s_wait_xcnt 0x0
	s_and_not1_b32 exec_lo, exec_lo, s21
	s_cbranch_execnz .LBB98_32
; %bb.33:                               ;   in Loop: Header=BB98_6 Depth=1
	s_or_b32 exec_lo, exec_lo, s21
.LBB98_34:                              ;   in Loop: Header=BB98_6 Depth=1
	s_delay_alu instid0(SALU_CYCLE_1)
	s_or_b32 exec_lo, exec_lo, s20
	s_and_saveexec_b32 s20, s9
	s_cbranch_execz .LBB98_38
; %bb.35:                               ;   in Loop: Header=BB98_6 Depth=1
	v_lshl_add_u32 v3, v44, 1, v22
	v_mov_b32_e32 v4, v29
	s_mov_b32 s21, 0
.LBB98_36:                              ;   Parent Loop BB98_6 Depth=1
                                        ; =>  This Inner Loop Header: Depth=2
	v_mul_lo_u32 v42, v7, s79
	v_mul_lo_u32 v44, v8, s80
	;; [unrolled: 1-line block ×4, first 2 shown]
	v_dual_mov_b32 v43, v17 :: v_dual_mov_b32 v45, v17
	v_dual_mov_b32 v47, v17 :: v_dual_add_nc_u32 v9, 4, v9
	v_dual_add_nc_u32 v4, -8, v4 :: v_dual_add_nc_u32 v6, 4, v6
	v_dual_add_nc_u32 v8, 4, v8 :: v_dual_add_nc_u32 v7, 4, v7
	s_delay_alu instid0(VALU_DEP_4)
	v_lshl_add_u64 v[42:43], v[42:43], 1, v[12:13]
	v_lshl_add_u64 v[44:45], v[44:45], 1, v[12:13]
	;; [unrolled: 1-line block ×4, first 2 shown]
	s_clause 0x3
	global_load_u16 v5, v[42:43], off
	global_load_u16 v44, v[44:45], off
	;; [unrolled: 1-line block ×4, first 2 shown]
	v_cmp_eq_u32_e32 vcc_lo, 0, v4
	s_or_b32 s21, vcc_lo, s21
	s_wait_loadcnt 0x2
	v_perm_b32 v43, v44, v5, 0x5040100
	s_wait_loadcnt 0x1
	v_alignbit_b32 v42, v42, v41, 16
	s_wait_loadcnt 0x0
	v_perm_b32 v41, v16, v44, 0x5040100
	ds_store_b64 v3, v[42:43]
	v_add_nc_u32_e32 v3, 8, v3
	s_and_not1_b32 exec_lo, exec_lo, s21
	s_cbranch_execnz .LBB98_36
; %bb.37:                               ;   in Loop: Header=BB98_6 Depth=1
	s_or_b32 exec_lo, exec_lo, s21
.LBB98_38:                              ;   in Loop: Header=BB98_6 Depth=1
	s_delay_alu instid0(SALU_CYCLE_1) | instskip(SKIP_2) | instid1(VALU_DEP_1)
	s_or_b32 exec_lo, exec_lo, s20
	v_dual_mov_b32 v3, v25 :: v_dual_add_nc_u32 v2, v2, v19
	s_or_not1_b32 s20, s10, exec_lo
	v_add_nc_u32_e32 v4, -1, v2
.LBB98_39:                              ;   in Loop: Header=BB98_6 Depth=1
	s_or_b32 exec_lo, exec_lo, s14
	v_mov_b32_e32 v5, s18
	s_and_b32 s14, s20, exec_lo
	s_and_not1_saveexec_b32 s19, s19
	s_cbranch_execz .LBB98_25
.LBB98_40:                              ;   in Loop: Header=BB98_6 Depth=1
	v_dual_mov_b32 v5, s18 :: v_dual_mov_b32 v3, v0
	s_or_b32 s14, s14, exec_lo
	s_or_b32 exec_lo, exec_lo, s19
	s_and_saveexec_b32 s18, s14
	s_cbranch_execz .LBB98_44
.LBB98_41:                              ;   in Loop: Header=BB98_6 Depth=1
	v_mul_lo_u32 v4, s62, v2
	s_mov_b32 s19, 0
	s_sub_co_i32 s14, 0, s17
.LBB98_42:                              ;   Parent Loop BB98_6 Depth=1
                                        ; =>  This Inner Loop Header: Depth=2
	v_readfirstlane_b32 s20, v12
	v_readfirstlane_b32 s21, v13
	s_wait_loadcnt 0x0
	v_dual_mov_b32 v6, v16 :: v_dual_mov_b32 v7, v2
	v_lshlrev_b32_e32 v8, 1, v3
	global_load_u16 v16, v4, s[20:21] scale_offset
	s_wait_xcnt 0x0
	v_dual_add_nc_u32 v4, v4, v5 :: v_dual_add_nc_u32 v2, s17, v7
	v_mov_b32_e32 v3, v7
	ds_store_b16 v8, v6
	v_cmp_le_u32_e32 vcc_lo, s36, v2
	s_or_b32 s19, vcc_lo, s19
	s_delay_alu instid0(SALU_CYCLE_1)
	s_and_not1_b32 exec_lo, exec_lo, s19
	s_cbranch_execnz .LBB98_42
; %bb.43:                               ;   in Loop: Header=BB98_6 Depth=1
	s_or_b32 exec_lo, exec_lo, s19
	v_add_nc_u32_e32 v4, s14, v2
.LBB98_44:                              ;   in Loop: Header=BB98_6 Depth=1
	s_or_b32 exec_lo, exec_lo, s18
.LBB98_45:                              ;   in Loop: Header=BB98_6 Depth=1
	s_delay_alu instid0(SALU_CYCLE_1) | instskip(NEXT) | instid1(VALU_DEP_1)
	s_or_b32 exec_lo, exec_lo, s16
	v_lshlrev_b32_e32 v2, 1, v4
	s_wait_loadcnt 0x0
	ds_store_b16 v2, v16
.LBB98_46:                              ;   in Loop: Header=BB98_6 Depth=1
	s_or_b32 exec_lo, exec_lo, s15
	s_wait_dscnt 0x0
	s_barrier_signal -1
	s_barrier_wait -1
	s_and_saveexec_b32 s14, s5
; %bb.47:                               ;   in Loop: Header=BB98_6 Depth=1
	v_mov_b32_e32 v2, s36
	ds_store_b32 v17, v2 offset:4096
; %bb.48:                               ;   in Loop: Header=BB98_6 Depth=1
	s_or_b32 exec_lo, exec_lo, s14
	s_mov_b32 s14, -1
	s_wait_dscnt 0x0
	s_barrier_signal -1
	s_barrier_wait -1
.LBB98_49:                              ;   in Loop: Header=BB98_6 Depth=1
	s_and_b32 vcc_lo, exec_lo, s14
	s_mov_b32 s38, 0
	s_cbranch_vccz .LBB98_51
; %bb.50:                               ;   in Loop: Header=BB98_6 Depth=1
	ds_load_b32 v2, v17 offset:4096
	s_wait_dscnt 0x0
	v_readfirstlane_b32 s38, v2
.LBB98_51:                              ;   in Loop: Header=BB98_6 Depth=1
	s_delay_alu instid0(VALU_DEP_1)
	s_cmp_lt_i32 s38, 1
	s_mov_b32 s14, -1
                                        ; implicit-def: $vgpr4_vgpr5
	s_cbranch_scc1 .LBB98_64
; %bb.52:                               ;   in Loop: Header=BB98_6 Depth=1
	s_and_b32 vcc_lo, exec_lo, s14
	s_cbranch_vccnz .LBB98_75
.LBB98_53:                              ;   in Loop: Header=BB98_6 Depth=1
	s_lshl_b32 s16, s91, 7
	s_and_saveexec_b32 s14, s2
.LBB98_54:                              ;   in Loop: Header=BB98_6 Depth=1
	v_lshl_add_u32 v6, s16, 2, v24
	ds_store_b128 v6, v[2:5]
.LBB98_55:                              ;   in Loop: Header=BB98_6 Depth=1
	s_or_b32 exec_lo, exec_lo, s14
	s_wait_dscnt 0x0
	s_barrier_signal -1
	s_barrier_wait -1
	s_and_saveexec_b32 s17, s66
	s_cbranch_execz .LBB98_88
; %bb.56:                               ;   in Loop: Header=BB98_6 Depth=1
	v_dual_add_nc_u32 v4, s16, v11 :: v_dual_mov_b32 v2, 0
	s_and_not1_b32 vcc_lo, exec_lo, s69
	s_cbranch_vccnz .LBB98_87
; %bb.57:                               ;   in Loop: Header=BB98_6 Depth=1
	s_and_not1_b32 vcc_lo, exec_lo, s72
	s_cbranch_vccnz .LBB98_84
; %bb.58:                               ;   in Loop: Header=BB98_6 Depth=1
	v_lshl_add_u32 v5, v4, 2, 0xc00
	s_and_not1_b32 vcc_lo, exec_lo, s75
	s_cbranch_vccnz .LBB98_114
; %bb.59:                               ;   in Loop: Header=BB98_6 Depth=1
	v_dual_mov_b32 v2, 0 :: v_dual_mov_b32 v3, 0
	s_mov_b32 s15, 1
	s_mov_b32 s14, 0
	;; [unrolled: 1-line block ×3, first 2 shown]
.LBB98_60:                              ;   Parent Loop BB98_6 Depth=1
                                        ; =>  This Inner Loop Header: Depth=2
	v_lshl_add_u32 v16, s15, 4, v5
	v_lshl_add_u32 v41, s14, 4, v5
	s_add_co_i32 s18, s18, -8
	s_add_co_i32 s15, s15, 16
	s_add_co_i32 s14, s14, 16
	ds_load_2addr_b32 v[6:7], v16 offset1:8
	ds_load_2addr_b32 v[8:9], v41 offset1:8
	ds_load_2addr_b32 v[42:43], v16 offset0:16 offset1:24
	ds_load_2addr_b32 v[44:45], v41 offset0:16 offset1:24
	;; [unrolled: 1-line block ×6, first 2 shown]
	s_cmp_lg_u32 s18, 0
	s_wait_dscnt 0x7
	v_add3_u32 v3, v6, v3, v7
	s_wait_dscnt 0x6
	v_add3_u32 v2, v8, v2, v9
	s_wait_dscnt 0x5
	s_delay_alu instid0(VALU_DEP_2) | instskip(SKIP_1) | instid1(VALU_DEP_2)
	v_add3_u32 v3, v42, v3, v43
	s_wait_dscnt 0x4
	v_add3_u32 v2, v44, v2, v45
	s_wait_dscnt 0x3
	s_delay_alu instid0(VALU_DEP_2) | instskip(SKIP_1) | instid1(VALU_DEP_2)
	;; [unrolled: 5-line block ×3, first 2 shown]
	v_add3_u32 v3, v50, v3, v51
	s_wait_dscnt 0x0
	v_add3_u32 v2, v52, v2, v53
	s_cbranch_scc1 .LBB98_60
; %bb.61:                               ;   in Loop: Header=BB98_6 Depth=1
	s_and_not1_b32 vcc_lo, exec_lo, s77
	s_mov_b32 s18, s74
	s_cbranch_vccnz .LBB98_63
.LBB98_62:                              ;   Parent Loop BB98_6 Depth=1
                                        ; =>  This Inner Loop Header: Depth=2
	v_lshl_add_u32 v6, s15, 4, v5
	v_lshl_add_u32 v7, s14, 4, v5
	s_add_co_i32 s18, s18, -1
	s_add_co_i32 s15, s15, 2
	s_add_co_i32 s14, s14, 2
	ds_load_b32 v6, v6
	ds_load_b32 v7, v7
	s_cmp_lg_u32 s18, 0
	s_wait_dscnt 0x0
	v_dual_add_nc_u32 v3, v6, v3 :: v_dual_add_nc_u32 v2, v7, v2
	s_cbranch_scc1 .LBB98_62
.LBB98_63:                              ;   in Loop: Header=BB98_6 Depth=1
	s_delay_alu instid0(VALU_DEP_1) | instskip(SKIP_2) | instid1(SALU_CYCLE_1)
	v_add_nc_u32_e32 v2, v2, v3
	s_mov_b32 s14, s73
	s_mov_b32 s15, s78
	s_and_b32 vcc_lo, exec_lo, s15
	s_cbranch_vccnz .LBB98_85
	s_branch .LBB98_87
.LBB98_64:                              ;   in Loop: Header=BB98_6 Depth=1
	v_mov_b64_e32 v[4:5], 0
	v_mov_b64_e32 v[2:3], 0
	s_and_saveexec_b32 s101, s11
	s_cbranch_execz .LBB98_68
; %bb.65:                               ;   in Loop: Header=BB98_6 Depth=1
	v_mov_b32_e32 v6, v1
	s_mov_b32 s102, 0
	s_mov_b32 s103, 0
	;; [unrolled: 1-line block ×6, first 2 shown]
.LBB98_66:                              ;   Parent Loop BB98_6 Depth=1
                                        ; =>  This Inner Loop Header: Depth=2
	v_dual_add_nc_u32 v2, s103, v33 :: v_dual_add_nc_u32 v3, s103, v30
	v_readfirstlane_b32 s14, v12
	v_readfirstlane_b32 s15, v13
	v_dual_add_nc_u32 v4, s103, v31 :: v_dual_add_nc_u32 v5, s103, v32
	s_clause 0x3
	global_load_u16 v2, v2, s[14:15] scale_offset
	global_load_u16 v3, v3, s[14:15] scale_offset
	;; [unrolled: 1-line block ×4, first 2 shown]
	s_add_co_i32 s103, s103, s84
	s_wait_loadcnt 0x3
	s_wait_xcnt 0x0
	v_cmp_lt_i16_e64 s14, -1, v2
	v_and_b32_e32 v7, 0xffff, v2
	s_wait_loadcnt 0x2
	v_and_b32_e32 v9, 0xffff, v3
	s_wait_loadcnt 0x1
	v_and_b32_e32 v41, 0xffff, v4
	v_cmp_o_f16_e64 s17, v2, v2
	v_cndmask_b32_e64 v8, 0xffff, v37, s14
	v_cmp_lt_i16_e64 s14, -1, v3
	v_add_nc_u32_e32 v6, s67, v6
	s_wait_loadcnt 0x0
	v_and_b32_e32 v43, 0xffff, v5
	v_cmp_o_f16_e64 s15, v4, v4
	v_xor_b32_e32 v7, v8, v7
	v_cndmask_b32_e64 v16, 0xffff, v37, s14
	v_cmp_lt_i16_e64 s14, -1, v4
	v_cmp_o_f16_e64 s16, v5, v5
	v_cmp_le_u32_e32 vcc_lo, s82, v6
	v_cndmask_b32_e64 v2, 0xffff, v7, s17
	v_xor_b32_e32 v8, v16, v9
	v_cndmask_b32_e64 v42, 0xffff, v37, s14
	v_cmp_lt_i16_e64 s14, -1, v5
	s_delay_alu instid0(VALU_DEP_4) | instskip(SKIP_1) | instid1(VALU_DEP_3)
	v_and_b32_e32 v7, v2, v38
	v_bfe_u32 v2, v2, s87, 2
	v_cndmask_b32_e64 v44, 0xffff, v37, s14
	v_cmp_o_f16_e64 s14, v3, v3
	v_xor_b32_e32 v3, v42, v41
	s_delay_alu instid0(VALU_DEP_4)
	v_cmp_eq_u32_e64 s18, 0, v2
	v_cmp_eq_u32_e64 s22, 1, v2
	v_xor_b32_e32 v4, v44, v43
	v_cndmask_b32_e64 v5, 0xffff, v8, s14
	v_cndmask_b32_e64 v3, 0xffff, v3, s15
	v_cmp_eq_u32_e64 s14, v7, v28
	v_cmp_eq_u32_e64 s26, 2, v2
	v_cndmask_b32_e64 v4, 0xffff, v4, s16
	v_and_b32_e32 v8, v5, v38
	v_bfe_u32 v5, v5, s87, 2
	v_and_b32_e32 v9, v3, v38
	v_bfe_u32 v3, v3, s87, 2
	v_and_b32_e32 v16, v4, v38
	v_bfe_u32 v4, v4, s87, 2
	v_cmp_eq_u32_e64 s15, v8, v28
	v_cmp_eq_u32_e64 s19, 0, v5
	;; [unrolled: 1-line block ×4, first 2 shown]
	s_and_b32 s18, s14, s18
	v_cmp_eq_u32_e64 s17, v16, v28
	v_cmp_eq_u32_e64 s21, 0, v4
	v_cmp_eq_u32_e64 s30, 3, v2
	v_cndmask_b32_e64 v2, 0, 1, s18
	s_and_b32 s18, s15, s19
	v_cmp_eq_u32_e64 s24, 1, v3
	v_cmp_eq_u32_e64 s28, 2, v3
	;; [unrolled: 1-line block ×3, first 2 shown]
	v_cndmask_b32_e64 v3, 0, 1, s18
	s_and_b32 s18, s16, s20
	v_cmp_eq_u32_e64 s23, 1, v5
	v_cmp_eq_u32_e64 s25, 1, v4
	;; [unrolled: 1-line block ×4, first 2 shown]
	v_cndmask_b32_e64 v4, 0, 1, s18
	s_and_b32 s18, s17, s21
	v_cmp_eq_u32_e64 s27, 2, v5
	v_cmp_eq_u32_e64 s31, 3, v5
	v_cndmask_b32_e64 v5, 0, 1, s18
	s_and_b32 s18, s14, s22
	s_delay_alu instid0(SALU_CYCLE_1) | instskip(SKIP_1) | instid1(SALU_CYCLE_1)
	v_cndmask_b32_e64 v7, 0, 1, s18
	s_and_b32 s18, s15, s23
	v_cndmask_b32_e64 v8, 0, 1, s18
	s_and_b32 s18, s16, s24
	s_delay_alu instid0(SALU_CYCLE_1) | instskip(SKIP_1) | instid1(VALU_DEP_2)
	v_cndmask_b32_e64 v9, 0, 1, s18
	s_and_b32 s18, s17, s25
	v_cmp_ne_u32_e64 s19, 0, v8
	v_cndmask_b32_e64 v16, 0, 1, s18
	s_and_b32 s18, s14, s26
	s_and_b32 s14, s14, s30
	v_cndmask_b32_e64 v41, 0, 1, s18
	s_and_b32 s18, s15, s27
	v_cndmask_b32_e64 v45, 0, 1, s14
	s_and_b32 s14, s15, s31
	v_cndmask_b32_e64 v42, 0, 1, s18
	s_and_b32 s18, s16, s28
	v_cndmask_b32_e64 v46, 0, 1, s14
	s_and_b32 s14, s16, s33
	v_cndmask_b32_e64 v43, 0, 1, s18
	s_and_b32 s18, s17, s29
	v_cndmask_b32_e64 v47, 0, 1, s14
	s_and_b32 s14, s17, s34
	v_cndmask_b32_e64 v44, 0, 1, s18
	v_cndmask_b32_e64 v48, 0, 1, s14
	v_cmp_ne_u32_e64 s14, 0, v2
	v_cmp_ne_u32_e64 s18, 0, v7
	;; [unrolled: 1-line block ×11, first 2 shown]
	s_bcnt1_i32_b32 s14, s14
	s_bcnt1_i32_b32 s18, s18
	;; [unrolled: 1-line block ×4, first 2 shown]
	v_cmp_ne_u32_e64 s17, 0, v5
	v_cmp_ne_u32_e64 s21, 0, v16
	;; [unrolled: 1-line block ×4, first 2 shown]
	s_bcnt1_i32_b32 s15, s15
	s_bcnt1_i32_b32 s19, s19
	s_bcnt1_i32_b32 s23, s23
	s_bcnt1_i32_b32 s27, s27
	s_add_co_i32 s14, s14, s58
	s_add_co_i32 s18, s18, s59
	s_add_co_i32 s22, s22, s60
	s_add_co_i32 s26, s26, s61
	s_bcnt1_i32_b32 s16, s16
	s_bcnt1_i32_b32 s20, s20
	s_bcnt1_i32_b32 s24, s24
	s_bcnt1_i32_b32 s28, s28
	s_add_co_i32 s18, s18, s19
	s_add_co_i32 s14, s14, s15
	s_add_co_i32 s15, s26, s27
	s_add_co_i32 s19, s22, s23
	;; [unrolled: 8-line block ×3, first 2 shown]
	s_add_co_i32 s59, s16, s21
	s_add_co_i32 s58, s14, s17
	;; [unrolled: 1-line block ×4, first 2 shown]
	v_mov_b64_e32 v[2:3], s[58:59]
	v_mov_b64_e32 v[4:5], s[60:61]
	s_or_b32 s102, vcc_lo, s102
	s_delay_alu instid0(SALU_CYCLE_1)
	s_and_not1_b32 exec_lo, exec_lo, s102
	s_cbranch_execnz .LBB98_66
; %bb.67:                               ;   in Loop: Header=BB98_6 Depth=1
	s_or_b32 exec_lo, exec_lo, s102
.LBB98_68:                              ;   in Loop: Header=BB98_6 Depth=1
	s_delay_alu instid0(SALU_CYCLE_1)
	s_or_b32 exec_lo, exec_lo, s101
	s_and_saveexec_b32 s18, s12
	s_cbranch_execz .LBB98_74
; %bb.69:                               ;   in Loop: Header=BB98_6 Depth=1
	global_load_u16 v9, v[20:21], off
	v_dual_mov_b32 v6, v34 :: v_dual_mov_b32 v7, v26
	s_mov_b32 s19, 0
	s_branch .LBB98_71
.LBB98_70:                              ;   in Loop: Header=BB98_71 Depth=2
	s_wait_xcnt 0x0
	s_or_b32 exec_lo, exec_lo, s15
	s_wait_loadcnt 0x0
	v_cmp_lt_i16_e64 s14, -1, v9
	v_and_b32_e32 v16, 0xffff, v9
	s_and_b32 s15, exec_lo, vcc_lo
	v_add_nc_u32_e32 v6, s50, v6
	s_or_b32 s19, s15, s19
	v_cndmask_b32_e64 v41, 0xffff, v37, s14
	v_cmp_o_f16_e64 s14, v9, v9
	s_delay_alu instid0(VALU_DEP_2) | instskip(NEXT) | instid1(VALU_DEP_1)
	v_xor_b32_e32 v16, v41, v16
	v_cndmask_b32_e64 v9, 0xffff, v16, s14
	s_delay_alu instid0(VALU_DEP_1) | instskip(SKIP_1) | instid1(VALU_DEP_2)
	v_and_b32_e32 v16, v9, v38
	v_bfe_u32 v9, v9, s87, 2
	v_cmp_eq_u32_e32 vcc_lo, v16, v28
	s_delay_alu instid0(VALU_DEP_2) | instskip(SKIP_4) | instid1(SALU_CYCLE_1)
	v_cmp_eq_u32_e64 s14, 0, v9
	v_cmp_eq_u32_e64 s15, 1, v9
	;; [unrolled: 1-line block ×4, first 2 shown]
	s_and_b32 s14, vcc_lo, s14
	v_cndmask_b32_e64 v9, 0, 1, s14
	s_and_b32 s14, vcc_lo, s15
	s_delay_alu instid0(SALU_CYCLE_1) | instskip(SKIP_1) | instid1(SALU_CYCLE_1)
	v_cndmask_b32_e64 v16, 0, 1, s14
	s_and_b32 s14, vcc_lo, s16
	v_cndmask_b32_e64 v41, 0, 1, s14
	s_and_b32 s14, vcc_lo, s17
	v_cmp_ne_u32_e32 vcc_lo, 0, v9
	v_cndmask_b32_e64 v42, 0, 1, s14
	v_cmp_ne_u32_e64 s14, 0, v16
	v_cmp_ne_u32_e64 s15, 0, v41
	v_mov_b32_e32 v9, v8
	s_bcnt1_i32_b32 s17, vcc_lo
	v_cmp_ne_u32_e64 s16, 0, v42
	s_bcnt1_i32_b32 s14, s14
	s_bcnt1_i32_b32 s15, s15
	s_delay_alu instid0(SALU_CYCLE_1) | instskip(SKIP_1) | instid1(SALU_CYCLE_1)
	v_dual_add_nc_u32 v3, s14, v3 :: v_dual_add_nc_u32 v4, s15, v4
	s_bcnt1_i32_b32 s16, s16
	v_dual_add_nc_u32 v2, s17, v2 :: v_dual_add_nc_u32 v5, s16, v5
	s_and_not1_b32 exec_lo, exec_lo, s19
	s_cbranch_execz .LBB98_73
.LBB98_71:                              ;   Parent Loop BB98_6 Depth=1
                                        ; =>  This Inner Loop Header: Depth=2
	s_delay_alu instid0(VALU_DEP_1) | instskip(SKIP_1) | instid1(VALU_DEP_1)
	v_dual_mov_b32 v8, 0 :: v_dual_add_nc_u32 v7, s41, v7
	s_mov_b32 s15, exec_lo
	v_cmp_le_u32_e32 vcc_lo, s36, v7
	s_wait_xcnt 0x0
	v_cmpx_gt_u32_e64 s36, v7
	s_cbranch_execz .LBB98_70
; %bb.72:                               ;   in Loop: Header=BB98_71 Depth=2
	v_readfirstlane_b32 s16, v12
	v_readfirstlane_b32 s17, v13
	global_load_u16 v8, v6, s[16:17] scale_offset
	s_branch .LBB98_70
.LBB98_73:                              ;   in Loop: Header=BB98_6 Depth=1
	s_or_b32 exec_lo, exec_lo, s19
.LBB98_74:                              ;   in Loop: Header=BB98_6 Depth=1
	s_delay_alu instid0(SALU_CYCLE_1)
	s_or_b32 exec_lo, exec_lo, s18
	s_branch .LBB98_53
.LBB98_75:                              ;   in Loop: Header=BB98_6 Depth=1
	s_mul_u64 s[14:15], s[38:39], s[52:53]
	v_mov_b64_e32 v[4:5], 0
	s_mul_i32 s14, s15, s67
	v_mov_b64_e32 v[2:3], 0
	s_sub_co_i32 s14, s38, s14
	s_mov_b32 s34, exec_lo
	s_sub_co_i32 s15, s14, s67
	s_cmp_ge_u32 s14, s67
	s_cselect_b32 s14, s15, s14
	s_delay_alu instid0(SALU_CYCLE_1) | instskip(SKIP_2) | instid1(SALU_CYCLE_1)
	s_sub_co_i32 s15, s14, s67
	s_cmp_ge_u32 s14, s67
	s_cselect_b32 s14, s15, s14
	s_sub_co_i32 s33, s38, s14
	s_delay_alu instid0(SALU_CYCLE_1)
	v_cmpx_gt_u32_e64 s33, v1
	s_cbranch_execz .LBB98_79
; %bb.76:                               ;   in Loop: Header=BB98_6 Depth=1
	v_dual_mov_b32 v6, v35 :: v_dual_mov_b32 v7, v1
	s_mov_b32 s58, 0
	s_mov_b32 s28, 0
	;; [unrolled: 1-line block ×5, first 2 shown]
.LBB98_77:                              ;   Parent Loop BB98_6 Depth=1
                                        ; =>  This Inner Loop Header: Depth=2
	ds_load_b64 v[2:3], v6
	v_dual_add_nc_u32 v7, s67, v7 :: v_dual_add_nc_u32 v6, s85, v6
	s_delay_alu instid0(VALU_DEP_1) | instskip(SKIP_3) | instid1(VALU_DEP_2)
	v_cmp_le_u32_e32 vcc_lo, s33, v7
	s_wait_dscnt 0x0
	v_cmp_lt_i16_e64 s14, -1, v2
	v_dual_lshrrev_b32 v5, 16, v2 :: v_dual_lshrrev_b32 v9, 16, v3
	v_cndmask_b32_e64 v4, 0xffff, v37, s14
	v_cmp_lt_i16_e64 s14, -1, v3
	s_delay_alu instid0(VALU_DEP_3) | instskip(NEXT) | instid1(VALU_DEP_3)
	v_cmp_lt_i16_e64 s15, -1, v9
	v_bitop3_b32 v4, v4, v2, 0xffff bitop3:0x78
	s_delay_alu instid0(VALU_DEP_3) | instskip(SKIP_1) | instid1(VALU_DEP_2)
	v_cndmask_b32_e64 v8, 0xffff, v37, s14
	v_cmp_lt_i16_e64 s14, -1, v5
	v_bitop3_b32 v8, v8, v3, 0xffff bitop3:0x78
	s_delay_alu instid0(VALU_DEP_2) | instskip(SKIP_3) | instid1(VALU_DEP_3)
	v_cndmask_b32_e64 v16, 0xffff, v37, s14
	v_cmp_o_f16_e64 s14, v3, v3
	v_cndmask_b32_e64 v3, 0xffff, v37, s15
	v_cmp_o_f16_e64 s15, v2, v2
	v_cndmask_b32_e64 v8, 0xffff, v8, s14
	s_delay_alu instid0(VALU_DEP_3) | instskip(NEXT) | instid1(VALU_DEP_3)
	v_xor_b32_e32 v3, v3, v9
	v_cndmask_b32_e64 v2, 0xffff, v4, s15
	v_xor_b32_e32 v4, v16, v5
	v_cmp_o_f16_e64 s14, v9, v9
	v_cmp_o_f16_e64 s15, v5, v5
	v_and_b32_e32 v9, v8, v38
	v_and_b32_e32 v5, v2, v38
	v_bfe_u32 v2, v2, s87, 2
	v_bfe_u32 v8, v8, s87, 2
	v_cndmask_b32_e64 v4, 0xffff, v4, s15
	v_cndmask_b32_e64 v3, 0xffff, v3, s14
	v_cmp_eq_u32_e64 s14, v5, v28
	v_cmp_eq_u32_e64 s16, 0, v2
	;; [unrolled: 1-line block ×8, first 2 shown]
	v_and_b32_e32 v5, v4, v38
	v_and_b32_e32 v9, v3, v38
	v_bfe_u32 v4, v4, s87, 2
	v_bfe_u32 v3, v3, s87, 2
	v_cmp_eq_u32_e64 s22, 3, v2
	s_and_b32 s16, s14, s16
	s_and_b32 s18, s14, s18
	;; [unrolled: 1-line block ×3, first 2 shown]
	v_cmp_eq_u32_e64 s23, 3, v8
	v_cndmask_b32_e64 v2, 0, 1, s16
	s_and_b32 s16, s15, s17
	v_cndmask_b32_e64 v8, 0, 1, s18
	s_and_b32 s18, s15, s19
	;; [unrolled: 2-line block ×3, first 2 shown]
	v_cmp_eq_u32_e64 s24, v5, v28
	v_cmp_eq_u32_e64 s25, v9, v28
	;; [unrolled: 1-line block ×4, first 2 shown]
	v_cndmask_b32_e64 v5, 0, 1, s16
	v_cmp_eq_u32_e64 s16, 1, v4
	v_cmp_eq_u32_e64 s17, 1, v3
	v_cndmask_b32_e64 v9, 0, 1, s18
	v_cmp_eq_u32_e64 s18, 2, v4
	v_cmp_eq_u32_e64 s19, 2, v3
	v_cndmask_b32_e64 v41, 0, 1, s20
	v_cmp_eq_u32_e64 s20, 3, v4
	s_and_b32 s14, s14, s22
	v_cmp_eq_u32_e64 s21, 3, v3
	v_cndmask_b32_e64 v3, 0, 1, s14
	s_and_b32 s14, s15, s23
	s_and_b32 s15, s24, s26
	;; [unrolled: 1-line block ×8, first 2 shown]
	v_cndmask_b32_e64 v4, 0, 1, s14
	v_cmp_ne_u32_e64 s14, 0, v2
	v_cndmask_b32_e64 v2, 0, 1, s15
	v_cmp_ne_u32_e64 s15, 0, v5
	;; [unrolled: 2-line block ×7, first 2 shown]
	v_cndmask_b32_e64 v3, 0, 1, s20
	s_and_b32 s21, s25, s21
	v_cmp_ne_u32_e64 s20, 0, v4
	v_cndmask_b32_e64 v4, 0, 1, s21
	s_bcnt1_i32_b32 s23, s14
	v_cmp_ne_u32_e64 s14, 0, v2
	v_cmp_ne_u32_e64 s21, 0, v8
	s_bcnt1_i32_b32 s26, s17
	v_cmp_ne_u32_e64 s17, 0, v16
	s_bcnt1_i32_b32 s44, s19
	;; [unrolled: 2-line block ×3, first 2 shown]
	s_bcnt1_i32_b32 s24, s15
	v_cmp_ne_u32_e64 s15, 0, v5
	s_bcnt1_i32_b32 s25, s16
	v_cmp_ne_u32_e64 s16, 0, v9
	;; [unrolled: 2-line block ×4, first 2 shown]
	s_add_co_i32 s23, s23, s28
	s_add_co_i32 s22, s22, s29
	;; [unrolled: 1-line block ×4, first 2 shown]
	s_bcnt1_i32_b32 s14, s14
	s_bcnt1_i32_b32 s21, s21
	s_bcnt1_i32_b32 s17, s17
	s_bcnt1_i32_b32 s19, s19
	s_add_co_i32 s21, s22, s21
	s_add_co_i32 s14, s23, s14
	;; [unrolled: 1-line block ×4, first 2 shown]
	s_bcnt1_i32_b32 s15, s15
	s_bcnt1_i32_b32 s16, s16
	s_bcnt1_i32_b32 s18, s18
	s_bcnt1_i32_b32 s20, s20
	s_add_co_i32 s14, s14, s24
	s_add_co_i32 s21, s21, s25
	;; [unrolled: 1-line block ×8, first 2 shown]
	v_mov_b64_e32 v[2:3], s[28:29]
	v_mov_b64_e32 v[4:5], s[30:31]
	s_or_b32 s58, vcc_lo, s58
	s_delay_alu instid0(SALU_CYCLE_1)
	s_and_not1_b32 exec_lo, exec_lo, s58
	s_cbranch_execnz .LBB98_77
; %bb.78:                               ;   in Loop: Header=BB98_6 Depth=1
	s_or_b32 exec_lo, exec_lo, s58
.LBB98_79:                              ;   in Loop: Header=BB98_6 Depth=1
	s_delay_alu instid0(SALU_CYCLE_1) | instskip(SKIP_2) | instid1(VALU_DEP_1)
	s_or_b32 exec_lo, exec_lo, s34
	v_add_nc_u32_e32 v6, s33, v0
	s_mov_b32 s19, exec_lo
	v_cmpx_gt_u32_e64 s38, v6
	s_cbranch_execz .LBB98_83
; %bb.80:                               ;   in Loop: Header=BB98_6 Depth=1
	v_lshlrev_b32_e32 v7, 1, v6
	s_mov_b32 s20, 0
.LBB98_81:                              ;   Parent Loop BB98_6 Depth=1
                                        ; =>  This Inner Loop Header: Depth=2
	ds_load_u16 v8, v7
	v_dual_add_nc_u32 v6, s41, v6 :: v_dual_add_nc_u32 v7, s86, v7
	s_delay_alu instid0(VALU_DEP_1) | instskip(SKIP_3) | instid1(VALU_DEP_2)
	v_cmp_le_u32_e32 vcc_lo, s38, v6
	s_wait_dscnt 0x0
	v_cmp_lt_i16_e64 s14, -1, v8
	v_and_b32_e32 v9, 0xffff, v8
	v_cndmask_b32_e64 v16, 0xffff, v37, s14
	v_cmp_o_f16_e64 s14, v8, v8
	s_delay_alu instid0(VALU_DEP_2) | instskip(NEXT) | instid1(VALU_DEP_1)
	v_xor_b32_e32 v9, v16, v9
	v_cndmask_b32_e64 v8, 0xffff, v9, s14
	s_delay_alu instid0(VALU_DEP_1) | instskip(SKIP_1) | instid1(VALU_DEP_2)
	v_and_b32_e32 v9, v8, v38
	v_bfe_u32 v8, v8, s87, 2
	v_cmp_eq_u32_e64 s14, v9, v28
	s_delay_alu instid0(VALU_DEP_2) | instskip(SKIP_4) | instid1(SALU_CYCLE_1)
	v_cmp_eq_u32_e64 s15, 0, v8
	v_cmp_eq_u32_e64 s16, 1, v8
	;; [unrolled: 1-line block ×4, first 2 shown]
	s_and_b32 s15, s14, s15
	v_cndmask_b32_e64 v8, 0, 1, s15
	s_and_b32 s15, s14, s16
	s_delay_alu instid0(SALU_CYCLE_1)
	v_cndmask_b32_e64 v9, 0, 1, s15
	s_and_b32 s15, s14, s17
	s_and_b32 s14, s14, s18
	v_cndmask_b32_e64 v16, 0, 1, s15
	v_cndmask_b32_e64 v41, 0, 1, s14
	v_cmp_ne_u32_e64 s14, 0, v8
	v_cmp_ne_u32_e64 s15, 0, v9
	s_delay_alu instid0(VALU_DEP_4) | instskip(NEXT) | instid1(VALU_DEP_4)
	v_cmp_ne_u32_e64 s16, 0, v16
	v_cmp_ne_u32_e64 s17, 0, v41
	s_bcnt1_i32_b32 s14, s14
	s_bcnt1_i32_b32 s15, s15
	;; [unrolled: 1-line block ×4, first 2 shown]
	v_dual_add_nc_u32 v3, s15, v3 :: v_dual_add_nc_u32 v2, s14, v2
	v_dual_add_nc_u32 v4, s16, v4 :: v_dual_add_nc_u32 v5, s17, v5
	s_or_b32 s20, vcc_lo, s20
	s_delay_alu instid0(SALU_CYCLE_1)
	s_and_not1_b32 exec_lo, exec_lo, s20
	s_cbranch_execnz .LBB98_81
; %bb.82:                               ;   in Loop: Header=BB98_6 Depth=1
	s_or_b32 exec_lo, exec_lo, s20
.LBB98_83:                              ;   in Loop: Header=BB98_6 Depth=1
	s_delay_alu instid0(SALU_CYCLE_1)
	s_or_b32 exec_lo, exec_lo, s19
	s_lshl_b32 s16, s91, 7
	s_and_saveexec_b32 s14, s2
	s_cbranch_execnz .LBB98_54
	s_branch .LBB98_55
.LBB98_84:                              ;   in Loop: Header=BB98_6 Depth=1
	v_mov_b32_e32 v2, 0
	s_mov_b32 s14, 0
	s_cbranch_execz .LBB98_87
.LBB98_85:                              ;   in Loop: Header=BB98_6 Depth=1
	s_lshl_b32 s15, s91, 9
	s_lshl_b32 s18, s14, 4
	s_sub_co_i32 s14, s71, s14
	v_add3_u32 v3, s15, s18, v36
.LBB98_86:                              ;   Parent Loop BB98_6 Depth=1
                                        ; =>  This Inner Loop Header: Depth=2
	ds_load_b32 v5, v3
	v_add_nc_u32_e32 v3, 16, v3
	s_add_co_i32 s14, s14, -1
	s_delay_alu instid0(SALU_CYCLE_1)
	s_cmp_eq_u32 s14, 0
	s_wait_dscnt 0x0
	v_add_nc_u32_e32 v2, v5, v2
	s_cbranch_scc0 .LBB98_86
.LBB98_87:                              ;   in Loop: Header=BB98_6 Depth=1
	s_delay_alu instid0(VALU_DEP_1)
	v_lshlrev_b32_e32 v3, 2, v4
	ds_store_b32 v3, v2 offset:3072
.LBB98_88:                              ;   in Loop: Header=BB98_6 Depth=1
	s_or_b32 exec_lo, exec_lo, s17
	s_lshl_b32 s14, s16, 2
	s_wait_dscnt 0x0
	v_mov_b32_e32 v2, s14
	s_barrier_signal -1
	s_barrier_wait -1
	v_cmp_eq_u32_e64 s14, 1, v40
	ds_load_b128 v[2:5], v2 offset:3072
	s_lshl_b32 s18, 3, s87
	s_mov_b32 s26, -1
	s_not_b32 s19, s18
	s_mov_b32 s16, 0
	s_and_not1_b32 vcc_lo, exec_lo, s65
	s_mov_b32 s23, 0
	s_mov_b32 s15, 0
                                        ; implicit-def: $sgpr24
                                        ; implicit-def: $sgpr25
                                        ; implicit-def: $vgpr6
	s_wait_dscnt 0x0
	v_readfirstlane_b32 s17, v2
	v_readfirstlane_b32 s20, v3
	;; [unrolled: 1-line block ×4, first 2 shown]
                                        ; implicit-def: $vgpr5
                                        ; implicit-def: $vgpr2
                                        ; implicit-def: $vgpr3
                                        ; implicit-def: $vgpr4
	s_cbranch_vccnz .LBB98_255
; %bb.89:                               ;   in Loop: Header=BB98_6 Depth=1
	s_cmp_eq_u32 s17, 1
	v_dual_mov_b32 v3, v28 :: v_dual_mov_b32 v4, v38
	v_mov_b32_e32 v6, v39
	s_cselect_b32 s15, -1, 0
	s_mov_b32 s29, -1
	s_and_b32 s28, s15, s14
                                        ; implicit-def: $sgpr25
                                        ; implicit-def: $sgpr24
	s_delay_alu instid0(SALU_CYCLE_1)
	s_and_saveexec_b32 s15, s28
	s_cbranch_execz .LBB98_118
; %bb.90:                               ;   in Loop: Header=BB98_6 Depth=1
	ds_load_b32 v2, v17 offset:4096
	s_wait_dscnt 0x0
	s_barrier_signal -1
	s_barrier_wait -1
	v_readfirstlane_b32 s26, v2
	s_and_saveexec_b32 s23, s6
; %bb.91:                               ;   in Loop: Header=BB98_6 Depth=1
	ds_store_b16 v23, v17
; %bb.92:                               ;   in Loop: Header=BB98_6 Depth=1
	s_or_b32 exec_lo, exec_lo, s23
	v_and_b32_e32 v3, s19, v28
	v_or_b32_e32 v4, s18, v38
	s_mov_b32 s24, -1
	s_mov_b32 s25, 0
	s_cmp_eq_u32 s26, 0
	s_mov_b32 s23, 0
	s_mov_b32 s27, -1
	s_wait_dscnt 0x0
	s_barrier_signal -1
	s_barrier_wait -1
                                        ; implicit-def: $vgpr6
	s_cbranch_scc1 .LBB98_104
; %bb.93:                               ;   in Loop: Header=BB98_6 Depth=1
	s_add_co_i32 s38, s26, s70
	s_mov_b32 s29, exec_lo
	s_mul_u64 s[30:31], s[38:39], s[54:55]
                                        ; implicit-def: $vgpr6
	s_delay_alu instid0(SALU_CYCLE_1) | instskip(NEXT) | instid1(SALU_CYCLE_1)
	s_mul_i32 s23, s31, s41
	s_sub_co_i32 s23, s38, s23
	s_delay_alu instid0(SALU_CYCLE_1) | instskip(SKIP_2) | instid1(SALU_CYCLE_1)
	s_sub_co_i32 s27, s23, s41
	s_cmp_ge_u32 s23, s41
	s_cselect_b32 s23, s27, s23
	s_sub_co_i32 s27, s23, s41
	s_cmp_ge_u32 s23, s41
	s_cselect_b32 s23, s27, s23
	s_mov_b32 s27, 0
	s_sub_co_i32 s30, s38, s23
	s_mov_b32 s23, 0
	v_cmpx_gt_u32_e64 s30, v0
	s_cbranch_execz .LBB98_103
; %bb.94:                               ;   in Loop: Header=BB98_6 Depth=1
	v_dual_mov_b32 v2, v22 :: v_dual_mov_b32 v5, v0
                                        ; implicit-def: $sgpr31
	s_branch .LBB98_98
.LBB98_95:                              ;   in Loop: Header=BB98_98 Depth=2
	s_or_b32 exec_lo, exec_lo, s33
	s_wait_dscnt 0x0
	s_barrier_signal -1
	s_barrier_wait -1
	ds_load_b32 v6, v17 offset:3072
	s_wait_dscnt 0x0
	s_barrier_signal -1
	s_barrier_wait -1
	v_cmp_neq_f16_e32 vcc_lo, 0, v6
	s_cbranch_vccnz .LBB98_101
; %bb.96:                               ;   in Loop: Header=BB98_98 Depth=2
	v_dual_add_nc_u32 v5, s41, v5 :: v_dual_add_nc_u32 v2, s86, v2
	s_mov_b32 s33, 0
	s_delay_alu instid0(VALU_DEP_1)
	v_cmp_le_u32_e32 vcc_lo, s30, v5
	s_or_not1_b32 s34, vcc_lo, exec_lo
.LBB98_97:                              ;   in Loop: Header=BB98_98 Depth=2
	s_delay_alu instid0(SALU_CYCLE_1) | instskip(NEXT) | instid1(SALU_CYCLE_1)
	s_and_b32 s34, exec_lo, s34
	s_or_b32 s23, s34, s23
	s_and_not1_b32 s31, s31, exec_lo
	s_and_b32 s33, s33, exec_lo
	s_delay_alu instid0(SALU_CYCLE_1)
	s_or_b32 s31, s31, s33
	s_and_not1_b32 exec_lo, exec_lo, s23
	s_cbranch_execz .LBB98_102
.LBB98_98:                              ;   Parent Loop BB98_6 Depth=1
                                        ; =>  This Inner Loop Header: Depth=2
	s_mov_b32 s33, exec_lo
	s_delay_alu instid0(VALU_DEP_1)
	v_cmpx_gt_u32_e64 s26, v5
	s_cbranch_execz .LBB98_95
; %bb.99:                               ;   in Loop: Header=BB98_98 Depth=2
	ds_load_u16 v6, v2
	s_wait_dscnt 0x0
	v_cmp_lt_i16_e32 vcc_lo, -1, v6
	v_and_b32_e32 v7, 0xffff, v6
	v_cndmask_b32_e32 v8, 0xffff, v37, vcc_lo
	v_cmp_o_f16_e32 vcc_lo, v6, v6
	s_delay_alu instid0(VALU_DEP_2) | instskip(NEXT) | instid1(VALU_DEP_1)
	v_xor_b32_e32 v7, v8, v7
	v_cndmask_b32_e32 v7, 0xffff, v7, vcc_lo
	s_delay_alu instid0(VALU_DEP_1) | instskip(NEXT) | instid1(VALU_DEP_1)
	v_and_b32_e32 v7, v7, v4
	v_cmp_eq_u32_e32 vcc_lo, v7, v3
	s_and_b32 exec_lo, exec_lo, vcc_lo
	s_cbranch_execz .LBB98_95
; %bb.100:                              ;   in Loop: Header=BB98_98 Depth=2
	v_perm_b32 v6, v6, s89, 0x5040100
	ds_store_b32 v17, v6 offset:3072
	s_branch .LBB98_95
.LBB98_101:                             ;   in Loop: Header=BB98_98 Depth=2
	s_mov_b32 s34, -1
	s_mov_b32 s33, -1
                                        ; implicit-def: $vgpr5
                                        ; implicit-def: $vgpr2
	s_branch .LBB98_97
.LBB98_102:                             ;   in Loop: Header=BB98_6 Depth=1
	s_or_b32 exec_lo, exec_lo, s23
	v_lshrrev_b32_e32 v6, 16, v6
	s_and_b32 s23, s31, exec_lo
.LBB98_103:                             ;   in Loop: Header=BB98_6 Depth=1
	s_or_b32 exec_lo, exec_lo, s29
.LBB98_104:                             ;   in Loop: Header=BB98_6 Depth=1
	s_delay_alu instid0(SALU_CYCLE_1)
	s_and_b32 vcc_lo, exec_lo, s27
	s_cbranch_vccz .LBB98_117
; %bb.105:                              ;   in Loop: Header=BB98_6 Depth=1
                                        ; implicit-def: $vgpr6
	s_and_saveexec_b32 s24, s13
	s_cbranch_execz .LBB98_116
; %bb.106:                              ;   in Loop: Header=BB98_6 Depth=1
	v_dual_mov_b32 v2, v18 :: v_dual_mov_b32 v5, v0
	s_mov_b32 s25, 0
                                        ; implicit-def: $sgpr26
	s_branch .LBB98_110
.LBB98_107:                             ;   in Loop: Header=BB98_110 Depth=2
	s_or_b32 exec_lo, exec_lo, s27
	s_wait_dscnt 0x0
	s_barrier_signal -1
	s_barrier_wait -1
	ds_load_b32 v6, v17 offset:3072
	s_wait_dscnt 0x0
	s_barrier_signal -1
	s_barrier_wait -1
	v_cmp_neq_f16_e32 vcc_lo, 0, v6
	s_cbranch_vccnz .LBB98_113
; %bb.108:                              ;   in Loop: Header=BB98_110 Depth=2
	v_dual_add_nc_u32 v5, s41, v5 :: v_dual_add_nc_u32 v2, s50, v2
	s_mov_b32 s27, 0
	s_delay_alu instid0(VALU_DEP_1)
	v_cmp_le_u32_e32 vcc_lo, s83, v5
	s_or_not1_b32 s29, vcc_lo, exec_lo
.LBB98_109:                             ;   in Loop: Header=BB98_110 Depth=2
	s_delay_alu instid0(SALU_CYCLE_1) | instskip(NEXT) | instid1(SALU_CYCLE_1)
	s_and_b32 s29, exec_lo, s29
	s_or_b32 s25, s29, s25
	s_and_not1_b32 s26, s26, exec_lo
	s_and_b32 s27, s27, exec_lo
	s_delay_alu instid0(SALU_CYCLE_1)
	s_or_b32 s26, s26, s27
	s_and_not1_b32 exec_lo, exec_lo, s25
	s_cbranch_execz .LBB98_115
.LBB98_110:                             ;   Parent Loop BB98_6 Depth=1
                                        ; =>  This Inner Loop Header: Depth=2
	s_mov_b32 s27, exec_lo
	s_delay_alu instid0(VALU_DEP_1)
	v_cmpx_gt_u32_e64 s36, v5
	s_cbranch_execz .LBB98_107
; %bb.111:                              ;   in Loop: Header=BB98_110 Depth=2
	v_readfirstlane_b32 s30, v12
	v_readfirstlane_b32 s31, v13
	global_load_u16 v6, v2, s[30:31] scale_offset
	s_wait_loadcnt 0x0
	v_cmp_lt_i16_e32 vcc_lo, -1, v6
	v_and_b32_e32 v7, 0xffff, v6
	v_cndmask_b32_e32 v8, 0xffff, v37, vcc_lo
	v_cmp_o_f16_e32 vcc_lo, v6, v6
	s_delay_alu instid0(VALU_DEP_2) | instskip(NEXT) | instid1(VALU_DEP_1)
	v_xor_b32_e32 v7, v8, v7
	v_cndmask_b32_e32 v7, 0xffff, v7, vcc_lo
	s_delay_alu instid0(VALU_DEP_1) | instskip(NEXT) | instid1(VALU_DEP_1)
	v_and_b32_e32 v7, v7, v4
	v_cmp_eq_u32_e32 vcc_lo, v7, v3
	s_and_b32 exec_lo, exec_lo, vcc_lo
	s_cbranch_execz .LBB98_107
; %bb.112:                              ;   in Loop: Header=BB98_110 Depth=2
	v_perm_b32 v6, v6, s89, 0x5040100
	ds_store_b32 v17, v6 offset:3072
	s_branch .LBB98_107
.LBB98_113:                             ;   in Loop: Header=BB98_110 Depth=2
	s_mov_b32 s29, -1
	s_mov_b32 s27, -1
                                        ; implicit-def: $vgpr5
                                        ; implicit-def: $vgpr2
	s_branch .LBB98_109
.LBB98_114:                             ;   in Loop: Header=BB98_6 Depth=1
	s_mov_b64 s[14:15], 0x100000000
	v_mov_b64_e32 v[2:3], 0
	s_and_not1_b32 vcc_lo, exec_lo, s77
	s_mov_b32 s18, s74
	s_cbranch_vccz .LBB98_62
	s_branch .LBB98_63
.LBB98_115:                             ;   in Loop: Header=BB98_6 Depth=1
	s_or_b32 exec_lo, exec_lo, s25
	v_lshrrev_b32_e32 v6, 16, v6
	s_and_not1_b32 s23, s23, exec_lo
	s_and_b32 s25, s26, exec_lo
	s_delay_alu instid0(SALU_CYCLE_1)
	s_or_b32 s23, s23, s25
.LBB98_116:                             ;   in Loop: Header=BB98_6 Depth=1
	s_or_b32 exec_lo, exec_lo, s24
	s_mov_b32 s24, 0
	s_mov_b32 s25, -1
.LBB98_117:                             ;   in Loop: Header=BB98_6 Depth=1
	s_or_not1_b32 s29, s23, exec_lo
.LBB98_118:                             ;   in Loop: Header=BB98_6 Depth=1
	s_or_b32 exec_lo, exec_lo, s15
	s_mov_b32 s26, 0
	s_mov_b32 s23, 0
	;; [unrolled: 1-line block ×3, first 2 shown]
                                        ; implicit-def: $vgpr5
                                        ; implicit-def: $vgpr2
	s_and_saveexec_b32 s27, s29
	s_cbranch_execz .LBB98_254
; %bb.119:                              ;   in Loop: Header=BB98_6 Depth=1
	v_dual_mov_b32 v5, 1 :: v_dual_mov_b32 v2, 1
	s_xor_b32 s23, s28, -1
	s_mov_b32 s30, 0
	s_and_saveexec_b32 s15, s23
	s_cbranch_execz .LBB98_128
; %bb.120:                              ;   in Loop: Header=BB98_6 Depth=1
	s_mov_b32 s23, exec_lo
	v_cmpx_ge_u32_e64 s17, v40
	s_xor_b32 s23, exec_lo, s23
	s_cbranch_execz .LBB98_125
; %bb.121:                              ;   in Loop: Header=BB98_6 Depth=1
	ds_load_b32 v2, v17 offset:4096
	v_and_b32_e32 v3, s19, v3
	v_or_b32_e32 v4, s18, v4
	s_wait_dscnt 0x0
	v_cmp_ne_u32_e32 vcc_lo, 0, v2
	s_cbranch_vccnz .LBB98_125
; %bb.122:                              ;   in Loop: Header=BB98_6 Depth=1
	s_and_saveexec_b32 s28, s5
; %bb.123:                              ;   in Loop: Header=BB98_6 Depth=1
	v_mov_b32_e32 v2, s17
	ds_store_b32 v17, v2 offset:4100
; %bb.124:                              ;   in Loop: Header=BB98_6 Depth=1
	s_or_b32 exec_lo, exec_lo, s28
	s_wait_dscnt 0x0
	s_barrier_signal -1
	s_barrier_wait -1
.LBB98_125:                             ;   in Loop: Header=BB98_6 Depth=1
	s_or_saveexec_b32 s23, s23
	v_dual_mov_b32 v2, 8 :: v_dual_mov_b32 v5, v40
	s_mov_b32 s28, 0
	s_xor_b32 exec_lo, exec_lo, s23
; %bb.126:                              ;   in Loop: Header=BB98_6 Depth=1
	v_subrev_nc_u32_e32 v5, s17, v40
	v_mov_b32_e32 v2, 0
	s_mov_b32 s28, exec_lo
; %bb.127:                              ;   in Loop: Header=BB98_6 Depth=1
	s_or_b32 exec_lo, exec_lo, s23
	s_delay_alu instid0(SALU_CYCLE_1)
	s_and_b32 s30, s28, exec_lo
.LBB98_128:                             ;   in Loop: Header=BB98_6 Depth=1
	s_or_b32 exec_lo, exec_lo, s15
	s_mov_b32 s29, -1
                                        ; implicit-def: $sgpr23
                                        ; implicit-def: $sgpr28
	s_and_saveexec_b32 s15, s30
	s_delay_alu instid0(SALU_CYCLE_1)
	s_xor_b32 s15, exec_lo, s15
	s_cbranch_execz .LBB98_251
; %bb.129:                              ;   in Loop: Header=BB98_6 Depth=1
	v_cmp_eq_u32_e32 vcc_lo, 1, v5
	s_cmp_eq_u32 s20, 1
	s_mov_b32 s31, -1
	s_cselect_b32 s23, -1, 0
                                        ; implicit-def: $sgpr28
	s_delay_alu instid0(SALU_CYCLE_1) | instskip(NEXT) | instid1(SALU_CYCLE_1)
	s_and_b32 s30, s23, vcc_lo
                                        ; implicit-def: $sgpr23
	s_and_saveexec_b32 s29, s30
	s_cbranch_execz .LBB98_157
; %bb.130:                              ;   in Loop: Header=BB98_6 Depth=1
	ds_load_b32 v6, v17 offset:4096
	s_wait_dscnt 0x0
	s_barrier_signal -1
	s_barrier_wait -1
	v_readfirstlane_b32 s33, v6
	s_and_saveexec_b32 s23, s6
; %bb.131:                              ;   in Loop: Header=BB98_6 Depth=1
	ds_store_b16 v23, v17
; %bb.132:                              ;   in Loop: Header=BB98_6 Depth=1
	s_or_b32 exec_lo, exec_lo, s23
	s_lshl_b32 s23, 1, s87
	v_or_b32_e32 v4, s18, v4
	v_and_or_b32 v3, v3, s19, s23
	s_mov_b32 s23, -1
	s_mov_b32 s28, 0
	s_cmp_eq_u32 s33, 0
	s_mov_b32 s31, 0
	s_mov_b32 s34, -1
	s_wait_dscnt 0x0
	s_barrier_signal -1
	s_barrier_wait -1
                                        ; implicit-def: $vgpr6
	s_cbranch_scc1 .LBB98_144
; %bb.133:                              ;   in Loop: Header=BB98_6 Depth=1
	s_add_co_i32 s38, s33, s70
                                        ; implicit-def: $vgpr6
	s_delay_alu instid0(SALU_CYCLE_1) | instskip(NEXT) | instid1(SALU_CYCLE_1)
	s_mul_u64 s[44:45], s[38:39], s[54:55]
	s_mul_i32 s31, s45, s41
	s_delay_alu instid0(SALU_CYCLE_1) | instskip(NEXT) | instid1(SALU_CYCLE_1)
	s_sub_co_i32 s31, s38, s31
	s_sub_co_i32 s34, s31, s41
	s_cmp_ge_u32 s31, s41
	s_cselect_b32 s31, s34, s31
	s_delay_alu instid0(SALU_CYCLE_1)
	s_sub_co_i32 s34, s31, s41
	s_cmp_ge_u32 s31, s41
	s_cselect_b32 s31, s34, s31
	s_mov_b32 s34, 0
	s_sub_co_i32 s58, s38, s31
	s_mov_b32 s31, 0
	s_mov_b32 s38, exec_lo
	v_cmpx_gt_u32_e64 s58, v0
	s_cbranch_execz .LBB98_143
; %bb.134:                              ;   in Loop: Header=BB98_6 Depth=1
	v_dual_mov_b32 v6, v22 :: v_dual_mov_b32 v7, v0
                                        ; implicit-def: $sgpr44
	s_branch .LBB98_138
.LBB98_135:                             ;   in Loop: Header=BB98_138 Depth=2
	s_or_b32 exec_lo, exec_lo, s45
	s_wait_dscnt 0x0
	s_barrier_signal -1
	s_barrier_wait -1
	ds_load_b32 v8, v17 offset:3072
	s_wait_dscnt 0x0
	s_barrier_signal -1
	s_barrier_wait -1
	v_cmp_neq_f16_e32 vcc_lo, 0, v8
	s_cbranch_vccnz .LBB98_141
; %bb.136:                              ;   in Loop: Header=BB98_138 Depth=2
	v_dual_add_nc_u32 v7, s41, v7 :: v_dual_add_nc_u32 v6, s86, v6
	s_mov_b32 s45, 0
	s_delay_alu instid0(VALU_DEP_1)
	v_cmp_le_u32_e32 vcc_lo, s58, v7
	s_or_not1_b32 s59, vcc_lo, exec_lo
.LBB98_137:                             ;   in Loop: Header=BB98_138 Depth=2
	s_delay_alu instid0(SALU_CYCLE_1) | instskip(NEXT) | instid1(SALU_CYCLE_1)
	s_and_b32 s46, exec_lo, s59
	s_or_b32 s31, s46, s31
	s_and_not1_b32 s44, s44, exec_lo
	s_and_b32 s45, s45, exec_lo
	s_delay_alu instid0(SALU_CYCLE_1)
	s_or_b32 s44, s44, s45
	s_and_not1_b32 exec_lo, exec_lo, s31
	s_cbranch_execz .LBB98_142
.LBB98_138:                             ;   Parent Loop BB98_6 Depth=1
                                        ; =>  This Inner Loop Header: Depth=2
	s_mov_b32 s45, exec_lo
	s_delay_alu instid0(VALU_DEP_1)
	v_cmpx_gt_u32_e64 s33, v7
	s_cbranch_execz .LBB98_135
; %bb.139:                              ;   in Loop: Header=BB98_138 Depth=2
	ds_load_u16 v8, v6
	s_wait_dscnt 0x0
	v_cmp_lt_i16_e32 vcc_lo, -1, v8
	v_and_b32_e32 v9, 0xffff, v8
	v_cndmask_b32_e32 v16, 0xffff, v37, vcc_lo
	v_cmp_o_f16_e32 vcc_lo, v8, v8
	s_delay_alu instid0(VALU_DEP_2) | instskip(NEXT) | instid1(VALU_DEP_1)
	v_xor_b32_e32 v9, v16, v9
	v_cndmask_b32_e32 v9, 0xffff, v9, vcc_lo
	s_delay_alu instid0(VALU_DEP_1) | instskip(NEXT) | instid1(VALU_DEP_1)
	v_and_b32_e32 v9, v9, v4
	v_cmp_eq_u32_e32 vcc_lo, v9, v3
	s_and_b32 exec_lo, exec_lo, vcc_lo
	s_cbranch_execz .LBB98_135
; %bb.140:                              ;   in Loop: Header=BB98_138 Depth=2
	v_perm_b32 v8, v8, s89, 0x5040100
	ds_store_b32 v17, v8 offset:3072
	s_branch .LBB98_135
.LBB98_141:                             ;   in Loop: Header=BB98_138 Depth=2
	s_mov_b32 s59, -1
	s_mov_b32 s45, -1
                                        ; implicit-def: $vgpr7
                                        ; implicit-def: $vgpr6
	s_branch .LBB98_137
.LBB98_142:                             ;   in Loop: Header=BB98_6 Depth=1
	s_or_b32 exec_lo, exec_lo, s31
	v_lshrrev_b32_e32 v6, 16, v8
	s_and_b32 s31, s44, exec_lo
.LBB98_143:                             ;   in Loop: Header=BB98_6 Depth=1
	s_or_b32 exec_lo, exec_lo, s38
.LBB98_144:                             ;   in Loop: Header=BB98_6 Depth=1
	s_delay_alu instid0(SALU_CYCLE_1)
	s_and_b32 vcc_lo, exec_lo, s34
	s_cbranch_vccz .LBB98_156
; %bb.145:                              ;   in Loop: Header=BB98_6 Depth=1
                                        ; implicit-def: $vgpr6
	s_and_saveexec_b32 s23, s13
	s_cbranch_execz .LBB98_155
; %bb.146:                              ;   in Loop: Header=BB98_6 Depth=1
	v_dual_mov_b32 v6, v18 :: v_dual_mov_b32 v7, v0
	s_mov_b32 s28, 0
                                        ; implicit-def: $sgpr33
	s_branch .LBB98_150
.LBB98_147:                             ;   in Loop: Header=BB98_150 Depth=2
	s_or_b32 exec_lo, exec_lo, s34
	s_wait_dscnt 0x0
	s_barrier_signal -1
	s_barrier_wait -1
	ds_load_b32 v8, v17 offset:3072
	s_wait_dscnt 0x0
	s_barrier_signal -1
	s_barrier_wait -1
	v_cmp_eq_f16_e32 vcc_lo, 0, v8
	s_cbranch_vccz .LBB98_153
; %bb.148:                              ;   in Loop: Header=BB98_150 Depth=2
	v_dual_add_nc_u32 v7, s41, v7 :: v_dual_add_nc_u32 v6, s50, v6
	s_mov_b32 s34, 0
	s_delay_alu instid0(VALU_DEP_1)
	v_cmp_le_u32_e32 vcc_lo, s83, v7
	s_or_not1_b32 s38, vcc_lo, exec_lo
.LBB98_149:                             ;   in Loop: Header=BB98_150 Depth=2
	s_delay_alu instid0(SALU_CYCLE_1) | instskip(NEXT) | instid1(SALU_CYCLE_1)
	s_and_b32 s38, exec_lo, s38
	s_or_b32 s28, s38, s28
	s_and_not1_b32 s33, s33, exec_lo
	s_and_b32 s34, s34, exec_lo
	s_delay_alu instid0(SALU_CYCLE_1)
	s_or_b32 s33, s33, s34
	s_and_not1_b32 exec_lo, exec_lo, s28
	s_cbranch_execz .LBB98_154
.LBB98_150:                             ;   Parent Loop BB98_6 Depth=1
                                        ; =>  This Inner Loop Header: Depth=2
	s_mov_b32 s34, exec_lo
	s_delay_alu instid0(VALU_DEP_1)
	v_cmpx_gt_u32_e64 s36, v7
	s_cbranch_execz .LBB98_147
; %bb.151:                              ;   in Loop: Header=BB98_150 Depth=2
	v_readfirstlane_b32 s44, v12
	v_readfirstlane_b32 s45, v13
	global_load_u16 v8, v6, s[44:45] scale_offset
	s_wait_loadcnt 0x0
	v_cmp_lt_i16_e32 vcc_lo, -1, v8
	v_and_b32_e32 v9, 0xffff, v8
	v_cndmask_b32_e32 v16, 0xffff, v37, vcc_lo
	v_cmp_o_f16_e32 vcc_lo, v8, v8
	s_delay_alu instid0(VALU_DEP_2) | instskip(NEXT) | instid1(VALU_DEP_1)
	v_xor_b32_e32 v9, v16, v9
	v_cndmask_b32_e32 v9, 0xffff, v9, vcc_lo
	s_delay_alu instid0(VALU_DEP_1) | instskip(NEXT) | instid1(VALU_DEP_1)
	v_and_b32_e32 v9, v9, v4
	v_cmp_eq_u32_e32 vcc_lo, v9, v3
	s_and_b32 exec_lo, exec_lo, vcc_lo
	s_cbranch_execz .LBB98_147
; %bb.152:                              ;   in Loop: Header=BB98_150 Depth=2
	v_perm_b32 v8, v8, s89, 0x5040100
	ds_store_b32 v17, v8 offset:3072
	s_branch .LBB98_147
.LBB98_153:                             ;   in Loop: Header=BB98_150 Depth=2
	s_mov_b32 s38, -1
	s_mov_b32 s34, -1
                                        ; implicit-def: $vgpr7
                                        ; implicit-def: $vgpr6
	s_branch .LBB98_149
.LBB98_154:                             ;   in Loop: Header=BB98_6 Depth=1
	s_or_b32 exec_lo, exec_lo, s28
	v_lshrrev_b32_e32 v6, 16, v8
	s_and_not1_b32 s28, s31, exec_lo
	s_and_b32 s31, s33, exec_lo
	s_delay_alu instid0(SALU_CYCLE_1)
	s_or_b32 s31, s28, s31
.LBB98_155:                             ;   in Loop: Header=BB98_6 Depth=1
	s_or_b32 exec_lo, exec_lo, s23
	s_mov_b32 s23, 0
	s_mov_b32 s28, -1
.LBB98_156:                             ;   in Loop: Header=BB98_6 Depth=1
	s_or_not1_b32 s31, s31, exec_lo
.LBB98_157:                             ;   in Loop: Header=BB98_6 Depth=1
	s_or_b32 exec_lo, exec_lo, s29
	s_mov_b32 s33, 0
	s_and_saveexec_b32 s29, s31
	s_cbranch_execz .LBB98_250
; %bb.158:                              ;   in Loop: Header=BB98_6 Depth=1
	v_dual_mov_b32 v7, 1 :: v_dual_mov_b32 v2, 1
	s_xor_b32 s31, s30, -1
	s_mov_b32 s38, 0
	s_and_saveexec_b32 s30, s31
	s_cbranch_execz .LBB98_167
; %bb.159:                              ;   in Loop: Header=BB98_6 Depth=1
	s_mov_b32 s31, exec_lo
	v_cmpx_ge_u32_e64 s20, v5
	s_xor_b32 s31, exec_lo, s31
	s_cbranch_execz .LBB98_164
; %bb.160:                              ;   in Loop: Header=BB98_6 Depth=1
	ds_load_b32 v2, v17 offset:4096
	s_lshl_b32 s33, 1, s87
	v_or_b32_e32 v4, s18, v4
	v_and_or_b32 v3, v3, s19, s33
	s_wait_dscnt 0x0
	v_cmp_ne_u32_e32 vcc_lo, 0, v2
	s_cbranch_vccnz .LBB98_164
; %bb.161:                              ;   in Loop: Header=BB98_6 Depth=1
	s_and_saveexec_b32 s33, s5
; %bb.162:                              ;   in Loop: Header=BB98_6 Depth=1
	v_mov_b32_e32 v2, s20
	ds_store_b32 v17, v2 offset:4100
; %bb.163:                              ;   in Loop: Header=BB98_6 Depth=1
	s_or_b32 exec_lo, exec_lo, s33
	s_wait_dscnt 0x0
	s_barrier_signal -1
	s_barrier_wait -1
.LBB98_164:                             ;   in Loop: Header=BB98_6 Depth=1
	s_or_saveexec_b32 s31, s31
	v_mov_b32_e32 v2, 8
	s_mov_b32 s33, 0
	s_xor_b32 exec_lo, exec_lo, s31
; %bb.165:                              ;   in Loop: Header=BB98_6 Depth=1
	v_subrev_nc_u32_e32 v5, s20, v5
	v_mov_b32_e32 v2, 0
	s_mov_b32 s33, exec_lo
; %bb.166:                              ;   in Loop: Header=BB98_6 Depth=1
	s_or_b32 exec_lo, exec_lo, s31
	s_delay_alu instid0(VALU_DEP_2)
	v_mov_b32_e32 v7, v5
	s_and_b32 s38, s33, exec_lo
.LBB98_167:                             ;   in Loop: Header=BB98_6 Depth=1
	s_or_b32 exec_lo, exec_lo, s30
	s_mov_b32 s34, -1
                                        ; implicit-def: $sgpr31
                                        ; implicit-def: $sgpr33
	s_and_saveexec_b32 s30, s38
	s_cbranch_execz .LBB98_249
; %bb.168:                              ;   in Loop: Header=BB98_6 Depth=1
	v_cmp_eq_u32_e32 vcc_lo, 1, v7
	s_cmp_eq_u32 s21, 1
	s_mov_b32 s38, -1
	s_cselect_b32 s31, -1, 0
                                        ; implicit-def: $sgpr33
	s_delay_alu instid0(SALU_CYCLE_1) | instskip(NEXT) | instid1(SALU_CYCLE_1)
	s_and_b32 s58, s31, vcc_lo
                                        ; implicit-def: $sgpr31
	s_and_saveexec_b32 s34, s58
	s_cbranch_execz .LBB98_196
; %bb.169:                              ;   in Loop: Header=BB98_6 Depth=1
	ds_load_b32 v5, v17 offset:4096
	s_wait_dscnt 0x0
	s_barrier_signal -1
	s_barrier_wait -1
	v_readfirstlane_b32 s59, v5
	s_and_saveexec_b32 s31, s6
; %bb.170:                              ;   in Loop: Header=BB98_6 Depth=1
	ds_store_b16 v23, v17
; %bb.171:                              ;   in Loop: Header=BB98_6 Depth=1
	s_or_b32 exec_lo, exec_lo, s31
	s_lshl_b32 s31, 2, s87
	v_or_b32_e32 v4, s18, v4
	v_and_or_b32 v3, v3, s19, s31
	s_mov_b32 s31, -1
	s_mov_b32 s33, 0
	s_cmp_eq_u32 s59, 0
	s_mov_b32 s38, 0
	s_mov_b32 s60, -1
	s_wait_dscnt 0x0
	s_barrier_signal -1
	s_barrier_wait -1
                                        ; implicit-def: $vgpr6
	s_cbranch_scc1 .LBB98_183
; %bb.172:                              ;   in Loop: Header=BB98_6 Depth=1
	s_add_co_i32 s38, s59, s70
	s_mov_b32 s60, 0
	s_mul_u64 s[44:45], s[38:39], s[54:55]
	s_mov_b32 s61, exec_lo
	s_mul_i32 s44, s45, s41
                                        ; implicit-def: $vgpr6
	s_delay_alu instid0(SALU_CYCLE_1) | instskip(NEXT) | instid1(SALU_CYCLE_1)
	s_sub_co_i32 s44, s38, s44
	s_sub_co_i32 s45, s44, s41
	s_cmp_ge_u32 s44, s41
	s_cselect_b32 s44, s45, s44
	s_delay_alu instid0(SALU_CYCLE_1) | instskip(SKIP_2) | instid1(SALU_CYCLE_1)
	s_sub_co_i32 s45, s44, s41
	s_cmp_ge_u32 s44, s41
	s_cselect_b32 s44, s45, s44
	s_sub_co_i32 s101, s38, s44
	s_mov_b32 s38, 0
	v_cmpx_gt_u32_e64 s101, v0
	s_cbranch_execz .LBB98_182
; %bb.173:                              ;   in Loop: Header=BB98_6 Depth=1
	v_dual_mov_b32 v5, v22 :: v_dual_mov_b32 v6, v0
                                        ; implicit-def: $sgpr44
	s_branch .LBB98_177
.LBB98_174:                             ;   in Loop: Header=BB98_177 Depth=2
	s_or_b32 exec_lo, exec_lo, s45
	s_wait_dscnt 0x0
	s_barrier_signal -1
	s_barrier_wait -1
	ds_load_b32 v8, v17 offset:3072
	s_wait_dscnt 0x0
	s_barrier_signal -1
	s_barrier_wait -1
	v_cmp_neq_f16_e32 vcc_lo, 0, v8
	s_cbranch_vccnz .LBB98_180
; %bb.175:                              ;   in Loop: Header=BB98_177 Depth=2
	v_dual_add_nc_u32 v6, s41, v6 :: v_dual_add_nc_u32 v5, s86, v5
	s_mov_b32 s45, 0
	s_delay_alu instid0(VALU_DEP_1)
	v_cmp_le_u32_e32 vcc_lo, s101, v6
	s_or_not1_b32 s102, vcc_lo, exec_lo
.LBB98_176:                             ;   in Loop: Header=BB98_177 Depth=2
	s_delay_alu instid0(SALU_CYCLE_1) | instskip(NEXT) | instid1(SALU_CYCLE_1)
	s_and_b32 s46, exec_lo, s102
	s_or_b32 s38, s46, s38
	s_and_not1_b32 s44, s44, exec_lo
	s_and_b32 s45, s45, exec_lo
	s_delay_alu instid0(SALU_CYCLE_1)
	s_or_b32 s44, s44, s45
	s_and_not1_b32 exec_lo, exec_lo, s38
	s_cbranch_execz .LBB98_181
.LBB98_177:                             ;   Parent Loop BB98_6 Depth=1
                                        ; =>  This Inner Loop Header: Depth=2
	s_mov_b32 s45, exec_lo
	s_delay_alu instid0(VALU_DEP_1)
	v_cmpx_gt_u32_e64 s59, v6
	s_cbranch_execz .LBB98_174
; %bb.178:                              ;   in Loop: Header=BB98_177 Depth=2
	ds_load_u16 v8, v5
	s_wait_dscnt 0x0
	v_cmp_lt_i16_e32 vcc_lo, -1, v8
	v_and_b32_e32 v9, 0xffff, v8
	v_cndmask_b32_e32 v16, 0xffff, v37, vcc_lo
	v_cmp_o_f16_e32 vcc_lo, v8, v8
	s_delay_alu instid0(VALU_DEP_2) | instskip(NEXT) | instid1(VALU_DEP_1)
	v_xor_b32_e32 v9, v16, v9
	v_cndmask_b32_e32 v9, 0xffff, v9, vcc_lo
	s_delay_alu instid0(VALU_DEP_1) | instskip(NEXT) | instid1(VALU_DEP_1)
	v_and_b32_e32 v9, v9, v4
	v_cmp_eq_u32_e32 vcc_lo, v9, v3
	s_and_b32 exec_lo, exec_lo, vcc_lo
	s_cbranch_execz .LBB98_174
; %bb.179:                              ;   in Loop: Header=BB98_177 Depth=2
	v_perm_b32 v8, v8, s89, 0x5040100
	ds_store_b32 v17, v8 offset:3072
	s_branch .LBB98_174
.LBB98_180:                             ;   in Loop: Header=BB98_177 Depth=2
	s_mov_b32 s102, -1
	s_mov_b32 s45, -1
                                        ; implicit-def: $vgpr6
                                        ; implicit-def: $vgpr5
	s_branch .LBB98_176
.LBB98_181:                             ;   in Loop: Header=BB98_6 Depth=1
	s_or_b32 exec_lo, exec_lo, s38
	v_lshrrev_b32_e32 v6, 16, v8
	s_and_b32 s38, s44, exec_lo
.LBB98_182:                             ;   in Loop: Header=BB98_6 Depth=1
	s_or_b32 exec_lo, exec_lo, s61
.LBB98_183:                             ;   in Loop: Header=BB98_6 Depth=1
	s_delay_alu instid0(SALU_CYCLE_1)
	s_and_b32 vcc_lo, exec_lo, s60
	s_cbranch_vccz .LBB98_195
; %bb.184:                              ;   in Loop: Header=BB98_6 Depth=1
                                        ; implicit-def: $vgpr6
	s_and_saveexec_b32 s31, s13
	s_cbranch_execz .LBB98_194
; %bb.185:                              ;   in Loop: Header=BB98_6 Depth=1
	v_dual_mov_b32 v5, v18 :: v_dual_mov_b32 v6, v0
	s_mov_b32 s33, 0
                                        ; implicit-def: $sgpr59
	s_branch .LBB98_189
.LBB98_186:                             ;   in Loop: Header=BB98_189 Depth=2
	s_or_b32 exec_lo, exec_lo, s44
	s_wait_dscnt 0x0
	s_barrier_signal -1
	s_barrier_wait -1
	ds_load_b32 v8, v17 offset:3072
	s_wait_dscnt 0x0
	s_barrier_signal -1
	s_barrier_wait -1
	v_cmp_eq_f16_e32 vcc_lo, 0, v8
	s_cbranch_vccz .LBB98_192
; %bb.187:                              ;   in Loop: Header=BB98_189 Depth=2
	v_dual_add_nc_u32 v6, s41, v6 :: v_dual_add_nc_u32 v5, s50, v5
	s_mov_b32 s44, 0
	s_delay_alu instid0(VALU_DEP_1)
	v_cmp_le_u32_e32 vcc_lo, s83, v6
	s_or_not1_b32 s45, vcc_lo, exec_lo
.LBB98_188:                             ;   in Loop: Header=BB98_189 Depth=2
	s_delay_alu instid0(SALU_CYCLE_1) | instskip(NEXT) | instid1(SALU_CYCLE_1)
	s_and_b32 s45, exec_lo, s45
	s_or_b32 s33, s45, s33
	s_and_not1_b32 s45, s59, exec_lo
	s_and_b32 s44, s44, exec_lo
	s_delay_alu instid0(SALU_CYCLE_1)
	s_or_b32 s59, s45, s44
	s_and_not1_b32 exec_lo, exec_lo, s33
	s_cbranch_execz .LBB98_193
.LBB98_189:                             ;   Parent Loop BB98_6 Depth=1
                                        ; =>  This Inner Loop Header: Depth=2
	s_mov_b32 s44, exec_lo
	s_delay_alu instid0(VALU_DEP_1)
	v_cmpx_gt_u32_e64 s36, v6
	s_cbranch_execz .LBB98_186
; %bb.190:                              ;   in Loop: Header=BB98_189 Depth=2
	v_readfirstlane_b32 s60, v12
	v_readfirstlane_b32 s61, v13
	global_load_u16 v8, v5, s[60:61] scale_offset
	s_wait_loadcnt 0x0
	v_cmp_lt_i16_e32 vcc_lo, -1, v8
	v_and_b32_e32 v9, 0xffff, v8
	v_cndmask_b32_e32 v16, 0xffff, v37, vcc_lo
	v_cmp_o_f16_e32 vcc_lo, v8, v8
	s_delay_alu instid0(VALU_DEP_2) | instskip(NEXT) | instid1(VALU_DEP_1)
	v_xor_b32_e32 v9, v16, v9
	v_cndmask_b32_e32 v9, 0xffff, v9, vcc_lo
	s_delay_alu instid0(VALU_DEP_1) | instskip(NEXT) | instid1(VALU_DEP_1)
	v_and_b32_e32 v9, v9, v4
	v_cmp_eq_u32_e32 vcc_lo, v9, v3
	s_and_b32 exec_lo, exec_lo, vcc_lo
	s_cbranch_execz .LBB98_186
; %bb.191:                              ;   in Loop: Header=BB98_189 Depth=2
	v_perm_b32 v8, v8, s89, 0x5040100
	ds_store_b32 v17, v8 offset:3072
	s_branch .LBB98_186
.LBB98_192:                             ;   in Loop: Header=BB98_189 Depth=2
	s_mov_b32 s45, -1
	s_mov_b32 s44, -1
                                        ; implicit-def: $vgpr6
                                        ; implicit-def: $vgpr5
	s_branch .LBB98_188
.LBB98_193:                             ;   in Loop: Header=BB98_6 Depth=1
	s_or_b32 exec_lo, exec_lo, s33
	v_lshrrev_b32_e32 v6, 16, v8
	s_and_not1_b32 s33, s38, exec_lo
	s_and_b32 s38, s59, exec_lo
	s_delay_alu instid0(SALU_CYCLE_1)
	s_or_b32 s38, s33, s38
.LBB98_194:                             ;   in Loop: Header=BB98_6 Depth=1
	s_or_b32 exec_lo, exec_lo, s31
	s_mov_b32 s31, 0
	s_mov_b32 s33, -1
.LBB98_195:                             ;   in Loop: Header=BB98_6 Depth=1
	s_or_not1_b32 s38, s38, exec_lo
.LBB98_196:                             ;   in Loop: Header=BB98_6 Depth=1
	s_or_b32 exec_lo, exec_lo, s34
	s_mov_b32 s44, 0
	s_and_saveexec_b32 s34, s38
	s_cbranch_execz .LBB98_248
; %bb.197:                              ;   in Loop: Header=BB98_6 Depth=1
	v_dual_mov_b32 v5, 1 :: v_dual_mov_b32 v2, 1
	s_xor_b32 s45, s58, -1
	s_delay_alu instid0(SALU_CYCLE_1)
	s_and_saveexec_b32 s38, s45
	s_cbranch_execz .LBB98_206
; %bb.198:                              ;   in Loop: Header=BB98_6 Depth=1
	s_mov_b32 s44, exec_lo
	v_cmpx_ge_u32_e64 s21, v7
	s_xor_b32 s44, exec_lo, s44
	s_cbranch_execz .LBB98_203
; %bb.199:                              ;   in Loop: Header=BB98_6 Depth=1
	ds_load_b32 v2, v17 offset:4096
	s_lshl_b32 s45, 2, s87
	v_or_b32_e32 v4, s18, v4
	v_and_or_b32 v3, v3, s19, s45
	s_wait_dscnt 0x0
	v_cmp_ne_u32_e32 vcc_lo, 0, v2
	s_cbranch_vccnz .LBB98_203
; %bb.200:                              ;   in Loop: Header=BB98_6 Depth=1
	s_and_saveexec_b32 s45, s5
; %bb.201:                              ;   in Loop: Header=BB98_6 Depth=1
	v_mov_b32_e32 v2, s21
	ds_store_b32 v17, v2 offset:4100
; %bb.202:                              ;   in Loop: Header=BB98_6 Depth=1
	s_or_b32 exec_lo, exec_lo, s45
	s_wait_dscnt 0x0
	s_barrier_signal -1
	s_barrier_wait -1
.LBB98_203:                             ;   in Loop: Header=BB98_6 Depth=1
	s_or_saveexec_b32 s44, s44
	v_mov_b32_e32 v2, 8
	s_mov_b32 s45, 0
	s_xor_b32 exec_lo, exec_lo, s44
; %bb.204:                              ;   in Loop: Header=BB98_6 Depth=1
	v_subrev_nc_u32_e32 v7, s21, v7
	v_mov_b32_e32 v2, 0
	s_mov_b32 s45, exec_lo
; %bb.205:                              ;   in Loop: Header=BB98_6 Depth=1
	s_or_b32 exec_lo, exec_lo, s44
	s_delay_alu instid0(VALU_DEP_2)
	v_mov_b32_e32 v5, v7
	s_and_b32 s44, s45, exec_lo
.LBB98_206:                             ;   in Loop: Header=BB98_6 Depth=1
	s_or_b32 exec_lo, exec_lo, s38
	s_mov_b32 s38, -1
                                        ; implicit-def: $sgpr61
                                        ; implicit-def: $sgpr60
	s_and_saveexec_b32 s58, s44
	s_cbranch_execz .LBB98_247
; %bb.207:                              ;   in Loop: Header=BB98_6 Depth=1
	v_cmp_eq_u32_e32 vcc_lo, 1, v5
	s_cmp_eq_u32 s22, 1
	s_mov_b32 s44, -1
	s_cselect_b32 s38, -1, 0
                                        ; implicit-def: $sgpr61
                                        ; implicit-def: $sgpr60
	s_delay_alu instid0(SALU_CYCLE_1) | instskip(NEXT) | instid1(SALU_CYCLE_1)
	s_and_b32 s59, s38, vcc_lo
	s_and_saveexec_b32 s101, s59
	s_cbranch_execz .LBB98_235
; %bb.208:                              ;   in Loop: Header=BB98_6 Depth=1
	ds_load_b32 v6, v17 offset:4096
	s_wait_dscnt 0x0
	s_barrier_signal -1
	s_barrier_wait -1
	v_readfirstlane_b32 s102, v6
	s_and_saveexec_b32 s38, s6
; %bb.209:                              ;   in Loop: Header=BB98_6 Depth=1
	ds_store_b16 v23, v17
; %bb.210:                              ;   in Loop: Header=BB98_6 Depth=1
	s_or_b32 exec_lo, exec_lo, s38
	v_or_b32_e32 v3, s18, v3
	v_or_b32_e32 v4, s18, v4
	s_mov_b32 s60, -1
	s_mov_b32 s61, 0
	s_cmp_eq_u32 s102, 0
	s_mov_b32 s38, 0
	s_mov_b32 s103, -1
	s_wait_dscnt 0x0
	s_barrier_signal -1
	s_barrier_wait -1
                                        ; implicit-def: $vgpr6
	s_cbranch_scc1 .LBB98_222
; %bb.211:                              ;   in Loop: Header=BB98_6 Depth=1
	s_add_co_i32 s38, s102, s70
	s_mov_b32 s103, 0
	s_mul_u64 s[44:45], s[38:39], s[54:55]
	s_mov_b32 s104, exec_lo
	s_mul_i32 s44, s45, s41
                                        ; implicit-def: $vgpr6
	s_delay_alu instid0(SALU_CYCLE_1) | instskip(NEXT) | instid1(SALU_CYCLE_1)
	s_sub_co_i32 s44, s38, s44
	s_sub_co_i32 s45, s44, s41
	s_cmp_ge_u32 s44, s41
	s_cselect_b32 s44, s45, s44
	s_delay_alu instid0(SALU_CYCLE_1) | instskip(SKIP_2) | instid1(SALU_CYCLE_1)
	s_sub_co_i32 s45, s44, s41
	s_cmp_ge_u32 s44, s41
	s_cselect_b32 s44, s45, s44
	s_sub_co_i32 vcc_hi, s38, s44
	s_mov_b32 s38, 0
	v_cmpx_gt_u32_e64 vcc_hi, v0
	s_cbranch_execz .LBB98_221
; %bb.212:                              ;   in Loop: Header=BB98_6 Depth=1
	v_dual_mov_b32 v6, v22 :: v_dual_mov_b32 v7, v0
                                        ; implicit-def: $sgpr44
	s_branch .LBB98_216
.LBB98_213:                             ;   in Loop: Header=BB98_216 Depth=2
	s_or_b32 exec_lo, exec_lo, s45
	s_wait_dscnt 0x0
	s_barrier_signal -1
	s_barrier_wait -1
	ds_load_b32 v8, v17 offset:3072
	s_wait_dscnt 0x0
	s_barrier_signal -1
	s_barrier_wait -1
	v_cmp_neq_f16_e32 vcc_lo, 0, v8
	s_cbranch_vccnz .LBB98_219
; %bb.214:                              ;   in Loop: Header=BB98_216 Depth=2
	v_dual_add_nc_u32 v7, s41, v7 :: v_dual_add_nc_u32 v6, s86, v6
	s_mov_b32 s45, 0
	s_delay_alu instid0(VALU_DEP_1)
	v_cmp_le_u32_e32 vcc_lo, vcc_hi, v7
	s_or_not1_b32 vcc_lo, vcc_lo, exec_lo
.LBB98_215:                             ;   in Loop: Header=BB98_216 Depth=2
	s_delay_alu instid0(SALU_CYCLE_1) | instskip(NEXT) | instid1(SALU_CYCLE_1)
	s_and_b32 s46, exec_lo, vcc_lo
	s_or_b32 s38, s46, s38
	s_and_not1_b32 s44, s44, exec_lo
	s_and_b32 s45, s45, exec_lo
	s_delay_alu instid0(SALU_CYCLE_1)
	s_or_b32 s44, s44, s45
	s_and_not1_b32 exec_lo, exec_lo, s38
	s_cbranch_execz .LBB98_220
.LBB98_216:                             ;   Parent Loop BB98_6 Depth=1
                                        ; =>  This Inner Loop Header: Depth=2
	s_mov_b32 s45, exec_lo
	s_delay_alu instid0(VALU_DEP_1)
	v_cmpx_gt_u32_e64 s102, v7
	s_cbranch_execz .LBB98_213
; %bb.217:                              ;   in Loop: Header=BB98_216 Depth=2
	ds_load_u16 v8, v6
	s_wait_dscnt 0x0
	v_cmp_lt_i16_e32 vcc_lo, -1, v8
	v_and_b32_e32 v9, 0xffff, v8
	v_cndmask_b32_e32 v16, 0xffff, v37, vcc_lo
	v_cmp_o_f16_e32 vcc_lo, v8, v8
	s_delay_alu instid0(VALU_DEP_2) | instskip(NEXT) | instid1(VALU_DEP_1)
	v_xor_b32_e32 v9, v16, v9
	v_cndmask_b32_e32 v9, 0xffff, v9, vcc_lo
	s_delay_alu instid0(VALU_DEP_1) | instskip(NEXT) | instid1(VALU_DEP_1)
	v_and_b32_e32 v9, v9, v4
	v_cmp_eq_u32_e32 vcc_lo, v9, v3
	s_and_b32 exec_lo, exec_lo, vcc_lo
	s_cbranch_execz .LBB98_213
; %bb.218:                              ;   in Loop: Header=BB98_216 Depth=2
	v_perm_b32 v8, v8, s89, 0x5040100
	ds_store_b32 v17, v8 offset:3072
	s_branch .LBB98_213
.LBB98_219:                             ;   in Loop: Header=BB98_216 Depth=2
	s_mov_b32 vcc_lo, -1
	s_mov_b32 s45, -1
                                        ; implicit-def: $vgpr7
                                        ; implicit-def: $vgpr6
	s_branch .LBB98_215
.LBB98_220:                             ;   in Loop: Header=BB98_6 Depth=1
	s_or_b32 exec_lo, exec_lo, s38
	v_lshrrev_b32_e32 v6, 16, v8
	s_and_b32 s38, s44, exec_lo
.LBB98_221:                             ;   in Loop: Header=BB98_6 Depth=1
	s_or_b32 exec_lo, exec_lo, s104
.LBB98_222:                             ;   in Loop: Header=BB98_6 Depth=1
	s_delay_alu instid0(SALU_CYCLE_1)
	s_and_b32 vcc_lo, exec_lo, s103
	s_cbranch_vccz .LBB98_234
; %bb.223:                              ;   in Loop: Header=BB98_6 Depth=1
                                        ; implicit-def: $vgpr6
	s_and_saveexec_b32 s60, s13
	s_cbranch_execz .LBB98_233
; %bb.224:                              ;   in Loop: Header=BB98_6 Depth=1
	v_dual_mov_b32 v6, v18 :: v_dual_mov_b32 v7, v0
	s_mov_b32 s61, 0
                                        ; implicit-def: $sgpr102
	s_branch .LBB98_228
.LBB98_225:                             ;   in Loop: Header=BB98_228 Depth=2
	s_or_b32 exec_lo, exec_lo, s44
	s_wait_dscnt 0x0
	s_barrier_signal -1
	s_barrier_wait -1
	ds_load_b32 v8, v17 offset:3072
	s_wait_dscnt 0x0
	s_barrier_signal -1
	s_barrier_wait -1
	v_cmp_eq_f16_e32 vcc_lo, 0, v8
	s_cbranch_vccz .LBB98_231
; %bb.226:                              ;   in Loop: Header=BB98_228 Depth=2
	v_dual_add_nc_u32 v7, s41, v7 :: v_dual_add_nc_u32 v6, s50, v6
	s_mov_b32 s44, 0
	s_delay_alu instid0(VALU_DEP_1)
	v_cmp_le_u32_e32 vcc_lo, s83, v7
	s_or_not1_b32 s45, vcc_lo, exec_lo
.LBB98_227:                             ;   in Loop: Header=BB98_228 Depth=2
	s_delay_alu instid0(SALU_CYCLE_1) | instskip(NEXT) | instid1(SALU_CYCLE_1)
	s_and_b32 s45, exec_lo, s45
	s_or_b32 s61, s45, s61
	s_and_not1_b32 s45, s102, exec_lo
	s_and_b32 s44, s44, exec_lo
	s_delay_alu instid0(SALU_CYCLE_1)
	s_or_b32 s102, s45, s44
	s_and_not1_b32 exec_lo, exec_lo, s61
	s_cbranch_execz .LBB98_232
.LBB98_228:                             ;   Parent Loop BB98_6 Depth=1
                                        ; =>  This Inner Loop Header: Depth=2
	s_mov_b32 s44, exec_lo
	s_delay_alu instid0(VALU_DEP_1)
	v_cmpx_gt_u32_e64 s36, v7
	s_cbranch_execz .LBB98_225
; %bb.229:                              ;   in Loop: Header=BB98_228 Depth=2
	v_readfirstlane_b32 s46, v12
	v_readfirstlane_b32 s47, v13
	global_load_u16 v8, v6, s[46:47] scale_offset
	s_wait_loadcnt 0x0
	v_cmp_lt_i16_e32 vcc_lo, -1, v8
	v_and_b32_e32 v9, 0xffff, v8
	v_cndmask_b32_e32 v16, 0xffff, v37, vcc_lo
	v_cmp_o_f16_e32 vcc_lo, v8, v8
	s_delay_alu instid0(VALU_DEP_2) | instskip(NEXT) | instid1(VALU_DEP_1)
	v_xor_b32_e32 v9, v16, v9
	v_cndmask_b32_e32 v9, 0xffff, v9, vcc_lo
	s_delay_alu instid0(VALU_DEP_1) | instskip(NEXT) | instid1(VALU_DEP_1)
	v_and_b32_e32 v9, v9, v4
	v_cmp_eq_u32_e32 vcc_lo, v9, v3
	s_and_b32 exec_lo, exec_lo, vcc_lo
	s_cbranch_execz .LBB98_225
; %bb.230:                              ;   in Loop: Header=BB98_228 Depth=2
	v_perm_b32 v8, v8, s89, 0x5040100
	ds_store_b32 v17, v8 offset:3072
	s_branch .LBB98_225
.LBB98_231:                             ;   in Loop: Header=BB98_228 Depth=2
	s_mov_b32 s45, -1
	s_mov_b32 s44, -1
                                        ; implicit-def: $vgpr7
                                        ; implicit-def: $vgpr6
	s_branch .LBB98_227
.LBB98_232:                             ;   in Loop: Header=BB98_6 Depth=1
	s_or_b32 exec_lo, exec_lo, s61
	v_lshrrev_b32_e32 v6, 16, v8
	s_and_not1_b32 s38, s38, exec_lo
	s_and_b32 s44, s102, exec_lo
	s_delay_alu instid0(SALU_CYCLE_1)
	s_or_b32 s38, s38, s44
.LBB98_233:                             ;   in Loop: Header=BB98_6 Depth=1
	s_or_b32 exec_lo, exec_lo, s60
	s_mov_b32 s60, 0
	s_mov_b32 s61, -1
.LBB98_234:                             ;   in Loop: Header=BB98_6 Depth=1
	s_or_not1_b32 s44, s38, exec_lo
.LBB98_235:                             ;   in Loop: Header=BB98_6 Depth=1
	s_or_b32 exec_lo, exec_lo, s101
	s_mov_b32 s45, 0
	s_and_saveexec_b32 s38, s44
	s_cbranch_execz .LBB98_246
; %bb.236:                              ;   in Loop: Header=BB98_6 Depth=1
	v_dual_mov_b32 v2, 1 :: v_dual_mov_b32 v7, 1
	s_xor_b32 s45, s59, -1
	s_delay_alu instid0(SALU_CYCLE_1)
	s_and_saveexec_b32 s44, s45
	s_cbranch_execz .LBB98_245
; %bb.237:                              ;   in Loop: Header=BB98_6 Depth=1
	s_mov_b32 s45, exec_lo
	v_cmpx_ge_u32_e64 s22, v5
	s_xor_b32 s45, exec_lo, s45
	s_cbranch_execz .LBB98_242
; %bb.238:                              ;   in Loop: Header=BB98_6 Depth=1
	ds_load_b32 v2, v17 offset:4096
	v_or_b32_e32 v3, s18, v3
	v_or_b32_e32 v4, s18, v4
	s_wait_dscnt 0x0
	v_cmp_ne_u32_e32 vcc_lo, 0, v2
	s_cbranch_vccnz .LBB98_242
; %bb.239:                              ;   in Loop: Header=BB98_6 Depth=1
	s_and_saveexec_b32 s59, s5
; %bb.240:                              ;   in Loop: Header=BB98_6 Depth=1
	v_mov_b32_e32 v2, s22
	ds_store_b32 v17, v2 offset:4100
; %bb.241:                              ;   in Loop: Header=BB98_6 Depth=1
	s_or_b32 exec_lo, exec_lo, s59
	s_wait_dscnt 0x0
	s_barrier_signal -1
	s_barrier_wait -1
.LBB98_242:                             ;   in Loop: Header=BB98_6 Depth=1
	s_and_not1_saveexec_b32 s45, s45
; %bb.243:                              ;   in Loop: Header=BB98_6 Depth=1
	v_subrev_nc_u32_e32 v5, s22, v5
; %bb.244:                              ;   in Loop: Header=BB98_6 Depth=1
	s_or_b32 exec_lo, exec_lo, s45
	s_delay_alu instid0(VALU_DEP_1)
	v_dual_mov_b32 v2, 8 :: v_dual_mov_b32 v7, v5
.LBB98_245:                             ;   in Loop: Header=BB98_6 Depth=1
	s_or_b32 exec_lo, exec_lo, s44
	s_delay_alu instid0(VALU_DEP_1)
	v_mov_b32_e32 v5, v7
	s_mov_b32 s45, exec_lo
.LBB98_246:                             ;   in Loop: Header=BB98_6 Depth=1
	s_or_b32 exec_lo, exec_lo, s38
	s_delay_alu instid0(SALU_CYCLE_1)
	s_or_not1_b32 s38, s45, exec_lo
.LBB98_247:                             ;   in Loop: Header=BB98_6 Depth=1
	s_or_b32 exec_lo, exec_lo, s58
	v_mov_b32_e32 v7, v5
	s_and_not1_b32 s33, s33, exec_lo
	s_and_b32 s44, s61, exec_lo
	s_and_not1_b32 s31, s31, exec_lo
	s_and_b32 s45, s60, exec_lo
	s_or_b32 s33, s33, s44
	s_or_b32 s31, s31, s45
	s_and_b32 s44, s38, exec_lo
.LBB98_248:                             ;   in Loop: Header=BB98_6 Depth=1
	s_or_b32 exec_lo, exec_lo, s34
	s_delay_alu instid0(SALU_CYCLE_1)
	s_or_not1_b32 s34, s44, exec_lo
.LBB98_249:                             ;   in Loop: Header=BB98_6 Depth=1
	s_or_b32 exec_lo, exec_lo, s30
	v_mov_b32_e32 v5, v7
	s_and_not1_b32 s28, s28, exec_lo
	s_and_b32 s30, s33, exec_lo
	s_and_not1_b32 s23, s23, exec_lo
	s_and_b32 s31, s31, exec_lo
	s_or_b32 s28, s28, s30
	s_or_b32 s23, s23, s31
	s_and_b32 s33, s34, exec_lo
.LBB98_250:                             ;   in Loop: Header=BB98_6 Depth=1
	s_or_b32 exec_lo, exec_lo, s29
	s_delay_alu instid0(SALU_CYCLE_1)
	s_or_not1_b32 s29, s33, exec_lo
.LBB98_251:                             ;   in Loop: Header=BB98_6 Depth=1
	s_or_b32 exec_lo, exec_lo, s15
	s_mov_b32 s30, 0
	s_mov_b32 s31, 0
	s_and_saveexec_b32 s15, s29
	s_delay_alu instid0(SALU_CYCLE_1)
	s_xor_b32 s29, exec_lo, s15
; %bb.252:                              ;   in Loop: Header=BB98_6 Depth=1
	v_cmp_ne_u32_e32 vcc_lo, 8, v2
	v_cmp_eq_u32_e64 s15, 8, v2
	s_and_b32 s31, vcc_lo, exec_lo
	s_and_b32 s30, s15, exec_lo
; %bb.253:                              ;   in Loop: Header=BB98_6 Depth=1
	s_or_b32 exec_lo, exec_lo, s29
	s_delay_alu instid0(SALU_CYCLE_1)
	s_and_not1_b32 s15, s25, exec_lo
	s_and_b32 s25, s28, exec_lo
	s_and_not1_b32 s24, s24, exec_lo
	s_and_b32 s23, s23, exec_lo
	s_or_b32 s25, s15, s25
	s_or_b32 s24, s24, s23
	s_and_b32 s15, s31, exec_lo
	s_and_b32 s23, s30, exec_lo
.LBB98_254:                             ;   in Loop: Header=BB98_6 Depth=1
	s_or_b32 exec_lo, exec_lo, s27
.LBB98_255:                             ;   in Loop: Header=BB98_6 Depth=1
	s_delay_alu instid0(SALU_CYCLE_1)
	s_and_b32 vcc_lo, exec_lo, s26
	s_cbranch_vccz .LBB98_269
; %bb.256:                              ;   in Loop: Header=BB98_6 Depth=1
	s_cmp_eq_u32 s22, 1
	s_mov_b32 s25, -1
	s_cselect_b32 s16, -1, 0
                                        ; implicit-def: $sgpr26
	s_delay_alu instid0(SALU_CYCLE_1) | instskip(NEXT) | instid1(SALU_CYCLE_1)
	s_and_b32 s14, s16, s14
                                        ; implicit-def: $sgpr16
	s_and_saveexec_b32 s24, s14
	s_cbranch_execz .LBB98_285
; %bb.257:                              ;   in Loop: Header=BB98_6 Depth=1
	ds_load_b32 v2, v17 offset:4096
	s_wait_dscnt 0x0
	s_barrier_signal -1
	s_barrier_wait -1
	v_readfirstlane_b32 s27, v2
	s_and_saveexec_b32 s16, s6
; %bb.258:                              ;   in Loop: Header=BB98_6 Depth=1
	ds_store_b16 v23, v17
; %bb.259:                              ;   in Loop: Header=BB98_6 Depth=1
	s_or_b32 exec_lo, exec_lo, s16
	v_or_b32_e32 v28, s18, v28
	v_or_b32_e32 v38, s18, v38
	s_mov_b32 s16, -1
	s_mov_b32 s26, 0
	s_cmp_eq_u32 s27, 0
	s_mov_b32 s25, 0
	s_mov_b32 s28, -1
	s_wait_dscnt 0x0
	s_barrier_signal -1
	s_barrier_wait -1
                                        ; implicit-def: $vgpr39
	s_cbranch_scc1 .LBB98_272
; %bb.260:                              ;   in Loop: Header=BB98_6 Depth=1
	s_add_co_i32 s38, s27, s70
                                        ; implicit-def: $vgpr39
	s_delay_alu instid0(SALU_CYCLE_1) | instskip(NEXT) | instid1(SALU_CYCLE_1)
	s_mul_u64 s[28:29], s[38:39], s[54:55]
	s_mul_i32 s25, s29, s41
	s_mov_b32 s29, exec_lo
	s_sub_co_i32 s25, s38, s25
	s_delay_alu instid0(SALU_CYCLE_1) | instskip(SKIP_2) | instid1(SALU_CYCLE_1)
	s_sub_co_i32 s28, s25, s41
	s_cmp_ge_u32 s25, s41
	s_cselect_b32 s25, s28, s25
	s_sub_co_i32 s28, s25, s41
	s_cmp_ge_u32 s25, s41
	s_cselect_b32 s25, s28, s25
	s_mov_b32 s28, 0
	s_sub_co_i32 s30, s38, s25
	s_mov_b32 s25, 0
	v_cmpx_gt_u32_e64 s30, v0
	s_cbranch_execz .LBB98_271
; %bb.261:                              ;   in Loop: Header=BB98_6 Depth=1
	v_dual_mov_b32 v2, v22 :: v_dual_mov_b32 v3, v0
                                        ; implicit-def: $sgpr31
	s_branch .LBB98_265
.LBB98_262:                             ;   in Loop: Header=BB98_265 Depth=2
	s_or_b32 exec_lo, exec_lo, s33
	s_wait_dscnt 0x0
	s_barrier_signal -1
	s_barrier_wait -1
	ds_load_b32 v4, v17 offset:3072
	s_wait_dscnt 0x0
	s_barrier_signal -1
	s_barrier_wait -1
	v_cmp_neq_f16_e32 vcc_lo, 0, v4
	s_cbranch_vccnz .LBB98_268
; %bb.263:                              ;   in Loop: Header=BB98_265 Depth=2
	v_dual_add_nc_u32 v3, s41, v3 :: v_dual_add_nc_u32 v2, s86, v2
	s_mov_b32 s33, 0
	s_delay_alu instid0(VALU_DEP_1)
	v_cmp_le_u32_e32 vcc_lo, s30, v3
	s_or_not1_b32 s34, vcc_lo, exec_lo
.LBB98_264:                             ;   in Loop: Header=BB98_265 Depth=2
	s_delay_alu instid0(SALU_CYCLE_1) | instskip(NEXT) | instid1(SALU_CYCLE_1)
	s_and_b32 s34, exec_lo, s34
	s_or_b32 s25, s34, s25
	s_and_not1_b32 s31, s31, exec_lo
	s_and_b32 s33, s33, exec_lo
	s_delay_alu instid0(SALU_CYCLE_1)
	s_or_b32 s31, s31, s33
	s_and_not1_b32 exec_lo, exec_lo, s25
	s_cbranch_execz .LBB98_270
.LBB98_265:                             ;   Parent Loop BB98_6 Depth=1
                                        ; =>  This Inner Loop Header: Depth=2
	s_mov_b32 s33, exec_lo
	s_delay_alu instid0(VALU_DEP_1)
	v_cmpx_gt_u32_e64 s27, v3
	s_cbranch_execz .LBB98_262
; %bb.266:                              ;   in Loop: Header=BB98_265 Depth=2
	ds_load_u16 v4, v2
	s_wait_dscnt 0x0
	v_cmp_lt_i16_e32 vcc_lo, -1, v4
	v_and_b32_e32 v5, 0xffff, v4
	v_cndmask_b32_e32 v6, 0xffff, v37, vcc_lo
	v_cmp_o_f16_e32 vcc_lo, v4, v4
	s_delay_alu instid0(VALU_DEP_2) | instskip(NEXT) | instid1(VALU_DEP_1)
	v_xor_b32_e32 v5, v6, v5
	v_cndmask_b32_e32 v5, 0xffff, v5, vcc_lo
	s_delay_alu instid0(VALU_DEP_1) | instskip(NEXT) | instid1(VALU_DEP_1)
	v_and_b32_e32 v5, v5, v38
	v_cmp_eq_u32_e32 vcc_lo, v5, v28
	s_and_b32 exec_lo, exec_lo, vcc_lo
	s_cbranch_execz .LBB98_262
; %bb.267:                              ;   in Loop: Header=BB98_265 Depth=2
	v_perm_b32 v4, v4, s89, 0x5040100
	ds_store_b32 v17, v4 offset:3072
	s_branch .LBB98_262
.LBB98_268:                             ;   in Loop: Header=BB98_265 Depth=2
	s_mov_b32 s34, -1
	s_mov_b32 s33, -1
                                        ; implicit-def: $vgpr3
                                        ; implicit-def: $vgpr2
	s_branch .LBB98_264
.LBB98_269:                             ;   in Loop: Header=BB98_6 Depth=1
	v_dual_mov_b32 v28, v3 :: v_dual_mov_b32 v38, v4
	v_mov_b32_e32 v39, v6
	s_mov_b32 s26, 0
	s_and_saveexec_b32 s14, s23
	s_cbranch_execnz .LBB98_422
	s_branch .LBB98_423
.LBB98_270:                             ;   in Loop: Header=BB98_6 Depth=1
	s_or_b32 exec_lo, exec_lo, s25
	v_lshrrev_b32_e32 v39, 16, v4
	s_and_b32 s25, s31, exec_lo
.LBB98_271:                             ;   in Loop: Header=BB98_6 Depth=1
	s_or_b32 exec_lo, exec_lo, s29
.LBB98_272:                             ;   in Loop: Header=BB98_6 Depth=1
	s_delay_alu instid0(SALU_CYCLE_1)
	s_and_b32 vcc_lo, exec_lo, s28
	s_cbranch_vccz .LBB98_284
; %bb.273:                              ;   in Loop: Header=BB98_6 Depth=1
                                        ; implicit-def: $vgpr39
	s_and_saveexec_b32 s16, s13
	s_cbranch_execz .LBB98_283
; %bb.274:                              ;   in Loop: Header=BB98_6 Depth=1
	v_dual_mov_b32 v2, v18 :: v_dual_mov_b32 v3, v0
	s_mov_b32 s26, 0
                                        ; implicit-def: $sgpr27
	s_branch .LBB98_278
.LBB98_275:                             ;   in Loop: Header=BB98_278 Depth=2
	s_or_b32 exec_lo, exec_lo, s28
	s_wait_dscnt 0x0
	s_barrier_signal -1
	s_barrier_wait -1
	ds_load_b32 v4, v17 offset:3072
	s_wait_dscnt 0x0
	s_barrier_signal -1
	s_barrier_wait -1
	v_cmp_neq_f16_e32 vcc_lo, 0, v4
	s_cbranch_vccnz .LBB98_281
; %bb.276:                              ;   in Loop: Header=BB98_278 Depth=2
	v_dual_add_nc_u32 v3, s41, v3 :: v_dual_add_nc_u32 v2, s50, v2
	s_mov_b32 s28, 0
	s_delay_alu instid0(VALU_DEP_1)
	v_cmp_le_u32_e32 vcc_lo, s83, v3
	s_or_not1_b32 s29, vcc_lo, exec_lo
.LBB98_277:                             ;   in Loop: Header=BB98_278 Depth=2
	s_delay_alu instid0(SALU_CYCLE_1) | instskip(NEXT) | instid1(SALU_CYCLE_1)
	s_and_b32 s29, exec_lo, s29
	s_or_b32 s26, s29, s26
	s_and_not1_b32 s27, s27, exec_lo
	s_and_b32 s28, s28, exec_lo
	s_delay_alu instid0(SALU_CYCLE_1)
	s_or_b32 s27, s27, s28
	s_and_not1_b32 exec_lo, exec_lo, s26
	s_cbranch_execz .LBB98_282
.LBB98_278:                             ;   Parent Loop BB98_6 Depth=1
                                        ; =>  This Inner Loop Header: Depth=2
	s_mov_b32 s28, exec_lo
	s_delay_alu instid0(VALU_DEP_1)
	v_cmpx_gt_u32_e64 s36, v3
	s_cbranch_execz .LBB98_275
; %bb.279:                              ;   in Loop: Header=BB98_278 Depth=2
	v_readfirstlane_b32 s30, v12
	v_readfirstlane_b32 s31, v13
	global_load_u16 v4, v2, s[30:31] scale_offset
	s_wait_loadcnt 0x0
	v_cmp_lt_i16_e32 vcc_lo, -1, v4
	v_and_b32_e32 v5, 0xffff, v4
	v_cndmask_b32_e32 v6, 0xffff, v37, vcc_lo
	v_cmp_o_f16_e32 vcc_lo, v4, v4
	s_delay_alu instid0(VALU_DEP_2) | instskip(NEXT) | instid1(VALU_DEP_1)
	v_xor_b32_e32 v5, v6, v5
	v_cndmask_b32_e32 v5, 0xffff, v5, vcc_lo
	s_delay_alu instid0(VALU_DEP_1) | instskip(NEXT) | instid1(VALU_DEP_1)
	v_and_b32_e32 v5, v5, v38
	v_cmp_eq_u32_e32 vcc_lo, v5, v28
	s_and_b32 exec_lo, exec_lo, vcc_lo
	s_cbranch_execz .LBB98_275
; %bb.280:                              ;   in Loop: Header=BB98_278 Depth=2
	v_perm_b32 v4, v4, s89, 0x5040100
	ds_store_b32 v17, v4 offset:3072
	s_branch .LBB98_275
.LBB98_281:                             ;   in Loop: Header=BB98_278 Depth=2
	s_mov_b32 s29, -1
	s_mov_b32 s28, -1
                                        ; implicit-def: $vgpr3
                                        ; implicit-def: $vgpr2
	s_branch .LBB98_277
.LBB98_282:                             ;   in Loop: Header=BB98_6 Depth=1
	s_or_b32 exec_lo, exec_lo, s26
	s_delay_alu instid0(SALU_CYCLE_1)
	s_and_not1_b32 s25, s25, exec_lo
	s_and_b32 s26, s27, exec_lo
	v_lshrrev_b32_e32 v39, 16, v4
	s_or_b32 s25, s25, s26
.LBB98_283:                             ;   in Loop: Header=BB98_6 Depth=1
	s_or_b32 exec_lo, exec_lo, s16
	s_mov_b32 s16, 0
	s_mov_b32 s26, -1
.LBB98_284:                             ;   in Loop: Header=BB98_6 Depth=1
	s_or_not1_b32 s25, s25, exec_lo
.LBB98_285:                             ;   in Loop: Header=BB98_6 Depth=1
	s_or_b32 exec_lo, exec_lo, s24
                                        ; implicit-def: $vgpr5
                                        ; implicit-def: $vgpr2
	s_and_saveexec_b32 s24, s25
	s_cbranch_execz .LBB98_421
; %bb.286:                              ;   in Loop: Header=BB98_6 Depth=1
	v_dual_mov_b32 v5, 1 :: v_dual_mov_b32 v2, 1
	s_xor_b32 s25, s14, -1
	s_mov_b32 s28, 0
	s_and_saveexec_b32 s14, s25
	s_cbranch_execz .LBB98_295
; %bb.287:                              ;   in Loop: Header=BB98_6 Depth=1
	s_mov_b32 s25, exec_lo
	v_cmpx_ge_u32_e64 s22, v40
	s_xor_b32 s25, exec_lo, s25
	s_cbranch_execz .LBB98_292
; %bb.288:                              ;   in Loop: Header=BB98_6 Depth=1
	ds_load_b32 v2, v17 offset:4096
	v_or_b32_e32 v28, s18, v28
	v_or_b32_e32 v38, s18, v38
	s_wait_dscnt 0x0
	v_cmp_ne_u32_e32 vcc_lo, 0, v2
	s_cbranch_vccnz .LBB98_292
; %bb.289:                              ;   in Loop: Header=BB98_6 Depth=1
	s_and_saveexec_b32 s27, s5
; %bb.290:                              ;   in Loop: Header=BB98_6 Depth=1
	v_mov_b32_e32 v2, s22
	ds_store_b32 v17, v2 offset:4100
; %bb.291:                              ;   in Loop: Header=BB98_6 Depth=1
	s_or_b32 exec_lo, exec_lo, s27
	s_wait_dscnt 0x0
	s_barrier_signal -1
	s_barrier_wait -1
.LBB98_292:                             ;   in Loop: Header=BB98_6 Depth=1
	s_or_saveexec_b32 s25, s25
	v_mov_b32_e32 v2, 5
	s_mov_b32 s27, 0
	s_xor_b32 exec_lo, exec_lo, s25
; %bb.293:                              ;   in Loop: Header=BB98_6 Depth=1
	v_subrev_nc_u32_e32 v40, s22, v40
	v_mov_b32_e32 v2, 0
	s_mov_b32 s27, exec_lo
; %bb.294:                              ;   in Loop: Header=BB98_6 Depth=1
	s_or_b32 exec_lo, exec_lo, s25
	s_delay_alu instid0(VALU_DEP_2)
	v_mov_b32_e32 v5, v40
	s_and_b32 s28, s27, exec_lo
.LBB98_295:                             ;   in Loop: Header=BB98_6 Depth=1
	s_or_b32 exec_lo, exec_lo, s14
	s_mov_b32 s27, -1
                                        ; implicit-def: $sgpr22
                                        ; implicit-def: $sgpr25
	s_and_saveexec_b32 s14, s28
	s_delay_alu instid0(SALU_CYCLE_1)
	s_xor_b32 s14, exec_lo, s14
	s_cbranch_execz .LBB98_418
; %bb.296:                              ;   in Loop: Header=BB98_6 Depth=1
	v_cmp_eq_u32_e32 vcc_lo, 1, v5
	s_cmp_eq_u32 s21, 1
	s_mov_b32 s29, -1
	s_cselect_b32 s22, -1, 0
                                        ; implicit-def: $sgpr25
	s_delay_alu instid0(SALU_CYCLE_1) | instskip(NEXT) | instid1(SALU_CYCLE_1)
	s_and_b32 s28, s22, vcc_lo
                                        ; implicit-def: $sgpr22
	s_and_saveexec_b32 s27, s28
	s_cbranch_execz .LBB98_324
; %bb.297:                              ;   in Loop: Header=BB98_6 Depth=1
	ds_load_b32 v3, v17 offset:4096
	s_wait_dscnt 0x0
	s_barrier_signal -1
	s_barrier_wait -1
	v_readfirstlane_b32 s30, v3
	s_and_saveexec_b32 s22, s6
; %bb.298:                              ;   in Loop: Header=BB98_6 Depth=1
	ds_store_b16 v23, v17
; %bb.299:                              ;   in Loop: Header=BB98_6 Depth=1
	s_or_b32 exec_lo, exec_lo, s22
	s_lshl_b32 s22, 2, s87
	v_or_b32_e32 v38, s18, v38
	v_and_or_b32 v28, v28, s19, s22
	s_mov_b32 s22, -1
	s_mov_b32 s25, 0
	s_cmp_eq_u32 s30, 0
	s_mov_b32 s29, 0
	s_mov_b32 s31, -1
	s_wait_dscnt 0x0
	s_barrier_signal -1
	s_barrier_wait -1
                                        ; implicit-def: $vgpr39
	s_cbranch_scc1 .LBB98_311
; %bb.300:                              ;   in Loop: Header=BB98_6 Depth=1
	s_add_co_i32 s38, s30, s70
	s_mov_b32 s33, exec_lo
	s_mul_u64 s[44:45], s[38:39], s[54:55]
                                        ; implicit-def: $vgpr39
	s_delay_alu instid0(SALU_CYCLE_1) | instskip(NEXT) | instid1(SALU_CYCLE_1)
	s_mul_i32 s29, s45, s41
	s_sub_co_i32 s29, s38, s29
	s_delay_alu instid0(SALU_CYCLE_1) | instskip(SKIP_2) | instid1(SALU_CYCLE_1)
	s_sub_co_i32 s31, s29, s41
	s_cmp_ge_u32 s29, s41
	s_cselect_b32 s29, s31, s29
	s_sub_co_i32 s31, s29, s41
	s_cmp_ge_u32 s29, s41
	s_cselect_b32 s29, s31, s29
	s_mov_b32 s31, 0
	s_sub_co_i32 s34, s38, s29
	s_mov_b32 s29, 0
	v_cmpx_gt_u32_e64 s34, v0
	s_cbranch_execz .LBB98_310
; %bb.301:                              ;   in Loop: Header=BB98_6 Depth=1
	v_dual_mov_b32 v3, v22 :: v_dual_mov_b32 v4, v0
                                        ; implicit-def: $sgpr38
	s_branch .LBB98_305
.LBB98_302:                             ;   in Loop: Header=BB98_305 Depth=2
	s_or_b32 exec_lo, exec_lo, s44
	s_wait_dscnt 0x0
	s_barrier_signal -1
	s_barrier_wait -1
	ds_load_b32 v6, v17 offset:3072
	s_wait_dscnt 0x0
	s_barrier_signal -1
	s_barrier_wait -1
	v_cmp_neq_f16_e32 vcc_lo, 0, v6
	s_cbranch_vccnz .LBB98_308
; %bb.303:                              ;   in Loop: Header=BB98_305 Depth=2
	v_dual_add_nc_u32 v4, s41, v4 :: v_dual_add_nc_u32 v3, s86, v3
	s_mov_b32 s44, 0
	s_delay_alu instid0(VALU_DEP_1)
	v_cmp_le_u32_e32 vcc_lo, s34, v4
	s_or_not1_b32 s45, vcc_lo, exec_lo
.LBB98_304:                             ;   in Loop: Header=BB98_305 Depth=2
	s_delay_alu instid0(SALU_CYCLE_1) | instskip(NEXT) | instid1(SALU_CYCLE_1)
	s_and_b32 s45, exec_lo, s45
	s_or_b32 s29, s45, s29
	s_and_not1_b32 s38, s38, exec_lo
	s_and_b32 s44, s44, exec_lo
	s_delay_alu instid0(SALU_CYCLE_1)
	s_or_b32 s38, s38, s44
	s_and_not1_b32 exec_lo, exec_lo, s29
	s_cbranch_execz .LBB98_309
.LBB98_305:                             ;   Parent Loop BB98_6 Depth=1
                                        ; =>  This Inner Loop Header: Depth=2
	s_mov_b32 s44, exec_lo
	s_delay_alu instid0(VALU_DEP_1)
	v_cmpx_gt_u32_e64 s30, v4
	s_cbranch_execz .LBB98_302
; %bb.306:                              ;   in Loop: Header=BB98_305 Depth=2
	ds_load_u16 v6, v3
	s_wait_dscnt 0x0
	v_cmp_lt_i16_e32 vcc_lo, -1, v6
	v_and_b32_e32 v7, 0xffff, v6
	v_cndmask_b32_e32 v8, 0xffff, v37, vcc_lo
	v_cmp_o_f16_e32 vcc_lo, v6, v6
	s_delay_alu instid0(VALU_DEP_2) | instskip(NEXT) | instid1(VALU_DEP_1)
	v_xor_b32_e32 v7, v8, v7
	v_cndmask_b32_e32 v7, 0xffff, v7, vcc_lo
	s_delay_alu instid0(VALU_DEP_1) | instskip(NEXT) | instid1(VALU_DEP_1)
	v_and_b32_e32 v7, v7, v38
	v_cmp_eq_u32_e32 vcc_lo, v7, v28
	s_and_b32 exec_lo, exec_lo, vcc_lo
	s_cbranch_execz .LBB98_302
; %bb.307:                              ;   in Loop: Header=BB98_305 Depth=2
	v_perm_b32 v6, v6, s89, 0x5040100
	ds_store_b32 v17, v6 offset:3072
	s_branch .LBB98_302
.LBB98_308:                             ;   in Loop: Header=BB98_305 Depth=2
	s_mov_b32 s45, -1
	s_mov_b32 s44, -1
                                        ; implicit-def: $vgpr4
                                        ; implicit-def: $vgpr3
	s_branch .LBB98_304
.LBB98_309:                             ;   in Loop: Header=BB98_6 Depth=1
	s_or_b32 exec_lo, exec_lo, s29
	v_lshrrev_b32_e32 v39, 16, v6
	s_and_b32 s29, s38, exec_lo
.LBB98_310:                             ;   in Loop: Header=BB98_6 Depth=1
	s_or_b32 exec_lo, exec_lo, s33
.LBB98_311:                             ;   in Loop: Header=BB98_6 Depth=1
	s_delay_alu instid0(SALU_CYCLE_1)
	s_and_b32 vcc_lo, exec_lo, s31
	s_cbranch_vccz .LBB98_323
; %bb.312:                              ;   in Loop: Header=BB98_6 Depth=1
                                        ; implicit-def: $vgpr39
	s_and_saveexec_b32 s22, s13
	s_cbranch_execz .LBB98_322
; %bb.313:                              ;   in Loop: Header=BB98_6 Depth=1
	v_dual_mov_b32 v3, v18 :: v_dual_mov_b32 v4, v0
	s_mov_b32 s25, 0
                                        ; implicit-def: $sgpr30
	s_branch .LBB98_317
.LBB98_314:                             ;   in Loop: Header=BB98_317 Depth=2
	s_or_b32 exec_lo, exec_lo, s31
	s_wait_dscnt 0x0
	s_barrier_signal -1
	s_barrier_wait -1
	ds_load_b32 v6, v17 offset:3072
	s_wait_dscnt 0x0
	s_barrier_signal -1
	s_barrier_wait -1
	v_cmp_eq_f16_e32 vcc_lo, 0, v6
	s_cbranch_vccz .LBB98_320
; %bb.315:                              ;   in Loop: Header=BB98_317 Depth=2
	v_dual_add_nc_u32 v4, s41, v4 :: v_dual_add_nc_u32 v3, s50, v3
	s_mov_b32 s31, 0
	s_delay_alu instid0(VALU_DEP_1)
	v_cmp_le_u32_e32 vcc_lo, s83, v4
	s_or_not1_b32 s33, vcc_lo, exec_lo
.LBB98_316:                             ;   in Loop: Header=BB98_317 Depth=2
	s_delay_alu instid0(SALU_CYCLE_1) | instskip(NEXT) | instid1(SALU_CYCLE_1)
	s_and_b32 s33, exec_lo, s33
	s_or_b32 s25, s33, s25
	s_and_not1_b32 s30, s30, exec_lo
	s_and_b32 s31, s31, exec_lo
	s_delay_alu instid0(SALU_CYCLE_1)
	s_or_b32 s30, s30, s31
	s_and_not1_b32 exec_lo, exec_lo, s25
	s_cbranch_execz .LBB98_321
.LBB98_317:                             ;   Parent Loop BB98_6 Depth=1
                                        ; =>  This Inner Loop Header: Depth=2
	s_mov_b32 s31, exec_lo
	s_delay_alu instid0(VALU_DEP_1)
	v_cmpx_gt_u32_e64 s36, v4
	s_cbranch_execz .LBB98_314
; %bb.318:                              ;   in Loop: Header=BB98_317 Depth=2
	v_readfirstlane_b32 s44, v12
	v_readfirstlane_b32 s45, v13
	global_load_u16 v6, v3, s[44:45] scale_offset
	s_wait_loadcnt 0x0
	v_cmp_lt_i16_e32 vcc_lo, -1, v6
	v_and_b32_e32 v7, 0xffff, v6
	v_cndmask_b32_e32 v8, 0xffff, v37, vcc_lo
	v_cmp_o_f16_e32 vcc_lo, v6, v6
	s_delay_alu instid0(VALU_DEP_2) | instskip(NEXT) | instid1(VALU_DEP_1)
	v_xor_b32_e32 v7, v8, v7
	v_cndmask_b32_e32 v7, 0xffff, v7, vcc_lo
	s_delay_alu instid0(VALU_DEP_1) | instskip(NEXT) | instid1(VALU_DEP_1)
	v_and_b32_e32 v7, v7, v38
	v_cmp_eq_u32_e32 vcc_lo, v7, v28
	s_and_b32 exec_lo, exec_lo, vcc_lo
	s_cbranch_execz .LBB98_314
; %bb.319:                              ;   in Loop: Header=BB98_317 Depth=2
	v_perm_b32 v6, v6, s89, 0x5040100
	ds_store_b32 v17, v6 offset:3072
	s_branch .LBB98_314
.LBB98_320:                             ;   in Loop: Header=BB98_317 Depth=2
	s_mov_b32 s33, -1
	s_mov_b32 s31, -1
                                        ; implicit-def: $vgpr4
                                        ; implicit-def: $vgpr3
	s_branch .LBB98_316
.LBB98_321:                             ;   in Loop: Header=BB98_6 Depth=1
	s_or_b32 exec_lo, exec_lo, s25
	v_lshrrev_b32_e32 v39, 16, v6
	s_and_not1_b32 s25, s29, exec_lo
	s_and_b32 s29, s30, exec_lo
	s_delay_alu instid0(SALU_CYCLE_1)
	s_or_b32 s29, s25, s29
.LBB98_322:                             ;   in Loop: Header=BB98_6 Depth=1
	s_or_b32 exec_lo, exec_lo, s22
	s_mov_b32 s22, 0
	s_mov_b32 s25, -1
.LBB98_323:                             ;   in Loop: Header=BB98_6 Depth=1
	s_or_not1_b32 s29, s29, exec_lo
.LBB98_324:                             ;   in Loop: Header=BB98_6 Depth=1
	s_or_b32 exec_lo, exec_lo, s27
	s_mov_b32 s30, 0
	s_and_saveexec_b32 s27, s29
	s_cbranch_execz .LBB98_417
; %bb.325:                              ;   in Loop: Header=BB98_6 Depth=1
	v_dual_mov_b32 v3, 1 :: v_dual_mov_b32 v2, 1
	s_xor_b32 s29, s28, -1
	s_mov_b32 s31, 0
	s_and_saveexec_b32 s28, s29
	s_cbranch_execz .LBB98_334
; %bb.326:                              ;   in Loop: Header=BB98_6 Depth=1
	s_mov_b32 s29, exec_lo
	v_cmpx_ge_u32_e64 s21, v5
	s_xor_b32 s29, exec_lo, s29
	s_cbranch_execz .LBB98_331
; %bb.327:                              ;   in Loop: Header=BB98_6 Depth=1
	ds_load_b32 v2, v17 offset:4096
	s_lshl_b32 s30, 2, s87
	v_or_b32_e32 v38, s18, v38
	v_and_or_b32 v28, v28, s19, s30
	s_wait_dscnt 0x0
	v_cmp_ne_u32_e32 vcc_lo, 0, v2
	s_cbranch_vccnz .LBB98_331
; %bb.328:                              ;   in Loop: Header=BB98_6 Depth=1
	s_and_saveexec_b32 s30, s5
; %bb.329:                              ;   in Loop: Header=BB98_6 Depth=1
	v_mov_b32_e32 v2, s21
	ds_store_b32 v17, v2 offset:4100
; %bb.330:                              ;   in Loop: Header=BB98_6 Depth=1
	s_or_b32 exec_lo, exec_lo, s30
	s_wait_dscnt 0x0
	s_barrier_signal -1
	s_barrier_wait -1
.LBB98_331:                             ;   in Loop: Header=BB98_6 Depth=1
	s_or_saveexec_b32 s29, s29
	v_mov_b32_e32 v2, 5
	s_mov_b32 s30, 0
	s_xor_b32 exec_lo, exec_lo, s29
; %bb.332:                              ;   in Loop: Header=BB98_6 Depth=1
	v_subrev_nc_u32_e32 v5, s21, v5
	v_mov_b32_e32 v2, 0
	s_mov_b32 s30, exec_lo
; %bb.333:                              ;   in Loop: Header=BB98_6 Depth=1
	s_or_b32 exec_lo, exec_lo, s29
	s_delay_alu instid0(VALU_DEP_2)
	v_mov_b32_e32 v3, v5
	s_and_b32 s31, s30, exec_lo
.LBB98_334:                             ;   in Loop: Header=BB98_6 Depth=1
	s_or_b32 exec_lo, exec_lo, s28
	s_mov_b32 s30, -1
                                        ; implicit-def: $sgpr28
                                        ; implicit-def: $sgpr29
	s_and_saveexec_b32 s21, s31
	s_cbranch_execz .LBB98_416
; %bb.335:                              ;   in Loop: Header=BB98_6 Depth=1
	v_cmp_eq_u32_e32 vcc_lo, 1, v3
	s_cmp_eq_u32 s20, 1
	s_mov_b32 s33, -1
	s_cselect_b32 s28, -1, 0
                                        ; implicit-def: $sgpr29
	s_delay_alu instid0(SALU_CYCLE_1) | instskip(NEXT) | instid1(SALU_CYCLE_1)
	s_and_b32 s31, s28, vcc_lo
                                        ; implicit-def: $sgpr28
	s_and_saveexec_b32 s30, s31
	s_cbranch_execz .LBB98_363
; %bb.336:                              ;   in Loop: Header=BB98_6 Depth=1
	ds_load_b32 v4, v17 offset:4096
	s_wait_dscnt 0x0
	s_barrier_signal -1
	s_barrier_wait -1
	v_readfirstlane_b32 s34, v4
	s_and_saveexec_b32 s28, s6
; %bb.337:                              ;   in Loop: Header=BB98_6 Depth=1
	ds_store_b16 v23, v17
; %bb.338:                              ;   in Loop: Header=BB98_6 Depth=1
	s_or_b32 exec_lo, exec_lo, s28
	s_lshl_b32 s28, 1, s87
	v_or_b32_e32 v38, s18, v38
	v_and_or_b32 v28, v28, s19, s28
	s_mov_b32 s28, -1
	s_mov_b32 s29, 0
	s_cmp_eq_u32 s34, 0
	s_mov_b32 s33, 0
	s_mov_b32 s38, -1
	s_wait_dscnt 0x0
	s_barrier_signal -1
	s_barrier_wait -1
                                        ; implicit-def: $vgpr39
	s_cbranch_scc1 .LBB98_350
; %bb.339:                              ;   in Loop: Header=BB98_6 Depth=1
	s_add_co_i32 s38, s34, s70
	s_mov_b32 s58, exec_lo
	s_mul_u64 s[44:45], s[38:39], s[54:55]
                                        ; implicit-def: $vgpr39
	s_delay_alu instid0(SALU_CYCLE_1) | instskip(NEXT) | instid1(SALU_CYCLE_1)
	s_mul_i32 s33, s45, s41
	s_sub_co_i32 s33, s38, s33
	s_delay_alu instid0(SALU_CYCLE_1) | instskip(SKIP_2) | instid1(SALU_CYCLE_1)
	s_sub_co_i32 s44, s33, s41
	s_cmp_ge_u32 s33, s41
	s_cselect_b32 s33, s44, s33
	s_sub_co_i32 s44, s33, s41
	s_cmp_ge_u32 s33, s41
	s_cselect_b32 s33, s44, s33
	s_delay_alu instid0(SALU_CYCLE_1)
	s_sub_co_i32 s59, s38, s33
	s_mov_b32 s38, 0
	s_mov_b32 s33, 0
	v_cmpx_gt_u32_e64 s59, v0
	s_cbranch_execz .LBB98_349
; %bb.340:                              ;   in Loop: Header=BB98_6 Depth=1
	v_dual_mov_b32 v4, v22 :: v_dual_mov_b32 v5, v0
                                        ; implicit-def: $sgpr44
	s_branch .LBB98_344
.LBB98_341:                             ;   in Loop: Header=BB98_344 Depth=2
	s_or_b32 exec_lo, exec_lo, s45
	s_wait_dscnt 0x0
	s_barrier_signal -1
	s_barrier_wait -1
	ds_load_b32 v6, v17 offset:3072
	s_wait_dscnt 0x0
	s_barrier_signal -1
	s_barrier_wait -1
	v_cmp_neq_f16_e32 vcc_lo, 0, v6
	s_cbranch_vccnz .LBB98_347
; %bb.342:                              ;   in Loop: Header=BB98_344 Depth=2
	v_dual_add_nc_u32 v5, s41, v5 :: v_dual_add_nc_u32 v4, s86, v4
	s_mov_b32 s45, 0
	s_delay_alu instid0(VALU_DEP_1)
	v_cmp_le_u32_e32 vcc_lo, s59, v5
	s_or_not1_b32 s60, vcc_lo, exec_lo
.LBB98_343:                             ;   in Loop: Header=BB98_344 Depth=2
	s_delay_alu instid0(SALU_CYCLE_1) | instskip(NEXT) | instid1(SALU_CYCLE_1)
	s_and_b32 s46, exec_lo, s60
	s_or_b32 s33, s46, s33
	s_and_not1_b32 s44, s44, exec_lo
	s_and_b32 s45, s45, exec_lo
	s_delay_alu instid0(SALU_CYCLE_1)
	s_or_b32 s44, s44, s45
	s_and_not1_b32 exec_lo, exec_lo, s33
	s_cbranch_execz .LBB98_348
.LBB98_344:                             ;   Parent Loop BB98_6 Depth=1
                                        ; =>  This Inner Loop Header: Depth=2
	s_mov_b32 s45, exec_lo
	s_delay_alu instid0(VALU_DEP_1)
	v_cmpx_gt_u32_e64 s34, v5
	s_cbranch_execz .LBB98_341
; %bb.345:                              ;   in Loop: Header=BB98_344 Depth=2
	ds_load_u16 v6, v4
	s_wait_dscnt 0x0
	v_cmp_lt_i16_e32 vcc_lo, -1, v6
	v_and_b32_e32 v7, 0xffff, v6
	v_cndmask_b32_e32 v8, 0xffff, v37, vcc_lo
	v_cmp_o_f16_e32 vcc_lo, v6, v6
	s_delay_alu instid0(VALU_DEP_2) | instskip(NEXT) | instid1(VALU_DEP_1)
	v_xor_b32_e32 v7, v8, v7
	v_cndmask_b32_e32 v7, 0xffff, v7, vcc_lo
	s_delay_alu instid0(VALU_DEP_1) | instskip(NEXT) | instid1(VALU_DEP_1)
	v_and_b32_e32 v7, v7, v38
	v_cmp_eq_u32_e32 vcc_lo, v7, v28
	s_and_b32 exec_lo, exec_lo, vcc_lo
	s_cbranch_execz .LBB98_341
; %bb.346:                              ;   in Loop: Header=BB98_344 Depth=2
	v_perm_b32 v6, v6, s89, 0x5040100
	ds_store_b32 v17, v6 offset:3072
	s_branch .LBB98_341
.LBB98_347:                             ;   in Loop: Header=BB98_344 Depth=2
	s_mov_b32 s60, -1
	s_mov_b32 s45, -1
                                        ; implicit-def: $vgpr5
                                        ; implicit-def: $vgpr4
	s_branch .LBB98_343
.LBB98_348:                             ;   in Loop: Header=BB98_6 Depth=1
	s_or_b32 exec_lo, exec_lo, s33
	v_lshrrev_b32_e32 v39, 16, v6
	s_and_b32 s33, s44, exec_lo
.LBB98_349:                             ;   in Loop: Header=BB98_6 Depth=1
	s_or_b32 exec_lo, exec_lo, s58
.LBB98_350:                             ;   in Loop: Header=BB98_6 Depth=1
	s_delay_alu instid0(SALU_CYCLE_1)
	s_and_b32 vcc_lo, exec_lo, s38
	s_cbranch_vccz .LBB98_362
; %bb.351:                              ;   in Loop: Header=BB98_6 Depth=1
                                        ; implicit-def: $vgpr39
	s_and_saveexec_b32 s28, s13
	s_cbranch_execz .LBB98_361
; %bb.352:                              ;   in Loop: Header=BB98_6 Depth=1
	v_dual_mov_b32 v4, v18 :: v_dual_mov_b32 v5, v0
	s_mov_b32 s29, 0
                                        ; implicit-def: $sgpr34
	s_branch .LBB98_356
.LBB98_353:                             ;   in Loop: Header=BB98_356 Depth=2
	s_or_b32 exec_lo, exec_lo, s38
	s_wait_dscnt 0x0
	s_barrier_signal -1
	s_barrier_wait -1
	ds_load_b32 v6, v17 offset:3072
	s_wait_dscnt 0x0
	s_barrier_signal -1
	s_barrier_wait -1
	v_cmp_eq_f16_e32 vcc_lo, 0, v6
	s_cbranch_vccz .LBB98_359
; %bb.354:                              ;   in Loop: Header=BB98_356 Depth=2
	v_dual_add_nc_u32 v5, s41, v5 :: v_dual_add_nc_u32 v4, s50, v4
	s_mov_b32 s38, 0
	s_delay_alu instid0(VALU_DEP_1)
	v_cmp_le_u32_e32 vcc_lo, s83, v5
	s_or_not1_b32 s44, vcc_lo, exec_lo
.LBB98_355:                             ;   in Loop: Header=BB98_356 Depth=2
	s_delay_alu instid0(SALU_CYCLE_1) | instskip(NEXT) | instid1(SALU_CYCLE_1)
	s_and_b32 s44, exec_lo, s44
	s_or_b32 s29, s44, s29
	s_and_not1_b32 s34, s34, exec_lo
	s_and_b32 s38, s38, exec_lo
	s_delay_alu instid0(SALU_CYCLE_1)
	s_or_b32 s34, s34, s38
	s_and_not1_b32 exec_lo, exec_lo, s29
	s_cbranch_execz .LBB98_360
.LBB98_356:                             ;   Parent Loop BB98_6 Depth=1
                                        ; =>  This Inner Loop Header: Depth=2
	s_mov_b32 s38, exec_lo
	s_delay_alu instid0(VALU_DEP_1)
	v_cmpx_gt_u32_e64 s36, v5
	s_cbranch_execz .LBB98_353
; %bb.357:                              ;   in Loop: Header=BB98_356 Depth=2
	v_readfirstlane_b32 s44, v12
	v_readfirstlane_b32 s45, v13
	global_load_u16 v6, v4, s[44:45] scale_offset
	s_wait_loadcnt 0x0
	v_cmp_lt_i16_e32 vcc_lo, -1, v6
	v_and_b32_e32 v7, 0xffff, v6
	v_cndmask_b32_e32 v8, 0xffff, v37, vcc_lo
	v_cmp_o_f16_e32 vcc_lo, v6, v6
	s_delay_alu instid0(VALU_DEP_2) | instskip(NEXT) | instid1(VALU_DEP_1)
	v_xor_b32_e32 v7, v8, v7
	v_cndmask_b32_e32 v7, 0xffff, v7, vcc_lo
	s_delay_alu instid0(VALU_DEP_1) | instskip(NEXT) | instid1(VALU_DEP_1)
	v_and_b32_e32 v7, v7, v38
	v_cmp_eq_u32_e32 vcc_lo, v7, v28
	s_and_b32 exec_lo, exec_lo, vcc_lo
	s_cbranch_execz .LBB98_353
; %bb.358:                              ;   in Loop: Header=BB98_356 Depth=2
	v_perm_b32 v6, v6, s89, 0x5040100
	ds_store_b32 v17, v6 offset:3072
	s_branch .LBB98_353
.LBB98_359:                             ;   in Loop: Header=BB98_356 Depth=2
	s_mov_b32 s44, -1
	s_mov_b32 s38, -1
                                        ; implicit-def: $vgpr5
                                        ; implicit-def: $vgpr4
	s_branch .LBB98_355
.LBB98_360:                             ;   in Loop: Header=BB98_6 Depth=1
	s_or_b32 exec_lo, exec_lo, s29
	v_lshrrev_b32_e32 v39, 16, v6
	s_and_not1_b32 s29, s33, exec_lo
	s_and_b32 s33, s34, exec_lo
	s_delay_alu instid0(SALU_CYCLE_1)
	s_or_b32 s33, s29, s33
.LBB98_361:                             ;   in Loop: Header=BB98_6 Depth=1
	s_or_b32 exec_lo, exec_lo, s28
	s_mov_b32 s28, 0
	s_mov_b32 s29, -1
.LBB98_362:                             ;   in Loop: Header=BB98_6 Depth=1
	s_or_not1_b32 s33, s33, exec_lo
.LBB98_363:                             ;   in Loop: Header=BB98_6 Depth=1
	s_or_b32 exec_lo, exec_lo, s30
	s_mov_b32 s34, 0
	s_and_saveexec_b32 s30, s33
	s_cbranch_execz .LBB98_415
; %bb.364:                              ;   in Loop: Header=BB98_6 Depth=1
	v_dual_mov_b32 v4, 1 :: v_dual_mov_b32 v2, 1
	s_xor_b32 s33, s31, -1
	s_mov_b32 s38, 0
	s_and_saveexec_b32 s31, s33
	s_cbranch_execz .LBB98_373
; %bb.365:                              ;   in Loop: Header=BB98_6 Depth=1
	s_mov_b32 s33, exec_lo
	v_cmpx_ge_u32_e64 s20, v3
	s_xor_b32 s33, exec_lo, s33
	s_cbranch_execz .LBB98_370
; %bb.366:                              ;   in Loop: Header=BB98_6 Depth=1
	ds_load_b32 v2, v17 offset:4096
	s_lshl_b32 s34, 1, s87
	v_or_b32_e32 v38, s18, v38
	v_and_or_b32 v28, v28, s19, s34
	s_wait_dscnt 0x0
	v_cmp_ne_u32_e32 vcc_lo, 0, v2
	s_cbranch_vccnz .LBB98_370
; %bb.367:                              ;   in Loop: Header=BB98_6 Depth=1
	s_and_saveexec_b32 s34, s5
; %bb.368:                              ;   in Loop: Header=BB98_6 Depth=1
	v_mov_b32_e32 v2, s20
	ds_store_b32 v17, v2 offset:4100
; %bb.369:                              ;   in Loop: Header=BB98_6 Depth=1
	s_or_b32 exec_lo, exec_lo, s34
	s_wait_dscnt 0x0
	s_barrier_signal -1
	s_barrier_wait -1
.LBB98_370:                             ;   in Loop: Header=BB98_6 Depth=1
	s_or_saveexec_b32 s33, s33
	v_mov_b32_e32 v2, 5
	s_mov_b32 s34, 0
	s_xor_b32 exec_lo, exec_lo, s33
; %bb.371:                              ;   in Loop: Header=BB98_6 Depth=1
	v_subrev_nc_u32_e32 v3, s20, v3
	v_mov_b32_e32 v2, 0
	s_mov_b32 s34, exec_lo
; %bb.372:                              ;   in Loop: Header=BB98_6 Depth=1
	s_or_b32 exec_lo, exec_lo, s33
	s_delay_alu instid0(VALU_DEP_2)
	v_mov_b32_e32 v4, v3
	s_and_b32 s38, s34, exec_lo
.LBB98_373:                             ;   in Loop: Header=BB98_6 Depth=1
	s_or_b32 exec_lo, exec_lo, s31
	s_mov_b32 s31, -1
                                        ; implicit-def: $sgpr34
                                        ; implicit-def: $sgpr33
	s_and_saveexec_b32 s20, s38
	s_cbranch_execz .LBB98_414
; %bb.374:                              ;   in Loop: Header=BB98_6 Depth=1
	v_cmp_eq_u32_e32 vcc_lo, 1, v4
	s_cmp_eq_u32 s17, 1
	s_mov_b32 s44, -1
	s_cselect_b32 s31, -1, 0
                                        ; implicit-def: $sgpr34
                                        ; implicit-def: $sgpr33
	s_delay_alu instid0(SALU_CYCLE_1) | instskip(NEXT) | instid1(SALU_CYCLE_1)
	s_and_b32 s31, s31, vcc_lo
	s_and_saveexec_b32 s58, s31
	s_cbranch_execz .LBB98_402
; %bb.375:                              ;   in Loop: Header=BB98_6 Depth=1
	ds_load_b32 v3, v17 offset:4096
	s_wait_dscnt 0x0
	s_barrier_signal -1
	s_barrier_wait -1
	v_readfirstlane_b32 s59, v3
	s_and_saveexec_b32 s33, s6
; %bb.376:                              ;   in Loop: Header=BB98_6 Depth=1
	ds_store_b16 v23, v17
; %bb.377:                              ;   in Loop: Header=BB98_6 Depth=1
	s_or_b32 exec_lo, exec_lo, s33
	v_and_b32_e32 v28, s19, v28
	v_or_b32_e32 v38, s18, v38
	s_mov_b32 s33, -1
	s_mov_b32 s34, 0
	s_cmp_eq_u32 s59, 0
	s_mov_b32 s38, 0
	s_mov_b32 s60, -1
	s_wait_dscnt 0x0
	s_barrier_signal -1
	s_barrier_wait -1
                                        ; implicit-def: $vgpr39
	s_cbranch_scc1 .LBB98_389
; %bb.378:                              ;   in Loop: Header=BB98_6 Depth=1
	s_add_co_i32 s38, s59, s70
	s_mov_b32 s60, 0
	s_mul_u64 s[44:45], s[38:39], s[54:55]
	s_mov_b32 s61, exec_lo
	s_mul_i32 s44, s45, s41
                                        ; implicit-def: $vgpr39
	s_delay_alu instid0(SALU_CYCLE_1) | instskip(NEXT) | instid1(SALU_CYCLE_1)
	s_sub_co_i32 s44, s38, s44
	s_sub_co_i32 s45, s44, s41
	s_cmp_ge_u32 s44, s41
	s_cselect_b32 s44, s45, s44
	s_delay_alu instid0(SALU_CYCLE_1) | instskip(SKIP_2) | instid1(SALU_CYCLE_1)
	s_sub_co_i32 s45, s44, s41
	s_cmp_ge_u32 s44, s41
	s_cselect_b32 s44, s45, s44
	s_sub_co_i32 s101, s38, s44
	s_mov_b32 s38, 0
	v_cmpx_gt_u32_e64 s101, v0
	s_cbranch_execz .LBB98_388
; %bb.379:                              ;   in Loop: Header=BB98_6 Depth=1
	v_dual_mov_b32 v3, v22 :: v_dual_mov_b32 v5, v0
                                        ; implicit-def: $sgpr44
	s_branch .LBB98_383
.LBB98_380:                             ;   in Loop: Header=BB98_383 Depth=2
	s_or_b32 exec_lo, exec_lo, s45
	s_wait_dscnt 0x0
	s_barrier_signal -1
	s_barrier_wait -1
	ds_load_b32 v6, v17 offset:3072
	s_wait_dscnt 0x0
	s_barrier_signal -1
	s_barrier_wait -1
	v_cmp_neq_f16_e32 vcc_lo, 0, v6
	s_cbranch_vccnz .LBB98_386
; %bb.381:                              ;   in Loop: Header=BB98_383 Depth=2
	v_dual_add_nc_u32 v5, s41, v5 :: v_dual_add_nc_u32 v3, s86, v3
	s_mov_b32 s45, 0
	s_delay_alu instid0(VALU_DEP_1)
	v_cmp_le_u32_e32 vcc_lo, s101, v5
	s_or_not1_b32 s102, vcc_lo, exec_lo
.LBB98_382:                             ;   in Loop: Header=BB98_383 Depth=2
	s_delay_alu instid0(SALU_CYCLE_1) | instskip(NEXT) | instid1(SALU_CYCLE_1)
	s_and_b32 s46, exec_lo, s102
	s_or_b32 s38, s46, s38
	s_and_not1_b32 s44, s44, exec_lo
	s_and_b32 s45, s45, exec_lo
	s_delay_alu instid0(SALU_CYCLE_1)
	s_or_b32 s44, s44, s45
	s_and_not1_b32 exec_lo, exec_lo, s38
	s_cbranch_execz .LBB98_387
.LBB98_383:                             ;   Parent Loop BB98_6 Depth=1
                                        ; =>  This Inner Loop Header: Depth=2
	s_mov_b32 s45, exec_lo
	s_delay_alu instid0(VALU_DEP_1)
	v_cmpx_gt_u32_e64 s59, v5
	s_cbranch_execz .LBB98_380
; %bb.384:                              ;   in Loop: Header=BB98_383 Depth=2
	ds_load_u16 v6, v3
	s_wait_dscnt 0x0
	v_cmp_lt_i16_e32 vcc_lo, -1, v6
	v_and_b32_e32 v7, 0xffff, v6
	v_cndmask_b32_e32 v8, 0xffff, v37, vcc_lo
	v_cmp_o_f16_e32 vcc_lo, v6, v6
	s_delay_alu instid0(VALU_DEP_2) | instskip(NEXT) | instid1(VALU_DEP_1)
	v_xor_b32_e32 v7, v8, v7
	v_cndmask_b32_e32 v7, 0xffff, v7, vcc_lo
	s_delay_alu instid0(VALU_DEP_1) | instskip(NEXT) | instid1(VALU_DEP_1)
	v_and_b32_e32 v7, v7, v38
	v_cmp_eq_u32_e32 vcc_lo, v7, v28
	s_and_b32 exec_lo, exec_lo, vcc_lo
	s_cbranch_execz .LBB98_380
; %bb.385:                              ;   in Loop: Header=BB98_383 Depth=2
	v_perm_b32 v6, v6, s89, 0x5040100
	ds_store_b32 v17, v6 offset:3072
	s_branch .LBB98_380
.LBB98_386:                             ;   in Loop: Header=BB98_383 Depth=2
	s_mov_b32 s102, -1
	s_mov_b32 s45, -1
                                        ; implicit-def: $vgpr5
                                        ; implicit-def: $vgpr3
	s_branch .LBB98_382
.LBB98_387:                             ;   in Loop: Header=BB98_6 Depth=1
	s_or_b32 exec_lo, exec_lo, s38
	v_lshrrev_b32_e32 v39, 16, v6
	s_and_b32 s38, s44, exec_lo
.LBB98_388:                             ;   in Loop: Header=BB98_6 Depth=1
	s_or_b32 exec_lo, exec_lo, s61
.LBB98_389:                             ;   in Loop: Header=BB98_6 Depth=1
	s_delay_alu instid0(SALU_CYCLE_1)
	s_and_b32 vcc_lo, exec_lo, s60
	s_cbranch_vccz .LBB98_401
; %bb.390:                              ;   in Loop: Header=BB98_6 Depth=1
                                        ; implicit-def: $vgpr39
	s_and_saveexec_b32 s33, s13
	s_cbranch_execz .LBB98_400
; %bb.391:                              ;   in Loop: Header=BB98_6 Depth=1
	v_dual_mov_b32 v3, v18 :: v_dual_mov_b32 v5, v0
	s_mov_b32 s34, 0
                                        ; implicit-def: $sgpr59
	s_branch .LBB98_395
.LBB98_392:                             ;   in Loop: Header=BB98_395 Depth=2
	s_or_b32 exec_lo, exec_lo, s44
	s_wait_dscnt 0x0
	s_barrier_signal -1
	s_barrier_wait -1
	ds_load_b32 v6, v17 offset:3072
	s_wait_dscnt 0x0
	s_barrier_signal -1
	s_barrier_wait -1
	v_cmp_eq_f16_e32 vcc_lo, 0, v6
	s_cbranch_vccz .LBB98_398
; %bb.393:                              ;   in Loop: Header=BB98_395 Depth=2
	v_dual_add_nc_u32 v5, s41, v5 :: v_dual_add_nc_u32 v3, s50, v3
	s_mov_b32 s44, 0
	s_delay_alu instid0(VALU_DEP_1)
	v_cmp_le_u32_e32 vcc_lo, s83, v5
	s_or_not1_b32 s45, vcc_lo, exec_lo
.LBB98_394:                             ;   in Loop: Header=BB98_395 Depth=2
	s_delay_alu instid0(SALU_CYCLE_1) | instskip(NEXT) | instid1(SALU_CYCLE_1)
	s_and_b32 s45, exec_lo, s45
	s_or_b32 s34, s45, s34
	s_and_not1_b32 s45, s59, exec_lo
	s_and_b32 s44, s44, exec_lo
	s_delay_alu instid0(SALU_CYCLE_1)
	s_or_b32 s59, s45, s44
	s_and_not1_b32 exec_lo, exec_lo, s34
	s_cbranch_execz .LBB98_399
.LBB98_395:                             ;   Parent Loop BB98_6 Depth=1
                                        ; =>  This Inner Loop Header: Depth=2
	s_mov_b32 s44, exec_lo
	s_delay_alu instid0(VALU_DEP_1)
	v_cmpx_gt_u32_e64 s36, v5
	s_cbranch_execz .LBB98_392
; %bb.396:                              ;   in Loop: Header=BB98_395 Depth=2
	v_readfirstlane_b32 s60, v12
	v_readfirstlane_b32 s61, v13
	global_load_u16 v6, v3, s[60:61] scale_offset
	s_wait_loadcnt 0x0
	v_cmp_lt_i16_e32 vcc_lo, -1, v6
	v_and_b32_e32 v7, 0xffff, v6
	v_cndmask_b32_e32 v8, 0xffff, v37, vcc_lo
	v_cmp_o_f16_e32 vcc_lo, v6, v6
	s_delay_alu instid0(VALU_DEP_2) | instskip(NEXT) | instid1(VALU_DEP_1)
	v_xor_b32_e32 v7, v8, v7
	v_cndmask_b32_e32 v7, 0xffff, v7, vcc_lo
	s_delay_alu instid0(VALU_DEP_1) | instskip(NEXT) | instid1(VALU_DEP_1)
	v_and_b32_e32 v7, v7, v38
	v_cmp_eq_u32_e32 vcc_lo, v7, v28
	s_and_b32 exec_lo, exec_lo, vcc_lo
	s_cbranch_execz .LBB98_392
; %bb.397:                              ;   in Loop: Header=BB98_395 Depth=2
	v_perm_b32 v6, v6, s89, 0x5040100
	ds_store_b32 v17, v6 offset:3072
	s_branch .LBB98_392
.LBB98_398:                             ;   in Loop: Header=BB98_395 Depth=2
	s_mov_b32 s45, -1
	s_mov_b32 s44, -1
                                        ; implicit-def: $vgpr5
                                        ; implicit-def: $vgpr3
	s_branch .LBB98_394
.LBB98_399:                             ;   in Loop: Header=BB98_6 Depth=1
	s_or_b32 exec_lo, exec_lo, s34
	v_lshrrev_b32_e32 v39, 16, v6
	s_and_not1_b32 s34, s38, exec_lo
	s_and_b32 s38, s59, exec_lo
	s_delay_alu instid0(SALU_CYCLE_1)
	s_or_b32 s38, s34, s38
.LBB98_400:                             ;   in Loop: Header=BB98_6 Depth=1
	s_or_b32 exec_lo, exec_lo, s33
	s_mov_b32 s33, 0
	s_mov_b32 s34, -1
.LBB98_401:                             ;   in Loop: Header=BB98_6 Depth=1
	s_or_not1_b32 s44, s38, exec_lo
.LBB98_402:                             ;   in Loop: Header=BB98_6 Depth=1
	s_or_b32 exec_lo, exec_lo, s58
	s_mov_b32 s45, 0
	s_and_saveexec_b32 s38, s44
	s_cbranch_execz .LBB98_413
; %bb.403:                              ;   in Loop: Header=BB98_6 Depth=1
	v_dual_mov_b32 v2, 1 :: v_dual_mov_b32 v3, 1
	s_xor_b32 s44, s31, -1
	s_delay_alu instid0(SALU_CYCLE_1)
	s_and_saveexec_b32 s31, s44
	s_cbranch_execz .LBB98_412
; %bb.404:                              ;   in Loop: Header=BB98_6 Depth=1
	s_mov_b32 s44, exec_lo
	v_cmpx_ge_u32_e64 s17, v4
	s_xor_b32 s44, exec_lo, s44
	s_cbranch_execz .LBB98_409
; %bb.405:                              ;   in Loop: Header=BB98_6 Depth=1
	ds_load_b32 v2, v17 offset:4096
	v_and_b32_e32 v28, s19, v28
	v_or_b32_e32 v38, s18, v38
	s_wait_dscnt 0x0
	v_cmp_ne_u32_e32 vcc_lo, 0, v2
	s_cbranch_vccnz .LBB98_409
; %bb.406:                              ;   in Loop: Header=BB98_6 Depth=1
	s_and_saveexec_b32 s18, s5
; %bb.407:                              ;   in Loop: Header=BB98_6 Depth=1
	v_mov_b32_e32 v2, s17
	ds_store_b32 v17, v2 offset:4100
; %bb.408:                              ;   in Loop: Header=BB98_6 Depth=1
	s_or_b32 exec_lo, exec_lo, s18
	s_wait_dscnt 0x0
	s_barrier_signal -1
	s_barrier_wait -1
.LBB98_409:                             ;   in Loop: Header=BB98_6 Depth=1
	s_and_not1_saveexec_b32 s18, s44
; %bb.410:                              ;   in Loop: Header=BB98_6 Depth=1
	v_subrev_nc_u32_e32 v4, s17, v4
; %bb.411:                              ;   in Loop: Header=BB98_6 Depth=1
	s_or_b32 exec_lo, exec_lo, s18
	s_delay_alu instid0(VALU_DEP_1)
	v_dual_mov_b32 v2, 5 :: v_dual_mov_b32 v3, v4
.LBB98_412:                             ;   in Loop: Header=BB98_6 Depth=1
	s_or_b32 exec_lo, exec_lo, s31
	s_delay_alu instid0(VALU_DEP_1)
	v_mov_b32_e32 v4, v3
	s_mov_b32 s45, exec_lo
.LBB98_413:                             ;   in Loop: Header=BB98_6 Depth=1
	s_or_b32 exec_lo, exec_lo, s38
	s_delay_alu instid0(SALU_CYCLE_1)
	s_or_not1_b32 s31, s45, exec_lo
.LBB98_414:                             ;   in Loop: Header=BB98_6 Depth=1
	s_or_b32 exec_lo, exec_lo, s20
	s_delay_alu instid0(SALU_CYCLE_1)
	s_and_not1_b32 s17, s29, exec_lo
	s_and_b32 s18, s34, exec_lo
	s_and_not1_b32 s19, s28, exec_lo
	s_and_b32 s20, s33, exec_lo
	v_mov_b32_e32 v3, v4
	s_or_b32 s29, s17, s18
	s_or_b32 s28, s19, s20
	s_and_b32 s34, s31, exec_lo
.LBB98_415:                             ;   in Loop: Header=BB98_6 Depth=1
	s_or_b32 exec_lo, exec_lo, s30
	s_delay_alu instid0(SALU_CYCLE_1)
	s_or_not1_b32 s30, s34, exec_lo
.LBB98_416:                             ;   in Loop: Header=BB98_6 Depth=1
	s_or_b32 exec_lo, exec_lo, s21
	s_delay_alu instid0(SALU_CYCLE_1)
	s_and_not1_b32 s17, s25, exec_lo
	s_and_b32 s18, s29, exec_lo
	s_and_not1_b32 s19, s22, exec_lo
	s_and_b32 s20, s28, exec_lo
	v_mov_b32_e32 v5, v3
	s_or_b32 s25, s17, s18
	s_or_b32 s22, s19, s20
	s_and_b32 s30, s30, exec_lo
.LBB98_417:                             ;   in Loop: Header=BB98_6 Depth=1
	s_or_b32 exec_lo, exec_lo, s27
	s_delay_alu instid0(SALU_CYCLE_1)
	s_or_not1_b32 s27, s30, exec_lo
.LBB98_418:                             ;   in Loop: Header=BB98_6 Depth=1
	s_or_b32 exec_lo, exec_lo, s14
	s_mov_b32 s14, s23
	s_mov_b32 s17, s15
	s_and_saveexec_b32 s18, s27
; %bb.419:                              ;   in Loop: Header=BB98_6 Depth=1
	v_cmp_ne_u32_e32 vcc_lo, 5, v2
	v_cmp_eq_u32_e64 s14, 5, v2
	s_and_not1_b32 s17, s15, exec_lo
	s_and_not1_b32 s19, s23, exec_lo
	s_and_b32 s20, vcc_lo, exec_lo
	s_and_b32 s14, s14, exec_lo
	s_or_b32 s17, s17, s20
	s_or_b32 s14, s19, s14
; %bb.420:                              ;   in Loop: Header=BB98_6 Depth=1
	s_or_b32 exec_lo, exec_lo, s18
	s_delay_alu instid0(SALU_CYCLE_1)
	s_and_not1_b32 s18, s26, exec_lo
	s_and_b32 s19, s25, exec_lo
	s_and_not1_b32 s16, s16, exec_lo
	s_and_b32 s20, s22, exec_lo
	s_or_b32 s26, s18, s19
	s_and_not1_b32 s15, s15, exec_lo
	s_and_b32 s17, s17, exec_lo
	s_and_not1_b32 s18, s23, exec_lo
	s_and_b32 s14, s14, exec_lo
	s_or_b32 s16, s16, s20
	s_or_b32 s15, s15, s17
	;; [unrolled: 1-line block ×3, first 2 shown]
.LBB98_421:                             ;   in Loop: Header=BB98_6 Depth=1
	s_or_b32 exec_lo, exec_lo, s24
	s_mov_b32 s24, 0
	s_mov_b32 s25, 0
	s_and_saveexec_b32 s14, s23
.LBB98_422:                             ;   in Loop: Header=BB98_6 Depth=1
	v_mov_b32_e32 v2, 0
	s_or_b32 s15, s15, exec_lo
.LBB98_423:                             ;   in Loop: Header=BB98_6 Depth=1
	s_or_b32 exec_lo, exec_lo, s14
	s_delay_alu instid0(SALU_CYCLE_1)
	s_and_not1_b32 s14, s98, exec_lo
	s_and_b32 s18, s26, exec_lo
	s_and_not1_b32 s19, s96, exec_lo
	s_and_b32 s16, s16, exec_lo
	v_mov_b32_e32 v40, v5
	s_or_b32 s98, s14, s18
	s_or_b32 s96, s19, s16
	s_and_not1_b32 s14, s100, exec_lo
	s_and_b32 s16, s25, exec_lo
	s_and_not1_b32 s18, s99, exec_lo
	s_and_b32 s19, s24, exec_lo
	s_mov_b32 s17, -1
	s_and_not1_b32 s97, s97, exec_lo
	s_or_b32 s100, s14, s16
	s_or_b32 s99, s18, s19
	s_and_saveexec_b32 s14, s15
	s_delay_alu instid0(SALU_CYCLE_1)
	s_xor_b32 s14, exec_lo, s14
	s_cbranch_execz .LBB98_5
; %bb.424:                              ;   in Loop: Header=BB98_6 Depth=1
	s_mov_b32 s15, -1
	s_mov_b32 s16, -1
	s_mov_b32 s17, exec_lo
	v_cmpx_eq_u32_e32 0, v2
	s_cbranch_execz .LBB98_4
; %bb.425:                              ;   in Loop: Header=BB98_6 Depth=1
	s_xor_b32 s91, s91, 1
	s_add_co_i32 s18, s87, -2
	s_cmp_eq_u32 s87, 0
	s_mov_b32 s87, s18
	s_cselect_b32 s15, -1, 0
	s_xor_b32 s16, exec_lo, -1
	s_or_not1_b32 s15, s15, exec_lo
	s_branch .LBB98_4
.LBB98_426:
	s_or_b32 exec_lo, exec_lo, s88
	s_xor_b32 s7, s95, -1
	s_xor_b32 s9, s93, -1
	;; [unrolled: 1-line block ×5, first 2 shown]
	s_mov_b32 s8, 0
	s_and_saveexec_b32 s12, s11
	s_delay_alu instid0(SALU_CYCLE_1)
	s_xor_b32 s12, exec_lo, s12
	s_cbranch_execnz .LBB98_431
; %bb.427:
	s_and_not1_saveexec_b32 s0, s12
	s_cbranch_execnz .LBB98_450
.LBB98_428:
	s_or_b32 exec_lo, exec_lo, s0
	s_and_saveexec_b32 s0, s8
.LBB98_429:
	; divergent unreachable
.LBB98_430:
	s_sendmsg sendmsg(MSG_DEALLOC_VGPRS)
	s_endpgm
.LBB98_431:
	s_and_saveexec_b32 s11, s10
	s_delay_alu instid0(SALU_CYCLE_1)
	s_xor_b32 s13, exec_lo, s11
	s_cbranch_execz .LBB98_448
; %bb.432:
	s_and_saveexec_b32 s10, s9
	s_delay_alu instid0(SALU_CYCLE_1)
	s_xor_b32 s14, exec_lo, s10
	s_cbranch_execz .LBB98_446
; %bb.433:
	;; [unrolled: 5-line block ×3, first 2 shown]
	s_and_saveexec_b32 s7, s6
	s_delay_alu instid0(SALU_CYCLE_1)
	s_xor_b32 s6, exec_lo, s7
; %bb.435:
	v_and_b32_e32 v1, 0x8000, v28
	v_mov_b32_e32 v2, 0xffff
	s_delay_alu instid0(VALU_DEP_2) | instskip(NEXT) | instid1(VALU_DEP_2)
	v_cmp_eq_u32_e32 vcc_lo, 0, v1
	v_cndmask_b32_e32 v1, 0x8000, v2, vcc_lo
	s_delay_alu instid0(VALU_DEP_1)
	v_xor_b32_e32 v39, v1, v28
; %bb.436:
	s_or_b32 exec_lo, exec_lo, s6
	s_and_saveexec_b32 s6, s5
; %bb.437:
	v_mov_b32_e32 v1, 0
	ds_store_b32 v1, v1 offset:4108
; %bb.438:
	s_or_b32 exec_lo, exec_lo, s6
	v_mov_b32_e32 v5, 0
	s_wait_dscnt 0x0
	s_barrier_signal -1
	s_barrier_wait -1
	s_and_saveexec_b32 s5, s3
	s_cbranch_execz .LBB98_440
; %bb.439:
	global_load_u16 v5, v[14:15], off
.LBB98_440:
	s_wait_xcnt 0x0
	s_or_b32 exec_lo, exec_lo, s5
	s_load_b64 s[10:11], s[0:1], 0x15c
	s_mul_i32 s6, s51, s64
	s_add_co_i32 s5, s36, 31
	s_sub_co_i32 s6, s40, s6
	s_and_not1_b32 s5, s5, 31
	s_add_co_i32 s7, s51, 1
	s_sub_co_i32 s8, s6, s64
	s_cmp_ge_u32 s6, s64
	v_mov_b32_e32 v1, 0x8000
	s_cselect_b32 s7, s7, s51
	s_cselect_b32 s6, s8, s6
	s_add_co_i32 s8, s7, 1
	s_cmp_ge_u32 s6, s64
	v_cmp_lt_i16_e32 vcc_lo, -1, v39
	s_cselect_b32 s6, s8, s7
	s_mul_i32 s8, s35, s63
	s_mul_i32 s7, s6, s64
	s_sub_co_i32 s8, s40, s8
	s_sub_co_i32 s7, s40, s7
	s_clause 0x1
	s_load_b32 s16, s[0:1], 0x1c8
	s_load_b32 s17, s[0:1], 0x2a8
	s_wait_kmcnt 0x0
	s_mul_i32 s6, s6, s10
	s_mul_i32 s7, s7, s11
	v_and_b32_e32 v2, 0xffff, v39
	s_add_co_i32 s10, s6, s7
	s_add_co_i32 s6, s35, 1
	s_sub_co_i32 s7, s8, s63
	s_cmp_ge_u32 s8, s63
	v_cndmask_b32_e32 v3, 0xffff, v1, vcc_lo
	s_cselect_b32 s6, s6, s35
	s_cselect_b32 s7, s7, s8
	s_add_co_i32 s8, s6, 1
	s_cmp_ge_u32 s7, s63
	s_mov_b32 s11, 0
	s_cselect_b32 s1, s8, s6
	v_xor_b32_e32 v2, v3, v2
	s_mul_i32 s6, s1, s63
	s_mul_i32 s1, s1, s42
	s_sub_co_i32 s6, s40, s6
	v_cmp_o_f16_e32 vcc_lo, v39, v39
	s_mul_i32 s6, s6, s43
	s_mov_b32 s7, s11
	s_add_co_i32 s6, s1, s6
	s_lshl_b64 s[8:9], s[10:11], 1
	s_lshl_b64 s[18:19], s[6:7], 3
	s_add_nc_u64 s[6:7], s[48:49], s[8:9]
	v_readlane_b32 s8, v71, 0
	v_readlane_b32 s9, v71, 1
	v_cndmask_b32_e32 v4, 0xffff, v2, vcc_lo
	v_cmp_gt_u32_e32 vcc_lo, s5, v0
	s_mov_b32 s0, -1
	s_mov_b32 s1, 0
	s_add_nc_u64 s[8:9], s[8:9], s[18:19]
	s_and_saveexec_b32 s10, vcc_lo
	s_cbranch_execnz .LBB98_451
; %bb.441:
	s_or_b32 exec_lo, exec_lo, s10
	s_and_saveexec_b32 s4, s0
	s_cbranch_execnz .LBB98_468
.LBB98_442:
	s_or_b32 exec_lo, exec_lo, s4
	s_and_saveexec_b32 s0, s1
	s_delay_alu instid0(SALU_CYCLE_1)
	s_xor_b32 s0, exec_lo, s0
	s_cbranch_execnz .LBB98_491
.LBB98_443:
	s_or_b32 exec_lo, exec_lo, s0
	s_delay_alu instid0(SALU_CYCLE_1)
	s_and_b32 s8, s11, exec_lo
.LBB98_444:
	s_and_not1_saveexec_b32 s0, s15
	s_cbranch_execnz .LBB98_493
.LBB98_445:
	s_or_b32 exec_lo, exec_lo, s0
	s_delay_alu instid0(SALU_CYCLE_1)
	s_and_b32 s8, s8, exec_lo
.LBB98_446:
	s_and_not1_saveexec_b32 s0, s14
	s_cbranch_execnz .LBB98_492
.LBB98_447:
	s_or_b32 exec_lo, exec_lo, s0
	s_delay_alu instid0(SALU_CYCLE_1)
	s_and_b32 s8, s8, exec_lo
.LBB98_448:
	s_and_not1_saveexec_b32 s0, s13
	s_cbranch_execnz .LBB98_487
.LBB98_449:
	s_or_b32 exec_lo, exec_lo, s0
	s_delay_alu instid0(SALU_CYCLE_1)
	s_and_b32 s8, s8, exec_lo
	s_and_not1_saveexec_b32 s0, s12
	s_cbranch_execz .LBB98_428
.LBB98_450:
	s_or_b32 s8, s8, exec_lo
	s_trap 2
	s_or_b32 exec_lo, exec_lo, s0
	s_and_saveexec_b32 s0, s8
	s_cbranch_execnz .LBB98_429
	s_branch .LBB98_430
.LBB98_451:
	v_dual_mov_b32 v3, 0 :: v_dual_add_nc_u32 v2, s41, v0
	s_mov_b32 s18, 0
                                        ; implicit-def: $sgpr19
                                        ; implicit-def: $vgpr9
	s_delay_alu instid0(VALU_DEP_1)
	v_mul_lo_u32 v6, s62, v2
	v_mov_b32_e32 v2, v0
	s_branch .LBB98_453
.LBB98_452:                             ;   in Loop: Header=BB98_453 Depth=1
	s_or_b32 exec_lo, exec_lo, s21
	s_xor_b32 s0, s20, -1
	s_and_b32 s1, exec_lo, s1
	s_wait_loadcnt 0x0
	v_dual_mov_b32 v2, v7 :: v_dual_mov_b32 v5, v8
	s_or_b32 s18, s1, s18
	s_and_not1_b32 s1, s19, exec_lo
	s_and_b32 s0, s0, exec_lo
	s_delay_alu instid0(SALU_CYCLE_1)
	s_or_b32 s19, s1, s0
	s_and_not1_b32 exec_lo, exec_lo, s18
	s_cbranch_execz .LBB98_467
.LBB98_453:                             ; =>This Inner Loop Header: Depth=1
	s_delay_alu instid0(VALU_DEP_1) | instskip(SKIP_1) | instid1(VALU_DEP_1)
	v_dual_mov_b32 v8, 0 :: v_dual_add_nc_u32 v7, s41, v2
	s_mov_b32 s1, exec_lo
	v_cmpx_gt_u32_e64 s36, v7
	s_cbranch_execz .LBB98_455
; %bb.454:                              ;   in Loop: Header=BB98_453 Depth=1
	v_readfirstlane_b32 s20, v12
	v_readfirstlane_b32 s21, v13
	global_load_u16 v8, v6, s[20:21] scale_offset
.LBB98_455:                             ;   in Loop: Header=BB98_453 Depth=1
	s_wait_xcnt 0x0
	s_or_b32 exec_lo, exec_lo, s1
	s_mov_b32 s20, 0
	s_mov_b32 s1, exec_lo
	v_cmpx_gt_u32_e64 s36, v2
	s_cbranch_execz .LBB98_457
; %bb.456:                              ;   in Loop: Header=BB98_453 Depth=1
	s_wait_loadcnt 0x0
	v_cmp_lt_i16_e64 s0, -1, v5
	v_and_b32_e32 v11, 0xffff, v5
	s_delay_alu instid0(VALU_DEP_2) | instskip(SKIP_1) | instid1(VALU_DEP_2)
	v_cndmask_b32_e64 v16, 0xffff, v1, s0
	v_cmp_o_f16_e64 s0, v5, v5
	v_xor_b32_e32 v11, v16, v11
	s_delay_alu instid0(VALU_DEP_1) | instskip(NEXT) | instid1(VALU_DEP_1)
	v_cndmask_b32_e64 v11, 0xffff, v11, s0
	v_cmp_gt_u32_e64 s0, v11, v4
	s_delay_alu instid0(VALU_DEP_1) | instskip(SKIP_1) | instid1(VALU_DEP_1)
	v_cndmask_b32_e64 v16, 0, 1, s0
	v_cmp_lt_u32_e64 s0, v11, v4
	v_cndmask_b32_e64 v11, 0, 1, s0
	s_delay_alu instid0(VALU_DEP_1) | instskip(NEXT) | instid1(VALU_DEP_1)
	v_cndmask_b32_e64 v11, v11, v16, s4
	v_and_b32_e32 v11, 1, v11
	s_delay_alu instid0(VALU_DEP_1)
	v_cmp_eq_u32_e64 s0, 1, v11
	s_and_b32 s20, s0, exec_lo
.LBB98_457:                             ;   in Loop: Header=BB98_453 Depth=1
	s_or_b32 exec_lo, exec_lo, s1
	v_cndmask_b32_e64 v11, 0, 1, s20
	s_delay_alu instid0(VALU_DEP_1) | instskip(SKIP_2) | instid1(SALU_CYCLE_1)
	v_cmp_ne_u32_e64 s0, 0, v11
	s_cmp_lg_u32 s0, 0
	s_cselect_b32 s1, -1, 0
	s_and_b32 s1, s2, s1
	s_delay_alu instid0(SALU_CYCLE_1)
	s_and_saveexec_b32 s21, s1
	s_cbranch_execz .LBB98_461
; %bb.458:                              ;   in Loop: Header=BB98_453 Depth=1
	s_mov_b32 s24, exec_lo
	s_bcnt1_i32_b32 s22, s0
	s_wait_dscnt 0x0
	v_mbcnt_lo_u32_b32 v9, s24, 0
	s_mov_b32 s23, exec_lo
                                        ; implicit-def: $vgpr11
	s_delay_alu instid0(VALU_DEP_1)
	v_cmpx_eq_u32_e32 0, v9
; %bb.459:                              ;   in Loop: Header=BB98_453 Depth=1
	s_bcnt1_i32_b32 s1, s24
	s_delay_alu instid0(SALU_CYCLE_1) | instskip(NEXT) | instid1(SALU_CYCLE_1)
	s_mul_i32 s1, s22, s1
	v_mov_b32_e32 v11, s1
	ds_add_rtn_u32 v11, v3, v11 offset:4108
; %bb.460:                              ;   in Loop: Header=BB98_453 Depth=1
	s_or_b32 exec_lo, exec_lo, s23
	s_wait_dscnt 0x0
	v_readfirstlane_b32 s1, v11
	s_delay_alu instid0(VALU_DEP_1)
	v_mad_u32_u24 v9, s22, v9, s1
.LBB98_461:                             ;   in Loop: Header=BB98_453 Depth=1
	s_or_b32 exec_lo, exec_lo, s21
	s_wait_dscnt 0x0
	ds_bpermute_b32 v9, v3, v9
	s_mov_b32 s1, -1
	s_mov_b32 s22, -1
	s_and_saveexec_b32 s21, s20
	s_cbranch_execz .LBB98_465
; %bb.462:                              ;   in Loop: Header=BB98_453 Depth=1
	v_and_b32_e32 v11, s0, v10
	s_mov_b32 s20, 0
	s_mov_b32 s22, exec_lo
	s_wait_dscnt 0x0
	s_delay_alu instid0(VALU_DEP_1) | instskip(NEXT) | instid1(VALU_DEP_1)
	v_bcnt_u32_b32 v11, v11, v9
	v_cmpx_gt_u32_e64 s37, v11
	s_cbranch_execz .LBB98_464
; %bb.463:                              ;   in Loop: Header=BB98_453 Depth=1
	v_mul_lo_u32 v16, v11, s16
	v_mul_lo_u32 v11, v11, s17
	s_mov_b32 s20, exec_lo
	s_wait_loadcnt 0x0
	global_store_b16 v16, v5, s[6:7] scale_offset
	global_store_b64 v11, v[2:3], s[8:9] scale_offset
.LBB98_464:                             ;   in Loop: Header=BB98_453 Depth=1
	s_wait_xcnt 0x0
	s_or_b32 exec_lo, exec_lo, s22
	s_delay_alu instid0(SALU_CYCLE_1)
	s_or_not1_b32 s22, s20, exec_lo
.LBB98_465:                             ;   in Loop: Header=BB98_453 Depth=1
	s_or_b32 exec_lo, exec_lo, s21
	s_mov_b32 s20, -1
	s_and_saveexec_b32 s21, s22
	s_cbranch_execz .LBB98_452
; %bb.466:                              ;   in Loop: Header=BB98_453 Depth=1
	v_cmp_le_u32_e64 s0, s5, v7
	v_add_nc_u32_e32 v6, s50, v6
	s_xor_b32 s20, exec_lo, -1
	s_or_not1_b32 s1, s0, exec_lo
	s_branch .LBB98_452
.LBB98_467:
	s_or_b32 exec_lo, exec_lo, s18
	s_delay_alu instid0(SALU_CYCLE_1)
	s_mov_b32 s1, exec_lo
	s_or_not1_b32 s0, s19, exec_lo
	s_or_b32 exec_lo, exec_lo, s10
	s_and_saveexec_b32 s4, s0
	s_cbranch_execz .LBB98_442
.LBB98_468:
	v_mov_b32_e32 v8, 0
	s_wait_storecnt 0x0
	s_wait_loadcnt_dscnt 0x0
	s_barrier_signal -1
	s_barrier_wait -1
	s_and_saveexec_b32 s0, s3
	s_cbranch_execz .LBB98_470
; %bb.469:
	global_load_u16 v8, v[14:15], off
.LBB98_470:
	s_wait_xcnt 0x0
	s_or_b32 exec_lo, exec_lo, s0
	s_mov_b32 s0, 0
	s_and_saveexec_b32 s3, vcc_lo
	s_cbranch_execz .LBB98_490
; %bb.471:
	v_add_nc_u32_e32 v1, s41, v0
	v_mov_b32_e32 v3, 0x8000
	s_mov_b32 s10, 0
                                        ; implicit-def: $sgpr11
                                        ; implicit-def: $vgpr7
	s_delay_alu instid0(VALU_DEP_2)
	v_mul_lo_u32 v2, s62, v1
	v_mov_b32_e32 v1, 0
	s_branch .LBB98_474
.LBB98_472:                             ;   in Loop: Header=BB98_474 Depth=1
	s_or_b32 exec_lo, exec_lo, s20
	s_delay_alu instid0(SALU_CYCLE_1)
	s_or_not1_b32 s20, s18, exec_lo
	s_or_not1_b32 s19, s19, exec_lo
.LBB98_473:                             ;   in Loop: Header=BB98_474 Depth=1
	s_or_b32 exec_lo, exec_lo, s0
	s_xor_b32 s0, s20, -1
	s_and_b32 s18, exec_lo, s19
	v_dual_mov_b32 v0, v5 :: v_dual_mov_b32 v8, v6
	s_or_b32 s10, s18, s10
	s_and_not1_b32 s11, s11, exec_lo
	s_and_b32 s0, s0, exec_lo
	s_delay_alu instid0(SALU_CYCLE_1)
	s_or_b32 s11, s11, s0
	s_and_not1_b32 exec_lo, exec_lo, s10
	s_cbranch_execz .LBB98_488
.LBB98_474:                             ; =>This Inner Loop Header: Depth=1
	v_dual_mov_b32 v6, 0 :: v_dual_add_nc_u32 v5, s41, v0
	s_mov_b32 s0, exec_lo
	s_delay_alu instid0(VALU_DEP_1)
	v_cmpx_gt_u32_e64 s36, v5
	s_cbranch_execz .LBB98_476
; %bb.475:                              ;   in Loop: Header=BB98_474 Depth=1
	v_readfirstlane_b32 s18, v12
	v_readfirstlane_b32 s19, v13
	global_load_u16 v6, v2, s[18:19] scale_offset
.LBB98_476:                             ;   in Loop: Header=BB98_474 Depth=1
	s_wait_xcnt 0x0
	s_or_b32 exec_lo, exec_lo, s0
	s_wait_loadcnt 0x0
	v_cmp_lt_i16_e32 vcc_lo, -1, v8
	v_and_b32_e32 v9, 0xffff, v8
	v_cndmask_b32_e32 v11, 0xffff, v3, vcc_lo
	v_cmp_o_f16_e32 vcc_lo, v8, v8
	s_delay_alu instid0(VALU_DEP_2) | instskip(NEXT) | instid1(VALU_DEP_1)
	v_xor_b32_e32 v9, v11, v9
	v_cndmask_b32_e32 v9, 0xffff, v9, vcc_lo
	v_cmp_gt_u32_e32 vcc_lo, s36, v0
	s_delay_alu instid0(VALU_DEP_2) | instskip(SKIP_1) | instid1(SALU_CYCLE_1)
	v_cmp_eq_u32_e64 s0, v9, v4
	s_and_b32 s18, vcc_lo, s0
	v_cndmask_b32_e64 v9, 0, 1, s18
	s_delay_alu instid0(VALU_DEP_1) | instskip(SKIP_2) | instid1(SALU_CYCLE_1)
	v_cmp_ne_u32_e32 vcc_lo, 0, v9
	s_cmp_lg_u32 vcc_lo, 0
	s_cselect_b32 s0, -1, 0
	s_and_b32 s0, s2, s0
	s_delay_alu instid0(SALU_CYCLE_1)
	s_and_saveexec_b32 s19, s0
	s_cbranch_execz .LBB98_480
; %bb.477:                              ;   in Loop: Header=BB98_474 Depth=1
	s_mov_b32 s22, exec_lo
	s_bcnt1_i32_b32 s20, vcc_lo
	v_mbcnt_lo_u32_b32 v7, s22, 0
	s_mov_b32 s21, exec_lo
                                        ; implicit-def: $vgpr9
	s_delay_alu instid0(VALU_DEP_1)
	v_cmpx_eq_u32_e32 0, v7
; %bb.478:                              ;   in Loop: Header=BB98_474 Depth=1
	s_bcnt1_i32_b32 s0, s22
	s_delay_alu instid0(SALU_CYCLE_1) | instskip(NEXT) | instid1(SALU_CYCLE_1)
	s_mul_i32 s0, s20, s0
	v_mov_b32_e32 v9, s0
	ds_add_rtn_u32 v9, v1, v9 offset:4108
; %bb.479:                              ;   in Loop: Header=BB98_474 Depth=1
	s_or_b32 exec_lo, exec_lo, s21
	s_wait_dscnt 0x0
	v_readfirstlane_b32 s0, v9
	s_delay_alu instid0(VALU_DEP_1)
	v_mad_u32_u24 v7, s20, v7, s0
.LBB98_480:                             ;   in Loop: Header=BB98_474 Depth=1
	s_or_b32 exec_lo, exec_lo, s19
	ds_bpermute_b32 v7, v1, v7
	s_cmp_eq_u32 vcc_lo, 0
	s_mov_b32 s19, -1
	s_cselect_b32 s20, -1, 0
	s_wait_dscnt 0x0
	v_cmp_gt_u32_e64 s0, s37, v7
	s_or_b32 s21, s20, s0
	s_mov_b32 s20, -1
	s_and_saveexec_b32 s0, s21
	s_cbranch_execz .LBB98_473
; %bb.481:                              ;   in Loop: Header=BB98_474 Depth=1
	v_dual_sub_nc_u32 v11, s37, v7 :: v_dual_bitop2_b32 v9, vcc_lo, v10 bitop3:0x40
	s_mov_b32 s21, -1
	s_delay_alu instid0(VALU_DEP_1) | instskip(NEXT) | instid1(VALU_DEP_1)
	v_bcnt_u32_b32 v9, v9, 0
	v_bcnt_u32_b32 v9, 0, v9
	s_delay_alu instid0(VALU_DEP_1)
	v_cmp_gt_u32_e32 vcc_lo, v11, v9
	s_and_b32 s22, s18, vcc_lo
	s_mov_b32 s18, -1
	s_and_saveexec_b32 s20, s22
	s_cbranch_execz .LBB98_485
; %bb.482:                              ;   in Loop: Header=BB98_474 Depth=1
	v_add_nc_u32_e32 v9, v7, v9
	s_mov_b32 s21, 0
	s_mov_b32 s18, exec_lo
	s_delay_alu instid0(VALU_DEP_1)
	v_cmpx_gt_u32_e64 s37, v9
; %bb.483:                              ;   in Loop: Header=BB98_474 Depth=1
	v_mul_lo_u32 v11, v9, s16
	v_mul_lo_u32 v9, v9, s17
	s_mov_b32 s21, exec_lo
	global_store_b16 v11, v8, s[6:7] scale_offset
	global_store_b64 v9, v[0:1], s[8:9] scale_offset
; %bb.484:                              ;   in Loop: Header=BB98_474 Depth=1
	s_wait_xcnt 0x0
	s_or_b32 exec_lo, exec_lo, s18
	s_delay_alu instid0(SALU_CYCLE_1)
	s_xor_b32 s18, exec_lo, -1
	s_or_not1_b32 s21, s21, exec_lo
.LBB98_485:                             ;   in Loop: Header=BB98_474 Depth=1
	s_or_b32 exec_lo, exec_lo, s20
	s_and_saveexec_b32 s20, s21
	s_cbranch_execz .LBB98_472
; %bb.486:                              ;   in Loop: Header=BB98_474 Depth=1
	v_cmp_le_u32_e32 vcc_lo, s5, v5
	v_add_nc_u32_e32 v2, s50, v2
	s_or_b32 s18, s18, exec_lo
	s_or_not1_b32 s19, vcc_lo, exec_lo
	s_branch .LBB98_472
.LBB98_487:
	s_or_b32 s8, s8, exec_lo
	s_trap 2
	s_branch .LBB98_449
.LBB98_488:
	s_or_b32 exec_lo, exec_lo, s10
	s_mov_b32 s0, 0
	s_and_saveexec_b32 s2, s11
	s_delay_alu instid0(SALU_CYCLE_1)
	s_xor_b32 s2, exec_lo, s2
	s_cbranch_execnz .LBB98_494
.LBB98_489:
	s_or_b32 exec_lo, exec_lo, s2
	s_delay_alu instid0(SALU_CYCLE_1)
	s_and_b32 s0, s0, exec_lo
.LBB98_490:
	s_or_b32 exec_lo, exec_lo, s3
	s_delay_alu instid0(SALU_CYCLE_1) | instskip(SKIP_3) | instid1(SALU_CYCLE_1)
	s_and_b32 s11, s0, exec_lo
	s_and_not1_b32 s1, s1, exec_lo
	s_or_b32 exec_lo, exec_lo, s4
	s_and_saveexec_b32 s0, s1
	s_xor_b32 s0, exec_lo, s0
	s_cbranch_execz .LBB98_443
.LBB98_491:
	s_or_b32 s11, s11, exec_lo
	s_trap 2
	s_branch .LBB98_443
.LBB98_492:
	s_or_b32 s8, s8, exec_lo
	s_trap 2
	s_branch .LBB98_447
.LBB98_493:
	s_or_b32 s8, s8, exec_lo
	s_trap 2
	s_branch .LBB98_445
.LBB98_494:
	s_mov_b32 s0, exec_lo
	s_trap 2
	s_branch .LBB98_489
	.section	.rodata,"a",@progbits
	.p2align	6, 0x0
	.amdhsa_kernel _ZN2at6native6sbtopk10gatherTopKIN3c104HalfEjLi2ELb0EEEvNS_4cuda6detail10TensorInfoIKT_T0_EESA_SA_bSA_SA_NS7_IS8_SA_EESA_NS7_IlSA_EESA_PS8_
		.amdhsa_group_segment_fixed_size 4112
		.amdhsa_private_segment_fixed_size 0
		.amdhsa_kernarg_size 952
		.amdhsa_user_sgpr_count 2
		.amdhsa_user_sgpr_dispatch_ptr 0
		.amdhsa_user_sgpr_queue_ptr 0
		.amdhsa_user_sgpr_kernarg_segment_ptr 1
		.amdhsa_user_sgpr_dispatch_id 0
		.amdhsa_user_sgpr_kernarg_preload_length 0
		.amdhsa_user_sgpr_kernarg_preload_offset 0
		.amdhsa_user_sgpr_private_segment_size 0
		.amdhsa_wavefront_size32 1
		.amdhsa_uses_dynamic_stack 0
		.amdhsa_enable_private_segment 0
		.amdhsa_system_sgpr_workgroup_id_x 1
		.amdhsa_system_sgpr_workgroup_id_y 1
		.amdhsa_system_sgpr_workgroup_id_z 1
		.amdhsa_system_sgpr_workgroup_info 0
		.amdhsa_system_vgpr_workitem_id 0
		.amdhsa_next_free_vgpr 72
		.amdhsa_next_free_sgpr 105
		.amdhsa_named_barrier_count 0
		.amdhsa_reserve_vcc 1
		.amdhsa_float_round_mode_32 0
		.amdhsa_float_round_mode_16_64 0
		.amdhsa_float_denorm_mode_32 3
		.amdhsa_float_denorm_mode_16_64 3
		.amdhsa_fp16_overflow 0
		.amdhsa_memory_ordered 1
		.amdhsa_forward_progress 1
		.amdhsa_inst_pref_size 139
		.amdhsa_round_robin_scheduling 0
		.amdhsa_exception_fp_ieee_invalid_op 0
		.amdhsa_exception_fp_denorm_src 0
		.amdhsa_exception_fp_ieee_div_zero 0
		.amdhsa_exception_fp_ieee_overflow 0
		.amdhsa_exception_fp_ieee_underflow 0
		.amdhsa_exception_fp_ieee_inexact 0
		.amdhsa_exception_int_div_zero 0
	.end_amdhsa_kernel
	.section	.text._ZN2at6native6sbtopk10gatherTopKIN3c104HalfEjLi2ELb0EEEvNS_4cuda6detail10TensorInfoIKT_T0_EESA_SA_bSA_SA_NS7_IS8_SA_EESA_NS7_IlSA_EESA_PS8_,"axG",@progbits,_ZN2at6native6sbtopk10gatherTopKIN3c104HalfEjLi2ELb0EEEvNS_4cuda6detail10TensorInfoIKT_T0_EESA_SA_bSA_SA_NS7_IS8_SA_EESA_NS7_IlSA_EESA_PS8_,comdat
.Lfunc_end98:
	.size	_ZN2at6native6sbtopk10gatherTopKIN3c104HalfEjLi2ELb0EEEvNS_4cuda6detail10TensorInfoIKT_T0_EESA_SA_bSA_SA_NS7_IS8_SA_EESA_NS7_IlSA_EESA_PS8_, .Lfunc_end98-_ZN2at6native6sbtopk10gatherTopKIN3c104HalfEjLi2ELb0EEEvNS_4cuda6detail10TensorInfoIKT_T0_EESA_SA_bSA_SA_NS7_IS8_SA_EESA_NS7_IlSA_EESA_PS8_
                                        ; -- End function
	.set _ZN2at6native6sbtopk10gatherTopKIN3c104HalfEjLi2ELb0EEEvNS_4cuda6detail10TensorInfoIKT_T0_EESA_SA_bSA_SA_NS7_IS8_SA_EESA_NS7_IlSA_EESA_PS8_.num_vgpr, 72
	.set _ZN2at6native6sbtopk10gatherTopKIN3c104HalfEjLi2ELb0EEEvNS_4cuda6detail10TensorInfoIKT_T0_EESA_SA_bSA_SA_NS7_IS8_SA_EESA_NS7_IlSA_EESA_PS8_.num_agpr, 0
	.set _ZN2at6native6sbtopk10gatherTopKIN3c104HalfEjLi2ELb0EEEvNS_4cuda6detail10TensorInfoIKT_T0_EESA_SA_bSA_SA_NS7_IS8_SA_EESA_NS7_IlSA_EESA_PS8_.numbered_sgpr, 105
	.set _ZN2at6native6sbtopk10gatherTopKIN3c104HalfEjLi2ELb0EEEvNS_4cuda6detail10TensorInfoIKT_T0_EESA_SA_bSA_SA_NS7_IS8_SA_EESA_NS7_IlSA_EESA_PS8_.num_named_barrier, 0
	.set _ZN2at6native6sbtopk10gatherTopKIN3c104HalfEjLi2ELb0EEEvNS_4cuda6detail10TensorInfoIKT_T0_EESA_SA_bSA_SA_NS7_IS8_SA_EESA_NS7_IlSA_EESA_PS8_.private_seg_size, 0
	.set _ZN2at6native6sbtopk10gatherTopKIN3c104HalfEjLi2ELb0EEEvNS_4cuda6detail10TensorInfoIKT_T0_EESA_SA_bSA_SA_NS7_IS8_SA_EESA_NS7_IlSA_EESA_PS8_.uses_vcc, 1
	.set _ZN2at6native6sbtopk10gatherTopKIN3c104HalfEjLi2ELb0EEEvNS_4cuda6detail10TensorInfoIKT_T0_EESA_SA_bSA_SA_NS7_IS8_SA_EESA_NS7_IlSA_EESA_PS8_.uses_flat_scratch, 0
	.set _ZN2at6native6sbtopk10gatherTopKIN3c104HalfEjLi2ELb0EEEvNS_4cuda6detail10TensorInfoIKT_T0_EESA_SA_bSA_SA_NS7_IS8_SA_EESA_NS7_IlSA_EESA_PS8_.has_dyn_sized_stack, 0
	.set _ZN2at6native6sbtopk10gatherTopKIN3c104HalfEjLi2ELb0EEEvNS_4cuda6detail10TensorInfoIKT_T0_EESA_SA_bSA_SA_NS7_IS8_SA_EESA_NS7_IlSA_EESA_PS8_.has_recursion, 0
	.set _ZN2at6native6sbtopk10gatherTopKIN3c104HalfEjLi2ELb0EEEvNS_4cuda6detail10TensorInfoIKT_T0_EESA_SA_bSA_SA_NS7_IS8_SA_EESA_NS7_IlSA_EESA_PS8_.has_indirect_call, 0
	.section	.AMDGPU.csdata,"",@progbits
; Kernel info:
; codeLenInByte = 17792
; TotalNumSgprs: 107
; NumVgprs: 72
; ScratchSize: 0
; MemoryBound: 0
; FloatMode: 240
; IeeeMode: 1
; LDSByteSize: 4112 bytes/workgroup (compile time only)
; SGPRBlocks: 0
; VGPRBlocks: 4
; NumSGPRsForWavesPerEU: 107
; NumVGPRsForWavesPerEU: 72
; NamedBarCnt: 0
; Occupancy: 12
; WaveLimiterHint : 1
; COMPUTE_PGM_RSRC2:SCRATCH_EN: 0
; COMPUTE_PGM_RSRC2:USER_SGPR: 2
; COMPUTE_PGM_RSRC2:TRAP_HANDLER: 0
; COMPUTE_PGM_RSRC2:TGID_X_EN: 1
; COMPUTE_PGM_RSRC2:TGID_Y_EN: 1
; COMPUTE_PGM_RSRC2:TGID_Z_EN: 1
; COMPUTE_PGM_RSRC2:TIDIG_COMP_CNT: 0
	.section	.text._ZN2at6native6mbtopk23computeBlockDigitCountsIN3c104HalfEjjLi3EEEvNS_4cuda6detail10TensorInfoIKT_T0_EEjPjjSA_iijT1_PSD_Ps,"axG",@progbits,_ZN2at6native6mbtopk23computeBlockDigitCountsIN3c104HalfEjjLi3EEEvNS_4cuda6detail10TensorInfoIKT_T0_EEjPjjSA_iijT1_PSD_Ps,comdat
	.protected	_ZN2at6native6mbtopk23computeBlockDigitCountsIN3c104HalfEjjLi3EEEvNS_4cuda6detail10TensorInfoIKT_T0_EEjPjjSA_iijT1_PSD_Ps ; -- Begin function _ZN2at6native6mbtopk23computeBlockDigitCountsIN3c104HalfEjjLi3EEEvNS_4cuda6detail10TensorInfoIKT_T0_EEjPjjSA_iijT1_PSD_Ps
	.globl	_ZN2at6native6mbtopk23computeBlockDigitCountsIN3c104HalfEjjLi3EEEvNS_4cuda6detail10TensorInfoIKT_T0_EEjPjjSA_iijT1_PSD_Ps
	.p2align	8
	.type	_ZN2at6native6mbtopk23computeBlockDigitCountsIN3c104HalfEjjLi3EEEvNS_4cuda6detail10TensorInfoIKT_T0_EEjPjjSA_iijT1_PSD_Ps,@function
_ZN2at6native6mbtopk23computeBlockDigitCountsIN3c104HalfEjjLi3EEEvNS_4cuda6detail10TensorInfoIKT_T0_EEjPjjSA_iijT1_PSD_Ps: ; @_ZN2at6native6mbtopk23computeBlockDigitCountsIN3c104HalfEjjLi3EEEvNS_4cuda6detail10TensorInfoIKT_T0_EEjPjjSA_iijT1_PSD_Ps
; %bb.0:
	s_load_b64 s[2:3], s[0:1], 0xf8
	s_bfe_u32 s4, ttmp6, 0x40010
	s_and_b32 s10, ttmp7, 0xffff
	s_add_co_i32 s4, s4, 1
	s_bfe_u32 s5, ttmp6, 0x40004
	s_mul_i32 s4, s10, s4
	s_load_b64 s[8:9], s[0:1], 0x110
	s_add_co_i32 s11, s5, s4
	s_bfe_u32 s6, ttmp6, 0x4000c
	s_bfe_u32 s7, ttmp6, 0x40014
	s_add_co_i32 s6, s6, 1
	s_and_b32 s5, ttmp6, 15
	s_mul_i32 s6, ttmp9, s6
	s_add_co_i32 s7, s7, 1
	s_add_co_i32 s12, s5, s6
	s_bfe_u32 s6, ttmp6, 0x40008
	s_mov_b32 s15, 0
	s_wait_kmcnt 0x0
	s_cvt_f32_u32 s4, s2
	s_delay_alu instid0(SALU_CYCLE_3) | instskip(SKIP_1) | instid1(SALU_CYCLE_1)
	v_rcp_iflag_f32_e32 v1, s4
	s_lshr_b32 s4, ttmp7, 16
	s_mul_i32 s5, s4, s7
	s_getreg_b32 s7, hwreg(HW_REG_IB_STS2, 6, 4)
	s_add_co_i32 s6, s6, s5
	s_cmp_eq_u32 s7, 0
	v_nop
	v_readfirstlane_b32 s13, v1
	s_cselect_b32 s14, s4, s6
	s_load_b128 s[4:7], s[0:1], 0xe8
	s_mul_i32 s9, s9, s14
	s_cselect_b32 s12, ttmp9, s12
	s_mul_f32 s13, s13, 0x4f7ffffe
	s_cselect_b32 s10, s10, s11
	s_sub_co_i32 s11, 0, s2
	s_add_co_i32 s9, s9, s10
	s_cvt_u32_f32 s13, s13
	s_mul_i32 s18, s9, s8
	s_delay_alu instid0(SALU_CYCLE_1) | instskip(NEXT) | instid1(SALU_CYCLE_1)
	s_add_co_i32 s18, s18, s12
	s_mul_i32 s11, s11, s13
	s_delay_alu instid0(SALU_CYCLE_1) | instskip(NEXT) | instid1(SALU_CYCLE_1)
	s_mul_hi_u32 s8, s13, s11
	s_add_co_i32 s13, s13, s8
	s_delay_alu instid0(SALU_CYCLE_1) | instskip(NEXT) | instid1(SALU_CYCLE_1)
	s_mul_hi_u32 s8, s18, s13
	s_mul_i32 s9, s8, s2
	s_add_co_i32 s10, s8, 1
	s_sub_co_i32 s9, s18, s9
	s_delay_alu instid0(SALU_CYCLE_1)
	s_sub_co_i32 s11, s9, s2
	s_cmp_ge_u32 s9, s2
	s_cselect_b32 s8, s10, s8
	s_cselect_b32 s9, s11, s9
	s_add_co_i32 s10, s8, 1
	s_cmp_ge_u32 s9, s2
	s_cselect_b32 s21, s10, s8
	s_wait_kmcnt 0x0
	s_cmp_ge_u32 s21, s4
	s_cbranch_scc1 .LBB99_27
; %bb.1:
	s_load_b64 s[16:17], s[0:1], 0xc
	v_cmp_gt_u32_e32 vcc_lo, 0x100, v0
	s_wait_kmcnt 0x0
	s_cvt_f32_u32 s4, s17
	s_sub_co_i32 s8, 0, s17
	s_cvt_f32_u32 s9, s16
	s_delay_alu instid0(SALU_CYCLE_1) | instskip(SKIP_1) | instid1(TRANS32_DEP_1)
	v_rcp_iflag_f32_e32 v1, s4
	v_nop
	v_readfirstlane_b32 s4, v1
	v_rcp_iflag_f32_e32 v1, s9
	s_mul_f32 s4, s4, 0x4f7ffffe
	v_nop
	s_delay_alu instid0(TRANS32_DEP_1) | instskip(NEXT) | instid1(SALU_CYCLE_1)
	v_readfirstlane_b32 s22, v1
	s_cvt_u32_f32 s4, s4
	v_lshlrev_b32_e32 v1, 2, v0
	s_delay_alu instid0(SALU_CYCLE_2) | instskip(NEXT) | instid1(SALU_CYCLE_1)
	s_mul_i32 s8, s8, s4
	s_mul_hi_u32 s8, s4, s8
	s_delay_alu instid0(SALU_CYCLE_1) | instskip(NEXT) | instid1(SALU_CYCLE_1)
	s_add_co_i32 s4, s4, s8
	s_mul_hi_u32 s4, s21, s4
	s_delay_alu instid0(SALU_CYCLE_1) | instskip(SKIP_2) | instid1(SALU_CYCLE_1)
	s_mul_i32 s8, s4, s17
	s_add_co_i32 s9, s4, 1
	s_sub_co_i32 s8, s21, s8
	s_sub_co_i32 s10, s8, s17
	s_cmp_ge_u32 s8, s17
	s_cselect_b32 s4, s9, s4
	s_cselect_b32 s8, s10, s8
	s_add_co_i32 s9, s4, 1
	s_cmp_ge_u32 s8, s17
	s_cselect_b32 s14, s9, s4
	s_and_saveexec_b32 s4, vcc_lo
; %bb.2:
	v_mov_b32_e32 v2, 0
	ds_store_b32 v1, v2
; %bb.3:
	s_or_b32 exec_lo, exec_lo, s4
	s_clause 0x1
	s_load_b32 s4, s[0:1], 0xd8
	s_load_b128 s[8:11], s[0:1], 0x100
	s_mul_i32 s12, s21, s2
	s_mov_b32 s13, 0
	s_sub_co_i32 s20, s18, s12
	s_wait_dscnt 0x0
	s_mul_i32 s12, s7, s20
	s_add_co_i32 s20, s20, 1
	s_lshl_b32 s19, s12, 8
	s_barrier_signal -1
	s_barrier_wait -1
	s_wait_kmcnt 0x0
	s_sub_co_i32 s12, s4, s19
	s_delay_alu instid0(SALU_CYCLE_1) | instskip(NEXT) | instid1(SALU_CYCLE_1)
	s_add_nc_u64 s[24:25], s[12:13], 0xff
	s_lshr_b64 s[24:25], s[24:25], 8
	s_cmp_lt_u32 s20, s2
	s_cselect_b32 s20, s7, s24
	s_delay_alu instid0(SALU_CYCLE_1)
	s_cmp_lt_i32 s20, 1
	s_cbranch_scc1 .LBB99_25
; %bb.4:
	s_mul_f32 s2, s22, 0x4f7ffffe
	s_sub_co_i32 s7, 0, s16
	s_mov_b32 s23, s15
	s_clause 0x1
	s_load_b96 s[24:26], s[0:1], 0x6c
	s_load_b64 s[28:29], s[0:1], 0x0
	s_cvt_u32_f32 s2, s2
	s_wait_xcnt 0x0
	s_mul_i32 s0, s14, s17
	s_delay_alu instid0(SALU_CYCLE_1) | instskip(SKIP_1) | instid1(SALU_CYCLE_1)
	s_sub_co_i32 s0, s21, s0
	s_mul_i32 s7, s7, s2
	s_mul_hi_u32 s7, s2, s7
	s_delay_alu instid0(SALU_CYCLE_1) | instskip(NEXT) | instid1(SALU_CYCLE_1)
	s_add_co_i32 s22, s2, s7
	s_mul_u64 s[22:23], s[14:15], s[22:23]
	s_delay_alu instid0(SALU_CYCLE_1)
	s_mul_i32 s1, s23, s16
	s_add_co_i32 s7, s23, 1
	s_sub_co_i32 s2, s14, s1
	s_load_b32 s1, s[8:9], s21 offset:0x0 scale_offset
	s_sub_co_i32 s12, s2, s16
	s_cmp_ge_u32 s2, s16
	s_wait_kmcnt 0x0
	s_mul_i32 s0, s0, s26
	s_cselect_b32 s7, s7, s23
	s_cselect_b32 s2, s12, s2
	s_add_co_i32 s8, s7, 1
	s_cmp_ge_u32 s2, s16
	s_cselect_b32 s2, s8, s7
	s_delay_alu instid0(SALU_CYCLE_1) | instskip(SKIP_2) | instid1(SALU_CYCLE_1)
	s_mul_i32 s7, s2, s16
	s_mul_i32 s2, s2, s24
	s_sub_co_i32 s7, s14, s7
	s_mul_i32 s7, s7, s25
	s_delay_alu instid0(SALU_CYCLE_1) | instskip(NEXT) | instid1(SALU_CYCLE_1)
	s_add_co_i32 s0, s7, s0
	s_add_co_i32 s12, s0, s2
	s_and_b32 s2, s6, 0xff
	s_lshl_b64 s[8:9], s[12:13], 1
	s_cmp_lt_u32 s20, 4
	s_add_nc_u64 s[6:7], s[28:29], s[8:9]
	s_cbranch_scc1 .LBB99_19
; %bb.5:
	v_dual_mov_b32 v7, 1 :: v_dual_add_nc_u32 v6, s19, v0
	v_mov_b32_e32 v8, 0x8000
	s_and_b32 s13, s20, 0x7ffffffc
	s_lshl_b32 s8, s5, 10
	s_delay_alu instid0(VALU_DEP_2)
	v_add_nc_u32_e32 v2, 0x300, v6
	v_add_nc_u32_e32 v4, 0x200, v6
	v_add_nc_u32_e32 v5, 0x100, v6
	v_mul_lo_u32 v6, s5, v6
	s_mov_b32 s9, 0
	v_mul_lo_u32 v3, s5, v2
	v_mul_lo_u32 v4, s5, v4
	;; [unrolled: 1-line block ×3, first 2 shown]
	s_mov_b32 s12, 0
	s_branch .LBB99_7
.LBB99_6:                               ;   in Loop: Header=BB99_7 Depth=1
	s_or_b32 exec_lo, exec_lo, s14
	v_add_nc_u32_e32 v2, 0x400, v2
	s_add_co_i32 s12, s12, 4
	s_add_co_i32 s9, s9, s8
	s_cmp_eq_u32 s13, s12
	s_cbranch_scc1 .LBB99_19
.LBB99_7:                               ; =>This Inner Loop Header: Depth=1
	v_add_nc_u32_e32 v9, 0xfffffd00, v2
	s_mov_b32 s14, exec_lo
	s_delay_alu instid0(VALU_DEP_1)
	v_cmpx_gt_u32_e64 s4, v9
	s_cbranch_execz .LBB99_10
; %bb.8:                                ;   in Loop: Header=BB99_7 Depth=1
	v_add_nc_u32_e32 v9, s9, v6
	global_load_u16 v9, v9, s[6:7] scale_offset
	s_wait_loadcnt 0x0
	v_cmp_lt_i16_e64 s0, -1, v9
	v_and_b32_e32 v10, 0xffff, v9
	s_delay_alu instid0(VALU_DEP_2) | instskip(SKIP_1) | instid1(VALU_DEP_2)
	v_cndmask_b32_e64 v11, 0xffff, v8, s0
	v_cmp_o_f16_e64 s0, v9, v9
	v_xor_b32_e32 v10, v11, v10
	s_wait_xcnt 0x0
	s_delay_alu instid0(VALU_DEP_1) | instskip(NEXT) | instid1(VALU_DEP_1)
	v_cndmask_b32_e64 v9, 0xffff, v10, s0
	v_bitop3_b32 v10, v9, s3, s1 bitop3:0x48
	s_delay_alu instid0(VALU_DEP_1)
	v_cmp_eq_u32_e64 s0, 0, v10
	s_and_b32 exec_lo, exec_lo, s0
; %bb.9:                                ;   in Loop: Header=BB99_7 Depth=1
	v_bfe_u32 v9, v9, s2, 8
	s_delay_alu instid0(VALU_DEP_1)
	v_lshlrev_b32_e32 v9, 2, v9
	ds_add_u32 v9, v7
.LBB99_10:                              ;   in Loop: Header=BB99_7 Depth=1
	s_or_b32 exec_lo, exec_lo, s14
	v_add_nc_u32_e32 v9, 0xfffffe00, v2
	s_mov_b32 s14, exec_lo
	s_delay_alu instid0(VALU_DEP_1)
	v_cmpx_gt_u32_e64 s4, v9
	s_cbranch_execz .LBB99_13
; %bb.11:                               ;   in Loop: Header=BB99_7 Depth=1
	v_add_nc_u32_e32 v9, s9, v5
	global_load_u16 v9, v9, s[6:7] scale_offset
	s_wait_loadcnt 0x0
	v_cmp_lt_i16_e64 s0, -1, v9
	v_and_b32_e32 v10, 0xffff, v9
	s_delay_alu instid0(VALU_DEP_2) | instskip(SKIP_1) | instid1(VALU_DEP_2)
	v_cndmask_b32_e64 v11, 0xffff, v8, s0
	v_cmp_o_f16_e64 s0, v9, v9
	v_xor_b32_e32 v10, v11, v10
	s_delay_alu instid0(VALU_DEP_1) | instskip(NEXT) | instid1(VALU_DEP_1)
	v_cndmask_b32_e64 v9, 0xffff, v10, s0
	v_bitop3_b32 v10, v9, s3, s1 bitop3:0x48
	s_delay_alu instid0(VALU_DEP_1)
	v_cmp_eq_u32_e64 s0, 0, v10
	s_and_b32 exec_lo, exec_lo, s0
; %bb.12:                               ;   in Loop: Header=BB99_7 Depth=1
	v_bfe_u32 v9, v9, s2, 8
	s_delay_alu instid0(VALU_DEP_1)
	v_lshlrev_b32_e32 v9, 2, v9
	ds_add_u32 v9, v7
.LBB99_13:                              ;   in Loop: Header=BB99_7 Depth=1
	s_or_b32 exec_lo, exec_lo, s14
	v_add_nc_u32_e32 v9, 0xffffff00, v2
	s_mov_b32 s14, exec_lo
	s_delay_alu instid0(VALU_DEP_1)
	v_cmpx_gt_u32_e64 s4, v9
	s_cbranch_execz .LBB99_16
; %bb.14:                               ;   in Loop: Header=BB99_7 Depth=1
	v_add_nc_u32_e32 v9, s9, v4
	global_load_u16 v9, v9, s[6:7] scale_offset
	s_wait_loadcnt 0x0
	v_cmp_lt_i16_e64 s0, -1, v9
	v_and_b32_e32 v10, 0xffff, v9
	s_delay_alu instid0(VALU_DEP_2) | instskip(SKIP_1) | instid1(VALU_DEP_2)
	v_cndmask_b32_e64 v11, 0xffff, v8, s0
	v_cmp_o_f16_e64 s0, v9, v9
	v_xor_b32_e32 v10, v11, v10
	s_delay_alu instid0(VALU_DEP_1) | instskip(NEXT) | instid1(VALU_DEP_1)
	v_cndmask_b32_e64 v9, 0xffff, v10, s0
	v_bitop3_b32 v10, v9, s3, s1 bitop3:0x48
	s_delay_alu instid0(VALU_DEP_1)
	v_cmp_eq_u32_e64 s0, 0, v10
	s_and_b32 exec_lo, exec_lo, s0
; %bb.15:                               ;   in Loop: Header=BB99_7 Depth=1
	v_bfe_u32 v9, v9, s2, 8
	s_delay_alu instid0(VALU_DEP_1)
	v_lshlrev_b32_e32 v9, 2, v9
	ds_add_u32 v9, v7
.LBB99_16:                              ;   in Loop: Header=BB99_7 Depth=1
	s_or_b32 exec_lo, exec_lo, s14
	s_delay_alu instid0(SALU_CYCLE_1)
	s_mov_b32 s14, exec_lo
	v_cmpx_gt_u32_e64 s4, v2
	s_cbranch_execz .LBB99_6
; %bb.17:                               ;   in Loop: Header=BB99_7 Depth=1
	v_add_nc_u32_e32 v9, s9, v3
	global_load_u16 v9, v9, s[6:7] scale_offset
	s_wait_loadcnt 0x0
	v_cmp_lt_i16_e64 s0, -1, v9
	v_and_b32_e32 v10, 0xffff, v9
	s_delay_alu instid0(VALU_DEP_2) | instskip(SKIP_1) | instid1(VALU_DEP_2)
	v_cndmask_b32_e64 v11, 0xffff, v8, s0
	v_cmp_o_f16_e64 s0, v9, v9
	v_xor_b32_e32 v10, v11, v10
	s_delay_alu instid0(VALU_DEP_1) | instskip(NEXT) | instid1(VALU_DEP_1)
	v_cndmask_b32_e64 v9, 0xffff, v10, s0
	v_bitop3_b32 v10, v9, s3, s1 bitop3:0x48
	s_delay_alu instid0(VALU_DEP_1)
	v_cmp_eq_u32_e64 s0, 0, v10
	s_and_b32 exec_lo, exec_lo, s0
	s_cbranch_execz .LBB99_6
; %bb.18:                               ;   in Loop: Header=BB99_7 Depth=1
	v_bfe_u32 v9, v9, s2, 8
	s_delay_alu instid0(VALU_DEP_1)
	v_lshlrev_b32_e32 v9, 2, v9
	ds_add_u32 v9, v7
	s_branch .LBB99_6
.LBB99_19:
	s_and_b32 s8, s20, 3
	s_delay_alu instid0(SALU_CYCLE_1)
	s_cmp_eq_u32 s8, 0
	s_cbranch_scc1 .LBB99_25
; %bb.20:
	s_lshl_b32 s0, s13, 8
	v_dual_mov_b32 v4, 1 :: v_dual_mov_b32 v5, 0x8000
	v_add3_u32 v2, s0, s19, v0
	s_delay_alu instid0(VALU_DEP_1)
	v_mul_lo_u32 v3, s5, v2
	s_lshl_b32 s5, s5, 8
	s_branch .LBB99_22
.LBB99_21:                              ;   in Loop: Header=BB99_22 Depth=1
	s_or_b32 exec_lo, exec_lo, s9
	s_delay_alu instid0(VALU_DEP_2) | instskip(SKIP_2) | instid1(SALU_CYCLE_1)
	v_add_nc_u32_e32 v3, s5, v3
	v_add_nc_u32_e32 v2, 0x100, v2
	s_add_co_i32 s8, s8, -1
	s_cmp_lg_u32 s8, 0
	s_cbranch_scc0 .LBB99_25
.LBB99_22:                              ; =>This Inner Loop Header: Depth=1
	s_mov_b32 s9, exec_lo
	v_cmpx_gt_u32_e64 s4, v2
	s_cbranch_execz .LBB99_21
; %bb.23:                               ;   in Loop: Header=BB99_22 Depth=1
	global_load_u16 v6, v3, s[6:7] scale_offset
	s_wait_loadcnt 0x0
	v_cmp_lt_i16_e64 s0, -1, v6
	v_and_b32_e32 v7, 0xffff, v6
	s_delay_alu instid0(VALU_DEP_2) | instskip(SKIP_1) | instid1(VALU_DEP_2)
	v_cndmask_b32_e64 v8, 0xffff, v5, s0
	v_cmp_o_f16_e64 s0, v6, v6
	v_xor_b32_e32 v7, v8, v7
	s_delay_alu instid0(VALU_DEP_1) | instskip(NEXT) | instid1(VALU_DEP_1)
	v_cndmask_b32_e64 v6, 0xffff, v7, s0
	v_bitop3_b32 v7, v6, s3, s1 bitop3:0x48
	s_delay_alu instid0(VALU_DEP_1)
	v_cmp_eq_u32_e64 s0, 0, v7
	s_and_b32 exec_lo, exec_lo, s0
	s_cbranch_execz .LBB99_21
; %bb.24:                               ;   in Loop: Header=BB99_22 Depth=1
	v_bfe_u32 v6, v6, s2, 8
	s_delay_alu instid0(VALU_DEP_1)
	v_lshlrev_b32_e32 v6, 2, v6
	ds_add_u32 v6, v4
	s_branch .LBB99_21
.LBB99_25:
	s_wait_dscnt 0x0
	s_barrier_signal -1
	s_barrier_wait -1
	s_and_saveexec_b32 s0, vcc_lo
	s_cbranch_execz .LBB99_27
; %bb.26:
	ds_load_b32 v1, v1
	v_lshl_or_b32 v0, s18, 8, v0
	s_wait_dscnt 0x0
	global_store_b16 v0, v1, s[10:11] scale_offset
.LBB99_27:
	s_endpgm
	.section	.rodata,"a",@progbits
	.p2align	6, 0x0
	.amdhsa_kernel _ZN2at6native6mbtopk23computeBlockDigitCountsIN3c104HalfEjjLi3EEEvNS_4cuda6detail10TensorInfoIKT_T0_EEjPjjSA_iijT1_PSD_Ps
		.amdhsa_group_segment_fixed_size 1024
		.amdhsa_private_segment_fixed_size 0
		.amdhsa_kernarg_size 528
		.amdhsa_user_sgpr_count 2
		.amdhsa_user_sgpr_dispatch_ptr 0
		.amdhsa_user_sgpr_queue_ptr 0
		.amdhsa_user_sgpr_kernarg_segment_ptr 1
		.amdhsa_user_sgpr_dispatch_id 0
		.amdhsa_user_sgpr_kernarg_preload_length 0
		.amdhsa_user_sgpr_kernarg_preload_offset 0
		.amdhsa_user_sgpr_private_segment_size 0
		.amdhsa_wavefront_size32 1
		.amdhsa_uses_dynamic_stack 0
		.amdhsa_enable_private_segment 0
		.amdhsa_system_sgpr_workgroup_id_x 1
		.amdhsa_system_sgpr_workgroup_id_y 1
		.amdhsa_system_sgpr_workgroup_id_z 1
		.amdhsa_system_sgpr_workgroup_info 0
		.amdhsa_system_vgpr_workitem_id 0
		.amdhsa_next_free_vgpr 12
		.amdhsa_next_free_sgpr 30
		.amdhsa_named_barrier_count 0
		.amdhsa_reserve_vcc 1
		.amdhsa_float_round_mode_32 0
		.amdhsa_float_round_mode_16_64 0
		.amdhsa_float_denorm_mode_32 3
		.amdhsa_float_denorm_mode_16_64 3
		.amdhsa_fp16_overflow 0
		.amdhsa_memory_ordered 1
		.amdhsa_forward_progress 1
		.amdhsa_inst_pref_size 15
		.amdhsa_round_robin_scheduling 0
		.amdhsa_exception_fp_ieee_invalid_op 0
		.amdhsa_exception_fp_denorm_src 0
		.amdhsa_exception_fp_ieee_div_zero 0
		.amdhsa_exception_fp_ieee_overflow 0
		.amdhsa_exception_fp_ieee_underflow 0
		.amdhsa_exception_fp_ieee_inexact 0
		.amdhsa_exception_int_div_zero 0
	.end_amdhsa_kernel
	.section	.text._ZN2at6native6mbtopk23computeBlockDigitCountsIN3c104HalfEjjLi3EEEvNS_4cuda6detail10TensorInfoIKT_T0_EEjPjjSA_iijT1_PSD_Ps,"axG",@progbits,_ZN2at6native6mbtopk23computeBlockDigitCountsIN3c104HalfEjjLi3EEEvNS_4cuda6detail10TensorInfoIKT_T0_EEjPjjSA_iijT1_PSD_Ps,comdat
.Lfunc_end99:
	.size	_ZN2at6native6mbtopk23computeBlockDigitCountsIN3c104HalfEjjLi3EEEvNS_4cuda6detail10TensorInfoIKT_T0_EEjPjjSA_iijT1_PSD_Ps, .Lfunc_end99-_ZN2at6native6mbtopk23computeBlockDigitCountsIN3c104HalfEjjLi3EEEvNS_4cuda6detail10TensorInfoIKT_T0_EEjPjjSA_iijT1_PSD_Ps
                                        ; -- End function
	.set _ZN2at6native6mbtopk23computeBlockDigitCountsIN3c104HalfEjjLi3EEEvNS_4cuda6detail10TensorInfoIKT_T0_EEjPjjSA_iijT1_PSD_Ps.num_vgpr, 12
	.set _ZN2at6native6mbtopk23computeBlockDigitCountsIN3c104HalfEjjLi3EEEvNS_4cuda6detail10TensorInfoIKT_T0_EEjPjjSA_iijT1_PSD_Ps.num_agpr, 0
	.set _ZN2at6native6mbtopk23computeBlockDigitCountsIN3c104HalfEjjLi3EEEvNS_4cuda6detail10TensorInfoIKT_T0_EEjPjjSA_iijT1_PSD_Ps.numbered_sgpr, 30
	.set _ZN2at6native6mbtopk23computeBlockDigitCountsIN3c104HalfEjjLi3EEEvNS_4cuda6detail10TensorInfoIKT_T0_EEjPjjSA_iijT1_PSD_Ps.num_named_barrier, 0
	.set _ZN2at6native6mbtopk23computeBlockDigitCountsIN3c104HalfEjjLi3EEEvNS_4cuda6detail10TensorInfoIKT_T0_EEjPjjSA_iijT1_PSD_Ps.private_seg_size, 0
	.set _ZN2at6native6mbtopk23computeBlockDigitCountsIN3c104HalfEjjLi3EEEvNS_4cuda6detail10TensorInfoIKT_T0_EEjPjjSA_iijT1_PSD_Ps.uses_vcc, 1
	.set _ZN2at6native6mbtopk23computeBlockDigitCountsIN3c104HalfEjjLi3EEEvNS_4cuda6detail10TensorInfoIKT_T0_EEjPjjSA_iijT1_PSD_Ps.uses_flat_scratch, 0
	.set _ZN2at6native6mbtopk23computeBlockDigitCountsIN3c104HalfEjjLi3EEEvNS_4cuda6detail10TensorInfoIKT_T0_EEjPjjSA_iijT1_PSD_Ps.has_dyn_sized_stack, 0
	.set _ZN2at6native6mbtopk23computeBlockDigitCountsIN3c104HalfEjjLi3EEEvNS_4cuda6detail10TensorInfoIKT_T0_EEjPjjSA_iijT1_PSD_Ps.has_recursion, 0
	.set _ZN2at6native6mbtopk23computeBlockDigitCountsIN3c104HalfEjjLi3EEEvNS_4cuda6detail10TensorInfoIKT_T0_EEjPjjSA_iijT1_PSD_Ps.has_indirect_call, 0
	.section	.AMDGPU.csdata,"",@progbits
; Kernel info:
; codeLenInByte = 1804
; TotalNumSgprs: 32
; NumVgprs: 12
; ScratchSize: 0
; MemoryBound: 0
; FloatMode: 240
; IeeeMode: 1
; LDSByteSize: 1024 bytes/workgroup (compile time only)
; SGPRBlocks: 0
; VGPRBlocks: 0
; NumSGPRsForWavesPerEU: 32
; NumVGPRsForWavesPerEU: 12
; NamedBarCnt: 0
; Occupancy: 16
; WaveLimiterHint : 1
; COMPUTE_PGM_RSRC2:SCRATCH_EN: 0
; COMPUTE_PGM_RSRC2:USER_SGPR: 2
; COMPUTE_PGM_RSRC2:TRAP_HANDLER: 0
; COMPUTE_PGM_RSRC2:TGID_X_EN: 1
; COMPUTE_PGM_RSRC2:TGID_Y_EN: 1
; COMPUTE_PGM_RSRC2:TGID_Z_EN: 1
; COMPUTE_PGM_RSRC2:TIDIG_COMP_CNT: 0
	.section	.text._ZN2at6native6mbtopk10gatherTopKIN3c104HalfEjLi3EEEvNS_4cuda6detail10TensorInfoIKT_T0_EESA_SA_bjSA_NS7_IS8_SA_EESA_NS7_IlSA_EESA_jjPS8_PjSF_j,"axG",@progbits,_ZN2at6native6mbtopk10gatherTopKIN3c104HalfEjLi3EEEvNS_4cuda6detail10TensorInfoIKT_T0_EESA_SA_bjSA_NS7_IS8_SA_EESA_NS7_IlSA_EESA_jjPS8_PjSF_j,comdat
	.protected	_ZN2at6native6mbtopk10gatherTopKIN3c104HalfEjLi3EEEvNS_4cuda6detail10TensorInfoIKT_T0_EESA_SA_bjSA_NS7_IS8_SA_EESA_NS7_IlSA_EESA_jjPS8_PjSF_j ; -- Begin function _ZN2at6native6mbtopk10gatherTopKIN3c104HalfEjLi3EEEvNS_4cuda6detail10TensorInfoIKT_T0_EESA_SA_bjSA_NS7_IS8_SA_EESA_NS7_IlSA_EESA_jjPS8_PjSF_j
	.globl	_ZN2at6native6mbtopk10gatherTopKIN3c104HalfEjLi3EEEvNS_4cuda6detail10TensorInfoIKT_T0_EESA_SA_bjSA_NS7_IS8_SA_EESA_NS7_IlSA_EESA_jjPS8_PjSF_j
	.p2align	8
	.type	_ZN2at6native6mbtopk10gatherTopKIN3c104HalfEjLi3EEEvNS_4cuda6detail10TensorInfoIKT_T0_EESA_SA_bjSA_NS7_IS8_SA_EESA_NS7_IlSA_EESA_jjPS8_PjSF_j,@function
_ZN2at6native6mbtopk10gatherTopKIN3c104HalfEjLi3EEEvNS_4cuda6detail10TensorInfoIKT_T0_EESA_SA_bjSA_NS7_IS8_SA_EESA_NS7_IlSA_EESA_jjPS8_PjSF_j: ; @_ZN2at6native6mbtopk10gatherTopKIN3c104HalfEjLi3EEEvNS_4cuda6detail10TensorInfoIKT_T0_EESA_SA_bjSA_NS7_IS8_SA_EESA_NS7_IlSA_EESA_jjPS8_PjSF_j
; %bb.0:
	s_bfe_u32 s2, ttmp6, 0x40010
	s_and_b32 s4, ttmp7, 0xffff
	s_add_co_i32 s5, s2, 1
	s_clause 0x1
	s_load_b32 s6, s[0:1], 0x2d0
	s_load_b64 s[2:3], s[0:1], 0x2d8
	s_bfe_u32 s8, ttmp6, 0x4000c
	s_mul_i32 s5, s4, s5
	s_bfe_u32 s7, ttmp6, 0x40004
	s_add_co_i32 s8, s8, 1
	s_bfe_u32 s9, ttmp6, 0x40014
	s_add_co_i32 s7, s7, s5
	s_and_b32 s5, ttmp6, 15
	s_mul_i32 s8, ttmp9, s8
	s_lshr_b32 s10, ttmp7, 16
	s_add_co_i32 s9, s9, 1
	s_add_co_i32 s5, s5, s8
	s_mul_i32 s8, s10, s9
	s_bfe_u32 s9, ttmp6, 0x40008
	s_getreg_b32 s11, hwreg(HW_REG_IB_STS2, 6, 4)
	s_add_co_i32 s9, s9, s8
	s_cmp_eq_u32 s11, 0
	s_mov_b32 s25, 0
	s_cselect_b32 s8, s10, s9
	s_cselect_b32 s4, s4, s7
	s_wait_kmcnt 0x0
	s_mul_i32 s3, s3, s8
	s_cselect_b32 s5, ttmp9, s5
	s_add_co_i32 s3, s3, s4
	s_delay_alu instid0(SALU_CYCLE_1) | instskip(NEXT) | instid1(SALU_CYCLE_1)
	s_mul_i32 s2, s3, s2
	s_add_co_i32 s2, s2, s5
	s_delay_alu instid0(SALU_CYCLE_1)
	s_cmp_ge_u32 s2, s6
	s_cbranch_scc1 .LBB100_40
; %bb.1:
	s_clause 0x1
	s_load_b96 s[12:14], s[0:1], 0x2a8
	s_load_b128 s[4:7], s[0:1], 0x2b8
	s_mov_b32 s31, s25
	s_mov_b32 s39, s25
	;; [unrolled: 1-line block ×4, first 2 shown]
	s_wait_kmcnt 0x0
	s_cvt_f32_u32 s3, s14
	s_sub_co_i32 s8, 0, s14
	s_delay_alu instid0(SALU_CYCLE_2) | instskip(SKIP_1) | instid1(TRANS32_DEP_1)
	v_rcp_iflag_f32_e32 v1, s3
	v_nop
	v_readfirstlane_b32 s3, v1
	s_mul_f32 s3, s3, 0x4f7ffffe
	s_delay_alu instid0(SALU_CYCLE_3) | instskip(NEXT) | instid1(SALU_CYCLE_3)
	s_cvt_u32_f32 s3, s3
	s_mul_i32 s8, s8, s3
	s_delay_alu instid0(SALU_CYCLE_1) | instskip(NEXT) | instid1(SALU_CYCLE_1)
	s_mul_hi_u32 s8, s3, s8
	s_add_co_i32 s3, s3, s8
	s_delay_alu instid0(SALU_CYCLE_1) | instskip(NEXT) | instid1(SALU_CYCLE_1)
	s_mul_hi_u32 s3, s2, s3
	s_mul_i32 s8, s3, s14
	s_add_co_i32 s9, s3, 1
	s_sub_co_i32 s8, s2, s8
	s_delay_alu instid0(SALU_CYCLE_1)
	s_sub_co_i32 s10, s8, s14
	s_cmp_ge_u32 s8, s14
	s_cselect_b32 s3, s9, s3
	s_cselect_b32 s8, s10, s8
	s_add_co_i32 s9, s3, 1
	s_cmp_ge_u32 s8, s14
	s_cselect_b32 s15, s9, s3
	s_delay_alu instid0(SALU_CYCLE_1) | instskip(SKIP_1) | instid1(SALU_CYCLE_1)
	v_mov_b32_e32 v1, s15
	s_mul_i32 s16, s15, s14
	s_sub_co_i32 s52, s2, s16
	global_load_u16 v1, v1, s[4:5] scale_offset
	s_clause 0x2
	s_load_b64 s[34:35], s[0:1], 0xc
	s_load_b64 s[28:29], s[0:1], 0xfc
	;; [unrolled: 1-line block ×3, first 2 shown]
	s_mov_b32 s5, s25
	s_wait_kmcnt 0x0
	s_cvt_f32_u32 s3, s35
	s_cvt_f32_u32 s8, s28
	;; [unrolled: 1-line block ×4, first 2 shown]
	v_rcp_iflag_f32_e32 v2, s3
	s_cvt_f32_u32 s3, s34
	v_rcp_iflag_f32_e32 v4, s8
	s_sub_co_i32 s8, 0, s35
	v_rcp_iflag_f32_e32 v3, s4
	v_rcp_iflag_f32_e32 v5, s10
	s_cvt_f32_u32 s11, s26
	v_readfirstlane_b32 s9, v2
	v_rcp_iflag_f32_e32 v2, s3
	v_readfirstlane_b32 s10, v4
	v_rcp_iflag_f32_e32 v6, s11
	s_mul_f32 s3, s9, 0x4f7ffffe
	v_readfirstlane_b32 s9, v3
	v_readfirstlane_b32 s11, v5
	s_delay_alu instid0(TRANS32_DEP_2) | instskip(SKIP_3) | instid1(SALU_CYCLE_1)
	v_readfirstlane_b32 s4, v2
	s_cvt_u32_f32 s3, s3
	s_mul_f32 s9, s9, 0x4f7ffffe
	s_mul_f32 s11, s11, 0x4f7ffffe
	s_mul_i32 s8, s8, s3
	s_mul_f32 s4, s4, 0x4f7ffffe
	s_mul_hi_u32 s8, s3, s8
	s_delay_alu instid0(SALU_CYCLE_1) | instskip(NEXT) | instid1(SALU_CYCLE_1)
	s_add_co_i32 s3, s3, s8
	s_cvt_u32_f32 s4, s4
	s_mul_hi_u32 s3, s15, s3
	s_delay_alu instid0(SALU_CYCLE_1) | instskip(NEXT) | instid1(SALU_CYCLE_1)
	s_mul_i32 s8, s3, s35
	s_sub_co_i32 s2, s15, s8
	s_add_co_i32 s8, s3, 1
	s_sub_co_i32 s17, s2, s35
	s_cmp_ge_u32 s2, s35
	s_cselect_b32 s3, s8, s3
	s_cselect_b32 s2, s17, s2
	s_add_co_i32 s8, s3, 1
	s_cmp_ge_u32 s2, s35
	s_cvt_u32_f32 s2, s9
	s_cselect_b32 s24, s8, s3
	s_sub_co_i32 s3, 0, s29
	s_sub_co_i32 s9, 0, s34
	s_mul_i32 s3, s3, s2
	s_mul_i32 s9, s9, s4
	s_mul_hi_u32 s3, s2, s3
	s_mul_f32 s8, s10, 0x4f7ffffe
	s_add_co_i32 s2, s2, s3
	s_mul_hi_u32 s3, s4, s9
	s_mul_hi_u32 s2, s15, s2
	s_add_co_i32 s4, s4, s3
	s_mul_i32 s9, s2, s29
	s_cvt_u32_f32 s8, s8
	s_sub_co_i32 s3, s15, s9
	s_add_co_i32 s9, s2, 1
	s_sub_co_i32 s10, s3, s29
	s_cmp_ge_u32 s3, s29
	s_cselect_b32 s2, s9, s2
	s_cselect_b32 s3, s10, s3
	s_add_co_i32 s9, s2, 1
	s_cmp_ge_u32 s3, s29
	s_cvt_u32_f32 s3, s11
	s_cselect_b32 s30, s9, s2
	s_sub_co_i32 s2, 0, s27
	s_sub_co_i32 s10, 0, s28
	s_mul_i32 s2, s2, s3
	s_mul_i32 s10, s10, s8
	s_mul_hi_u32 s2, s3, s2
	v_readfirstlane_b32 s9, v6
	s_add_co_i32 s3, s3, s2
	s_delay_alu instid0(SALU_CYCLE_1)
	s_mul_hi_u32 s2, s15, s3
	s_mul_hi_u32 s3, s8, s10
	s_mul_i32 s10, s2, s27
	s_add_co_i32 s38, s8, s3
	s_sub_co_i32 s3, s15, s10
	s_add_co_i32 s8, s2, 1
	s_sub_co_i32 s10, s3, s27
	s_cmp_ge_u32 s3, s27
	s_mul_f32 s9, s9, 0x4f7ffffe
	s_cselect_b32 s2, s8, s2
	s_cselect_b32 s3, s10, s3
	s_add_co_i32 s8, s2, 1
	s_cmp_ge_u32 s3, s27
	s_cvt_u32_f32 s9, s9
	s_cselect_b32 s36, s8, s2
	s_sub_co_i32 s2, 0, s26
	s_delay_alu instid0(SALU_CYCLE_1)
	s_mul_i32 s3, s2, s9
	v_cmp_ne_u32_e64 s2, 0, v0
	s_mul_hi_u32 s8, s9, s3
	v_cmp_eq_u32_e64 s3, 0, v0
	s_add_co_i32 s40, s9, s8
	s_wait_loadcnt 0x0
	v_readfirstlane_b32 s33, v1
	s_and_saveexec_b32 s44, s3
	s_cbranch_execz .LBB100_17
; %bb.2:
	s_load_b64 s[20:21], s[0:1], 0x2c8
	s_mov_b32 s17, 0
	s_delay_alu instid0(SALU_CYCLE_1)
	s_lshl_b64 s[22:23], s[16:17], 2
	s_cmp_lt_u32 s14, 4
	s_cbranch_scc1 .LBB100_14
; %bb.3:
	s_mov_b64 s[18:19], 0
	s_mov_b32 s16, 0
.LBB100_4:                              ; =>This Inner Loop Header: Depth=1
	s_add_nc_u64 s[42:43], s[6:7], s[22:23]
	s_cmp_ge_u32 s16, s52
	s_load_b128 s[8:11], s[42:43], 0x0
	s_wait_kmcnt 0x0
	s_add_nc_u64 s[42:43], s[20:21], s[22:23]
	s_cbranch_scc0 .LBB100_11
; %bb.5:                                ;   in Loop: Header=BB100_4 Depth=1
	s_add_co_i32 s45, s16, 1
	s_delay_alu instid0(SALU_CYCLE_1)
	s_cmp_ge_u32 s45, s52
	s_cbranch_scc0 .LBB100_12
.LBB100_6:                              ;   in Loop: Header=BB100_4 Depth=1
	s_add_co_i32 s45, s45, 1
	s_delay_alu instid0(SALU_CYCLE_1)
	s_cmp_ge_u32 s45, s52
	s_cbranch_scc0 .LBB100_13
.LBB100_7:                              ;   in Loop: Header=BB100_4 Depth=1
	s_add_co_i32 s45, s45, 1
	s_delay_alu instid0(SALU_CYCLE_1)
	s_cmp_ge_u32 s45, s52
	s_cbranch_scc1 .LBB100_9
.LBB100_8:                              ;   in Loop: Header=BB100_4 Depth=1
	s_load_b32 s42, s[42:43], 0xc
	s_add_co_i32 s19, s11, s19
	s_wait_kmcnt 0x0
	s_add_co_i32 s18, s42, s18
.LBB100_9:                              ;   in Loop: Header=BB100_4 Depth=1
	s_add_co_i32 s8, s8, s17
	s_add_nc_u64 s[6:7], s[6:7], 16
	s_add_co_i32 s8, s8, s9
	s_add_co_i32 s9, s45, 4
	s_add_co_i32 s8, s8, s10
	s_add_nc_u64 s[20:21], s[20:21], 16
	s_add_co_i32 s17, s8, s11
	s_add_co_i32 s8, s45, 1
	s_cmp_ge_u32 s9, s14
	s_cbranch_scc1 .LBB100_15
; %bb.10:                               ;   in Loop: Header=BB100_4 Depth=1
	s_mov_b32 s16, s8
	s_branch .LBB100_4
.LBB100_11:                             ;   in Loop: Header=BB100_4 Depth=1
	s_load_b32 s45, s[42:43], 0x0
	s_add_co_i32 s19, s8, s19
	s_wait_kmcnt 0x0
	s_add_co_i32 s18, s45, s18
	s_add_co_i32 s45, s16, 1
	s_delay_alu instid0(SALU_CYCLE_1)
	s_cmp_ge_u32 s45, s52
	s_cbranch_scc1 .LBB100_6
.LBB100_12:                             ;   in Loop: Header=BB100_4 Depth=1
	s_load_b32 s46, s[42:43], 0x4
	s_add_co_i32 s19, s9, s19
	s_wait_kmcnt 0x0
	s_add_co_i32 s18, s46, s18
	s_add_co_i32 s45, s45, 1
	s_delay_alu instid0(SALU_CYCLE_1)
	s_cmp_ge_u32 s45, s52
	s_cbranch_scc1 .LBB100_7
.LBB100_13:                             ;   in Loop: Header=BB100_4 Depth=1
	s_load_b32 s46, s[42:43], 0x8
	s_add_co_i32 s19, s10, s19
	s_wait_kmcnt 0x0
	s_add_co_i32 s18, s46, s18
	s_add_co_i32 s45, s45, 1
	s_delay_alu instid0(SALU_CYCLE_1)
	s_cmp_ge_u32 s45, s52
	s_cbranch_scc0 .LBB100_8
	s_branch .LBB100_9
.LBB100_14:
	s_mov_b64 s[18:19], 0
	s_add_nc_u64 s[6:7], s[6:7], s[22:23]
	s_wait_kmcnt 0x0
	s_add_nc_u64 s[8:9], s[20:21], s[22:23]
	s_mov_b32 s10, 0
	s_delay_alu instid0(SALU_CYCLE_1)
	s_cmp_ge_u32 s10, s14
	s_cbranch_scc0 .LBB100_38
	s_branch .LBB100_16
.LBB100_15:
	s_add_co_i32 s10, s16, 4
	s_add_nc_u64 s[8:9], s[20:21], s[22:23]
	s_add_nc_u64 s[6:7], s[6:7], s[22:23]
	s_cmp_ge_u32 s10, s14
	s_cbranch_scc0 .LBB100_38
.LBB100_16:
	v_dual_mov_b32 v2, s18 :: v_dual_mov_b32 v3, s17
	v_dual_mov_b32 v4, s19 :: v_dual_mov_b32 v1, 0
	ds_store_b96 v1, v[2:4] offset:1056
.LBB100_17:
	s_or_b32 exec_lo, exec_lo, s44
	s_mul_u64 s[6:7], s[36:37], s[40:41]
	s_mul_u64 s[50:51], s[24:25], s[4:5]
	s_clause 0x6
	s_load_b96 s[4:6], s[0:1], 0xd8
	s_load_b96 s[8:10], s[0:1], 0x23c
	s_load_b64 s[42:43], s[0:1], 0x1d0
	s_load_b96 s[16:18], s[0:1], 0x15c
	s_load_b64 s[44:45], s[0:1], 0xf0
	;; [unrolled: 2-line block ×3, first 2 shown]
	s_mul_i32 s11, s13, s52
	s_mul_u64 s[48:49], s[30:31], s[38:39]
	s_lshl_b32 s19, s11, 8
	s_mov_b32 s39, 0
	s_add_co_i32 s52, s52, 1
	s_wait_dscnt 0x0
	s_barrier_signal -1
	s_barrier_wait -1
	s_wait_kmcnt 0x0
	s_sub_co_i32 s38, s4, s19
	s_delay_alu instid0(SALU_CYCLE_1) | instskip(NEXT) | instid1(SALU_CYCLE_1)
	s_add_nc_u64 s[40:41], s[38:39], 0xff
	s_lshr_b64 s[40:41], s[40:41], 8
	s_cmp_lt_u32 s52, s14
	s_cselect_b32 s13, s13, s40
	s_delay_alu instid0(SALU_CYCLE_1)
	s_cmp_eq_u32 s13, 0
	s_cbranch_scc1 .LBB100_40
; %bb.18:
	s_mul_i32 s14, s51, s34
	s_mul_i32 s11, s24, s35
	s_sub_co_i32 s14, s24, s14
	s_sub_co_i32 s11, s15, s11
	s_add_co_i32 s23, s51, 1
	s_sub_co_i32 s25, s14, s34
	s_cmp_ge_u32 s14, s34
	s_mul_i32 s11, s11, s22
	s_cselect_b32 s23, s23, s51
	s_cselect_b32 s14, s25, s14
	s_add_co_i32 s25, s23, 1
	s_cmp_ge_u32 s14, s34
	s_mul_i32 s14, s30, s29
	s_cselect_b32 s23, s25, s23
	s_mul_i32 s25, s49, s28
	s_mul_i32 s29, s23, s34
	s_mul_i32 s23, s23, s20
	s_sub_co_i32 s22, s24, s29
	s_sub_co_i32 s20, s30, s25
	s_mul_i32 s21, s22, s21
	s_sub_co_i32 s14, s15, s14
	s_add_co_i32 s11, s21, s11
	s_sub_co_i32 s21, s20, s28
	s_add_co_i32 s38, s11, s23
	s_add_co_i32 s11, s49, 1
	s_cmp_ge_u32 s20, s28
	s_mul_i32 s14, s14, s18
	s_cselect_b32 s11, s11, s49
	s_cselect_b32 s20, s21, s20
	s_add_co_i32 s21, s11, 1
	s_cmp_ge_u32 s20, s28
	s_mul_i32 s22, s7, s26
	s_cselect_b32 s11, s21, s11
	s_mul_i32 s20, s36, s27
	s_mul_i32 s21, s11, s28
	;; [unrolled: 1-line block ×3, first 2 shown]
	s_sub_co_i32 s21, s30, s21
	s_sub_co_i32 s16, s15, s20
	s_mul_i32 s17, s21, s17
	s_add_co_i32 s15, s7, 1
	s_add_co_i32 s14, s17, s14
	v_dual_mov_b32 v7, 0 :: v_dual_lshrrev_b32 v1, 3, v0
	s_add_co_i32 s14, s14, s11
	s_sub_co_i32 s11, s36, s22
	s_mul_i32 s16, s16, s10
	s_sub_co_i32 s17, s11, s26
	s_cmp_ge_u32 s11, s26
	ds_load_b96 v[2:4], v7 offset:1056
	s_cselect_b32 s7, s15, s7
	s_cselect_b32 s11, s17, s11
	s_add_co_i32 s15, s7, 1
	s_cmp_ge_u32 s11, s26
	s_load_b32 s18, s[0:1], 0xe8
	s_cselect_b32 s7, s15, s7
	s_mov_b32 s15, s39
	s_mul_i32 s11, s7, s26
	s_mul_i32 s7, s7, s8
	s_sub_co_i32 s11, s36, s11
	s_lshl_b64 s[14:15], s[14:15], 1
	s_mul_i32 s9, s11, s9
	s_lshl_b64 s[10:11], s[38:39], 1
	s_add_co_i32 s8, s9, s16
	s_mov_b32 s9, s39
	s_add_co_i32 s8, s8, s7
	s_sext_i32_i16 s7, s33
	s_lshl_b64 s[16:17], s[8:9], 3
	s_and_b32 s8, 0xffff, s33
	s_cmp_gt_i32 s7, -1
	s_mov_b32 s7, 0x8000
	v_dual_add_nc_u32 v5, -1, v0 :: v_dual_bitop2_b32 v6, 28, v1 bitop3:0x40
	s_cselect_b32 s7, s7, 0xffff
	s_wait_dscnt 0x0
	v_add_nc_u32_e32 v1, v2, v3
	s_xor_b32 s7, s7, s8
	s_add_nc_u64 s[8:9], s[46:47], s[10:11]
	s_add_nc_u64 s[10:11], s[44:45], s[14:15]
	s_load_b32 s15, s[0:1], 0x1c8
	v_lshrrev_b32_e32 v8, 3, v5
	v_lshl_add_u32 v2, v0, 2, v6
	v_dual_add_nc_u32 v6, s19, v0 :: v_dual_lshlrev_b32 v10, 5, v0
	v_and_b32_e32 v9, 0xfc, v0
	s_wait_xcnt 0x0
	v_cmp_gt_u32_e64 s0, 32, v0
	v_and_b32_e32 v8, 0x1ffffffc, v8
	s_wait_kmcnt 0x0
	v_mul_lo_u32 v0, s18, v6
	v_mbcnt_lo_u32_b32 v3, -1, 0
	s_cmp_o_f16 s33, s33
	v_mov_b32_e32 v12, 0x8000
	v_lshl_add_u32 v5, v5, 2, v8
	s_delay_alu instid0(VALU_DEP_3)
	v_dual_add_nc_u32 v8, v9, v10 :: v_dual_bitop2_b32 v9, 15, v3 bitop3:0x40
	v_bfe_i32 v10, v3, 4, 1
	v_add_nc_u32_e32 v11, -1, v3
	s_cselect_b32 s14, s7, 0xffff
	s_bitcmp1_b32 s6, 0
	s_add_nc_u64 s[6:7], s[42:43], s[16:17]
	s_cselect_b32 s1, -1, 0
	s_lshl_b32 s16, s18, 8
                                        ; implicit-def: $vgpr13
	s_branch .LBB100_21
.LBB100_19:                             ;   in Loop: Header=BB100_21 Depth=1
	s_wait_xcnt 0x0
	s_or_b32 exec_lo, exec_lo, s17
	v_add_nc_u32_e32 v1, v16, v1
.LBB100_20:                             ;   in Loop: Header=BB100_21 Depth=1
	v_add_nc_u32_e32 v4, v15, v4
	v_add_nc_u32_e32 v0, s16, v0
	;; [unrolled: 1-line block ×3, first 2 shown]
	s_add_co_i32 s13, s13, -1
	s_delay_alu instid0(SALU_CYCLE_1)
	s_cmp_lg_u32 s13, 0
	s_cbranch_scc0 .LBB100_40
.LBB100_21:                             ; =>This Inner Loop Header: Depth=1
	v_dual_mov_b32 v16, 0 :: v_dual_mov_b32 v14, 0
	s_mov_b32 s17, exec_lo
	v_cmpx_gt_u32_e64 s4, v6
	s_cbranch_execz .LBB100_23
; %bb.22:                               ;   in Loop: Header=BB100_21 Depth=1
	global_load_u16 v13, v0, s[8:9] scale_offset
	s_wait_loadcnt 0x0
	v_cmp_lt_i16_e32 vcc_lo, -1, v13
	v_and_b32_e32 v14, 0xffff, v13
	v_cndmask_b32_e32 v15, 0xffff, v12, vcc_lo
	v_cmp_o_f16_e32 vcc_lo, v13, v13
	s_delay_alu instid0(VALU_DEP_2) | instskip(NEXT) | instid1(VALU_DEP_1)
	v_xor_b32_e32 v14, v15, v14
	v_cndmask_b32_e32 v14, 0xffff, v14, vcc_lo
	s_delay_alu instid0(VALU_DEP_1) | instskip(SKIP_4) | instid1(VALU_DEP_2)
	v_cmp_lt_u32_e32 vcc_lo, s14, v14
	v_cndmask_b32_e64 v15, 0, 1, vcc_lo
	v_cmp_gt_u32_e32 vcc_lo, s14, v14
	v_cndmask_b32_e64 v16, 0, 1, vcc_lo
	v_cmp_eq_u32_e32 vcc_lo, s14, v14
	v_cndmask_b32_e64 v15, v16, v15, s1
	v_cndmask_b32_e64 v14, 0, 1, vcc_lo
	s_delay_alu instid0(VALU_DEP_2)
	v_and_b32_e32 v16, 1, v15
.LBB100_23:                             ;   in Loop: Header=BB100_21 Depth=1
	s_wait_xcnt 0x0
	s_or_b32 exec_lo, exec_lo, s17
	ds_store_b32 v2, v16
	s_wait_dscnt 0x0
	s_barrier_signal -1
	s_barrier_wait -1
	s_and_saveexec_b32 s17, s0
	s_cbranch_execz .LBB100_25
; %bb.24:                               ;   in Loop: Header=BB100_21 Depth=1
	ds_load_2addr_b32 v[18:19], v8 offset1:1
	ds_load_2addr_b32 v[20:21], v8 offset0:2 offset1:3
	ds_load_2addr_b32 v[22:23], v8 offset0:4 offset1:5
	;; [unrolled: 1-line block ×3, first 2 shown]
	v_cmp_ne_u32_e32 vcc_lo, 0, v9
	; wave barrier
	s_wait_dscnt 0x3
	v_add_nc_u32_e32 v15, v19, v18
	s_wait_dscnt 0x2
	s_delay_alu instid0(VALU_DEP_1) | instskip(SKIP_1) | instid1(VALU_DEP_1)
	v_add3_u32 v15, v15, v20, v21
	s_wait_dscnt 0x1
	v_add3_u32 v15, v15, v22, v23
	s_wait_dscnt 0x0
	s_delay_alu instid0(VALU_DEP_1) | instskip(NEXT) | instid1(VALU_DEP_1)
	v_add3_u32 v15, v15, v24, v25
	v_mov_b32_dpp v17, v15 row_shr:1 row_mask:0xf bank_mask:0xf
	s_delay_alu instid0(VALU_DEP_1) | instskip(SKIP_1) | instid1(VALU_DEP_2)
	v_cndmask_b32_e32 v17, 0, v17, vcc_lo
	v_cmp_lt_u32_e32 vcc_lo, 1, v9
	v_add_nc_u32_e32 v15, v17, v15
	s_delay_alu instid0(VALU_DEP_1) | instskip(NEXT) | instid1(VALU_DEP_1)
	v_mov_b32_dpp v17, v15 row_shr:2 row_mask:0xf bank_mask:0xf
	v_cndmask_b32_e32 v17, 0, v17, vcc_lo
	v_cmp_lt_u32_e32 vcc_lo, 3, v9
	s_delay_alu instid0(VALU_DEP_2) | instskip(NEXT) | instid1(VALU_DEP_1)
	v_add_nc_u32_e32 v15, v15, v17
	v_mov_b32_dpp v17, v15 row_shr:4 row_mask:0xf bank_mask:0xf
	s_delay_alu instid0(VALU_DEP_1) | instskip(SKIP_1) | instid1(VALU_DEP_2)
	v_cndmask_b32_e32 v17, 0, v17, vcc_lo
	v_cmp_lt_u32_e32 vcc_lo, 7, v9
	v_add_nc_u32_e32 v15, v15, v17
	s_delay_alu instid0(VALU_DEP_1) | instskip(NEXT) | instid1(VALU_DEP_1)
	v_mov_b32_dpp v17, v15 row_shr:8 row_mask:0xf bank_mask:0xf
	v_cndmask_b32_e32 v17, 0, v17, vcc_lo
	v_cmp_gt_i32_e32 vcc_lo, 0, v11
	s_delay_alu instid0(VALU_DEP_2) | instskip(SKIP_4) | instid1(VALU_DEP_1)
	v_add_nc_u32_e32 v15, v15, v17
	v_cndmask_b32_e32 v19, v11, v3, vcc_lo
	ds_swizzle_b32 v17, v15 offset:swizzle(BROADCAST,32,15)
	s_wait_dscnt 0x0
	v_dual_lshlrev_b32 v19, 2, v19 :: v_dual_bitop2_b32 v17, v10, v17 bitop3:0x40
	v_add_nc_u32_e32 v15, v15, v17
	ds_bpermute_b32 v15, v19, v15
	s_wait_dscnt 0x0
	v_add_nc_u32_e32 v15, v15, v18
	s_delay_alu instid0(VALU_DEP_1)
	v_cndmask_b32_e64 v15, v15, v16, s3
	ds_store_b32 v8, v15
	; wave barrier
	ds_load_2addr_b32 v[18:19], v8 offset0:1 offset1:2
	ds_load_2addr_b32 v[20:21], v8 offset0:3 offset1:4
	;; [unrolled: 1-line block ×3, first 2 shown]
	ds_load_b32 v17, v8 offset:28
	s_wait_dscnt 0x3
	v_add_nc_u32_e32 v15, v18, v15
	s_delay_alu instid0(VALU_DEP_1) | instskip(SKIP_1) | instid1(VALU_DEP_1)
	v_add_nc_u32_e32 v18, v19, v15
	s_wait_dscnt 0x2
	v_add_nc_u32_e32 v19, v20, v18
	s_delay_alu instid0(VALU_DEP_1) | instskip(SKIP_1) | instid1(VALU_DEP_1)
	v_add_nc_u32_e32 v20, v21, v19
	s_wait_dscnt 0x1
	v_add_nc_u32_e32 v21, v22, v20
	s_delay_alu instid0(VALU_DEP_1) | instskip(SKIP_1) | instid1(VALU_DEP_1)
	v_add_nc_u32_e32 v22, v23, v21
	s_wait_dscnt 0x0
	v_add_nc_u32_e32 v17, v17, v22
	ds_store_2addr_b32 v8, v15, v18 offset0:1 offset1:2
	ds_store_2addr_b32 v8, v19, v20 offset0:3 offset1:4
	;; [unrolled: 1-line block ×3, first 2 shown]
	ds_store_b32 v8, v17 offset:28
.LBB100_25:                             ;   in Loop: Header=BB100_21 Depth=1
	s_or_b32 exec_lo, exec_lo, s17
	v_mov_b32_e32 v17, 0
	s_wait_dscnt 0x0
	s_barrier_signal -1
	s_barrier_wait -1
	s_and_saveexec_b32 s17, s2
; %bb.26:                               ;   in Loop: Header=BB100_21 Depth=1
	ds_load_b32 v17, v5
; %bb.27:                               ;   in Loop: Header=BB100_21 Depth=1
	s_or_b32 exec_lo, exec_lo, s17
	ds_load_b32 v15, v7 offset:1048
	s_mov_b32 s17, exec_lo
	s_wait_dscnt 0x0
	s_barrier_signal -1
	s_barrier_wait -1
	v_cmpx_ne_u32_e32 0, v16
	s_cbranch_execz .LBB100_29
; %bb.28:                               ;   in Loop: Header=BB100_21 Depth=1
	v_add_nc_u32_e32 v16, v17, v4
	s_delay_alu instid0(VALU_DEP_1)
	v_mul_lo_u32 v17, v16, s15
	v_mul_lo_u32 v16, v16, s12
	global_store_b16 v17, v13, s[10:11] scale_offset
	global_store_b64 v16, v[6:7], s[6:7] scale_offset
.LBB100_29:                             ;   in Loop: Header=BB100_21 Depth=1
	s_wait_xcnt 0x0
	s_or_b32 exec_lo, exec_lo, s17
	v_cmp_le_u32_e32 vcc_lo, s5, v1
	s_cbranch_vccnz .LBB100_20
; %bb.30:                               ;   in Loop: Header=BB100_21 Depth=1
	ds_store_b32 v2, v14
	s_wait_storecnt_dscnt 0x0
	s_barrier_signal -1
	s_barrier_wait -1
	s_and_saveexec_b32 s17, s0
	s_cbranch_execz .LBB100_32
; %bb.31:                               ;   in Loop: Header=BB100_21 Depth=1
	ds_load_2addr_b32 v[16:17], v8 offset1:1
	ds_load_2addr_b32 v[18:19], v8 offset0:2 offset1:3
	ds_load_2addr_b32 v[20:21], v8 offset0:4 offset1:5
	;; [unrolled: 1-line block ×3, first 2 shown]
	v_cmp_ne_u32_e32 vcc_lo, 0, v9
	; wave barrier
	s_wait_dscnt 0x3
	v_add_nc_u32_e32 v17, v17, v16
	s_wait_dscnt 0x2
	s_delay_alu instid0(VALU_DEP_1) | instskip(SKIP_1) | instid1(VALU_DEP_1)
	v_add3_u32 v17, v17, v18, v19
	s_wait_dscnt 0x1
	v_add3_u32 v17, v17, v20, v21
	s_wait_dscnt 0x0
	s_delay_alu instid0(VALU_DEP_1) | instskip(NEXT) | instid1(VALU_DEP_1)
	v_add3_u32 v17, v17, v22, v23
	v_mov_b32_dpp v18, v17 row_shr:1 row_mask:0xf bank_mask:0xf
	s_delay_alu instid0(VALU_DEP_1) | instskip(SKIP_1) | instid1(VALU_DEP_2)
	v_cndmask_b32_e32 v18, 0, v18, vcc_lo
	v_cmp_lt_u32_e32 vcc_lo, 1, v9
	v_add_nc_u32_e32 v17, v18, v17
	s_delay_alu instid0(VALU_DEP_1) | instskip(NEXT) | instid1(VALU_DEP_1)
	v_mov_b32_dpp v18, v17 row_shr:2 row_mask:0xf bank_mask:0xf
	v_cndmask_b32_e32 v18, 0, v18, vcc_lo
	v_cmp_lt_u32_e32 vcc_lo, 3, v9
	s_delay_alu instid0(VALU_DEP_2) | instskip(NEXT) | instid1(VALU_DEP_1)
	v_add_nc_u32_e32 v17, v17, v18
	v_mov_b32_dpp v18, v17 row_shr:4 row_mask:0xf bank_mask:0xf
	s_delay_alu instid0(VALU_DEP_1) | instskip(SKIP_1) | instid1(VALU_DEP_2)
	v_cndmask_b32_e32 v18, 0, v18, vcc_lo
	v_cmp_lt_u32_e32 vcc_lo, 7, v9
	v_add_nc_u32_e32 v17, v17, v18
	s_delay_alu instid0(VALU_DEP_1) | instskip(NEXT) | instid1(VALU_DEP_1)
	v_mov_b32_dpp v18, v17 row_shr:8 row_mask:0xf bank_mask:0xf
	v_cndmask_b32_e32 v18, 0, v18, vcc_lo
	v_cmp_gt_i32_e32 vcc_lo, 0, v11
	s_delay_alu instid0(VALU_DEP_2) | instskip(SKIP_3) | instid1(VALU_DEP_1)
	v_dual_add_nc_u32 v17, v17, v18 :: v_dual_cndmask_b32 v19, v11, v3, vcc_lo
	ds_swizzle_b32 v18, v17 offset:swizzle(BROADCAST,32,15)
	s_wait_dscnt 0x0
	v_dual_lshlrev_b32 v19, 2, v19 :: v_dual_bitop2_b32 v18, v10, v18 bitop3:0x40
	v_add_nc_u32_e32 v17, v17, v18
	ds_bpermute_b32 v17, v19, v17
	s_wait_dscnt 0x0
	v_add_nc_u32_e32 v16, v17, v16
	s_delay_alu instid0(VALU_DEP_1)
	v_cndmask_b32_e64 v22, v16, v14, s3
	ds_store_b32 v8, v22
	; wave barrier
	ds_load_2addr_b32 v[16:17], v8 offset0:1 offset1:2
	ds_load_2addr_b32 v[18:19], v8 offset0:3 offset1:4
	;; [unrolled: 1-line block ×3, first 2 shown]
	ds_load_b32 v23, v8 offset:28
	s_wait_dscnt 0x3
	v_add_nc_u32_e32 v16, v16, v22
	s_delay_alu instid0(VALU_DEP_1) | instskip(SKIP_1) | instid1(VALU_DEP_1)
	v_add_nc_u32_e32 v17, v17, v16
	s_wait_dscnt 0x2
	v_add_nc_u32_e32 v18, v18, v17
	s_delay_alu instid0(VALU_DEP_1) | instskip(SKIP_1) | instid1(VALU_DEP_1)
	v_add_nc_u32_e32 v19, v19, v18
	;; [unrolled: 4-line block ×3, first 2 shown]
	s_wait_dscnt 0x0
	v_add_nc_u32_e32 v22, v23, v21
	ds_store_2addr_b32 v8, v16, v17 offset0:1 offset1:2
	ds_store_2addr_b32 v8, v18, v19 offset0:3 offset1:4
	;; [unrolled: 1-line block ×3, first 2 shown]
	ds_store_b32 v8, v22 offset:28
.LBB100_32:                             ;   in Loop: Header=BB100_21 Depth=1
	s_or_b32 exec_lo, exec_lo, s17
	v_mov_b32_e32 v17, 0
	s_wait_dscnt 0x0
	s_barrier_signal -1
	s_barrier_wait -1
	s_and_saveexec_b32 s17, s2
; %bb.33:                               ;   in Loop: Header=BB100_21 Depth=1
	ds_load_b32 v17, v5
; %bb.34:                               ;   in Loop: Header=BB100_21 Depth=1
	s_or_b32 exec_lo, exec_lo, s17
	ds_load_b32 v16, v7 offset:1048
	s_mov_b32 s17, exec_lo
	s_wait_dscnt 0x0
	s_barrier_signal -1
	s_barrier_wait -1
	v_cmpx_ne_u32_e32 0, v14
	s_cbranch_execz .LBB100_19
; %bb.35:                               ;   in Loop: Header=BB100_21 Depth=1
	v_add_nc_u32_e32 v14, v17, v1
	s_delay_alu instid0(VALU_DEP_1)
	v_cmp_gt_u32_e32 vcc_lo, s5, v14
	s_and_b32 exec_lo, exec_lo, vcc_lo
	s_cbranch_execz .LBB100_19
; %bb.36:                               ;   in Loop: Header=BB100_21 Depth=1
	v_mul_lo_u32 v17, v14, s15
	v_mul_lo_u32 v14, v14, s12
	global_store_b16 v17, v13, s[10:11] scale_offset
	global_store_b64 v14, v[6:7], s[6:7] scale_offset
	s_branch .LBB100_19
.LBB100_37:                             ;   in Loop: Header=BB100_38 Depth=1
	s_add_co_i32 s10, s10, 1
	s_wait_kmcnt 0x0
	s_add_co_i32 s17, s11, s17
	s_add_nc_u64 s[6:7], s[6:7], 4
	s_cmp_lt_u32 s10, s14
	s_add_nc_u64 s[8:9], s[8:9], 4
	s_cbranch_scc0 .LBB100_16
.LBB100_38:                             ; =>This Inner Loop Header: Depth=1
	s_load_b32 s11, s[6:7], 0x0
	s_cmp_ge_u32 s10, s52
	s_cbranch_scc1 .LBB100_37
; %bb.39:                               ;   in Loop: Header=BB100_38 Depth=1
	s_load_b32 s16, s[8:9], 0x0
	s_wait_kmcnt 0x0
	s_add_co_i32 s19, s11, s19
	s_add_co_i32 s18, s16, s18
	s_branch .LBB100_37
.LBB100_40:
	s_endpgm
	.section	.rodata,"a",@progbits
	.p2align	6, 0x0
	.amdhsa_kernel _ZN2at6native6mbtopk10gatherTopKIN3c104HalfEjLi3EEEvNS_4cuda6detail10TensorInfoIKT_T0_EESA_SA_bjSA_NS7_IS8_SA_EESA_NS7_IlSA_EESA_jjPS8_PjSF_j
		.amdhsa_group_segment_fixed_size 1068
		.amdhsa_private_segment_fixed_size 0
		.amdhsa_kernarg_size 984
		.amdhsa_user_sgpr_count 2
		.amdhsa_user_sgpr_dispatch_ptr 0
		.amdhsa_user_sgpr_queue_ptr 0
		.amdhsa_user_sgpr_kernarg_segment_ptr 1
		.amdhsa_user_sgpr_dispatch_id 0
		.amdhsa_user_sgpr_kernarg_preload_length 0
		.amdhsa_user_sgpr_kernarg_preload_offset 0
		.amdhsa_user_sgpr_private_segment_size 0
		.amdhsa_wavefront_size32 1
		.amdhsa_uses_dynamic_stack 0
		.amdhsa_enable_private_segment 0
		.amdhsa_system_sgpr_workgroup_id_x 1
		.amdhsa_system_sgpr_workgroup_id_y 1
		.amdhsa_system_sgpr_workgroup_id_z 1
		.amdhsa_system_sgpr_workgroup_info 0
		.amdhsa_system_vgpr_workitem_id 0
		.amdhsa_next_free_vgpr 26
		.amdhsa_next_free_sgpr 53
		.amdhsa_named_barrier_count 0
		.amdhsa_reserve_vcc 1
		.amdhsa_float_round_mode_32 0
		.amdhsa_float_round_mode_16_64 0
		.amdhsa_float_denorm_mode_32 3
		.amdhsa_float_denorm_mode_16_64 3
		.amdhsa_fp16_overflow 0
		.amdhsa_memory_ordered 1
		.amdhsa_forward_progress 1
		.amdhsa_inst_pref_size 25
		.amdhsa_round_robin_scheduling 0
		.amdhsa_exception_fp_ieee_invalid_op 0
		.amdhsa_exception_fp_denorm_src 0
		.amdhsa_exception_fp_ieee_div_zero 0
		.amdhsa_exception_fp_ieee_overflow 0
		.amdhsa_exception_fp_ieee_underflow 0
		.amdhsa_exception_fp_ieee_inexact 0
		.amdhsa_exception_int_div_zero 0
	.end_amdhsa_kernel
	.section	.text._ZN2at6native6mbtopk10gatherTopKIN3c104HalfEjLi3EEEvNS_4cuda6detail10TensorInfoIKT_T0_EESA_SA_bjSA_NS7_IS8_SA_EESA_NS7_IlSA_EESA_jjPS8_PjSF_j,"axG",@progbits,_ZN2at6native6mbtopk10gatherTopKIN3c104HalfEjLi3EEEvNS_4cuda6detail10TensorInfoIKT_T0_EESA_SA_bjSA_NS7_IS8_SA_EESA_NS7_IlSA_EESA_jjPS8_PjSF_j,comdat
.Lfunc_end100:
	.size	_ZN2at6native6mbtopk10gatherTopKIN3c104HalfEjLi3EEEvNS_4cuda6detail10TensorInfoIKT_T0_EESA_SA_bjSA_NS7_IS8_SA_EESA_NS7_IlSA_EESA_jjPS8_PjSF_j, .Lfunc_end100-_ZN2at6native6mbtopk10gatherTopKIN3c104HalfEjLi3EEEvNS_4cuda6detail10TensorInfoIKT_T0_EESA_SA_bjSA_NS7_IS8_SA_EESA_NS7_IlSA_EESA_jjPS8_PjSF_j
                                        ; -- End function
	.set _ZN2at6native6mbtopk10gatherTopKIN3c104HalfEjLi3EEEvNS_4cuda6detail10TensorInfoIKT_T0_EESA_SA_bjSA_NS7_IS8_SA_EESA_NS7_IlSA_EESA_jjPS8_PjSF_j.num_vgpr, 26
	.set _ZN2at6native6mbtopk10gatherTopKIN3c104HalfEjLi3EEEvNS_4cuda6detail10TensorInfoIKT_T0_EESA_SA_bjSA_NS7_IS8_SA_EESA_NS7_IlSA_EESA_jjPS8_PjSF_j.num_agpr, 0
	.set _ZN2at6native6mbtopk10gatherTopKIN3c104HalfEjLi3EEEvNS_4cuda6detail10TensorInfoIKT_T0_EESA_SA_bjSA_NS7_IS8_SA_EESA_NS7_IlSA_EESA_jjPS8_PjSF_j.numbered_sgpr, 53
	.set _ZN2at6native6mbtopk10gatherTopKIN3c104HalfEjLi3EEEvNS_4cuda6detail10TensorInfoIKT_T0_EESA_SA_bjSA_NS7_IS8_SA_EESA_NS7_IlSA_EESA_jjPS8_PjSF_j.num_named_barrier, 0
	.set _ZN2at6native6mbtopk10gatherTopKIN3c104HalfEjLi3EEEvNS_4cuda6detail10TensorInfoIKT_T0_EESA_SA_bjSA_NS7_IS8_SA_EESA_NS7_IlSA_EESA_jjPS8_PjSF_j.private_seg_size, 0
	.set _ZN2at6native6mbtopk10gatherTopKIN3c104HalfEjLi3EEEvNS_4cuda6detail10TensorInfoIKT_T0_EESA_SA_bjSA_NS7_IS8_SA_EESA_NS7_IlSA_EESA_jjPS8_PjSF_j.uses_vcc, 1
	.set _ZN2at6native6mbtopk10gatherTopKIN3c104HalfEjLi3EEEvNS_4cuda6detail10TensorInfoIKT_T0_EESA_SA_bjSA_NS7_IS8_SA_EESA_NS7_IlSA_EESA_jjPS8_PjSF_j.uses_flat_scratch, 0
	.set _ZN2at6native6mbtopk10gatherTopKIN3c104HalfEjLi3EEEvNS_4cuda6detail10TensorInfoIKT_T0_EESA_SA_bjSA_NS7_IS8_SA_EESA_NS7_IlSA_EESA_jjPS8_PjSF_j.has_dyn_sized_stack, 0
	.set _ZN2at6native6mbtopk10gatherTopKIN3c104HalfEjLi3EEEvNS_4cuda6detail10TensorInfoIKT_T0_EESA_SA_bjSA_NS7_IS8_SA_EESA_NS7_IlSA_EESA_jjPS8_PjSF_j.has_recursion, 0
	.set _ZN2at6native6mbtopk10gatherTopKIN3c104HalfEjLi3EEEvNS_4cuda6detail10TensorInfoIKT_T0_EESA_SA_bjSA_NS7_IS8_SA_EESA_NS7_IlSA_EESA_jjPS8_PjSF_j.has_indirect_call, 0
	.section	.AMDGPU.csdata,"",@progbits
; Kernel info:
; codeLenInByte = 3172
; TotalNumSgprs: 55
; NumVgprs: 26
; ScratchSize: 0
; MemoryBound: 0
; FloatMode: 240
; IeeeMode: 1
; LDSByteSize: 1068 bytes/workgroup (compile time only)
; SGPRBlocks: 0
; VGPRBlocks: 1
; NumSGPRsForWavesPerEU: 55
; NumVGPRsForWavesPerEU: 26
; NamedBarCnt: 0
; Occupancy: 16
; WaveLimiterHint : 1
; COMPUTE_PGM_RSRC2:SCRATCH_EN: 0
; COMPUTE_PGM_RSRC2:USER_SGPR: 2
; COMPUTE_PGM_RSRC2:TRAP_HANDLER: 0
; COMPUTE_PGM_RSRC2:TGID_X_EN: 1
; COMPUTE_PGM_RSRC2:TGID_Y_EN: 1
; COMPUTE_PGM_RSRC2:TGID_Z_EN: 1
; COMPUTE_PGM_RSRC2:TIDIG_COMP_CNT: 0
	.section	.text._ZN2at6native6sbtopk10gatherTopKIN3c104HalfEjLi3ELb0EEEvNS_4cuda6detail10TensorInfoIKT_T0_EESA_SA_bSA_SA_NS7_IS8_SA_EESA_NS7_IlSA_EESA_PS8_,"axG",@progbits,_ZN2at6native6sbtopk10gatherTopKIN3c104HalfEjLi3ELb0EEEvNS_4cuda6detail10TensorInfoIKT_T0_EESA_SA_bSA_SA_NS7_IS8_SA_EESA_NS7_IlSA_EESA_PS8_,comdat
	.protected	_ZN2at6native6sbtopk10gatherTopKIN3c104HalfEjLi3ELb0EEEvNS_4cuda6detail10TensorInfoIKT_T0_EESA_SA_bSA_SA_NS7_IS8_SA_EESA_NS7_IlSA_EESA_PS8_ ; -- Begin function _ZN2at6native6sbtopk10gatherTopKIN3c104HalfEjLi3ELb0EEEvNS_4cuda6detail10TensorInfoIKT_T0_EESA_SA_bSA_SA_NS7_IS8_SA_EESA_NS7_IlSA_EESA_PS8_
	.globl	_ZN2at6native6sbtopk10gatherTopKIN3c104HalfEjLi3ELb0EEEvNS_4cuda6detail10TensorInfoIKT_T0_EESA_SA_bSA_SA_NS7_IS8_SA_EESA_NS7_IlSA_EESA_PS8_
	.p2align	8
	.type	_ZN2at6native6sbtopk10gatherTopKIN3c104HalfEjLi3ELb0EEEvNS_4cuda6detail10TensorInfoIKT_T0_EESA_SA_bSA_SA_NS7_IS8_SA_EESA_NS7_IlSA_EESA_PS8_,@function
_ZN2at6native6sbtopk10gatherTopKIN3c104HalfEjLi3ELb0EEEvNS_4cuda6detail10TensorInfoIKT_T0_EESA_SA_bSA_SA_NS7_IS8_SA_EESA_NS7_IlSA_EESA_PS8_: ; @_ZN2at6native6sbtopk10gatherTopKIN3c104HalfEjLi3ELb0EEEvNS_4cuda6detail10TensorInfoIKT_T0_EESA_SA_bSA_SA_NS7_IS8_SA_EESA_NS7_IlSA_EESA_PS8_
; %bb.0:
	s_clause 0x1
	s_load_b128 s[36:39], s[0:1], 0xd8
	s_load_b64 s[12:13], s[0:1], 0x2b8
	s_bfe_u32 s2, ttmp6, 0x40010
	s_and_b32 s3, ttmp7, 0xffff
	s_add_co_i32 s2, s2, 1
	s_bfe_u32 s5, ttmp6, 0x4000c
	s_mul_i32 s2, s3, s2
	s_bfe_u32 s4, ttmp6, 0x40004
	s_add_co_i32 s5, s5, 1
	s_bfe_u32 s6, ttmp6, 0x40014
	s_add_co_i32 s4, s4, s2
	s_and_b32 s2, ttmp6, 15
	s_mul_i32 s5, ttmp9, s5
	s_lshr_b32 s7, ttmp7, 16
	s_add_co_i32 s6, s6, 1
	s_add_co_i32 s2, s2, s5
	s_mul_i32 s5, s7, s6
	s_bfe_u32 s6, ttmp6, 0x40008
	s_getreg_b32 s8, hwreg(HW_REG_IB_STS2, 6, 4)
	s_add_co_i32 s6, s6, s5
	s_cmp_eq_u32 s8, 0
	s_mov_b32 s51, 0
	s_cselect_b32 s5, s7, s6
	s_cselect_b32 s3, s3, s4
	s_wait_kmcnt 0x0
	s_mul_i32 s5, s13, s5
	s_cselect_b32 s11, ttmp9, s2
	s_add_co_i32 s2, s5, s3
	s_delay_alu instid0(SALU_CYCLE_1) | instskip(NEXT) | instid1(SALU_CYCLE_1)
	s_mul_i32 s72, s2, s12
	s_add_co_i32 s72, s72, s11
	s_delay_alu instid0(SALU_CYCLE_1)
	s_cmp_ge_u32 s72, s39
	s_cbranch_scc1 .LBB101_430
; %bb.1:
	s_clause 0x5
	s_load_b64 s[18:19], s[0:1], 0xc
	s_load_b64 s[52:53], s[0:1], 0xfc
	;; [unrolled: 1-line block ×4, first 2 shown]
	s_load_b32 s43, s[0:1], 0xe8
	s_load_b96 s[8:10], s[0:1], 0x6c
	s_add_nc_u64 s[16:17], s[0:1], 0x2b8
	s_mov_b32 s55, s51
	s_wait_kmcnt 0x0
	s_cvt_f32_u32 s2, s19
	s_cvt_f32_u32 s3, s53
	s_delay_alu instid0(SALU_CYCLE_2) | instskip(SKIP_1) | instid1(SALU_CYCLE_1)
	v_rcp_iflag_f32_e32 v1, s2
	s_sub_co_i32 s2, 0, s19
	v_rcp_iflag_f32_e32 v4, s3
	s_cvt_f32_u32 s3, s49
	s_delay_alu instid0(SALU_CYCLE_3) | instskip(NEXT) | instid1(TRANS32_DEP_3)
	v_rcp_iflag_f32_e32 v5, s3
	v_mul_f32_e32 v1, 0x4f7ffffe, v1
	s_delay_alu instid0(TRANS32_DEP_2) | instskip(SKIP_2) | instid1(TRANS32_DEP_1)
	v_readfirstlane_b32 s4, v4
	s_sub_co_i32 s3, 0, s18
	v_cvt_u32_f32_e32 v1, v1
	v_readfirstlane_b32 s5, v5
	s_delay_alu instid0(VALU_DEP_2) | instskip(SKIP_2) | instid1(SALU_CYCLE_2)
	v_mul_lo_u32 v2, s2, v1
	s_cvt_f32_u32 s2, s18
	s_mul_f32 s5, s5, 0x4f7ffffe
	v_rcp_iflag_f32_e32 v3, s2
	s_cvt_f32_u32 s2, s52
	s_delay_alu instid0(SALU_CYCLE_1) | instskip(NEXT) | instid1(SALU_CYCLE_2)
	s_cvt_u32_f32 s5, s5
	v_rcp_iflag_f32_e32 v4, s2
	s_delay_alu instid0(VALU_DEP_1) | instskip(SKIP_2) | instid1(TRANS32_DEP_1)
	v_mul_hi_u32 v2, v1, v2
	v_mov_b32_e32 v17, 0
	s_mul_f32 s2, s4, 0x4f7ffffe
	v_readfirstlane_b32 s4, v4
	s_delay_alu instid0(SALU_CYCLE_2) | instskip(SKIP_2) | instid1(VALU_DEP_1)
	s_cvt_u32_f32 s2, s2
	s_mul_f32 s4, s4, 0x4f7ffffe
	v_dual_mul_f32 v2, 0x4f7ffffe, v3 :: v_dual_add_nc_u32 v1, v1, v2
	v_mul_hi_u32 v1, s72, v1
	s_delay_alu instid0(VALU_DEP_2) | instskip(NEXT) | instid1(VALU_DEP_1)
	v_cvt_u32_f32_e32 v2, v2
	v_mul_lo_u32 v4, s3, v2
	s_sub_co_i32 s3, 0, s53
	s_delay_alu instid0(SALU_CYCLE_1) | instskip(NEXT) | instid1(VALU_DEP_3)
	s_mul_i32 s3, s3, s2
	v_mul_lo_u32 v5, v1, s19
	v_mov_b32_e32 v3, v17
	s_mul_hi_u32 s3, s2, s3
	s_delay_alu instid0(SALU_CYCLE_1) | instskip(SKIP_1) | instid1(VALU_DEP_3)
	s_add_co_i32 s2, s2, s3
	s_cvt_u32_f32 s3, s4
	v_mul_hi_u32 v4, v2, v4
	s_mul_hi_u32 s2, s72, s2
	s_delay_alu instid0(SALU_CYCLE_1) | instskip(SKIP_1) | instid1(VALU_DEP_3)
	s_mul_i32 s4, s2, s53
	s_add_co_i32 s6, s2, 1
	v_sub_nc_u32_e32 v5, s72, v5
	s_sub_co_i32 s4, s72, s4
	s_delay_alu instid0(SALU_CYCLE_1) | instskip(SKIP_1) | instid1(VALU_DEP_1)
	s_sub_co_i32 s7, s4, s53
	s_cmp_ge_u32 s4, s53
	v_subrev_nc_u32_e32 v7, s19, v5
	v_cmp_le_u32_e32 vcc_lo, s19, v5
	s_delay_alu instid0(VALU_DEP_4) | instskip(SKIP_3) | instid1(VALU_DEP_2)
	v_dual_add_nc_u32 v6, 1, v1 :: v_dual_add_nc_u32 v2, v2, v4
	s_cselect_b32 s2, s6, s2
	s_cselect_b32 s4, s7, s4
	v_cndmask_b32_e32 v5, v5, v7, vcc_lo
	v_cndmask_b32_e32 v1, v1, v6, vcc_lo
	s_add_co_i32 s6, s2, 1
	s_cmp_ge_u32 s4, s53
	s_delay_alu instid0(VALU_DEP_2) | instskip(NEXT) | instid1(VALU_DEP_2)
	v_cmp_le_u32_e32 vcc_lo, s19, v5
	v_add_nc_u32_e32 v6, 1, v1
	s_cselect_b32 s50, s6, s2
	s_sub_co_i32 s2, 0, s49
	s_cvt_f32_u32 s6, s48
	s_mul_i32 s2, s2, s5
	v_cndmask_b32_e32 v16, v1, v6, vcc_lo
	s_mul_hi_u32 s2, s5, s2
	v_rcp_iflag_f32_e32 v1, s6
	s_sub_co_i32 s4, 0, s52
	s_add_co_i32 s5, s5, s2
	v_mul_u64_e32 v[2:3], v[16:17], v[2:3]
	s_mul_i32 s4, s4, s3
	s_mul_hi_u32 s5, s72, s5
	s_mul_hi_u32 s2, s3, s4
	s_mul_i32 s4, s5, s49
	s_add_co_i32 s2, s3, s2
	s_sub_co_i32 s3, s72, s4
	v_readfirstlane_b32 s6, v1
	s_add_co_i32 s4, s5, 1
	s_sub_co_i32 s7, s3, s49
	s_cmp_ge_u32 s3, s49
	s_cselect_b32 s4, s4, s5
	s_mul_f32 s5, s6, 0x4f7ffffe
	s_cselect_b32 s3, s7, s3
	s_add_co_i32 s6, s4, 1
	s_cmp_ge_u32 s3, s49
	s_cvt_u32_f32 s7, s5
	s_cselect_b32 s54, s6, s4
	s_sub_co_i32 s3, 0, s48
	v_cmp_eq_u32_e64 s5, 0, v0
	s_mul_i32 s4, s3, s7
	s_mov_b32 s3, s51
	s_mul_hi_u32 s4, s7, s4
	s_delay_alu instid0(SALU_CYCLE_1)
	s_add_co_i32 s6, s7, s4
	s_mov_b32 s7, s51
	s_and_saveexec_b32 s4, s5
; %bb.2:
	v_dual_mov_b32 v4, 0 :: v_dual_mov_b32 v5, s36
	s_delay_alu instid0(VALU_DEP_1)
	v_mov_b32_e32 v6, v4
	ds_store_b96 v4, v[4:6] offset:4096
; %bb.3:
	s_or_b32 exec_lo, exec_lo, s4
	v_mul_lo_u32 v1, v3, s18
	v_add_nc_u32_e32 v4, 1, v3
	s_mul_u64 s[60:61], s[50:51], s[2:3]
	v_mul_lo_u32 v2, v16, s19
	s_wait_dscnt 0x0
	s_barrier_signal -1
	s_barrier_wait -1
	s_load_b32 s13, s[16:17], 0xc
	v_mbcnt_lo_u32_b32 v11, -1, 0
	s_mul_u64 s[34:35], s[54:55], s[6:7]
	s_delay_alu instid0(VALU_DEP_4)
	v_sub_nc_u32_e32 v1, v16, v1
	s_bitcmp1_b32 s38, 0
	v_lshlrev_b32_e32 v22, 1, v0
	v_cmp_gt_i32_e64 s7, 4, v11
	s_cselect_b32 s4, -1, 0
	v_subrev_nc_u32_e32 v5, s18, v1
	v_cmp_le_u32_e32 vcc_lo, s18, v1
	v_add_max_u32_e64 v6, v0, 2, s36
	s_load_b96 s[20:22], s[0:1], 0x23c
	s_xor_b32 s55, s4, -1
                                        ; implicit-def: $vgpr71 : SGPR spill to VGPR lane
	v_mul_lo_u32 v18, s43, v0
	v_dual_cndmask_b32 v3, v3, v4 :: v_dual_cndmask_b32 v4, v1, v5
	v_cmp_gt_u32_e32 vcc_lo, 32, v0
	v_cmp_gt_u32_e64 s3, s36, v0
	s_delay_alu instid0(VALU_DEP_3) | instskip(NEXT) | instid1(VALU_DEP_4)
	v_dual_lshlrev_b32 v1, 2, v0 :: v_dual_add_nc_u32 v5, 1, v3
	v_cmp_le_u32_e64 s2, s18, v4
	s_wait_kmcnt 0x0
	s_and_b32 s47, s13, 0xffff
	s_and_b32 s60, vcc_lo, s7
	v_mov_b32_e32 v19, v17
	s_lshl_b32 s73, s47, 2
	v_dual_cndmask_b32 v4, v3, v5, s2 :: v_dual_lshrrev_b32 v5, 1, v0
	s_cmp_gt_u32 s36, 0x600
	s_cvt_f32_u32 s7, s73
	s_cselect_b32 s74, -1, 0
	s_delay_alu instid0(VALU_DEP_1)
	v_mul_lo_u32 v3, v4, s18
	v_sub_nc_u32_e32 v2, s72, v2
	s_movk_i32 s18, 0x1f0
	s_cmp_gt_u32 s47, 31
	v_and_or_b32 v24, v5, s18, 0xc00
	s_cselect_b32 s75, -1, 0
	s_add_co_i32 s76, s47, -1
	v_writelane_b32 v71, s20, 0
	s_add_co_i32 s18, s76, s36
	s_cmp_lt_u32 s11, s12
	v_mad_u32 v30, s43, v1, s43
	v_sub_nc_u32_e32 v3, v16, v3
	v_mul_lo_u32 v7, v2, s10
	s_cselect_b32 s38, 12, 18
	s_bfe_u32 s77, s13, 0xb0005
	v_writelane_b32 v71, s21, 1
	v_mul_lo_u32 v8, v3, s9
	v_lshlrev_b64_e64 v[2:3], v11, -1
	v_mul_lo_u32 v3, v4, s8
	v_xad_u32 v4, v0, -1, v6
	s_add_co_i32 s8, s77, -2
	v_writelane_b32 v71, s22, 2
	s_lshr_b32 s9, s8, 1
	s_load_b64 s[20:21], s[0:1], 0x1d0
	s_add_co_i32 s9, s9, 1
	v_add_nc_u32_e32 v6, -4, v4
	s_cmp_gt_u32 s47, 63
	v_add_nc_u32_e32 v5, v8, v7
	s_cselect_b32 s78, -1, 0
	s_and_b32 s79, s77, 0x7fe
	s_and_b32 s80, s9, 7
	s_cmp_gt_u32 s8, 13
	v_dual_add_nc_u32 v16, v5, v3 :: v_dual_lshrrev_b32 v7, 2, v6
	v_rcp_iflag_f32_e32 v5, s7
	s_cselect_b32 s81, -1, 0
	s_and_b32 s82, s9, -8
	s_cmp_lg_u32 s80, 0
	v_not_b32_e32 v10, v2
	v_lshlrev_b64_e32 v[2:3], 1, v[16:17]
	s_cselect_b32 s83, -1, 0
	v_readfirstlane_b32 s7, v5
	s_cmp_lg_u32 s79, s77
	s_cvt_f32_u32 s9, s47
	s_cselect_b32 s84, -1, 0
	s_wait_kmcnt 0x0
	v_writelane_b32 v71, s20, 3
	s_mul_f32 s7, s7, 0x4f7ffffe
	v_add_nc_u64_e32 v[12:13], s[14:15], v[2:3]
	v_rcp_iflag_f32_e32 v3, s9
	v_add_nc_u32_e32 v2, 1, v7
	s_cvt_u32_f32 s8, s7
	s_sub_co_i32 s7, 0, s73
	v_writelane_b32 v71, s21, 4
	s_load_b64 s[20:21], s[0:1], 0xf0
	s_mul_i32 s7, s7, s8
	v_readfirstlane_b32 s9, v3
	s_mul_hi_u32 s10, s8, s7
	v_lshl_add_u64 v[14:15], v[18:19], 1, v[12:13]
	s_add_co_i32 s62, s8, s10
	v_and_b32_e32 v19, -4, v4
	s_mul_hi_u32 s8, s36, s62
	s_mul_f32 s9, s9, 0x4f7ffffe
	s_mul_i32 s8, s8, s73
	s_delay_alu instid0(VALU_DEP_1)
	v_dual_add_nc_u32 v25, v0, v19 :: v_dual_bitop2_b32 v3, 3, v2 bitop3:0x40
	s_sub_co_i32 s8, s36, s8
	s_cvt_u32_f32 s9, s9
	s_sub_co_i32 s10, s8, s73
	s_cmp_ge_u32 s8, s73
	v_and_b32_e32 v27, 0x7ffffffc, v2
	s_cselect_b32 s8, s10, s8
	v_add3_u32 v2, s47, s36, v0
	s_sub_co_i32 s10, s8, s73
	s_cmp_ge_u32 s8, s73
	v_cmp_lt_u32_e64 s7, 31, v4
	s_cselect_b32 s14, s10, s8
	s_sub_co_i32 s10, 0, s47
	s_sub_co_i32 s88, s36, s14
	s_mul_i32 s10, s10, s9
	v_dual_add_nc_u32 v26, s88, v0 :: v_dual_lshlrev_b32 v29, 3, v3
	s_mul_hi_u32 s10, s9, s10
	v_subrev_nc_u32_e32 v2, s14, v2
	s_add_co_i32 s64, s9, s10
	v_cmp_ne_u32_e64 s9, 0, v3
	s_mul_hi_u32 s10, s18, s64
	v_mul_lo_u32 v16, v26, s43
	s_mul_i32 s10, s10, s47
	v_dual_lshlrev_b32 v33, 2, v18 :: v_dual_bitop2_b32 v3, 2, v1 bitop3:0x54
	s_sub_co_i32 s11, s18, s10
	v_cmp_ne_u32_e64 s10, v4, v19
	s_sub_co_i32 s12, s11, s47
	s_cmp_ge_u32 s11, s47
	v_dual_lshlrev_b32 v35, 3, v0 :: v_dual_bitop2_b32 v4, 3, v1 bitop3:0x54
	s_cselect_b32 s13, s12, s11
	v_mul_lo_u32 v31, s43, v3
	s_sub_co_i32 s15, s13, s47
	s_cmp_ge_u32 s13, s47
	v_mul_lo_u32 v32, s43, v4
	v_mul_lo_u32 v34, s43, v2
	s_cselect_b32 s13, s15, s13
	s_wait_kmcnt 0x0
	v_writelane_b32 v71, s20, 5
	s_sub_co_i32 s89, s18, s13
	v_cmp_gt_u32_e64 s6, 2, v0
	v_cmp_eq_u32_e64 s2, 0, v11
	v_dual_mov_b32 v40, s37 :: v_dual_add_nc_u32 v23, 0xc00, v22
	v_cmp_lt_u32_e64 s8, 11, v6
	v_cmp_gt_u32_e64 s11, s88, v1
	v_cmp_gt_u32_e64 s12, s36, v26
	v_lshl_add_u64 v[20:21], v[16:17], 1, v[12:13]
	v_cmp_gt_u32_e64 s13, s89, v0
	v_lshl_or_b32 v36, v11, 2, 0xc00
	v_dual_mov_b32 v37, 0x8000 :: v_dual_mov_b32 v28, 0
	v_dual_mov_b32 v39, 0 :: v_dual_mov_b32 v38, 0
	s_mov_b32 s39, 0
	s_mul_i32 s51, s43, s47
	s_mov_b32 s85, s43
	s_mov_b32 s86, s43
	;; [unrolled: 1-line block ×5, first 2 shown]
	s_lshl_b32 s90, s51, 2
	s_lshl_b32 s91, s47, 3
	;; [unrolled: 1-line block ×3, first 2 shown]
	s_mov_b32 s93, 14
	s_add_nc_u64 s[66:67], s[16:17], s[38:39]
	s_movk_i32 s95, 0x3c00
	s_mov_b32 s94, 0
	s_mov_b32 s97, 0
	v_writelane_b32 v71, s21, 6
                                        ; implicit-def: $sgpr96
                                        ; implicit-def: $sgpr100
                                        ; implicit-def: $sgpr99
                                        ; implicit-def: $sgpr101
                                        ; implicit-def: $sgpr98
                                        ; implicit-def: $vcc_hi
                                        ; implicit-def: $sgpr44
                                        ; implicit-def: $sgpr102
                                        ; implicit-def: $sgpr104
                                        ; implicit-def: $sgpr103
	s_branch .LBB101_6
.LBB101_4:                              ;   in Loop: Header=BB101_6 Depth=1
	s_or_b32 exec_lo, exec_lo, s17
	v_mov_b32_e32 v40, v5
	s_and_not1_b32 s17, s103, exec_lo
	s_and_b32 s16, s16, exec_lo
	s_and_not1_b32 s104, s104, exec_lo
	s_or_b32 s103, s17, s16
	s_and_not1_b32 s102, s102, exec_lo
	s_and_not1_b32 s44, s44, exec_lo
	s_and_not1_b32 vcc_hi, vcc_hi, exec_lo
	s_or_not1_b32 s17, s15, exec_lo
.LBB101_5:                              ;   in Loop: Header=BB101_6 Depth=1
	s_or_b32 exec_lo, exec_lo, s14
	s_delay_alu instid0(SALU_CYCLE_1) | instskip(NEXT) | instid1(SALU_CYCLE_1)
	s_and_b32 s14, exec_lo, s17
	s_or_b32 s94, s14, s94
	s_and_not1_b32 s14, s98, exec_lo
	s_and_b32 s15, s103, exec_lo
	s_and_not1_b32 s16, s101, exec_lo
	s_or_b32 s98, s14, s15
	s_and_b32 s14, s104, exec_lo
	s_and_not1_b32 s15, s99, exec_lo
	s_and_b32 s17, s102, exec_lo
	s_or_b32 s101, s16, s14
	s_or_b32 s99, s15, s17
	s_and_not1_b32 s14, s100, exec_lo
	s_and_b32 s15, s44, exec_lo
	s_and_not1_b32 s16, s96, exec_lo
	s_and_b32 s17, vcc_hi, exec_lo
	s_or_b32 s100, s14, s15
	s_or_b32 s96, s16, s17
	s_and_not1_b32 exec_lo, exec_lo, s94
	s_cbranch_execz .LBB101_426
.LBB101_6:                              ; =>This Loop Header: Depth=1
                                        ;     Child Loop BB101_11 Depth 2
                                        ;     Child Loop BB101_32 Depth 2
                                        ;     Child Loop BB101_36 Depth 2
                                        ;     Child Loop BB101_42 Depth 2
                                        ;     Child Loop BB101_77 Depth 2
                                        ;     Child Loop BB101_81 Depth 2
                                        ;     Child Loop BB101_66 Depth 2
                                        ;     Child Loop BB101_71 Depth 2
                                        ;     Child Loop BB101_60 Depth 2
                                        ;     Child Loop BB101_62 Depth 2
                                        ;     Child Loop BB101_86 Depth 2
                                        ;     Child Loop BB101_98 Depth 2
                                        ;     Child Loop BB101_110 Depth 2
                                        ;     Child Loop BB101_138 Depth 2
                                        ;     Child Loop BB101_150 Depth 2
                                        ;     Child Loop BB101_177 Depth 2
                                        ;     Child Loop BB101_189 Depth 2
                                        ;     Child Loop BB101_216 Depth 2
                                        ;     Child Loop BB101_228 Depth 2
                                        ;     Child Loop BB101_265 Depth 2
                                        ;     Child Loop BB101_278 Depth 2
                                        ;     Child Loop BB101_305 Depth 2
                                        ;     Child Loop BB101_317 Depth 2
                                        ;     Child Loop BB101_344 Depth 2
                                        ;     Child Loop BB101_356 Depth 2
                                        ;     Child Loop BB101_383 Depth 2
                                        ;     Child Loop BB101_395 Depth 2
	ds_load_b64 v[2:3], v17 offset:4096
	s_wait_dscnt 0x0
	v_readfirstlane_b32 s38, v2
	s_cmp_lg_u32 s38, 0
	s_cbranch_scc1 .LBB101_51
; %bb.7:                                ;   in Loop: Header=BB101_6 Depth=1
	s_and_b32 vcc_lo, exec_lo, s74
	s_cbranch_vccz .LBB101_19
; %bb.8:                                ;   in Loop: Header=BB101_6 Depth=1
	v_cmp_gt_u32_e32 vcc_lo, 0x601, v3
	s_mov_b32 s16, 0
	s_mov_b32 s14, 0
	s_cbranch_vccz .LBB101_20
; %bb.9:                                ;   in Loop: Header=BB101_6 Depth=1
	global_load_u16 v3, v[14:15], off
	s_load_u16 s17, s[66:67], 0x0
	s_mov_b32 s18, 0
	s_wait_kmcnt 0x0
	v_dual_mov_b32 v4, v0 :: v_dual_add_nc_u32 v2, s17, v0
	s_mul_i32 s19, s43, s17
	s_delay_alu instid0(VALU_DEP_1)
	v_mul_lo_u32 v2, s43, v2
	s_branch .LBB101_11
.LBB101_10:                             ;   in Loop: Header=BB101_11 Depth=2
	s_or_b32 exec_lo, exec_lo, s15
	v_dual_mov_b32 v3, v5 :: v_dual_add_nc_u32 v2, s19, v2
	s_and_not1_b32 exec_lo, exec_lo, s18
	s_cbranch_execz .LBB101_26
.LBB101_11:                             ;   Parent Loop BB101_6 Depth=1
                                        ; =>  This Inner Loop Header: Depth=2
	s_wait_dscnt 0x0
	v_dual_add_nc_u32 v4, s17, v4 :: v_dual_mov_b32 v6, 0
	v_mov_b32_e32 v5, 0
	s_mov_b32 s15, exec_lo
	s_delay_alu instid0(VALU_DEP_2)
	v_cmp_le_u32_e32 vcc_lo, s36, v4
	v_cmpx_gt_u32_e64 s36, v4
	s_cbranch_execz .LBB101_13
; %bb.12:                               ;   in Loop: Header=BB101_11 Depth=2
	v_readfirstlane_b32 s20, v12
	v_readfirstlane_b32 s21, v13
	global_load_u16 v5, v2, s[20:21] scale_offset
.LBB101_13:                             ;   in Loop: Header=BB101_11 Depth=2
	s_wait_xcnt 0x0
	s_or_b32 exec_lo, exec_lo, s15
	s_wait_loadcnt 0x0
	v_cmp_lt_i16_e64 s14, -1, v3
	v_and_b32_e32 v7, 0xffff, v3
	s_delay_alu instid0(VALU_DEP_2) | instskip(SKIP_1) | instid1(VALU_DEP_2)
	v_cndmask_b32_e64 v8, 0xffff, v37, s14
	v_cmp_o_f16_e64 s14, v3, v3
	v_xor_b32_e32 v7, v8, v7
	s_delay_alu instid0(VALU_DEP_1) | instskip(NEXT) | instid1(VALU_DEP_1)
	v_cndmask_b32_e64 v7, 0xffff, v7, s14
	v_and_b32_e32 v7, v7, v38
	s_delay_alu instid0(VALU_DEP_1) | instskip(SKIP_2) | instid1(SALU_CYCLE_1)
	v_cmp_eq_u32_e64 s14, v7, v28
	s_cmp_lg_u32 s14, 0
	s_cselect_b32 s15, -1, 0
	s_and_b32 s15, s2, s15
	s_delay_alu instid0(SALU_CYCLE_1)
	s_and_saveexec_b32 s20, s15
	s_cbranch_execz .LBB101_17
; %bb.14:                               ;   in Loop: Header=BB101_11 Depth=2
	s_mov_b32 s23, exec_lo
	s_bcnt1_i32_b32 s21, s14
	v_mbcnt_lo_u32_b32 v6, s23, 0
	s_mov_b32 s22, exec_lo
                                        ; implicit-def: $vgpr7
	s_delay_alu instid0(VALU_DEP_1)
	v_cmpx_eq_u32_e32 0, v6
; %bb.15:                               ;   in Loop: Header=BB101_11 Depth=2
	s_bcnt1_i32_b32 s15, s23
	s_delay_alu instid0(SALU_CYCLE_1) | instskip(NEXT) | instid1(SALU_CYCLE_1)
	s_mul_i32 s15, s21, s15
	v_mov_b32_e32 v7, s15
	ds_add_rtn_u32 v7, v17, v7 offset:4104
; %bb.16:                               ;   in Loop: Header=BB101_11 Depth=2
	s_or_b32 exec_lo, exec_lo, s22
	s_wait_dscnt 0x0
	v_readfirstlane_b32 s15, v7
	s_delay_alu instid0(VALU_DEP_1)
	v_mad_u32_u24 v6, s21, v6, s15
.LBB101_17:                             ;   in Loop: Header=BB101_11 Depth=2
	s_or_b32 exec_lo, exec_lo, s20
	ds_bpermute_b32 v6, v17, v6
	s_and_b32 s15, exec_lo, vcc_lo
	s_delay_alu instid0(SALU_CYCLE_1)
	s_or_b32 s18, s15, s18
	s_and_saveexec_b32 s15, s14
	s_cbranch_execz .LBB101_10
; %bb.18:                               ;   in Loop: Header=BB101_11 Depth=2
	v_and_b32_e32 v7, s14, v10
	s_delay_alu instid0(VALU_DEP_1) | instskip(NEXT) | instid1(VALU_DEP_1)
	v_bcnt_u32_b32 v7, v7, 0
	v_lshlrev_b32_e32 v7, 1, v7
	s_wait_dscnt 0x0
	s_delay_alu instid0(VALU_DEP_1)
	v_lshl_add_u32 v6, v6, 1, v7
	ds_store_b16 v6, v3
	s_branch .LBB101_10
.LBB101_19:                             ;   in Loop: Header=BB101_6 Depth=1
	s_mov_b32 s16, -1
	s_mov_b32 s14, 0
.LBB101_20:                             ;   in Loop: Header=BB101_6 Depth=1
	s_and_b32 vcc_lo, exec_lo, s16
	s_cbranch_vccz .LBB101_49
.LBB101_21:                             ;   in Loop: Header=BB101_6 Depth=1
	s_and_saveexec_b32 s15, s3
	s_cbranch_execz .LBB101_46
; %bb.22:                               ;   in Loop: Header=BB101_6 Depth=1
	global_load_u16 v16, v[14:15], off
	s_load_u16 s17, s[66:67], 0x0
	s_mov_b32 s16, exec_lo
	s_wait_kmcnt 0x0
	v_dual_mov_b32 v4, v0 :: v_dual_add_nc_u32 v2, s17, v0
	s_delay_alu instid0(VALU_DEP_1)
	v_cmpx_gt_u32_e64 s36, v2
	s_cbranch_execz .LBB101_45
; %bb.23:                               ;   in Loop: Header=BB101_6 Depth=1
	s_mov_b32 s14, 0
	s_mul_i32 s18, s43, s17
                                        ; implicit-def: $vgpr4
                                        ; implicit-def: $vgpr3
                                        ; implicit-def: $vgpr5
	s_and_saveexec_b32 s19, s7
	s_delay_alu instid0(SALU_CYCLE_1)
	s_xor_b32 s19, exec_lo, s19
	s_cbranch_execnz .LBB101_29
; %bb.24:                               ;   in Loop: Header=BB101_6 Depth=1
	s_and_not1_saveexec_b32 s19, s19
	s_cbranch_execnz .LBB101_40
.LBB101_25:                             ;   in Loop: Header=BB101_6 Depth=1
	s_or_b32 exec_lo, exec_lo, s19
	s_and_saveexec_b32 s18, s14
	s_cbranch_execnz .LBB101_41
	s_branch .LBB101_44
.LBB101_26:                             ;   in Loop: Header=BB101_6 Depth=1
	s_or_b32 exec_lo, exec_lo, s18
	s_wait_dscnt 0x0
	s_barrier_signal -1
	s_barrier_wait -1
	s_and_saveexec_b32 s14, s5
	s_cbranch_execz .LBB101_28
; %bb.27:                               ;   in Loop: Header=BB101_6 Depth=1
	ds_load_b32 v2, v17 offset:4104
	s_wait_dscnt 0x0
	ds_store_b32 v17, v2 offset:4096
.LBB101_28:                             ;   in Loop: Header=BB101_6 Depth=1
	s_or_b32 exec_lo, exec_lo, s14
	s_wait_dscnt 0x0
	s_barrier_signal -1
	s_mov_b32 s14, -1
	s_barrier_wait -1
	s_and_b32 vcc_lo, exec_lo, s16
	s_cbranch_vccnz .LBB101_21
	s_branch .LBB101_49
.LBB101_29:                             ;   in Loop: Header=BB101_6 Depth=1
	s_cvt_f32_u32 s14, s17
	v_add_max_u32_e64 v3, v2, s17, s36
	s_delay_alu instid0(SALU_CYCLE_2) | instskip(SKIP_1) | instid1(VALU_DEP_1)
	v_rcp_iflag_f32_e32 v4, s14
	s_lshl_b32 s14, s17, 1
	v_sub_nc_u32_e32 v3, v3, v0
	s_delay_alu instid0(VALU_DEP_1) | instskip(NEXT) | instid1(TRANS32_DEP_1)
	v_cmp_ne_u32_e32 vcc_lo, s14, v3
	v_readfirstlane_b32 s20, v4
	v_cndmask_b32_e64 v4, 0, 1, vcc_lo
	s_mul_f32 s20, s20, 0x4f7ffffe
	s_delay_alu instid0(VALU_DEP_1) | instskip(NEXT) | instid1(SALU_CYCLE_2)
	v_or_b32_e32 v4, s14, v4
	s_cvt_u32_f32 s14, s20
	s_sub_co_i32 s20, 0, s17
	s_delay_alu instid0(SALU_CYCLE_2) | instskip(NEXT) | instid1(VALU_DEP_1)
	s_mul_i32 s20, s20, s14
	v_sub_nc_u32_e32 v3, v3, v4
	s_mul_hi_u32 s20, s14, s20
	s_delay_alu instid0(SALU_CYCLE_1)
	s_add_co_i32 s14, s14, s20
	s_delay_alu instid0(VALU_DEP_1) | instid1(SALU_CYCLE_1)
	v_mul_hi_u32 v4, v3, s14
	s_delay_alu instid0(VALU_DEP_1) | instskip(NEXT) | instid1(VALU_DEP_1)
	v_mul_lo_u32 v5, v4, s17
	v_dual_sub_nc_u32 v3, v3, v5 :: v_dual_add_nc_u32 v5, 1, v4
	s_delay_alu instid0(VALU_DEP_1) | instskip(SKIP_1) | instid1(VALU_DEP_1)
	v_subrev_nc_u32_e32 v6, s17, v3
	v_cmp_le_u32_e64 s14, s17, v3
	v_dual_cndmask_b32 v4, v4, v5, s14 :: v_dual_cndmask_b32 v3, v3, v6, s14
	s_delay_alu instid0(VALU_DEP_1) | instskip(NEXT) | instid1(VALU_DEP_2)
	v_add_nc_u32_e32 v5, 1, v4
	v_cmp_le_u32_e64 s14, s17, v3
	s_delay_alu instid0(VALU_DEP_1) | instskip(SKIP_2) | instid1(VALU_DEP_2)
	v_cndmask_b32_e64 v3, v4, v5, s14
	v_mul_lo_u32 v4, s43, v2
	s_abs_i32 s14, s18
	v_add_co_ci_u32_e64 v3, null, 0, v3, vcc_lo
	s_delay_alu instid0(VALU_DEP_1) | instskip(SKIP_2) | instid1(SALU_CYCLE_1)
	v_mul_hi_u32 v5, s14, v3
	v_mul_lo_u32 v3, s14, v3
	s_not_b32 s14, s18
	s_ashr_i32 s14, s14, 31
	s_cmp_eq_u32 s17, 1
	s_delay_alu instid0(VALU_DEP_4) | instskip(SKIP_1) | instid1(VALU_DEP_3)
	v_xor_b32_e32 v4, s14, v4
	s_cselect_b32 s20, -1, 0
	v_cmp_eq_u32_e32 vcc_lo, 0, v5
	s_delay_alu instid0(VALU_DEP_2) | instskip(SKIP_2) | instid1(SALU_CYCLE_1)
	v_cmp_le_u32_e64 s14, v3, v4
	v_mov_b32_e32 v3, v0
                                        ; implicit-def: $vgpr4
	s_and_b32 s20, vcc_lo, s20
	s_and_b32 s21, s20, s14
	s_mov_b32 s20, -1
	s_and_saveexec_b32 s14, s21
	s_cbranch_execz .LBB101_39
; %bb.30:                               ;   in Loop: Header=BB101_6 Depth=1
	v_dual_add_nc_u32 v5, 3, v2 :: v_dual_add_nc_u32 v4, 2, v2
	s_wait_loadcnt 0x0
	v_dual_add_nc_u32 v3, 1, v2 :: v_dual_lshlrev_b32 v41, 16, v16
	v_mov_b32_e32 v44, 0
                                        ; implicit-def: $vgpr16
	s_delay_alu instid0(VALU_DEP_3) | instskip(NEXT) | instid1(VALU_DEP_3)
	v_mov_b64_e32 v[8:9], v[4:5]
	v_mov_b64_e32 v[6:7], v[2:3]
	s_and_saveexec_b32 s20, s8
	s_cbranch_execz .LBB101_34
; %bb.31:                               ;   in Loop: Header=BB101_6 Depth=1
	v_mov_b64_e32 v[8:9], v[4:5]
	v_mov_b64_e32 v[6:7], v[2:3]
	v_dual_mov_b32 v42, v27 :: v_dual_mov_b32 v43, v22
	s_mov_b32 s21, 0
	s_mov_b32 s22, 0
.LBB101_32:                             ;   Parent Loop BB101_6 Depth=1
                                        ; =>  This Inner Loop Header: Depth=2
	s_delay_alu instid0(VALU_DEP_2) | instskip(SKIP_1) | instid1(VALU_DEP_4)
	v_mul_lo_u32 v16, v6, s43
	v_dual_mov_b32 v5, v17 :: v_dual_add_nc_u32 v3, 4, v6
	v_dual_add_nc_u32 v48, 4, v7 :: v_dual_add_nc_u32 v50, 4, v8
	v_mul_lo_u32 v46, v7, s85
	v_dual_mov_b32 v47, v17 :: v_dual_mov_b32 v45, v17
	s_delay_alu instid0(VALU_DEP_3)
	v_mul_lo_u32 v48, v48, s85
	v_dual_mov_b32 v49, v17 :: v_dual_add_nc_u32 v52, 4, v9
	v_lshl_add_u64 v[66:67], v[16:17], 1, v[12:13]
	v_mul_lo_u32 v16, v3, s43
	v_dual_add_nc_u32 v68, 8, v6 :: v_dual_add_nc_u32 v54, 8, v7
	v_dual_add_nc_u32 v60, 12, v7 :: v_dual_add_nc_u32 v62, 12, v8
	v_lshl_add_u64 v[46:47], v[46:47], 1, v[12:13]
	s_clause 0x1
	global_load_u16 v3, v[66:67], off
	global_load_u16 v70, v[46:47], off
	s_wait_xcnt 0x0
	v_lshl_add_u64 v[46:47], v[48:49], 1, v[12:13]
	v_lshl_add_u64 v[48:49], v[16:17], 1, v[12:13]
	v_mul_lo_u32 v16, v68, s43
	v_mul_lo_u32 v44, v8, s86
	v_dual_add_nc_u32 v56, 8, v8 :: v_dual_add_nc_u32 v58, 8, v9
	v_dual_mov_b32 v59, v17 :: v_dual_add_nc_u32 v69, 12, v6
	v_mul_lo_u32 v4, v9, s87
	v_dual_mov_b32 v61, v17 :: v_dual_add_nc_u32 v64, 12, v9
	v_mul_lo_u32 v62, v62, s86
	v_mul_lo_u32 v50, v50, s86
	;; [unrolled: 1-line block ×7, first 2 shown]
	v_lshl_add_u64 v[66:67], v[16:17], 1, v[12:13]
	v_mul_lo_u32 v16, v69, s43
	v_mul_lo_u32 v64, v64, s87
	v_dual_mov_b32 v63, v17 :: v_dual_mov_b32 v65, v17
	v_dual_mov_b32 v51, v17 :: v_dual_mov_b32 v53, v17
	;; [unrolled: 1-line block ×3, first 2 shown]
	v_lshl_add_u64 v[44:45], v[44:45], 1, v[12:13]
	v_lshl_add_u64 v[4:5], v[4:5], 1, v[12:13]
	v_lshl_add_u64 v[62:63], v[62:63], 1, v[12:13]
	v_lshl_add_u64 v[50:51], v[50:51], 1, v[12:13]
	v_lshl_add_u64 v[52:53], v[52:53], 1, v[12:13]
	v_lshl_add_u64 v[54:55], v[54:55], 1, v[12:13]
	v_lshl_add_u64 v[56:57], v[56:57], 1, v[12:13]
	v_lshl_add_u64 v[58:59], v[58:59], 1, v[12:13]
	v_lshl_add_u64 v[60:61], v[60:61], 1, v[12:13]
	s_clause 0x8
	global_load_u16 v45, v[44:45], off
	global_load_u16 v68, v[4:5], off
	;; [unrolled: 1-line block ×9, first 2 shown]
	v_lshl_add_u64 v[4:5], v[16:17], 1, v[12:13]
	v_lshl_add_u64 v[64:65], v[64:65], 1, v[12:13]
	s_clause 0x4
	global_load_u16 v56, v[62:63], off
	global_load_u16 v48, v[48:49], off
	;; [unrolled: 1-line block ×5, first 2 shown]
	s_add_co_i32 s22, s22, 16
	s_delay_alu instid0(SALU_CYCLE_1) | instskip(SKIP_2) | instid1(VALU_DEP_3)
	v_dual_add_nc_u32 v42, -4, v42 :: v_dual_mov_b32 v44, s22
	v_dual_add_nc_u32 v9, 16, v9 :: v_dual_add_nc_u32 v8, 16, v8
	v_dual_add_nc_u32 v7, 16, v7 :: v_dual_add_nc_u32 v6, 16, v6
	v_cmp_eq_u32_e32 vcc_lo, 0, v42
	s_or_b32 s21, vcc_lo, s21
	s_wait_loadcnt 0xf
	v_alignbit_b32 v46, v3, v41, 16
	s_wait_loadcnt 0xd
	v_perm_b32 v47, v45, v70, 0x5040100
	s_wait_loadcnt 0xa
	s_wait_xcnt 0x3
	v_perm_b32 v49, v50, v69, 0x5040100
	s_wait_loadcnt 0x7
	v_perm_b32 v51, v53, v51, 0x5040100
	s_wait_loadcnt 0x3
	v_perm_b32 v48, v48, v68, 0x5040100
	v_perm_b32 v53, v56, v55, 0x5040100
	s_wait_loadcnt 0x2
	v_perm_b32 v50, v57, v52, 0x5040100
	s_wait_loadcnt 0x1
	;; [unrolled: 2-line block ×3, first 2 shown]
	v_perm_b32 v41, v16, v56, 0x5040100
	ds_store_b128 v43, v[46:49]
	ds_store_b128 v43, v[50:53] offset:16
	v_add_nc_u32_e32 v43, 32, v43
	s_wait_xcnt 0x0
	s_and_not1_b32 exec_lo, exec_lo, s21
	s_cbranch_execnz .LBB101_32
; %bb.33:                               ;   in Loop: Header=BB101_6 Depth=1
	s_or_b32 exec_lo, exec_lo, s21
.LBB101_34:                             ;   in Loop: Header=BB101_6 Depth=1
	s_delay_alu instid0(SALU_CYCLE_1)
	s_or_b32 exec_lo, exec_lo, s20
	s_and_saveexec_b32 s20, s9
	s_cbranch_execz .LBB101_38
; %bb.35:                               ;   in Loop: Header=BB101_6 Depth=1
	v_lshl_add_u32 v3, v44, 1, v22
	v_mov_b32_e32 v4, v29
	s_mov_b32 s21, 0
.LBB101_36:                             ;   Parent Loop BB101_6 Depth=1
                                        ; =>  This Inner Loop Header: Depth=2
	v_mul_lo_u32 v42, v7, s85
	v_mul_lo_u32 v44, v8, s86
	;; [unrolled: 1-line block ×4, first 2 shown]
	v_dual_mov_b32 v43, v17 :: v_dual_mov_b32 v45, v17
	v_dual_mov_b32 v47, v17 :: v_dual_add_nc_u32 v9, 4, v9
	v_dual_add_nc_u32 v4, -8, v4 :: v_dual_add_nc_u32 v6, 4, v6
	v_dual_add_nc_u32 v8, 4, v8 :: v_dual_add_nc_u32 v7, 4, v7
	s_delay_alu instid0(VALU_DEP_4)
	v_lshl_add_u64 v[42:43], v[42:43], 1, v[12:13]
	v_lshl_add_u64 v[44:45], v[44:45], 1, v[12:13]
	;; [unrolled: 1-line block ×4, first 2 shown]
	s_clause 0x3
	global_load_u16 v5, v[42:43], off
	global_load_u16 v44, v[44:45], off
	;; [unrolled: 1-line block ×4, first 2 shown]
	v_cmp_eq_u32_e32 vcc_lo, 0, v4
	s_or_b32 s21, vcc_lo, s21
	s_wait_loadcnt 0x2
	v_perm_b32 v43, v44, v5, 0x5040100
	s_wait_loadcnt 0x1
	v_alignbit_b32 v42, v42, v41, 16
	s_wait_loadcnt 0x0
	v_perm_b32 v41, v16, v44, 0x5040100
	ds_store_b64 v3, v[42:43]
	v_add_nc_u32_e32 v3, 8, v3
	s_and_not1_b32 exec_lo, exec_lo, s21
	s_cbranch_execnz .LBB101_36
; %bb.37:                               ;   in Loop: Header=BB101_6 Depth=1
	s_or_b32 exec_lo, exec_lo, s21
.LBB101_38:                             ;   in Loop: Header=BB101_6 Depth=1
	s_delay_alu instid0(SALU_CYCLE_1) | instskip(SKIP_2) | instid1(VALU_DEP_1)
	s_or_b32 exec_lo, exec_lo, s20
	v_dual_mov_b32 v3, v25 :: v_dual_add_nc_u32 v2, v2, v19
	s_or_not1_b32 s20, s10, exec_lo
	v_add_nc_u32_e32 v4, -1, v2
.LBB101_39:                             ;   in Loop: Header=BB101_6 Depth=1
	s_or_b32 exec_lo, exec_lo, s14
	v_mov_b32_e32 v5, s18
	s_and_b32 s14, s20, exec_lo
	s_and_not1_saveexec_b32 s19, s19
	s_cbranch_execz .LBB101_25
.LBB101_40:                             ;   in Loop: Header=BB101_6 Depth=1
	v_dual_mov_b32 v5, s18 :: v_dual_mov_b32 v3, v0
	s_or_b32 s14, s14, exec_lo
	s_or_b32 exec_lo, exec_lo, s19
	s_and_saveexec_b32 s18, s14
	s_cbranch_execz .LBB101_44
.LBB101_41:                             ;   in Loop: Header=BB101_6 Depth=1
	v_mul_lo_u32 v4, s43, v2
	s_mov_b32 s19, 0
	s_sub_co_i32 s14, 0, s17
.LBB101_42:                             ;   Parent Loop BB101_6 Depth=1
                                        ; =>  This Inner Loop Header: Depth=2
	v_readfirstlane_b32 s20, v12
	v_readfirstlane_b32 s21, v13
	s_wait_loadcnt 0x0
	v_dual_mov_b32 v6, v16 :: v_dual_mov_b32 v7, v2
	v_lshlrev_b32_e32 v8, 1, v3
	global_load_u16 v16, v4, s[20:21] scale_offset
	s_wait_xcnt 0x0
	v_dual_add_nc_u32 v4, v4, v5 :: v_dual_add_nc_u32 v2, s17, v7
	v_mov_b32_e32 v3, v7
	ds_store_b16 v8, v6
	v_cmp_le_u32_e32 vcc_lo, s36, v2
	s_or_b32 s19, vcc_lo, s19
	s_delay_alu instid0(SALU_CYCLE_1)
	s_and_not1_b32 exec_lo, exec_lo, s19
	s_cbranch_execnz .LBB101_42
; %bb.43:                               ;   in Loop: Header=BB101_6 Depth=1
	s_or_b32 exec_lo, exec_lo, s19
	v_add_nc_u32_e32 v4, s14, v2
.LBB101_44:                             ;   in Loop: Header=BB101_6 Depth=1
	s_or_b32 exec_lo, exec_lo, s18
.LBB101_45:                             ;   in Loop: Header=BB101_6 Depth=1
	s_delay_alu instid0(SALU_CYCLE_1) | instskip(NEXT) | instid1(VALU_DEP_1)
	s_or_b32 exec_lo, exec_lo, s16
	v_lshlrev_b32_e32 v2, 1, v4
	s_wait_loadcnt 0x0
	ds_store_b16 v2, v16
.LBB101_46:                             ;   in Loop: Header=BB101_6 Depth=1
	s_or_b32 exec_lo, exec_lo, s15
	s_wait_dscnt 0x0
	s_barrier_signal -1
	s_barrier_wait -1
	s_and_saveexec_b32 s14, s5
; %bb.47:                               ;   in Loop: Header=BB101_6 Depth=1
	v_mov_b32_e32 v2, s36
	ds_store_b32 v17, v2 offset:4096
; %bb.48:                               ;   in Loop: Header=BB101_6 Depth=1
	s_or_b32 exec_lo, exec_lo, s14
	s_mov_b32 s14, -1
	s_wait_dscnt 0x0
	s_barrier_signal -1
	s_barrier_wait -1
.LBB101_49:                             ;   in Loop: Header=BB101_6 Depth=1
	s_and_b32 vcc_lo, exec_lo, s14
	s_mov_b32 s38, 0
	s_cbranch_vccz .LBB101_51
; %bb.50:                               ;   in Loop: Header=BB101_6 Depth=1
	ds_load_b32 v2, v17 offset:4096
	s_wait_dscnt 0x0
	v_readfirstlane_b32 s38, v2
.LBB101_51:                             ;   in Loop: Header=BB101_6 Depth=1
	s_delay_alu instid0(VALU_DEP_1)
	s_cmp_lt_i32 s38, 1
	s_mov_b32 s14, -1
                                        ; implicit-def: $vgpr4_vgpr5
	s_cbranch_scc1 .LBB101_64
; %bb.52:                               ;   in Loop: Header=BB101_6 Depth=1
	s_and_b32 vcc_lo, exec_lo, s14
	s_cbranch_vccnz .LBB101_75
.LBB101_53:                             ;   in Loop: Header=BB101_6 Depth=1
	s_lshl_b32 s16, s97, 7
	s_and_saveexec_b32 s14, s2
.LBB101_54:                             ;   in Loop: Header=BB101_6 Depth=1
	v_lshl_add_u32 v6, s16, 2, v24
	ds_store_b128 v6, v[2:5]
.LBB101_55:                             ;   in Loop: Header=BB101_6 Depth=1
	s_or_b32 exec_lo, exec_lo, s14
	s_wait_dscnt 0x0
	s_barrier_signal -1
	s_barrier_wait -1
	s_and_saveexec_b32 s17, s60
	s_cbranch_execz .LBB101_88
; %bb.56:                               ;   in Loop: Header=BB101_6 Depth=1
	v_dual_add_nc_u32 v4, s16, v11 :: v_dual_mov_b32 v2, 0
	s_and_not1_b32 vcc_lo, exec_lo, s75
	s_cbranch_vccnz .LBB101_87
; %bb.57:                               ;   in Loop: Header=BB101_6 Depth=1
	s_and_not1_b32 vcc_lo, exec_lo, s78
	s_cbranch_vccnz .LBB101_84
; %bb.58:                               ;   in Loop: Header=BB101_6 Depth=1
	v_lshl_add_u32 v5, v4, 2, 0xc00
	s_and_not1_b32 vcc_lo, exec_lo, s81
	s_cbranch_vccnz .LBB101_114
; %bb.59:                               ;   in Loop: Header=BB101_6 Depth=1
	v_dual_mov_b32 v2, 0 :: v_dual_mov_b32 v3, 0
	s_mov_b32 s15, 1
	s_mov_b32 s14, 0
	;; [unrolled: 1-line block ×3, first 2 shown]
.LBB101_60:                             ;   Parent Loop BB101_6 Depth=1
                                        ; =>  This Inner Loop Header: Depth=2
	v_lshl_add_u32 v16, s15, 4, v5
	v_lshl_add_u32 v41, s14, 4, v5
	s_add_co_i32 s18, s18, -8
	s_add_co_i32 s15, s15, 16
	s_add_co_i32 s14, s14, 16
	ds_load_2addr_b32 v[6:7], v16 offset1:8
	ds_load_2addr_b32 v[8:9], v41 offset1:8
	ds_load_2addr_b32 v[42:43], v16 offset0:16 offset1:24
	ds_load_2addr_b32 v[44:45], v41 offset0:16 offset1:24
	;; [unrolled: 1-line block ×6, first 2 shown]
	s_cmp_lg_u32 s18, 0
	s_wait_dscnt 0x7
	v_add3_u32 v3, v6, v3, v7
	s_wait_dscnt 0x6
	v_add3_u32 v2, v8, v2, v9
	s_wait_dscnt 0x5
	s_delay_alu instid0(VALU_DEP_2) | instskip(SKIP_1) | instid1(VALU_DEP_2)
	v_add3_u32 v3, v42, v3, v43
	s_wait_dscnt 0x4
	v_add3_u32 v2, v44, v2, v45
	s_wait_dscnt 0x3
	s_delay_alu instid0(VALU_DEP_2) | instskip(SKIP_1) | instid1(VALU_DEP_2)
	v_add3_u32 v3, v46, v3, v47
	s_wait_dscnt 0x2
	v_add3_u32 v2, v48, v2, v49
	s_wait_dscnt 0x1
	s_delay_alu instid0(VALU_DEP_2) | instskip(SKIP_1) | instid1(VALU_DEP_2)
	v_add3_u32 v3, v50, v3, v51
	s_wait_dscnt 0x0
	v_add3_u32 v2, v52, v2, v53
	s_cbranch_scc1 .LBB101_60
; %bb.61:                               ;   in Loop: Header=BB101_6 Depth=1
	s_and_not1_b32 vcc_lo, exec_lo, s83
	s_mov_b32 s18, s80
	s_cbranch_vccnz .LBB101_63
.LBB101_62:                             ;   Parent Loop BB101_6 Depth=1
                                        ; =>  This Inner Loop Header: Depth=2
	v_lshl_add_u32 v6, s15, 4, v5
	v_lshl_add_u32 v7, s14, 4, v5
	s_add_co_i32 s18, s18, -1
	s_add_co_i32 s15, s15, 2
	s_add_co_i32 s14, s14, 2
	ds_load_b32 v6, v6
	ds_load_b32 v7, v7
	s_cmp_lg_u32 s18, 0
	s_wait_dscnt 0x0
	v_dual_add_nc_u32 v3, v6, v3 :: v_dual_add_nc_u32 v2, v7, v2
	s_cbranch_scc1 .LBB101_62
.LBB101_63:                             ;   in Loop: Header=BB101_6 Depth=1
	s_delay_alu instid0(VALU_DEP_1) | instskip(SKIP_2) | instid1(SALU_CYCLE_1)
	v_add_nc_u32_e32 v2, v2, v3
	s_mov_b32 s14, s79
	s_mov_b32 s15, s84
	s_and_b32 vcc_lo, exec_lo, s15
	s_cbranch_vccnz .LBB101_85
	s_branch .LBB101_87
.LBB101_64:                             ;   in Loop: Header=BB101_6 Depth=1
	v_mov_b64_e32 v[4:5], 0
	v_mov_b64_e32 v[2:3], 0
	s_and_saveexec_b32 s45, s11
	s_cbranch_execz .LBB101_68
; %bb.65:                               ;   in Loop: Header=BB101_6 Depth=1
	v_mov_b32_e32 v6, v1
	s_mov_b32 s46, 0
	s_mov_b32 s56, 0
	;; [unrolled: 1-line block ×6, first 2 shown]
.LBB101_66:                             ;   Parent Loop BB101_6 Depth=1
                                        ; =>  This Inner Loop Header: Depth=2
	v_dual_add_nc_u32 v2, s56, v33 :: v_dual_add_nc_u32 v3, s56, v30
	v_readfirstlane_b32 s14, v12
	v_readfirstlane_b32 s15, v13
	v_dual_add_nc_u32 v4, s56, v31 :: v_dual_add_nc_u32 v5, s56, v32
	s_clause 0x3
	global_load_u16 v2, v2, s[14:15] scale_offset
	global_load_u16 v3, v3, s[14:15] scale_offset
	;; [unrolled: 1-line block ×4, first 2 shown]
	s_add_co_i32 s56, s56, s90
	s_wait_loadcnt 0x3
	s_wait_xcnt 0x0
	v_cmp_lt_i16_e64 s14, -1, v2
	v_and_b32_e32 v7, 0xffff, v2
	s_wait_loadcnt 0x2
	v_and_b32_e32 v8, 0xffff, v3
	s_wait_loadcnt 0x1
	v_and_b32_e32 v9, 0xffff, v4
	v_cmp_o_f16_e64 s17, v2, v2
	v_cndmask_b32_e64 v41, 0xffff, v37, s14
	v_cmp_lt_i16_e64 s14, -1, v3
	s_wait_loadcnt 0x0
	v_and_b32_e32 v16, 0xffff, v5
	v_cmp_o_f16_e64 s15, v4, v4
	v_cmp_o_f16_e64 s16, v5, v5
	v_cndmask_b32_e64 v42, 0xffff, v37, s14
	v_cmp_lt_i16_e64 s14, -1, v4
	s_delay_alu instid0(VALU_DEP_2) | instskip(NEXT) | instid1(VALU_DEP_2)
	v_dual_add_nc_u32 v6, s73, v6 :: v_dual_bitop2_b32 v8, v42, v8 bitop3:0x14
	v_cndmask_b32_e64 v43, 0xffff, v37, s14
	v_cmp_lt_i16_e64 s14, -1, v5
	s_delay_alu instid0(VALU_DEP_3) | instskip(NEXT) | instid1(VALU_DEP_2)
	v_cmp_le_u32_e32 vcc_lo, s88, v6
	v_cndmask_b32_e64 v44, 0xffff, v37, s14
	v_cmp_o_f16_e64 s14, v3, v3
	v_xor_b32_e32 v3, v41, v7
	v_xor_b32_e32 v7, v43, v9
	s_delay_alu instid0(VALU_DEP_4) | instskip(NEXT) | instid1(VALU_DEP_3)
	v_xor_b32_e32 v4, v44, v16
	v_cndmask_b32_e64 v2, 0xffff, v3, s17
	v_cndmask_b32_e64 v3, 0xffff, v8, s14
	s_delay_alu instid0(VALU_DEP_4) | instskip(NEXT) | instid1(VALU_DEP_4)
	v_cndmask_b32_e64 v5, 0xffff, v7, s15
	v_cndmask_b32_e64 v4, 0xffff, v4, s16
	s_delay_alu instid0(VALU_DEP_4)
	v_and_b32_e32 v7, v2, v38
	v_bfe_u32 v2, v2, s93, 2
	v_and_b32_e32 v8, v3, v38
	v_bfe_u32 v3, v3, s93, 2
	;; [unrolled: 2-line block ×3, first 2 shown]
	v_cmp_eq_u32_e64 s14, v7, v28
	v_cmp_eq_u32_e64 s18, 0, v2
	v_and_b32_e32 v16, v4, v38
	v_bfe_u32 v4, v4, s93, 2
	v_cmp_eq_u32_e64 s15, v8, v28
	v_cmp_eq_u32_e64 s19, 0, v3
	;; [unrolled: 1-line block ×4, first 2 shown]
	s_and_b32 s18, s14, s18
	v_cmp_eq_u32_e64 s17, v16, v28
	v_cmp_eq_u32_e64 s21, 0, v4
	;; [unrolled: 1-line block ×5, first 2 shown]
	v_cndmask_b32_e64 v2, 0, 1, s18
	s_and_b32 s18, s15, s19
	v_cmp_eq_u32_e64 s23, 1, v3
	v_cmp_eq_u32_e64 s27, 2, v3
	v_cmp_eq_u32_e64 s31, 3, v3
	v_cndmask_b32_e64 v3, 0, 1, s18
	s_and_b32 s18, s16, s20
	v_cmp_eq_u32_e64 s25, 1, v4
	v_cmp_eq_u32_e64 s29, 2, v4
	v_cmp_eq_u32_e64 s34, 3, v4
	;; [unrolled: 5-line block ×3, first 2 shown]
	v_cndmask_b32_e64 v5, 0, 1, s18
	s_and_b32 s18, s14, s22
	s_delay_alu instid0(SALU_CYCLE_1) | instskip(SKIP_1) | instid1(SALU_CYCLE_1)
	v_cndmask_b32_e64 v7, 0, 1, s18
	s_and_b32 s18, s15, s23
	v_cndmask_b32_e64 v8, 0, 1, s18
	s_and_b32 s18, s16, s24
	s_delay_alu instid0(SALU_CYCLE_1) | instskip(SKIP_1) | instid1(VALU_DEP_2)
	v_cndmask_b32_e64 v9, 0, 1, s18
	s_and_b32 s18, s17, s25
	v_cmp_ne_u32_e64 s19, 0, v8
	v_cndmask_b32_e64 v16, 0, 1, s18
	s_and_b32 s18, s14, s26
	s_and_b32 s14, s14, s30
	v_cndmask_b32_e64 v41, 0, 1, s18
	s_and_b32 s18, s15, s27
	v_cndmask_b32_e64 v45, 0, 1, s14
	;; [unrolled: 2-line block ×7, first 2 shown]
	v_cndmask_b32_e64 v48, 0, 1, s14
	v_cmp_ne_u32_e64 s14, 0, v2
	v_cmp_ne_u32_e64 s18, 0, v7
	;; [unrolled: 1-line block ×11, first 2 shown]
	s_bcnt1_i32_b32 s14, s14
	s_bcnt1_i32_b32 s18, s18
	;; [unrolled: 1-line block ×4, first 2 shown]
	v_cmp_ne_u32_e64 s17, 0, v5
	v_cmp_ne_u32_e64 s21, 0, v16
	;; [unrolled: 1-line block ×4, first 2 shown]
	s_bcnt1_i32_b32 s15, s15
	s_bcnt1_i32_b32 s19, s19
	s_bcnt1_i32_b32 s23, s23
	s_bcnt1_i32_b32 s27, s27
	s_add_co_i32 s14, s14, s68
	s_add_co_i32 s18, s18, s69
	s_add_co_i32 s22, s22, s70
	s_add_co_i32 s26, s26, s71
	s_bcnt1_i32_b32 s16, s16
	s_bcnt1_i32_b32 s20, s20
	s_bcnt1_i32_b32 s24, s24
	s_bcnt1_i32_b32 s28, s28
	s_add_co_i32 s18, s18, s19
	s_add_co_i32 s14, s14, s15
	s_add_co_i32 s15, s26, s27
	s_add_co_i32 s19, s22, s23
	;; [unrolled: 8-line block ×3, first 2 shown]
	s_add_co_i32 s69, s16, s21
	s_add_co_i32 s68, s14, s17
	s_add_co_i32 s71, s15, s29
	s_add_co_i32 s70, s18, s25
	v_mov_b64_e32 v[2:3], s[68:69]
	v_mov_b64_e32 v[4:5], s[70:71]
	s_or_b32 s46, vcc_lo, s46
	s_delay_alu instid0(SALU_CYCLE_1)
	s_and_not1_b32 exec_lo, exec_lo, s46
	s_cbranch_execnz .LBB101_66
; %bb.67:                               ;   in Loop: Header=BB101_6 Depth=1
	s_or_b32 exec_lo, exec_lo, s46
.LBB101_68:                             ;   in Loop: Header=BB101_6 Depth=1
	s_delay_alu instid0(SALU_CYCLE_1)
	s_or_b32 exec_lo, exec_lo, s45
	s_and_saveexec_b32 s18, s12
	s_cbranch_execz .LBB101_74
; %bb.69:                               ;   in Loop: Header=BB101_6 Depth=1
	global_load_u16 v9, v[20:21], off
	v_dual_mov_b32 v6, v34 :: v_dual_mov_b32 v7, v26
	s_mov_b32 s19, 0
	s_branch .LBB101_71
.LBB101_70:                             ;   in Loop: Header=BB101_71 Depth=2
	s_wait_xcnt 0x0
	s_or_b32 exec_lo, exec_lo, s15
	s_wait_loadcnt 0x0
	v_cmp_lt_i16_e64 s14, -1, v9
	v_and_b32_e32 v16, 0xffff, v9
	s_and_b32 s15, exec_lo, vcc_lo
	v_add_nc_u32_e32 v6, s51, v6
	s_or_b32 s19, s15, s19
	v_cndmask_b32_e64 v41, 0xffff, v37, s14
	v_cmp_o_f16_e64 s14, v9, v9
	s_delay_alu instid0(VALU_DEP_2) | instskip(NEXT) | instid1(VALU_DEP_1)
	v_xor_b32_e32 v16, v41, v16
	v_cndmask_b32_e64 v9, 0xffff, v16, s14
	s_delay_alu instid0(VALU_DEP_1) | instskip(SKIP_1) | instid1(VALU_DEP_2)
	v_and_b32_e32 v16, v9, v38
	v_bfe_u32 v9, v9, s93, 2
	v_cmp_eq_u32_e32 vcc_lo, v16, v28
	s_delay_alu instid0(VALU_DEP_2) | instskip(SKIP_4) | instid1(SALU_CYCLE_1)
	v_cmp_eq_u32_e64 s14, 0, v9
	v_cmp_eq_u32_e64 s15, 1, v9
	;; [unrolled: 1-line block ×4, first 2 shown]
	s_and_b32 s14, vcc_lo, s14
	v_cndmask_b32_e64 v9, 0, 1, s14
	s_and_b32 s14, vcc_lo, s15
	s_delay_alu instid0(SALU_CYCLE_1) | instskip(SKIP_1) | instid1(SALU_CYCLE_1)
	v_cndmask_b32_e64 v16, 0, 1, s14
	s_and_b32 s14, vcc_lo, s16
	v_cndmask_b32_e64 v41, 0, 1, s14
	s_and_b32 s14, vcc_lo, s17
	v_cmp_ne_u32_e32 vcc_lo, 0, v9
	v_cndmask_b32_e64 v42, 0, 1, s14
	v_cmp_ne_u32_e64 s14, 0, v16
	v_cmp_ne_u32_e64 s15, 0, v41
	v_mov_b32_e32 v9, v8
	s_bcnt1_i32_b32 s17, vcc_lo
	v_cmp_ne_u32_e64 s16, 0, v42
	s_bcnt1_i32_b32 s14, s14
	s_bcnt1_i32_b32 s15, s15
	s_delay_alu instid0(SALU_CYCLE_1) | instskip(SKIP_1) | instid1(SALU_CYCLE_1)
	v_dual_add_nc_u32 v3, s14, v3 :: v_dual_add_nc_u32 v4, s15, v4
	s_bcnt1_i32_b32 s16, s16
	v_dual_add_nc_u32 v2, s17, v2 :: v_dual_add_nc_u32 v5, s16, v5
	s_and_not1_b32 exec_lo, exec_lo, s19
	s_cbranch_execz .LBB101_73
.LBB101_71:                             ;   Parent Loop BB101_6 Depth=1
                                        ; =>  This Inner Loop Header: Depth=2
	s_delay_alu instid0(VALU_DEP_1) | instskip(SKIP_1) | instid1(VALU_DEP_1)
	v_dual_mov_b32 v8, 0 :: v_dual_add_nc_u32 v7, s47, v7
	s_mov_b32 s15, exec_lo
	v_cmp_le_u32_e32 vcc_lo, s36, v7
	s_wait_xcnt 0x0
	v_cmpx_gt_u32_e64 s36, v7
	s_cbranch_execz .LBB101_70
; %bb.72:                               ;   in Loop: Header=BB101_71 Depth=2
	v_readfirstlane_b32 s16, v12
	v_readfirstlane_b32 s17, v13
	global_load_u16 v8, v6, s[16:17] scale_offset
	s_branch .LBB101_70
.LBB101_73:                             ;   in Loop: Header=BB101_6 Depth=1
	s_or_b32 exec_lo, exec_lo, s19
.LBB101_74:                             ;   in Loop: Header=BB101_6 Depth=1
	s_delay_alu instid0(SALU_CYCLE_1)
	s_or_b32 exec_lo, exec_lo, s18
	s_branch .LBB101_53
.LBB101_75:                             ;   in Loop: Header=BB101_6 Depth=1
	s_mul_u64 s[14:15], s[38:39], s[62:63]
	v_mov_b64_e32 v[4:5], 0
	s_mul_i32 s14, s15, s73
	v_mov_b64_e32 v[2:3], 0
	s_sub_co_i32 s14, s38, s14
	s_mov_b32 s46, exec_lo
	s_sub_co_i32 s15, s14, s73
	s_cmp_ge_u32 s14, s73
	s_cselect_b32 s14, s15, s14
	s_delay_alu instid0(SALU_CYCLE_1) | instskip(SKIP_2) | instid1(SALU_CYCLE_1)
	s_sub_co_i32 s15, s14, s73
	s_cmp_ge_u32 s14, s73
	s_cselect_b32 s14, s15, s14
	s_sub_co_i32 s45, s38, s14
	s_delay_alu instid0(SALU_CYCLE_1)
	v_cmpx_gt_u32_e64 s45, v1
	s_cbranch_execz .LBB101_79
; %bb.76:                               ;   in Loop: Header=BB101_6 Depth=1
	v_dual_mov_b32 v6, v35 :: v_dual_mov_b32 v7, v1
	s_mov_b32 s56, 0
	s_mov_b32 s68, 0
	;; [unrolled: 1-line block ×5, first 2 shown]
.LBB101_77:                             ;   Parent Loop BB101_6 Depth=1
                                        ; =>  This Inner Loop Header: Depth=2
	ds_load_b64 v[2:3], v6
	v_dual_add_nc_u32 v7, s73, v7 :: v_dual_add_nc_u32 v6, s91, v6
	s_delay_alu instid0(VALU_DEP_1) | instskip(SKIP_4) | instid1(VALU_DEP_3)
	v_cmp_le_u32_e32 vcc_lo, s45, v7
	s_wait_dscnt 0x0
	v_cmp_lt_i16_e64 s14, -1, v2
	v_dual_lshrrev_b32 v4, 16, v2 :: v_dual_lshrrev_b32 v5, 16, v3
	v_cmp_o_f16_e64 s15, v2, v2
	v_cndmask_b32_e64 v8, 0xffff, v37, s14
	v_cmp_lt_i16_e64 s14, -1, v3
	s_delay_alu instid0(VALU_DEP_2) | instskip(NEXT) | instid1(VALU_DEP_2)
	v_bitop3_b32 v8, v8, v2, 0xffff bitop3:0x78
	v_cndmask_b32_e64 v9, 0xffff, v37, s14
	v_cmp_lt_i16_e64 s14, -1, v4
	s_delay_alu instid0(VALU_DEP_2) | instskip(NEXT) | instid1(VALU_DEP_2)
	v_bitop3_b32 v9, v9, v3, 0xffff bitop3:0x78
	v_cndmask_b32_e64 v16, 0xffff, v37, s14
	v_cmp_lt_i16_e64 s14, -1, v5
	s_delay_alu instid0(VALU_DEP_2) | instskip(NEXT) | instid1(VALU_DEP_2)
	v_xor_b32_e32 v2, v16, v4
	v_cndmask_b32_e64 v41, 0xffff, v37, s14
	v_cmp_o_f16_e64 s14, v3, v3
	v_cndmask_b32_e64 v3, 0xffff, v8, s15
	v_cmp_o_f16_e64 s15, v5, v5
	s_delay_alu instid0(VALU_DEP_4) | instskip(NEXT) | instid1(VALU_DEP_4)
	v_xor_b32_e32 v8, v41, v5
	v_cndmask_b32_e64 v5, 0xffff, v9, s14
	v_cmp_o_f16_e64 s14, v4, v4
	v_and_b32_e32 v4, v3, v38
	v_bfe_u32 v3, v3, s93, 2
	v_cndmask_b32_e64 v8, 0xffff, v8, s15
	v_and_b32_e32 v9, v5, v38
	v_cndmask_b32_e64 v2, 0xffff, v2, s14
	v_bfe_u32 v5, v5, s93, 2
	v_cmp_eq_u32_e64 s14, v4, v28
	v_cmp_eq_u32_e64 s16, 0, v3
	;; [unrolled: 1-line block ×3, first 2 shown]
	v_and_b32_e32 v4, v2, v38
	v_bfe_u32 v2, v2, s93, 2
	v_cmp_eq_u32_e64 s17, 0, v5
	v_cmp_eq_u32_e64 s18, 1, v3
	s_and_b32 s16, s14, s16
	v_cmp_eq_u32_e64 s19, 1, v5
	v_cmp_eq_u32_e64 s26, 0, v2
	;; [unrolled: 1-line block ×5, first 2 shown]
	v_cndmask_b32_e64 v2, 0, 1, s16
	s_and_b32 s16, s15, s17
	v_cmp_eq_u32_e64 s20, 2, v3
	v_cmp_eq_u32_e64 s22, 3, v3
	v_cndmask_b32_e64 v3, 0, 1, s16
	s_and_b32 s16, s14, s18
	v_and_b32_e32 v9, v8, v38
	v_bfe_u32 v8, v8, s93, 2
	v_cmp_eq_u32_e64 s21, 2, v5
	v_cmp_eq_u32_e64 s24, v4, v28
	v_cndmask_b32_e64 v4, 0, 1, s16
	s_and_b32 s16, s15, s19
	v_cmp_eq_u32_e64 s23, 3, v5
	v_cndmask_b32_e64 v5, 0, 1, s16
	s_and_b32 s16, s14, s20
	v_cmp_eq_u32_e64 s25, v9, v28
	v_cmp_eq_u32_e64 s27, 0, v8
	;; [unrolled: 1-line block ×5, first 2 shown]
	v_cndmask_b32_e64 v8, 0, 1, s16
	s_and_b32 s16, s15, s21
	s_and_b32 s14, s14, s22
	v_cndmask_b32_e64 v9, 0, 1, s16
	v_cndmask_b32_e64 v16, 0, 1, s14
	s_and_b32 s14, s15, s23
	s_and_b32 s15, s24, s26
	;; [unrolled: 1-line block ×8, first 2 shown]
	v_cndmask_b32_e64 v41, 0, 1, s14
	v_cmp_ne_u32_e64 s14, 0, v2
	v_cndmask_b32_e64 v2, 0, 1, s15
	v_cmp_ne_u32_e64 s15, 0, v3
	;; [unrolled: 2-line block ×7, first 2 shown]
	v_cndmask_b32_e64 v16, 0, 1, s21
	s_and_b32 s22, s25, s34
	v_cmp_ne_u32_e64 s21, 0, v41
	v_cndmask_b32_e64 v41, 0, 1, s22
	s_bcnt1_i32_b32 s22, s14
	v_cmp_ne_u32_e64 s14, 0, v2
	s_bcnt1_i32_b32 s24, s16
	v_cmp_ne_u32_e64 s16, 0, v4
	;; [unrolled: 2-line block ×8, first 2 shown]
	s_add_co_i32 s22, s22, s68
	s_add_co_i32 s24, s24, s69
	;; [unrolled: 1-line block ×4, first 2 shown]
	s_bcnt1_i32_b32 s14, s14
	s_bcnt1_i32_b32 s16, s16
	;; [unrolled: 1-line block ×4, first 2 shown]
	s_add_co_i32 s16, s24, s16
	s_add_co_i32 s14, s22, s14
	;; [unrolled: 1-line block ×4, first 2 shown]
	s_bcnt1_i32_b32 s15, s15
	s_bcnt1_i32_b32 s17, s17
	;; [unrolled: 1-line block ×4, first 2 shown]
	s_add_co_i32 s14, s14, s23
	s_add_co_i32 s16, s16, s25
	;; [unrolled: 1-line block ×8, first 2 shown]
	v_mov_b64_e32 v[2:3], s[68:69]
	v_mov_b64_e32 v[4:5], s[70:71]
	s_or_b32 s56, vcc_lo, s56
	s_delay_alu instid0(SALU_CYCLE_1)
	s_and_not1_b32 exec_lo, exec_lo, s56
	s_cbranch_execnz .LBB101_77
; %bb.78:                               ;   in Loop: Header=BB101_6 Depth=1
	s_or_b32 exec_lo, exec_lo, s56
.LBB101_79:                             ;   in Loop: Header=BB101_6 Depth=1
	s_delay_alu instid0(SALU_CYCLE_1) | instskip(SKIP_2) | instid1(VALU_DEP_1)
	s_or_b32 exec_lo, exec_lo, s46
	v_add_nc_u32_e32 v6, s45, v0
	s_mov_b32 s19, exec_lo
	v_cmpx_gt_u32_e64 s38, v6
	s_cbranch_execz .LBB101_83
; %bb.80:                               ;   in Loop: Header=BB101_6 Depth=1
	v_lshlrev_b32_e32 v7, 1, v6
	s_mov_b32 s20, 0
.LBB101_81:                             ;   Parent Loop BB101_6 Depth=1
                                        ; =>  This Inner Loop Header: Depth=2
	ds_load_u16 v8, v7
	v_dual_add_nc_u32 v6, s47, v6 :: v_dual_add_nc_u32 v7, s92, v7
	s_delay_alu instid0(VALU_DEP_1) | instskip(SKIP_3) | instid1(VALU_DEP_2)
	v_cmp_le_u32_e32 vcc_lo, s38, v6
	s_wait_dscnt 0x0
	v_cmp_lt_i16_e64 s14, -1, v8
	v_and_b32_e32 v9, 0xffff, v8
	v_cndmask_b32_e64 v16, 0xffff, v37, s14
	v_cmp_o_f16_e64 s14, v8, v8
	s_delay_alu instid0(VALU_DEP_2) | instskip(NEXT) | instid1(VALU_DEP_1)
	v_xor_b32_e32 v9, v16, v9
	v_cndmask_b32_e64 v8, 0xffff, v9, s14
	s_delay_alu instid0(VALU_DEP_1) | instskip(SKIP_1) | instid1(VALU_DEP_2)
	v_and_b32_e32 v9, v8, v38
	v_bfe_u32 v8, v8, s93, 2
	v_cmp_eq_u32_e64 s14, v9, v28
	s_delay_alu instid0(VALU_DEP_2) | instskip(SKIP_4) | instid1(SALU_CYCLE_1)
	v_cmp_eq_u32_e64 s15, 0, v8
	v_cmp_eq_u32_e64 s16, 1, v8
	v_cmp_eq_u32_e64 s17, 2, v8
	v_cmp_eq_u32_e64 s18, 3, v8
	s_and_b32 s15, s14, s15
	v_cndmask_b32_e64 v8, 0, 1, s15
	s_and_b32 s15, s14, s16
	s_delay_alu instid0(SALU_CYCLE_1)
	v_cndmask_b32_e64 v9, 0, 1, s15
	s_and_b32 s15, s14, s17
	s_and_b32 s14, s14, s18
	v_cndmask_b32_e64 v16, 0, 1, s15
	v_cndmask_b32_e64 v41, 0, 1, s14
	v_cmp_ne_u32_e64 s14, 0, v8
	v_cmp_ne_u32_e64 s15, 0, v9
	s_delay_alu instid0(VALU_DEP_4) | instskip(NEXT) | instid1(VALU_DEP_4)
	v_cmp_ne_u32_e64 s16, 0, v16
	v_cmp_ne_u32_e64 s17, 0, v41
	s_bcnt1_i32_b32 s14, s14
	s_bcnt1_i32_b32 s15, s15
	;; [unrolled: 1-line block ×4, first 2 shown]
	v_dual_add_nc_u32 v3, s15, v3 :: v_dual_add_nc_u32 v2, s14, v2
	v_dual_add_nc_u32 v4, s16, v4 :: v_dual_add_nc_u32 v5, s17, v5
	s_or_b32 s20, vcc_lo, s20
	s_delay_alu instid0(SALU_CYCLE_1)
	s_and_not1_b32 exec_lo, exec_lo, s20
	s_cbranch_execnz .LBB101_81
; %bb.82:                               ;   in Loop: Header=BB101_6 Depth=1
	s_or_b32 exec_lo, exec_lo, s20
.LBB101_83:                             ;   in Loop: Header=BB101_6 Depth=1
	s_delay_alu instid0(SALU_CYCLE_1)
	s_or_b32 exec_lo, exec_lo, s19
	s_lshl_b32 s16, s97, 7
	s_and_saveexec_b32 s14, s2
	s_cbranch_execnz .LBB101_54
	s_branch .LBB101_55
.LBB101_84:                             ;   in Loop: Header=BB101_6 Depth=1
	v_mov_b32_e32 v2, 0
	s_mov_b32 s14, 0
	s_cbranch_execz .LBB101_87
.LBB101_85:                             ;   in Loop: Header=BB101_6 Depth=1
	s_lshl_b32 s15, s97, 9
	s_lshl_b32 s18, s14, 4
	s_sub_co_i32 s14, s77, s14
	v_add3_u32 v3, s15, s18, v36
.LBB101_86:                             ;   Parent Loop BB101_6 Depth=1
                                        ; =>  This Inner Loop Header: Depth=2
	ds_load_b32 v5, v3
	v_add_nc_u32_e32 v3, 16, v3
	s_add_co_i32 s14, s14, -1
	s_delay_alu instid0(SALU_CYCLE_1)
	s_cmp_eq_u32 s14, 0
	s_wait_dscnt 0x0
	v_add_nc_u32_e32 v2, v5, v2
	s_cbranch_scc0 .LBB101_86
.LBB101_87:                             ;   in Loop: Header=BB101_6 Depth=1
	s_delay_alu instid0(VALU_DEP_1)
	v_lshlrev_b32_e32 v3, 2, v4
	ds_store_b32 v3, v2 offset:3072
.LBB101_88:                             ;   in Loop: Header=BB101_6 Depth=1
	s_or_b32 exec_lo, exec_lo, s17
	s_lshl_b32 s14, s16, 2
	s_wait_dscnt 0x0
	v_mov_b32_e32 v2, s14
	s_barrier_signal -1
	s_barrier_wait -1
	v_cmp_eq_u32_e64 s14, 1, v40
	ds_load_b128 v[2:5], v2 offset:3072
	s_lshl_b32 s18, 3, s93
	s_mov_b32 s26, -1
	s_not_b32 s19, s18
	s_mov_b32 s16, 0
	s_and_not1_b32 vcc_lo, exec_lo, s55
	s_mov_b32 s23, 0
	s_mov_b32 s15, 0
                                        ; implicit-def: $sgpr24
                                        ; implicit-def: $sgpr25
                                        ; implicit-def: $vgpr6
	s_wait_dscnt 0x0
	v_readfirstlane_b32 s17, v2
	v_readfirstlane_b32 s20, v3
	;; [unrolled: 1-line block ×4, first 2 shown]
                                        ; implicit-def: $vgpr5
                                        ; implicit-def: $vgpr2
                                        ; implicit-def: $vgpr3
                                        ; implicit-def: $vgpr4
	s_cbranch_vccnz .LBB101_255
; %bb.89:                               ;   in Loop: Header=BB101_6 Depth=1
	s_cmp_eq_u32 s17, 1
	v_dual_mov_b32 v3, v28 :: v_dual_mov_b32 v4, v38
	v_mov_b32_e32 v6, v39
	s_cselect_b32 s15, -1, 0
	s_mov_b32 s29, -1
	s_and_b32 s28, s15, s14
                                        ; implicit-def: $sgpr25
                                        ; implicit-def: $sgpr24
	s_delay_alu instid0(SALU_CYCLE_1)
	s_and_saveexec_b32 s15, s28
	s_cbranch_execz .LBB101_118
; %bb.90:                               ;   in Loop: Header=BB101_6 Depth=1
	ds_load_b32 v2, v17 offset:4096
	s_wait_dscnt 0x0
	s_barrier_signal -1
	s_barrier_wait -1
	v_readfirstlane_b32 s26, v2
	s_and_saveexec_b32 s23, s6
; %bb.91:                               ;   in Loop: Header=BB101_6 Depth=1
	ds_store_b16 v23, v17
; %bb.92:                               ;   in Loop: Header=BB101_6 Depth=1
	s_or_b32 exec_lo, exec_lo, s23
	v_and_b32_e32 v3, s19, v28
	v_or_b32_e32 v4, s18, v38
	s_mov_b32 s24, -1
	s_mov_b32 s25, 0
	s_cmp_eq_u32 s26, 0
	s_mov_b32 s23, 0
	s_mov_b32 s27, -1
	s_wait_dscnt 0x0
	s_barrier_signal -1
	s_barrier_wait -1
                                        ; implicit-def: $vgpr6
	s_cbranch_scc1 .LBB101_104
; %bb.93:                               ;   in Loop: Header=BB101_6 Depth=1
	s_add_co_i32 s38, s26, s76
	s_mov_b32 s29, exec_lo
	s_mul_u64 s[30:31], s[38:39], s[64:65]
                                        ; implicit-def: $vgpr6
	s_delay_alu instid0(SALU_CYCLE_1) | instskip(NEXT) | instid1(SALU_CYCLE_1)
	s_mul_i32 s23, s31, s47
	s_sub_co_i32 s23, s38, s23
	s_delay_alu instid0(SALU_CYCLE_1) | instskip(SKIP_2) | instid1(SALU_CYCLE_1)
	s_sub_co_i32 s27, s23, s47
	s_cmp_ge_u32 s23, s47
	s_cselect_b32 s23, s27, s23
	s_sub_co_i32 s27, s23, s47
	s_cmp_ge_u32 s23, s47
	s_cselect_b32 s23, s27, s23
	s_mov_b32 s27, 0
	s_sub_co_i32 s30, s38, s23
	s_mov_b32 s23, 0
	v_cmpx_gt_u32_e64 s30, v0
	s_cbranch_execz .LBB101_103
; %bb.94:                               ;   in Loop: Header=BB101_6 Depth=1
	v_dual_mov_b32 v2, v22 :: v_dual_mov_b32 v5, v0
                                        ; implicit-def: $sgpr31
	s_branch .LBB101_98
.LBB101_95:                             ;   in Loop: Header=BB101_98 Depth=2
	s_or_b32 exec_lo, exec_lo, s33
	s_wait_dscnt 0x0
	s_barrier_signal -1
	s_barrier_wait -1
	ds_load_b32 v6, v17 offset:3072
	s_wait_dscnt 0x0
	s_barrier_signal -1
	s_barrier_wait -1
	v_cmp_neq_f16_e32 vcc_lo, 0, v6
	s_cbranch_vccnz .LBB101_101
; %bb.96:                               ;   in Loop: Header=BB101_98 Depth=2
	v_dual_add_nc_u32 v5, s47, v5 :: v_dual_add_nc_u32 v2, s92, v2
	s_mov_b32 s33, 0
	s_delay_alu instid0(VALU_DEP_1)
	v_cmp_le_u32_e32 vcc_lo, s30, v5
	s_or_not1_b32 s34, vcc_lo, exec_lo
.LBB101_97:                             ;   in Loop: Header=BB101_98 Depth=2
	s_delay_alu instid0(SALU_CYCLE_1) | instskip(NEXT) | instid1(SALU_CYCLE_1)
	s_and_b32 s34, exec_lo, s34
	s_or_b32 s23, s34, s23
	s_and_not1_b32 s31, s31, exec_lo
	s_and_b32 s33, s33, exec_lo
	s_delay_alu instid0(SALU_CYCLE_1)
	s_or_b32 s31, s31, s33
	s_and_not1_b32 exec_lo, exec_lo, s23
	s_cbranch_execz .LBB101_102
.LBB101_98:                             ;   Parent Loop BB101_6 Depth=1
                                        ; =>  This Inner Loop Header: Depth=2
	s_mov_b32 s33, exec_lo
	s_delay_alu instid0(VALU_DEP_1)
	v_cmpx_gt_u32_e64 s26, v5
	s_cbranch_execz .LBB101_95
; %bb.99:                               ;   in Loop: Header=BB101_98 Depth=2
	ds_load_u16 v6, v2
	s_wait_dscnt 0x0
	v_cmp_lt_i16_e32 vcc_lo, -1, v6
	v_and_b32_e32 v7, 0xffff, v6
	v_cndmask_b32_e32 v8, 0xffff, v37, vcc_lo
	v_cmp_o_f16_e32 vcc_lo, v6, v6
	s_delay_alu instid0(VALU_DEP_2) | instskip(NEXT) | instid1(VALU_DEP_1)
	v_xor_b32_e32 v7, v8, v7
	v_cndmask_b32_e32 v7, 0xffff, v7, vcc_lo
	s_delay_alu instid0(VALU_DEP_1) | instskip(NEXT) | instid1(VALU_DEP_1)
	v_and_b32_e32 v7, v7, v4
	v_cmp_eq_u32_e32 vcc_lo, v7, v3
	s_and_b32 exec_lo, exec_lo, vcc_lo
	s_cbranch_execz .LBB101_95
; %bb.100:                              ;   in Loop: Header=BB101_98 Depth=2
	v_perm_b32 v6, v6, s95, 0x5040100
	ds_store_b32 v17, v6 offset:3072
	s_branch .LBB101_95
.LBB101_101:                            ;   in Loop: Header=BB101_98 Depth=2
	s_mov_b32 s34, -1
	s_mov_b32 s33, -1
                                        ; implicit-def: $vgpr5
                                        ; implicit-def: $vgpr2
	s_branch .LBB101_97
.LBB101_102:                            ;   in Loop: Header=BB101_6 Depth=1
	s_or_b32 exec_lo, exec_lo, s23
	v_lshrrev_b32_e32 v6, 16, v6
	s_and_b32 s23, s31, exec_lo
.LBB101_103:                            ;   in Loop: Header=BB101_6 Depth=1
	s_or_b32 exec_lo, exec_lo, s29
.LBB101_104:                            ;   in Loop: Header=BB101_6 Depth=1
	s_delay_alu instid0(SALU_CYCLE_1)
	s_and_b32 vcc_lo, exec_lo, s27
	s_cbranch_vccz .LBB101_117
; %bb.105:                              ;   in Loop: Header=BB101_6 Depth=1
                                        ; implicit-def: $vgpr6
	s_and_saveexec_b32 s24, s13
	s_cbranch_execz .LBB101_116
; %bb.106:                              ;   in Loop: Header=BB101_6 Depth=1
	v_dual_mov_b32 v2, v18 :: v_dual_mov_b32 v5, v0
	s_mov_b32 s25, 0
                                        ; implicit-def: $sgpr26
	s_branch .LBB101_110
.LBB101_107:                            ;   in Loop: Header=BB101_110 Depth=2
	s_or_b32 exec_lo, exec_lo, s27
	s_wait_dscnt 0x0
	s_barrier_signal -1
	s_barrier_wait -1
	ds_load_b32 v6, v17 offset:3072
	s_wait_dscnt 0x0
	s_barrier_signal -1
	s_barrier_wait -1
	v_cmp_neq_f16_e32 vcc_lo, 0, v6
	s_cbranch_vccnz .LBB101_113
; %bb.108:                              ;   in Loop: Header=BB101_110 Depth=2
	v_dual_add_nc_u32 v5, s47, v5 :: v_dual_add_nc_u32 v2, s51, v2
	s_mov_b32 s27, 0
	s_delay_alu instid0(VALU_DEP_1)
	v_cmp_le_u32_e32 vcc_lo, s89, v5
	s_or_not1_b32 s29, vcc_lo, exec_lo
.LBB101_109:                            ;   in Loop: Header=BB101_110 Depth=2
	s_delay_alu instid0(SALU_CYCLE_1) | instskip(NEXT) | instid1(SALU_CYCLE_1)
	s_and_b32 s29, exec_lo, s29
	s_or_b32 s25, s29, s25
	s_and_not1_b32 s26, s26, exec_lo
	s_and_b32 s27, s27, exec_lo
	s_delay_alu instid0(SALU_CYCLE_1)
	s_or_b32 s26, s26, s27
	s_and_not1_b32 exec_lo, exec_lo, s25
	s_cbranch_execz .LBB101_115
.LBB101_110:                            ;   Parent Loop BB101_6 Depth=1
                                        ; =>  This Inner Loop Header: Depth=2
	s_mov_b32 s27, exec_lo
	s_delay_alu instid0(VALU_DEP_1)
	v_cmpx_gt_u32_e64 s36, v5
	s_cbranch_execz .LBB101_107
; %bb.111:                              ;   in Loop: Header=BB101_110 Depth=2
	v_readfirstlane_b32 s30, v12
	v_readfirstlane_b32 s31, v13
	global_load_u16 v6, v2, s[30:31] scale_offset
	s_wait_loadcnt 0x0
	v_cmp_lt_i16_e32 vcc_lo, -1, v6
	v_and_b32_e32 v7, 0xffff, v6
	v_cndmask_b32_e32 v8, 0xffff, v37, vcc_lo
	v_cmp_o_f16_e32 vcc_lo, v6, v6
	s_delay_alu instid0(VALU_DEP_2) | instskip(NEXT) | instid1(VALU_DEP_1)
	v_xor_b32_e32 v7, v8, v7
	v_cndmask_b32_e32 v7, 0xffff, v7, vcc_lo
	s_delay_alu instid0(VALU_DEP_1) | instskip(NEXT) | instid1(VALU_DEP_1)
	v_and_b32_e32 v7, v7, v4
	v_cmp_eq_u32_e32 vcc_lo, v7, v3
	s_and_b32 exec_lo, exec_lo, vcc_lo
	s_cbranch_execz .LBB101_107
; %bb.112:                              ;   in Loop: Header=BB101_110 Depth=2
	v_perm_b32 v6, v6, s95, 0x5040100
	ds_store_b32 v17, v6 offset:3072
	s_branch .LBB101_107
.LBB101_113:                            ;   in Loop: Header=BB101_110 Depth=2
	s_mov_b32 s29, -1
	s_mov_b32 s27, -1
                                        ; implicit-def: $vgpr5
                                        ; implicit-def: $vgpr2
	s_branch .LBB101_109
.LBB101_114:                            ;   in Loop: Header=BB101_6 Depth=1
	s_mov_b64 s[14:15], 0x100000000
	v_mov_b64_e32 v[2:3], 0
	s_and_not1_b32 vcc_lo, exec_lo, s83
	s_mov_b32 s18, s80
	s_cbranch_vccz .LBB101_62
	s_branch .LBB101_63
.LBB101_115:                            ;   in Loop: Header=BB101_6 Depth=1
	s_or_b32 exec_lo, exec_lo, s25
	v_lshrrev_b32_e32 v6, 16, v6
	s_and_not1_b32 s23, s23, exec_lo
	s_and_b32 s25, s26, exec_lo
	s_delay_alu instid0(SALU_CYCLE_1)
	s_or_b32 s23, s23, s25
.LBB101_116:                            ;   in Loop: Header=BB101_6 Depth=1
	s_or_b32 exec_lo, exec_lo, s24
	s_mov_b32 s24, 0
	s_mov_b32 s25, -1
.LBB101_117:                            ;   in Loop: Header=BB101_6 Depth=1
	s_or_not1_b32 s29, s23, exec_lo
.LBB101_118:                            ;   in Loop: Header=BB101_6 Depth=1
	s_or_b32 exec_lo, exec_lo, s15
	s_mov_b32 s26, 0
	s_mov_b32 s23, 0
	;; [unrolled: 1-line block ×3, first 2 shown]
                                        ; implicit-def: $vgpr5
                                        ; implicit-def: $vgpr2
	s_and_saveexec_b32 s27, s29
	s_cbranch_execz .LBB101_254
; %bb.119:                              ;   in Loop: Header=BB101_6 Depth=1
	v_dual_mov_b32 v5, 1 :: v_dual_mov_b32 v2, 1
	s_xor_b32 s23, s28, -1
	s_mov_b32 s30, 0
	s_and_saveexec_b32 s15, s23
	s_cbranch_execz .LBB101_128
; %bb.120:                              ;   in Loop: Header=BB101_6 Depth=1
	s_mov_b32 s23, exec_lo
	v_cmpx_ge_u32_e64 s17, v40
	s_xor_b32 s23, exec_lo, s23
	s_cbranch_execz .LBB101_125
; %bb.121:                              ;   in Loop: Header=BB101_6 Depth=1
	ds_load_b32 v2, v17 offset:4096
	v_and_b32_e32 v3, s19, v3
	v_or_b32_e32 v4, s18, v4
	s_wait_dscnt 0x0
	v_cmp_ne_u32_e32 vcc_lo, 0, v2
	s_cbranch_vccnz .LBB101_125
; %bb.122:                              ;   in Loop: Header=BB101_6 Depth=1
	s_and_saveexec_b32 s28, s5
; %bb.123:                              ;   in Loop: Header=BB101_6 Depth=1
	v_mov_b32_e32 v2, s17
	ds_store_b32 v17, v2 offset:4100
; %bb.124:                              ;   in Loop: Header=BB101_6 Depth=1
	s_or_b32 exec_lo, exec_lo, s28
	s_wait_dscnt 0x0
	s_barrier_signal -1
	s_barrier_wait -1
.LBB101_125:                            ;   in Loop: Header=BB101_6 Depth=1
	s_or_saveexec_b32 s23, s23
	v_dual_mov_b32 v2, 8 :: v_dual_mov_b32 v5, v40
	s_mov_b32 s28, 0
	s_xor_b32 exec_lo, exec_lo, s23
; %bb.126:                              ;   in Loop: Header=BB101_6 Depth=1
	v_subrev_nc_u32_e32 v5, s17, v40
	v_mov_b32_e32 v2, 0
	s_mov_b32 s28, exec_lo
; %bb.127:                              ;   in Loop: Header=BB101_6 Depth=1
	s_or_b32 exec_lo, exec_lo, s23
	s_delay_alu instid0(SALU_CYCLE_1)
	s_and_b32 s30, s28, exec_lo
.LBB101_128:                            ;   in Loop: Header=BB101_6 Depth=1
	s_or_b32 exec_lo, exec_lo, s15
	s_mov_b32 s29, -1
                                        ; implicit-def: $sgpr23
                                        ; implicit-def: $sgpr28
	s_and_saveexec_b32 s15, s30
	s_delay_alu instid0(SALU_CYCLE_1)
	s_xor_b32 s15, exec_lo, s15
	s_cbranch_execz .LBB101_251
; %bb.129:                              ;   in Loop: Header=BB101_6 Depth=1
	v_cmp_eq_u32_e32 vcc_lo, 1, v5
	s_cmp_eq_u32 s20, 1
	s_mov_b32 s31, -1
	s_cselect_b32 s23, -1, 0
                                        ; implicit-def: $sgpr28
	s_delay_alu instid0(SALU_CYCLE_1) | instskip(NEXT) | instid1(SALU_CYCLE_1)
	s_and_b32 s30, s23, vcc_lo
                                        ; implicit-def: $sgpr23
	s_and_saveexec_b32 s29, s30
	s_cbranch_execz .LBB101_157
; %bb.130:                              ;   in Loop: Header=BB101_6 Depth=1
	ds_load_b32 v6, v17 offset:4096
	s_wait_dscnt 0x0
	s_barrier_signal -1
	s_barrier_wait -1
	v_readfirstlane_b32 s33, v6
	s_and_saveexec_b32 s23, s6
; %bb.131:                              ;   in Loop: Header=BB101_6 Depth=1
	ds_store_b16 v23, v17
; %bb.132:                              ;   in Loop: Header=BB101_6 Depth=1
	s_or_b32 exec_lo, exec_lo, s23
	s_lshl_b32 s23, 1, s93
	v_or_b32_e32 v4, s18, v4
	v_and_or_b32 v3, v3, s19, s23
	s_mov_b32 s23, -1
	s_mov_b32 s28, 0
	s_cmp_eq_u32 s33, 0
	s_mov_b32 s31, 0
	s_mov_b32 s34, -1
	s_wait_dscnt 0x0
	s_barrier_signal -1
	s_barrier_wait -1
                                        ; implicit-def: $vgpr6
	s_cbranch_scc1 .LBB101_144
; %bb.133:                              ;   in Loop: Header=BB101_6 Depth=1
	s_add_co_i32 s38, s33, s76
                                        ; implicit-def: $vgpr6
	s_delay_alu instid0(SALU_CYCLE_1) | instskip(NEXT) | instid1(SALU_CYCLE_1)
	s_mul_u64 s[40:41], s[38:39], s[64:65]
	s_mul_i32 s31, s41, s47
	s_delay_alu instid0(SALU_CYCLE_1) | instskip(NEXT) | instid1(SALU_CYCLE_1)
	s_sub_co_i32 s31, s38, s31
	s_sub_co_i32 s34, s31, s47
	s_cmp_ge_u32 s31, s47
	s_cselect_b32 s31, s34, s31
	s_delay_alu instid0(SALU_CYCLE_1)
	s_sub_co_i32 s34, s31, s47
	s_cmp_ge_u32 s31, s47
	s_cselect_b32 s31, s34, s31
	s_mov_b32 s34, 0
	s_sub_co_i32 s45, s38, s31
	s_mov_b32 s31, 0
	s_mov_b32 s38, exec_lo
	v_cmpx_gt_u32_e64 s45, v0
	s_cbranch_execz .LBB101_143
; %bb.134:                              ;   in Loop: Header=BB101_6 Depth=1
	v_dual_mov_b32 v6, v22 :: v_dual_mov_b32 v7, v0
                                        ; implicit-def: $sgpr46
	s_branch .LBB101_138
.LBB101_135:                            ;   in Loop: Header=BB101_138 Depth=2
	s_or_b32 exec_lo, exec_lo, s40
	s_wait_dscnt 0x0
	s_barrier_signal -1
	s_barrier_wait -1
	ds_load_b32 v8, v17 offset:3072
	s_wait_dscnt 0x0
	s_barrier_signal -1
	s_barrier_wait -1
	v_cmp_neq_f16_e32 vcc_lo, 0, v8
	s_cbranch_vccnz .LBB101_141
; %bb.136:                              ;   in Loop: Header=BB101_138 Depth=2
	v_dual_add_nc_u32 v7, s47, v7 :: v_dual_add_nc_u32 v6, s92, v6
	s_mov_b32 s40, 0
	s_delay_alu instid0(VALU_DEP_1)
	v_cmp_le_u32_e32 vcc_lo, s45, v7
	s_or_not1_b32 s41, vcc_lo, exec_lo
.LBB101_137:                            ;   in Loop: Header=BB101_138 Depth=2
	s_delay_alu instid0(SALU_CYCLE_1) | instskip(NEXT) | instid1(SALU_CYCLE_1)
	s_and_b32 s41, exec_lo, s41
	s_or_b32 s31, s41, s31
	s_and_not1_b32 s41, s46, exec_lo
	s_and_b32 s40, s40, exec_lo
	s_delay_alu instid0(SALU_CYCLE_1)
	s_or_b32 s46, s41, s40
	s_and_not1_b32 exec_lo, exec_lo, s31
	s_cbranch_execz .LBB101_142
.LBB101_138:                            ;   Parent Loop BB101_6 Depth=1
                                        ; =>  This Inner Loop Header: Depth=2
	s_mov_b32 s40, exec_lo
	s_delay_alu instid0(VALU_DEP_1)
	v_cmpx_gt_u32_e64 s33, v7
	s_cbranch_execz .LBB101_135
; %bb.139:                              ;   in Loop: Header=BB101_138 Depth=2
	ds_load_u16 v8, v6
	s_wait_dscnt 0x0
	v_cmp_lt_i16_e32 vcc_lo, -1, v8
	v_and_b32_e32 v9, 0xffff, v8
	v_cndmask_b32_e32 v16, 0xffff, v37, vcc_lo
	v_cmp_o_f16_e32 vcc_lo, v8, v8
	s_delay_alu instid0(VALU_DEP_2) | instskip(NEXT) | instid1(VALU_DEP_1)
	v_xor_b32_e32 v9, v16, v9
	v_cndmask_b32_e32 v9, 0xffff, v9, vcc_lo
	s_delay_alu instid0(VALU_DEP_1) | instskip(NEXT) | instid1(VALU_DEP_1)
	v_and_b32_e32 v9, v9, v4
	v_cmp_eq_u32_e32 vcc_lo, v9, v3
	s_and_b32 exec_lo, exec_lo, vcc_lo
	s_cbranch_execz .LBB101_135
; %bb.140:                              ;   in Loop: Header=BB101_138 Depth=2
	v_perm_b32 v8, v8, s95, 0x5040100
	ds_store_b32 v17, v8 offset:3072
	s_branch .LBB101_135
.LBB101_141:                            ;   in Loop: Header=BB101_138 Depth=2
	s_mov_b32 s41, -1
	s_mov_b32 s40, -1
                                        ; implicit-def: $vgpr7
                                        ; implicit-def: $vgpr6
	s_branch .LBB101_137
.LBB101_142:                            ;   in Loop: Header=BB101_6 Depth=1
	s_or_b32 exec_lo, exec_lo, s31
	v_lshrrev_b32_e32 v6, 16, v8
	s_and_b32 s31, s46, exec_lo
.LBB101_143:                            ;   in Loop: Header=BB101_6 Depth=1
	s_or_b32 exec_lo, exec_lo, s38
.LBB101_144:                            ;   in Loop: Header=BB101_6 Depth=1
	s_delay_alu instid0(SALU_CYCLE_1)
	s_and_b32 vcc_lo, exec_lo, s34
	s_cbranch_vccz .LBB101_156
; %bb.145:                              ;   in Loop: Header=BB101_6 Depth=1
                                        ; implicit-def: $vgpr6
	s_and_saveexec_b32 s23, s13
	s_cbranch_execz .LBB101_155
; %bb.146:                              ;   in Loop: Header=BB101_6 Depth=1
	v_dual_mov_b32 v6, v18 :: v_dual_mov_b32 v7, v0
	s_mov_b32 s28, 0
                                        ; implicit-def: $sgpr33
	s_branch .LBB101_150
.LBB101_147:                            ;   in Loop: Header=BB101_150 Depth=2
	s_or_b32 exec_lo, exec_lo, s34
	s_wait_dscnt 0x0
	s_barrier_signal -1
	s_barrier_wait -1
	ds_load_b32 v8, v17 offset:3072
	s_wait_dscnt 0x0
	s_barrier_signal -1
	s_barrier_wait -1
	v_cmp_eq_f16_e32 vcc_lo, 0, v8
	s_cbranch_vccz .LBB101_153
; %bb.148:                              ;   in Loop: Header=BB101_150 Depth=2
	v_dual_add_nc_u32 v7, s47, v7 :: v_dual_add_nc_u32 v6, s51, v6
	s_mov_b32 s34, 0
	s_delay_alu instid0(VALU_DEP_1)
	v_cmp_le_u32_e32 vcc_lo, s89, v7
	s_or_not1_b32 s38, vcc_lo, exec_lo
.LBB101_149:                            ;   in Loop: Header=BB101_150 Depth=2
	s_delay_alu instid0(SALU_CYCLE_1) | instskip(NEXT) | instid1(SALU_CYCLE_1)
	s_and_b32 s38, exec_lo, s38
	s_or_b32 s28, s38, s28
	s_and_not1_b32 s33, s33, exec_lo
	s_and_b32 s34, s34, exec_lo
	s_delay_alu instid0(SALU_CYCLE_1)
	s_or_b32 s33, s33, s34
	s_and_not1_b32 exec_lo, exec_lo, s28
	s_cbranch_execz .LBB101_154
.LBB101_150:                            ;   Parent Loop BB101_6 Depth=1
                                        ; =>  This Inner Loop Header: Depth=2
	s_mov_b32 s34, exec_lo
	s_delay_alu instid0(VALU_DEP_1)
	v_cmpx_gt_u32_e64 s36, v7
	s_cbranch_execz .LBB101_147
; %bb.151:                              ;   in Loop: Header=BB101_150 Depth=2
	v_readfirstlane_b32 s40, v12
	v_readfirstlane_b32 s41, v13
	global_load_u16 v8, v6, s[40:41] scale_offset
	s_wait_loadcnt 0x0
	v_cmp_lt_i16_e32 vcc_lo, -1, v8
	v_and_b32_e32 v9, 0xffff, v8
	v_cndmask_b32_e32 v16, 0xffff, v37, vcc_lo
	v_cmp_o_f16_e32 vcc_lo, v8, v8
	s_delay_alu instid0(VALU_DEP_2) | instskip(NEXT) | instid1(VALU_DEP_1)
	v_xor_b32_e32 v9, v16, v9
	v_cndmask_b32_e32 v9, 0xffff, v9, vcc_lo
	s_delay_alu instid0(VALU_DEP_1) | instskip(NEXT) | instid1(VALU_DEP_1)
	v_and_b32_e32 v9, v9, v4
	v_cmp_eq_u32_e32 vcc_lo, v9, v3
	s_and_b32 exec_lo, exec_lo, vcc_lo
	s_cbranch_execz .LBB101_147
; %bb.152:                              ;   in Loop: Header=BB101_150 Depth=2
	v_perm_b32 v8, v8, s95, 0x5040100
	ds_store_b32 v17, v8 offset:3072
	s_branch .LBB101_147
.LBB101_153:                            ;   in Loop: Header=BB101_150 Depth=2
	s_mov_b32 s38, -1
	s_mov_b32 s34, -1
                                        ; implicit-def: $vgpr7
                                        ; implicit-def: $vgpr6
	s_branch .LBB101_149
.LBB101_154:                            ;   in Loop: Header=BB101_6 Depth=1
	s_or_b32 exec_lo, exec_lo, s28
	v_lshrrev_b32_e32 v6, 16, v8
	s_and_not1_b32 s28, s31, exec_lo
	s_and_b32 s31, s33, exec_lo
	s_delay_alu instid0(SALU_CYCLE_1)
	s_or_b32 s31, s28, s31
.LBB101_155:                            ;   in Loop: Header=BB101_6 Depth=1
	s_or_b32 exec_lo, exec_lo, s23
	s_mov_b32 s23, 0
	s_mov_b32 s28, -1
.LBB101_156:                            ;   in Loop: Header=BB101_6 Depth=1
	s_or_not1_b32 s31, s31, exec_lo
.LBB101_157:                            ;   in Loop: Header=BB101_6 Depth=1
	s_or_b32 exec_lo, exec_lo, s29
	s_mov_b32 s33, 0
	s_and_saveexec_b32 s29, s31
	s_cbranch_execz .LBB101_250
; %bb.158:                              ;   in Loop: Header=BB101_6 Depth=1
	v_dual_mov_b32 v7, 1 :: v_dual_mov_b32 v2, 1
	s_xor_b32 s31, s30, -1
	s_mov_b32 s38, 0
	s_and_saveexec_b32 s30, s31
	s_cbranch_execz .LBB101_167
; %bb.159:                              ;   in Loop: Header=BB101_6 Depth=1
	s_mov_b32 s31, exec_lo
	v_cmpx_ge_u32_e64 s20, v5
	s_xor_b32 s31, exec_lo, s31
	s_cbranch_execz .LBB101_164
; %bb.160:                              ;   in Loop: Header=BB101_6 Depth=1
	ds_load_b32 v2, v17 offset:4096
	s_lshl_b32 s33, 1, s93
	v_or_b32_e32 v4, s18, v4
	v_and_or_b32 v3, v3, s19, s33
	s_wait_dscnt 0x0
	v_cmp_ne_u32_e32 vcc_lo, 0, v2
	s_cbranch_vccnz .LBB101_164
; %bb.161:                              ;   in Loop: Header=BB101_6 Depth=1
	s_and_saveexec_b32 s33, s5
; %bb.162:                              ;   in Loop: Header=BB101_6 Depth=1
	v_mov_b32_e32 v2, s20
	ds_store_b32 v17, v2 offset:4100
; %bb.163:                              ;   in Loop: Header=BB101_6 Depth=1
	s_or_b32 exec_lo, exec_lo, s33
	s_wait_dscnt 0x0
	s_barrier_signal -1
	s_barrier_wait -1
.LBB101_164:                            ;   in Loop: Header=BB101_6 Depth=1
	s_or_saveexec_b32 s31, s31
	v_mov_b32_e32 v2, 8
	s_mov_b32 s33, 0
	s_xor_b32 exec_lo, exec_lo, s31
; %bb.165:                              ;   in Loop: Header=BB101_6 Depth=1
	v_subrev_nc_u32_e32 v5, s20, v5
	v_mov_b32_e32 v2, 0
	s_mov_b32 s33, exec_lo
; %bb.166:                              ;   in Loop: Header=BB101_6 Depth=1
	s_or_b32 exec_lo, exec_lo, s31
	s_delay_alu instid0(VALU_DEP_2)
	v_mov_b32_e32 v7, v5
	s_and_b32 s38, s33, exec_lo
.LBB101_167:                            ;   in Loop: Header=BB101_6 Depth=1
	s_or_b32 exec_lo, exec_lo, s30
	s_mov_b32 s34, -1
                                        ; implicit-def: $sgpr31
                                        ; implicit-def: $sgpr33
	s_and_saveexec_b32 s30, s38
	s_cbranch_execz .LBB101_249
; %bb.168:                              ;   in Loop: Header=BB101_6 Depth=1
	v_cmp_eq_u32_e32 vcc_lo, 1, v7
	s_cmp_eq_u32 s21, 1
	s_mov_b32 s38, -1
	s_cselect_b32 s31, -1, 0
                                        ; implicit-def: $sgpr33
	s_delay_alu instid0(SALU_CYCLE_1) | instskip(NEXT) | instid1(SALU_CYCLE_1)
	s_and_b32 s45, s31, vcc_lo
                                        ; implicit-def: $sgpr31
	s_and_saveexec_b32 s34, s45
	s_cbranch_execz .LBB101_196
; %bb.169:                              ;   in Loop: Header=BB101_6 Depth=1
	ds_load_b32 v5, v17 offset:4096
	s_wait_dscnt 0x0
	s_barrier_signal -1
	s_barrier_wait -1
	v_readfirstlane_b32 s46, v5
	s_and_saveexec_b32 s31, s6
; %bb.170:                              ;   in Loop: Header=BB101_6 Depth=1
	ds_store_b16 v23, v17
; %bb.171:                              ;   in Loop: Header=BB101_6 Depth=1
	s_or_b32 exec_lo, exec_lo, s31
	s_lshl_b32 s31, 2, s93
	v_or_b32_e32 v4, s18, v4
	v_and_or_b32 v3, v3, s19, s31
	s_mov_b32 s31, -1
	s_mov_b32 s33, 0
	s_cmp_eq_u32 s46, 0
	s_mov_b32 s38, 0
	s_mov_b32 s56, -1
	s_wait_dscnt 0x0
	s_barrier_signal -1
	s_barrier_wait -1
                                        ; implicit-def: $vgpr6
	s_cbranch_scc1 .LBB101_183
; %bb.172:                              ;   in Loop: Header=BB101_6 Depth=1
	s_add_co_i32 s38, s46, s76
	s_mov_b32 s56, 0
	s_mul_u64 s[40:41], s[38:39], s[64:65]
	s_mov_b32 s57, exec_lo
	s_mul_i32 s40, s41, s47
                                        ; implicit-def: $vgpr6
	s_delay_alu instid0(SALU_CYCLE_1) | instskip(NEXT) | instid1(SALU_CYCLE_1)
	s_sub_co_i32 s40, s38, s40
	s_sub_co_i32 s41, s40, s47
	s_cmp_ge_u32 s40, s47
	s_cselect_b32 s40, s41, s40
	s_delay_alu instid0(SALU_CYCLE_1) | instskip(SKIP_2) | instid1(SALU_CYCLE_1)
	s_sub_co_i32 s41, s40, s47
	s_cmp_ge_u32 s40, s47
	s_cselect_b32 s40, s41, s40
	s_sub_co_i32 s68, s38, s40
	s_mov_b32 s38, 0
	v_cmpx_gt_u32_e64 s68, v0
	s_cbranch_execz .LBB101_182
; %bb.173:                              ;   in Loop: Header=BB101_6 Depth=1
	v_dual_mov_b32 v5, v22 :: v_dual_mov_b32 v6, v0
                                        ; implicit-def: $sgpr58
	s_branch .LBB101_177
.LBB101_174:                            ;   in Loop: Header=BB101_177 Depth=2
	s_or_b32 exec_lo, exec_lo, s59
	s_wait_dscnt 0x0
	s_barrier_signal -1
	s_barrier_wait -1
	ds_load_b32 v8, v17 offset:3072
	s_wait_dscnt 0x0
	s_barrier_signal -1
	s_barrier_wait -1
	v_cmp_neq_f16_e32 vcc_lo, 0, v8
	s_cbranch_vccnz .LBB101_180
; %bb.175:                              ;   in Loop: Header=BB101_177 Depth=2
	v_dual_add_nc_u32 v6, s47, v6 :: v_dual_add_nc_u32 v5, s92, v5
	s_mov_b32 s40, 0
	s_delay_alu instid0(VALU_DEP_1)
	v_cmp_le_u32_e32 vcc_lo, s68, v6
	s_or_not1_b32 s41, vcc_lo, exec_lo
.LBB101_176:                            ;   in Loop: Header=BB101_177 Depth=2
	s_delay_alu instid0(SALU_CYCLE_1) | instskip(NEXT) | instid1(SALU_CYCLE_1)
	s_and_b32 s41, exec_lo, s41
	s_or_b32 s38, s41, s38
	s_and_not1_b32 s41, s58, exec_lo
	s_and_b32 s40, s40, exec_lo
	s_delay_alu instid0(SALU_CYCLE_1)
	s_or_b32 s58, s41, s40
	s_and_not1_b32 exec_lo, exec_lo, s38
	s_cbranch_execz .LBB101_181
.LBB101_177:                            ;   Parent Loop BB101_6 Depth=1
                                        ; =>  This Inner Loop Header: Depth=2
	s_mov_b32 s59, exec_lo
	s_delay_alu instid0(VALU_DEP_1)
	v_cmpx_gt_u32_e64 s46, v6
	s_cbranch_execz .LBB101_174
; %bb.178:                              ;   in Loop: Header=BB101_177 Depth=2
	ds_load_u16 v8, v5
	s_wait_dscnt 0x0
	v_cmp_lt_i16_e32 vcc_lo, -1, v8
	v_and_b32_e32 v9, 0xffff, v8
	v_cndmask_b32_e32 v16, 0xffff, v37, vcc_lo
	v_cmp_o_f16_e32 vcc_lo, v8, v8
	s_delay_alu instid0(VALU_DEP_2) | instskip(NEXT) | instid1(VALU_DEP_1)
	v_xor_b32_e32 v9, v16, v9
	v_cndmask_b32_e32 v9, 0xffff, v9, vcc_lo
	s_delay_alu instid0(VALU_DEP_1) | instskip(NEXT) | instid1(VALU_DEP_1)
	v_and_b32_e32 v9, v9, v4
	v_cmp_eq_u32_e32 vcc_lo, v9, v3
	s_and_b32 exec_lo, exec_lo, vcc_lo
	s_cbranch_execz .LBB101_174
; %bb.179:                              ;   in Loop: Header=BB101_177 Depth=2
	v_perm_b32 v8, v8, s95, 0x5040100
	ds_store_b32 v17, v8 offset:3072
	s_branch .LBB101_174
.LBB101_180:                            ;   in Loop: Header=BB101_177 Depth=2
	s_mov_b32 s41, -1
	s_mov_b32 s40, -1
                                        ; implicit-def: $vgpr6
                                        ; implicit-def: $vgpr5
	s_branch .LBB101_176
.LBB101_181:                            ;   in Loop: Header=BB101_6 Depth=1
	s_or_b32 exec_lo, exec_lo, s38
	v_lshrrev_b32_e32 v6, 16, v8
	s_and_b32 s38, s58, exec_lo
.LBB101_182:                            ;   in Loop: Header=BB101_6 Depth=1
	s_or_b32 exec_lo, exec_lo, s57
.LBB101_183:                            ;   in Loop: Header=BB101_6 Depth=1
	s_delay_alu instid0(SALU_CYCLE_1)
	s_and_b32 vcc_lo, exec_lo, s56
	s_cbranch_vccz .LBB101_195
; %bb.184:                              ;   in Loop: Header=BB101_6 Depth=1
                                        ; implicit-def: $vgpr6
	s_and_saveexec_b32 s31, s13
	s_cbranch_execz .LBB101_194
; %bb.185:                              ;   in Loop: Header=BB101_6 Depth=1
	v_dual_mov_b32 v5, v18 :: v_dual_mov_b32 v6, v0
	s_mov_b32 s33, 0
                                        ; implicit-def: $sgpr46
	s_branch .LBB101_189
.LBB101_186:                            ;   in Loop: Header=BB101_189 Depth=2
	s_or_b32 exec_lo, exec_lo, s56
	s_wait_dscnt 0x0
	s_barrier_signal -1
	s_barrier_wait -1
	ds_load_b32 v8, v17 offset:3072
	s_wait_dscnt 0x0
	s_barrier_signal -1
	s_barrier_wait -1
	v_cmp_eq_f16_e32 vcc_lo, 0, v8
	s_cbranch_vccz .LBB101_192
; %bb.187:                              ;   in Loop: Header=BB101_189 Depth=2
	v_dual_add_nc_u32 v6, s47, v6 :: v_dual_add_nc_u32 v5, s51, v5
	s_mov_b32 s40, 0
	s_delay_alu instid0(VALU_DEP_1)
	v_cmp_le_u32_e32 vcc_lo, s89, v6
	s_or_not1_b32 s41, vcc_lo, exec_lo
.LBB101_188:                            ;   in Loop: Header=BB101_189 Depth=2
	s_delay_alu instid0(SALU_CYCLE_1) | instskip(NEXT) | instid1(SALU_CYCLE_1)
	s_and_b32 s41, exec_lo, s41
	s_or_b32 s33, s41, s33
	s_and_not1_b32 s41, s46, exec_lo
	s_and_b32 s40, s40, exec_lo
	s_delay_alu instid0(SALU_CYCLE_1)
	s_or_b32 s46, s41, s40
	s_and_not1_b32 exec_lo, exec_lo, s33
	s_cbranch_execz .LBB101_193
.LBB101_189:                            ;   Parent Loop BB101_6 Depth=1
                                        ; =>  This Inner Loop Header: Depth=2
	s_mov_b32 s56, exec_lo
	s_delay_alu instid0(VALU_DEP_1)
	v_cmpx_gt_u32_e64 s36, v6
	s_cbranch_execz .LBB101_186
; %bb.190:                              ;   in Loop: Header=BB101_189 Depth=2
	v_readfirstlane_b32 s40, v12
	v_readfirstlane_b32 s41, v13
	global_load_u16 v8, v5, s[40:41] scale_offset
	s_wait_loadcnt 0x0
	v_cmp_lt_i16_e32 vcc_lo, -1, v8
	v_and_b32_e32 v9, 0xffff, v8
	v_cndmask_b32_e32 v16, 0xffff, v37, vcc_lo
	v_cmp_o_f16_e32 vcc_lo, v8, v8
	s_delay_alu instid0(VALU_DEP_2) | instskip(NEXT) | instid1(VALU_DEP_1)
	v_xor_b32_e32 v9, v16, v9
	v_cndmask_b32_e32 v9, 0xffff, v9, vcc_lo
	s_delay_alu instid0(VALU_DEP_1) | instskip(NEXT) | instid1(VALU_DEP_1)
	v_and_b32_e32 v9, v9, v4
	v_cmp_eq_u32_e32 vcc_lo, v9, v3
	s_and_b32 exec_lo, exec_lo, vcc_lo
	s_cbranch_execz .LBB101_186
; %bb.191:                              ;   in Loop: Header=BB101_189 Depth=2
	v_perm_b32 v8, v8, s95, 0x5040100
	ds_store_b32 v17, v8 offset:3072
	s_branch .LBB101_186
.LBB101_192:                            ;   in Loop: Header=BB101_189 Depth=2
	s_mov_b32 s41, -1
	s_mov_b32 s40, -1
                                        ; implicit-def: $vgpr6
                                        ; implicit-def: $vgpr5
	s_branch .LBB101_188
.LBB101_193:                            ;   in Loop: Header=BB101_6 Depth=1
	s_or_b32 exec_lo, exec_lo, s33
	v_lshrrev_b32_e32 v6, 16, v8
	s_and_not1_b32 s33, s38, exec_lo
	s_and_b32 s38, s46, exec_lo
	s_delay_alu instid0(SALU_CYCLE_1)
	s_or_b32 s38, s33, s38
.LBB101_194:                            ;   in Loop: Header=BB101_6 Depth=1
	s_or_b32 exec_lo, exec_lo, s31
	s_mov_b32 s31, 0
	s_mov_b32 s33, -1
.LBB101_195:                            ;   in Loop: Header=BB101_6 Depth=1
	s_or_not1_b32 s38, s38, exec_lo
.LBB101_196:                            ;   in Loop: Header=BB101_6 Depth=1
	s_or_b32 exec_lo, exec_lo, s34
	s_mov_b32 s46, 0
	s_and_saveexec_b32 s34, s38
	s_cbranch_execz .LBB101_248
; %bb.197:                              ;   in Loop: Header=BB101_6 Depth=1
	v_dual_mov_b32 v5, 1 :: v_dual_mov_b32 v2, 1
	s_xor_b32 s41, s45, -1
	s_mov_b32 s40, 0
	s_and_saveexec_b32 s38, s41
	s_cbranch_execz .LBB101_206
; %bb.198:                              ;   in Loop: Header=BB101_6 Depth=1
	s_mov_b32 s40, exec_lo
	v_cmpx_ge_u32_e64 s21, v7
	s_xor_b32 s45, exec_lo, s40
	s_cbranch_execz .LBB101_203
; %bb.199:                              ;   in Loop: Header=BB101_6 Depth=1
	ds_load_b32 v2, v17 offset:4096
	s_lshl_b32 s40, 2, s93
	v_or_b32_e32 v4, s18, v4
	v_and_or_b32 v3, v3, s19, s40
	s_wait_dscnt 0x0
	v_cmp_ne_u32_e32 vcc_lo, 0, v2
	s_cbranch_vccnz .LBB101_203
; %bb.200:                              ;   in Loop: Header=BB101_6 Depth=1
	s_and_saveexec_b32 s40, s5
; %bb.201:                              ;   in Loop: Header=BB101_6 Depth=1
	v_mov_b32_e32 v2, s21
	ds_store_b32 v17, v2 offset:4100
; %bb.202:                              ;   in Loop: Header=BB101_6 Depth=1
	s_or_b32 exec_lo, exec_lo, s40
	s_wait_dscnt 0x0
	s_barrier_signal -1
	s_barrier_wait -1
.LBB101_203:                            ;   in Loop: Header=BB101_6 Depth=1
	s_or_saveexec_b32 s45, s45
	v_mov_b32_e32 v2, 8
	s_mov_b32 s40, 0
	s_xor_b32 exec_lo, exec_lo, s45
; %bb.204:                              ;   in Loop: Header=BB101_6 Depth=1
	v_subrev_nc_u32_e32 v7, s21, v7
	v_mov_b32_e32 v2, 0
	s_mov_b32 s40, exec_lo
; %bb.205:                              ;   in Loop: Header=BB101_6 Depth=1
	s_or_b32 exec_lo, exec_lo, s45
	s_delay_alu instid0(VALU_DEP_2)
	v_mov_b32_e32 v5, v7
	s_and_b32 s40, s40, exec_lo
.LBB101_206:                            ;   in Loop: Header=BB101_6 Depth=1
	s_or_b32 exec_lo, exec_lo, s38
	s_mov_b32 s38, -1
                                        ; implicit-def: $sgpr57
                                        ; implicit-def: $sgpr56
	s_and_saveexec_b32 s45, s40
	s_cbranch_execz .LBB101_247
; %bb.207:                              ;   in Loop: Header=BB101_6 Depth=1
	v_cmp_eq_u32_e32 vcc_lo, 1, v5
	s_cmp_eq_u32 s22, 1
	s_mov_b32 s58, -1
	s_cselect_b32 s38, -1, 0
                                        ; implicit-def: $sgpr57
                                        ; implicit-def: $sgpr56
	s_delay_alu instid0(SALU_CYCLE_1) | instskip(NEXT) | instid1(SALU_CYCLE_1)
	s_and_b32 s46, s38, vcc_lo
	s_and_saveexec_b32 s68, s46
	s_cbranch_execz .LBB101_235
; %bb.208:                              ;   in Loop: Header=BB101_6 Depth=1
	ds_load_b32 v6, v17 offset:4096
	s_wait_dscnt 0x0
	s_barrier_signal -1
	s_barrier_wait -1
	v_readfirstlane_b32 s69, v6
	s_and_saveexec_b32 s38, s6
; %bb.209:                              ;   in Loop: Header=BB101_6 Depth=1
	ds_store_b16 v23, v17
; %bb.210:                              ;   in Loop: Header=BB101_6 Depth=1
	s_or_b32 exec_lo, exec_lo, s38
	v_or_b32_e32 v3, s18, v3
	v_or_b32_e32 v4, s18, v4
	s_mov_b32 s56, -1
	s_mov_b32 s57, 0
	s_cmp_eq_u32 s69, 0
	s_mov_b32 s38, 0
	s_mov_b32 s70, -1
	s_wait_dscnt 0x0
	s_barrier_signal -1
	s_barrier_wait -1
                                        ; implicit-def: $vgpr6
	s_cbranch_scc1 .LBB101_222
; %bb.211:                              ;   in Loop: Header=BB101_6 Depth=1
	s_add_co_i32 s38, s69, s76
	s_mov_b32 s70, 0
	s_mul_u64 s[40:41], s[38:39], s[64:65]
	s_mov_b32 s71, exec_lo
	s_mul_i32 s40, s41, s47
                                        ; implicit-def: $vgpr6
	s_delay_alu instid0(SALU_CYCLE_1) | instskip(NEXT) | instid1(SALU_CYCLE_1)
	s_sub_co_i32 s40, s38, s40
	s_sub_co_i32 s41, s40, s47
	s_cmp_ge_u32 s40, s47
	s_cselect_b32 s40, s41, s40
	s_delay_alu instid0(SALU_CYCLE_1) | instskip(SKIP_2) | instid1(SALU_CYCLE_1)
	s_sub_co_i32 s41, s40, s47
	s_cmp_ge_u32 s40, s47
	s_cselect_b32 s40, s41, s40
	s_sub_co_i32 s58, s38, s40
	s_mov_b32 s38, 0
	v_cmpx_gt_u32_e64 s58, v0
	s_cbranch_execz .LBB101_221
; %bb.212:                              ;   in Loop: Header=BB101_6 Depth=1
	v_dual_mov_b32 v6, v22 :: v_dual_mov_b32 v7, v0
                                        ; implicit-def: $sgpr59
	s_branch .LBB101_216
.LBB101_213:                            ;   in Loop: Header=BB101_216 Depth=2
	s_or_b32 exec_lo, exec_lo, s40
	s_wait_dscnt 0x0
	s_barrier_signal -1
	s_barrier_wait -1
	ds_load_b32 v8, v17 offset:3072
	s_wait_dscnt 0x0
	s_barrier_signal -1
	s_barrier_wait -1
	v_cmp_neq_f16_e32 vcc_lo, 0, v8
	s_cbranch_vccnz .LBB101_219
; %bb.214:                              ;   in Loop: Header=BB101_216 Depth=2
	v_dual_add_nc_u32 v7, s47, v7 :: v_dual_add_nc_u32 v6, s92, v6
	s_mov_b32 s40, 0
	s_delay_alu instid0(VALU_DEP_1)
	v_cmp_le_u32_e32 vcc_lo, s58, v7
	s_or_not1_b32 s41, vcc_lo, exec_lo
.LBB101_215:                            ;   in Loop: Header=BB101_216 Depth=2
	s_delay_alu instid0(SALU_CYCLE_1) | instskip(NEXT) | instid1(SALU_CYCLE_1)
	s_and_b32 s41, exec_lo, s41
	s_or_b32 s38, s41, s38
	s_and_not1_b32 s41, s59, exec_lo
	s_and_b32 s40, s40, exec_lo
	s_delay_alu instid0(SALU_CYCLE_1)
	s_or_b32 s59, s41, s40
	s_and_not1_b32 exec_lo, exec_lo, s38
	s_cbranch_execz .LBB101_220
.LBB101_216:                            ;   Parent Loop BB101_6 Depth=1
                                        ; =>  This Inner Loop Header: Depth=2
	s_mov_b32 s40, exec_lo
	s_delay_alu instid0(VALU_DEP_1)
	v_cmpx_gt_u32_e64 s69, v7
	s_cbranch_execz .LBB101_213
; %bb.217:                              ;   in Loop: Header=BB101_216 Depth=2
	ds_load_u16 v8, v6
	s_wait_dscnt 0x0
	v_cmp_lt_i16_e32 vcc_lo, -1, v8
	v_and_b32_e32 v9, 0xffff, v8
	v_cndmask_b32_e32 v16, 0xffff, v37, vcc_lo
	v_cmp_o_f16_e32 vcc_lo, v8, v8
	s_delay_alu instid0(VALU_DEP_2) | instskip(NEXT) | instid1(VALU_DEP_1)
	v_xor_b32_e32 v9, v16, v9
	v_cndmask_b32_e32 v9, 0xffff, v9, vcc_lo
	s_delay_alu instid0(VALU_DEP_1) | instskip(NEXT) | instid1(VALU_DEP_1)
	v_and_b32_e32 v9, v9, v4
	v_cmp_eq_u32_e32 vcc_lo, v9, v3
	s_and_b32 exec_lo, exec_lo, vcc_lo
	s_cbranch_execz .LBB101_213
; %bb.218:                              ;   in Loop: Header=BB101_216 Depth=2
	v_perm_b32 v8, v8, s95, 0x5040100
	ds_store_b32 v17, v8 offset:3072
	s_branch .LBB101_213
.LBB101_219:                            ;   in Loop: Header=BB101_216 Depth=2
	s_mov_b32 s41, -1
	s_mov_b32 s40, -1
                                        ; implicit-def: $vgpr7
                                        ; implicit-def: $vgpr6
	s_branch .LBB101_215
.LBB101_220:                            ;   in Loop: Header=BB101_6 Depth=1
	s_or_b32 exec_lo, exec_lo, s38
	v_lshrrev_b32_e32 v6, 16, v8
	s_and_b32 s38, s59, exec_lo
.LBB101_221:                            ;   in Loop: Header=BB101_6 Depth=1
	s_or_b32 exec_lo, exec_lo, s71
.LBB101_222:                            ;   in Loop: Header=BB101_6 Depth=1
	s_delay_alu instid0(SALU_CYCLE_1)
	s_and_b32 vcc_lo, exec_lo, s70
	s_cbranch_vccz .LBB101_234
; %bb.223:                              ;   in Loop: Header=BB101_6 Depth=1
                                        ; implicit-def: $vgpr6
	s_and_saveexec_b32 s56, s13
	s_cbranch_execz .LBB101_233
; %bb.224:                              ;   in Loop: Header=BB101_6 Depth=1
	v_dual_mov_b32 v6, v18 :: v_dual_mov_b32 v7, v0
	s_mov_b32 s57, 0
                                        ; implicit-def: $sgpr58
	s_branch .LBB101_228
.LBB101_225:                            ;   in Loop: Header=BB101_228 Depth=2
	s_or_b32 exec_lo, exec_lo, s59
	s_wait_dscnt 0x0
	s_barrier_signal -1
	s_barrier_wait -1
	ds_load_b32 v8, v17 offset:3072
	s_wait_dscnt 0x0
	s_barrier_signal -1
	s_barrier_wait -1
	v_cmp_eq_f16_e32 vcc_lo, 0, v8
	s_cbranch_vccz .LBB101_231
; %bb.226:                              ;   in Loop: Header=BB101_228 Depth=2
	v_dual_add_nc_u32 v7, s47, v7 :: v_dual_add_nc_u32 v6, s51, v6
	s_mov_b32 s40, 0
	s_delay_alu instid0(VALU_DEP_1)
	v_cmp_le_u32_e32 vcc_lo, s89, v7
	s_or_not1_b32 s41, vcc_lo, exec_lo
.LBB101_227:                            ;   in Loop: Header=BB101_228 Depth=2
	s_delay_alu instid0(SALU_CYCLE_1) | instskip(NEXT) | instid1(SALU_CYCLE_1)
	s_and_b32 s41, exec_lo, s41
	s_or_b32 s57, s41, s57
	s_and_not1_b32 s41, s58, exec_lo
	s_and_b32 s40, s40, exec_lo
	s_delay_alu instid0(SALU_CYCLE_1)
	s_or_b32 s58, s41, s40
	s_and_not1_b32 exec_lo, exec_lo, s57
	s_cbranch_execz .LBB101_232
.LBB101_228:                            ;   Parent Loop BB101_6 Depth=1
                                        ; =>  This Inner Loop Header: Depth=2
	s_mov_b32 s59, exec_lo
	s_delay_alu instid0(VALU_DEP_1)
	v_cmpx_gt_u32_e64 s36, v7
	s_cbranch_execz .LBB101_225
; %bb.229:                              ;   in Loop: Header=BB101_228 Depth=2
	v_readfirstlane_b32 s40, v12
	v_readfirstlane_b32 s41, v13
	global_load_u16 v8, v6, s[40:41] scale_offset
	s_wait_loadcnt 0x0
	v_cmp_lt_i16_e32 vcc_lo, -1, v8
	v_and_b32_e32 v9, 0xffff, v8
	v_cndmask_b32_e32 v16, 0xffff, v37, vcc_lo
	v_cmp_o_f16_e32 vcc_lo, v8, v8
	s_delay_alu instid0(VALU_DEP_2) | instskip(NEXT) | instid1(VALU_DEP_1)
	v_xor_b32_e32 v9, v16, v9
	v_cndmask_b32_e32 v9, 0xffff, v9, vcc_lo
	s_delay_alu instid0(VALU_DEP_1) | instskip(NEXT) | instid1(VALU_DEP_1)
	v_and_b32_e32 v9, v9, v4
	v_cmp_eq_u32_e32 vcc_lo, v9, v3
	s_and_b32 exec_lo, exec_lo, vcc_lo
	s_cbranch_execz .LBB101_225
; %bb.230:                              ;   in Loop: Header=BB101_228 Depth=2
	v_perm_b32 v8, v8, s95, 0x5040100
	ds_store_b32 v17, v8 offset:3072
	s_branch .LBB101_225
.LBB101_231:                            ;   in Loop: Header=BB101_228 Depth=2
	s_mov_b32 s41, -1
	s_mov_b32 s40, -1
                                        ; implicit-def: $vgpr7
                                        ; implicit-def: $vgpr6
	s_branch .LBB101_227
.LBB101_232:                            ;   in Loop: Header=BB101_6 Depth=1
	s_or_b32 exec_lo, exec_lo, s57
	v_lshrrev_b32_e32 v6, 16, v8
	s_and_not1_b32 s38, s38, exec_lo
	s_and_b32 s40, s58, exec_lo
	s_delay_alu instid0(SALU_CYCLE_1)
	s_or_b32 s38, s38, s40
.LBB101_233:                            ;   in Loop: Header=BB101_6 Depth=1
	s_or_b32 exec_lo, exec_lo, s56
	s_mov_b32 s56, 0
	s_mov_b32 s57, -1
.LBB101_234:                            ;   in Loop: Header=BB101_6 Depth=1
	s_or_not1_b32 s58, s38, exec_lo
.LBB101_235:                            ;   in Loop: Header=BB101_6 Depth=1
	s_or_b32 exec_lo, exec_lo, s68
	s_mov_b32 s40, 0
	s_and_saveexec_b32 s38, s58
	s_cbranch_execz .LBB101_246
; %bb.236:                              ;   in Loop: Header=BB101_6 Depth=1
	v_dual_mov_b32 v2, 1 :: v_dual_mov_b32 v7, 1
	s_xor_b32 s40, s46, -1
	s_delay_alu instid0(SALU_CYCLE_1)
	s_and_saveexec_b32 s46, s40
	s_cbranch_execz .LBB101_245
; %bb.237:                              ;   in Loop: Header=BB101_6 Depth=1
	s_mov_b32 s40, exec_lo
	v_cmpx_ge_u32_e64 s22, v5
	s_xor_b32 s58, exec_lo, s40
	s_cbranch_execz .LBB101_242
; %bb.238:                              ;   in Loop: Header=BB101_6 Depth=1
	ds_load_b32 v2, v17 offset:4096
	v_or_b32_e32 v3, s18, v3
	v_or_b32_e32 v4, s18, v4
	s_wait_dscnt 0x0
	v_cmp_ne_u32_e32 vcc_lo, 0, v2
	s_cbranch_vccnz .LBB101_242
; %bb.239:                              ;   in Loop: Header=BB101_6 Depth=1
	s_and_saveexec_b32 s40, s5
; %bb.240:                              ;   in Loop: Header=BB101_6 Depth=1
	v_mov_b32_e32 v2, s22
	ds_store_b32 v17, v2 offset:4100
; %bb.241:                              ;   in Loop: Header=BB101_6 Depth=1
	s_or_b32 exec_lo, exec_lo, s40
	s_wait_dscnt 0x0
	s_barrier_signal -1
	s_barrier_wait -1
.LBB101_242:                            ;   in Loop: Header=BB101_6 Depth=1
	s_and_not1_saveexec_b32 s40, s58
; %bb.243:                              ;   in Loop: Header=BB101_6 Depth=1
	v_subrev_nc_u32_e32 v5, s22, v5
; %bb.244:                              ;   in Loop: Header=BB101_6 Depth=1
	s_or_b32 exec_lo, exec_lo, s40
	s_delay_alu instid0(VALU_DEP_1)
	v_dual_mov_b32 v2, 8 :: v_dual_mov_b32 v7, v5
.LBB101_245:                            ;   in Loop: Header=BB101_6 Depth=1
	s_or_b32 exec_lo, exec_lo, s46
	s_delay_alu instid0(VALU_DEP_1)
	v_mov_b32_e32 v5, v7
	s_mov_b32 s40, exec_lo
.LBB101_246:                            ;   in Loop: Header=BB101_6 Depth=1
	s_or_b32 exec_lo, exec_lo, s38
	s_delay_alu instid0(SALU_CYCLE_1)
	s_or_not1_b32 s38, s40, exec_lo
.LBB101_247:                            ;   in Loop: Header=BB101_6 Depth=1
	s_or_b32 exec_lo, exec_lo, s45
	v_mov_b32_e32 v7, v5
	s_and_not1_b32 s33, s33, exec_lo
	s_and_b32 s40, s57, exec_lo
	s_and_not1_b32 s31, s31, exec_lo
	s_and_b32 s41, s56, exec_lo
	s_or_b32 s33, s33, s40
	s_or_b32 s31, s31, s41
	s_and_b32 s46, s38, exec_lo
.LBB101_248:                            ;   in Loop: Header=BB101_6 Depth=1
	s_or_b32 exec_lo, exec_lo, s34
	s_delay_alu instid0(SALU_CYCLE_1)
	s_or_not1_b32 s34, s46, exec_lo
.LBB101_249:                            ;   in Loop: Header=BB101_6 Depth=1
	s_or_b32 exec_lo, exec_lo, s30
	v_mov_b32_e32 v5, v7
	s_and_not1_b32 s28, s28, exec_lo
	s_and_b32 s30, s33, exec_lo
	s_and_not1_b32 s23, s23, exec_lo
	s_and_b32 s31, s31, exec_lo
	s_or_b32 s28, s28, s30
	s_or_b32 s23, s23, s31
	s_and_b32 s33, s34, exec_lo
.LBB101_250:                            ;   in Loop: Header=BB101_6 Depth=1
	s_or_b32 exec_lo, exec_lo, s29
	s_delay_alu instid0(SALU_CYCLE_1)
	s_or_not1_b32 s29, s33, exec_lo
.LBB101_251:                            ;   in Loop: Header=BB101_6 Depth=1
	s_or_b32 exec_lo, exec_lo, s15
	s_mov_b32 s30, 0
	s_mov_b32 s31, 0
	s_and_saveexec_b32 s15, s29
	s_delay_alu instid0(SALU_CYCLE_1)
	s_xor_b32 s29, exec_lo, s15
; %bb.252:                              ;   in Loop: Header=BB101_6 Depth=1
	v_cmp_ne_u32_e32 vcc_lo, 8, v2
	v_cmp_eq_u32_e64 s15, 8, v2
	s_and_b32 s31, vcc_lo, exec_lo
	s_and_b32 s30, s15, exec_lo
; %bb.253:                              ;   in Loop: Header=BB101_6 Depth=1
	s_or_b32 exec_lo, exec_lo, s29
	s_delay_alu instid0(SALU_CYCLE_1)
	s_and_not1_b32 s15, s25, exec_lo
	s_and_b32 s25, s28, exec_lo
	s_and_not1_b32 s24, s24, exec_lo
	s_and_b32 s23, s23, exec_lo
	s_or_b32 s25, s15, s25
	s_or_b32 s24, s24, s23
	s_and_b32 s15, s31, exec_lo
	s_and_b32 s23, s30, exec_lo
.LBB101_254:                            ;   in Loop: Header=BB101_6 Depth=1
	s_or_b32 exec_lo, exec_lo, s27
.LBB101_255:                            ;   in Loop: Header=BB101_6 Depth=1
	s_delay_alu instid0(SALU_CYCLE_1)
	s_and_b32 vcc_lo, exec_lo, s26
	s_cbranch_vccz .LBB101_269
; %bb.256:                              ;   in Loop: Header=BB101_6 Depth=1
	s_cmp_eq_u32 s22, 1
	s_mov_b32 s25, -1
	s_cselect_b32 s16, -1, 0
                                        ; implicit-def: $sgpr26
	s_delay_alu instid0(SALU_CYCLE_1) | instskip(NEXT) | instid1(SALU_CYCLE_1)
	s_and_b32 s14, s16, s14
                                        ; implicit-def: $sgpr16
	s_and_saveexec_b32 s24, s14
	s_cbranch_execz .LBB101_285
; %bb.257:                              ;   in Loop: Header=BB101_6 Depth=1
	ds_load_b32 v2, v17 offset:4096
	s_wait_dscnt 0x0
	s_barrier_signal -1
	s_barrier_wait -1
	v_readfirstlane_b32 s27, v2
	s_and_saveexec_b32 s16, s6
; %bb.258:                              ;   in Loop: Header=BB101_6 Depth=1
	ds_store_b16 v23, v17
; %bb.259:                              ;   in Loop: Header=BB101_6 Depth=1
	s_or_b32 exec_lo, exec_lo, s16
	v_or_b32_e32 v28, s18, v28
	v_or_b32_e32 v38, s18, v38
	s_mov_b32 s16, -1
	s_mov_b32 s26, 0
	s_cmp_eq_u32 s27, 0
	s_mov_b32 s25, 0
	s_mov_b32 s28, -1
	s_wait_dscnt 0x0
	s_barrier_signal -1
	s_barrier_wait -1
                                        ; implicit-def: $vgpr39
	s_cbranch_scc1 .LBB101_272
; %bb.260:                              ;   in Loop: Header=BB101_6 Depth=1
	s_add_co_i32 s38, s27, s76
                                        ; implicit-def: $vgpr39
	s_delay_alu instid0(SALU_CYCLE_1) | instskip(NEXT) | instid1(SALU_CYCLE_1)
	s_mul_u64 s[28:29], s[38:39], s[64:65]
	s_mul_i32 s25, s29, s47
	s_mov_b32 s29, exec_lo
	s_sub_co_i32 s25, s38, s25
	s_delay_alu instid0(SALU_CYCLE_1) | instskip(SKIP_2) | instid1(SALU_CYCLE_1)
	s_sub_co_i32 s28, s25, s47
	s_cmp_ge_u32 s25, s47
	s_cselect_b32 s25, s28, s25
	s_sub_co_i32 s28, s25, s47
	s_cmp_ge_u32 s25, s47
	s_cselect_b32 s25, s28, s25
	s_mov_b32 s28, 0
	s_sub_co_i32 s30, s38, s25
	s_mov_b32 s25, 0
	v_cmpx_gt_u32_e64 s30, v0
	s_cbranch_execz .LBB101_271
; %bb.261:                              ;   in Loop: Header=BB101_6 Depth=1
	v_dual_mov_b32 v2, v22 :: v_dual_mov_b32 v3, v0
                                        ; implicit-def: $sgpr31
	s_branch .LBB101_265
.LBB101_262:                            ;   in Loop: Header=BB101_265 Depth=2
	s_or_b32 exec_lo, exec_lo, s33
	s_wait_dscnt 0x0
	s_barrier_signal -1
	s_barrier_wait -1
	ds_load_b32 v4, v17 offset:3072
	s_wait_dscnt 0x0
	s_barrier_signal -1
	s_barrier_wait -1
	v_cmp_neq_f16_e32 vcc_lo, 0, v4
	s_cbranch_vccnz .LBB101_268
; %bb.263:                              ;   in Loop: Header=BB101_265 Depth=2
	v_dual_add_nc_u32 v3, s47, v3 :: v_dual_add_nc_u32 v2, s92, v2
	s_mov_b32 s33, 0
	s_delay_alu instid0(VALU_DEP_1)
	v_cmp_le_u32_e32 vcc_lo, s30, v3
	s_or_not1_b32 s34, vcc_lo, exec_lo
.LBB101_264:                            ;   in Loop: Header=BB101_265 Depth=2
	s_delay_alu instid0(SALU_CYCLE_1) | instskip(NEXT) | instid1(SALU_CYCLE_1)
	s_and_b32 s34, exec_lo, s34
	s_or_b32 s25, s34, s25
	s_and_not1_b32 s31, s31, exec_lo
	s_and_b32 s33, s33, exec_lo
	s_delay_alu instid0(SALU_CYCLE_1)
	s_or_b32 s31, s31, s33
	s_and_not1_b32 exec_lo, exec_lo, s25
	s_cbranch_execz .LBB101_270
.LBB101_265:                            ;   Parent Loop BB101_6 Depth=1
                                        ; =>  This Inner Loop Header: Depth=2
	s_mov_b32 s33, exec_lo
	s_delay_alu instid0(VALU_DEP_1)
	v_cmpx_gt_u32_e64 s27, v3
	s_cbranch_execz .LBB101_262
; %bb.266:                              ;   in Loop: Header=BB101_265 Depth=2
	ds_load_u16 v4, v2
	s_wait_dscnt 0x0
	v_cmp_lt_i16_e32 vcc_lo, -1, v4
	v_and_b32_e32 v5, 0xffff, v4
	v_cndmask_b32_e32 v6, 0xffff, v37, vcc_lo
	v_cmp_o_f16_e32 vcc_lo, v4, v4
	s_delay_alu instid0(VALU_DEP_2) | instskip(NEXT) | instid1(VALU_DEP_1)
	v_xor_b32_e32 v5, v6, v5
	v_cndmask_b32_e32 v5, 0xffff, v5, vcc_lo
	s_delay_alu instid0(VALU_DEP_1) | instskip(NEXT) | instid1(VALU_DEP_1)
	v_and_b32_e32 v5, v5, v38
	v_cmp_eq_u32_e32 vcc_lo, v5, v28
	s_and_b32 exec_lo, exec_lo, vcc_lo
	s_cbranch_execz .LBB101_262
; %bb.267:                              ;   in Loop: Header=BB101_265 Depth=2
	v_perm_b32 v4, v4, s95, 0x5040100
	ds_store_b32 v17, v4 offset:3072
	s_branch .LBB101_262
.LBB101_268:                            ;   in Loop: Header=BB101_265 Depth=2
	s_mov_b32 s34, -1
	s_mov_b32 s33, -1
                                        ; implicit-def: $vgpr3
                                        ; implicit-def: $vgpr2
	s_branch .LBB101_264
.LBB101_269:                            ;   in Loop: Header=BB101_6 Depth=1
	v_dual_mov_b32 v28, v3 :: v_dual_mov_b32 v38, v4
	v_mov_b32_e32 v39, v6
	s_mov_b32 s26, 0
	s_and_saveexec_b32 s14, s23
	s_cbranch_execnz .LBB101_422
	s_branch .LBB101_423
.LBB101_270:                            ;   in Loop: Header=BB101_6 Depth=1
	s_or_b32 exec_lo, exec_lo, s25
	v_lshrrev_b32_e32 v39, 16, v4
	s_and_b32 s25, s31, exec_lo
.LBB101_271:                            ;   in Loop: Header=BB101_6 Depth=1
	s_or_b32 exec_lo, exec_lo, s29
.LBB101_272:                            ;   in Loop: Header=BB101_6 Depth=1
	s_delay_alu instid0(SALU_CYCLE_1)
	s_and_b32 vcc_lo, exec_lo, s28
	s_cbranch_vccz .LBB101_284
; %bb.273:                              ;   in Loop: Header=BB101_6 Depth=1
                                        ; implicit-def: $vgpr39
	s_and_saveexec_b32 s16, s13
	s_cbranch_execz .LBB101_283
; %bb.274:                              ;   in Loop: Header=BB101_6 Depth=1
	v_dual_mov_b32 v2, v18 :: v_dual_mov_b32 v3, v0
	s_mov_b32 s26, 0
                                        ; implicit-def: $sgpr27
	s_branch .LBB101_278
.LBB101_275:                            ;   in Loop: Header=BB101_278 Depth=2
	s_or_b32 exec_lo, exec_lo, s28
	s_wait_dscnt 0x0
	s_barrier_signal -1
	s_barrier_wait -1
	ds_load_b32 v4, v17 offset:3072
	s_wait_dscnt 0x0
	s_barrier_signal -1
	s_barrier_wait -1
	v_cmp_neq_f16_e32 vcc_lo, 0, v4
	s_cbranch_vccnz .LBB101_281
; %bb.276:                              ;   in Loop: Header=BB101_278 Depth=2
	v_dual_add_nc_u32 v3, s47, v3 :: v_dual_add_nc_u32 v2, s51, v2
	s_mov_b32 s28, 0
	s_delay_alu instid0(VALU_DEP_1)
	v_cmp_le_u32_e32 vcc_lo, s89, v3
	s_or_not1_b32 s29, vcc_lo, exec_lo
.LBB101_277:                            ;   in Loop: Header=BB101_278 Depth=2
	s_delay_alu instid0(SALU_CYCLE_1) | instskip(NEXT) | instid1(SALU_CYCLE_1)
	s_and_b32 s29, exec_lo, s29
	s_or_b32 s26, s29, s26
	s_and_not1_b32 s27, s27, exec_lo
	s_and_b32 s28, s28, exec_lo
	s_delay_alu instid0(SALU_CYCLE_1)
	s_or_b32 s27, s27, s28
	s_and_not1_b32 exec_lo, exec_lo, s26
	s_cbranch_execz .LBB101_282
.LBB101_278:                            ;   Parent Loop BB101_6 Depth=1
                                        ; =>  This Inner Loop Header: Depth=2
	s_mov_b32 s28, exec_lo
	s_delay_alu instid0(VALU_DEP_1)
	v_cmpx_gt_u32_e64 s36, v3
	s_cbranch_execz .LBB101_275
; %bb.279:                              ;   in Loop: Header=BB101_278 Depth=2
	v_readfirstlane_b32 s30, v12
	v_readfirstlane_b32 s31, v13
	global_load_u16 v4, v2, s[30:31] scale_offset
	s_wait_loadcnt 0x0
	v_cmp_lt_i16_e32 vcc_lo, -1, v4
	v_and_b32_e32 v5, 0xffff, v4
	v_cndmask_b32_e32 v6, 0xffff, v37, vcc_lo
	v_cmp_o_f16_e32 vcc_lo, v4, v4
	s_delay_alu instid0(VALU_DEP_2) | instskip(NEXT) | instid1(VALU_DEP_1)
	v_xor_b32_e32 v5, v6, v5
	v_cndmask_b32_e32 v5, 0xffff, v5, vcc_lo
	s_delay_alu instid0(VALU_DEP_1) | instskip(NEXT) | instid1(VALU_DEP_1)
	v_and_b32_e32 v5, v5, v38
	v_cmp_eq_u32_e32 vcc_lo, v5, v28
	s_and_b32 exec_lo, exec_lo, vcc_lo
	s_cbranch_execz .LBB101_275
; %bb.280:                              ;   in Loop: Header=BB101_278 Depth=2
	v_perm_b32 v4, v4, s95, 0x5040100
	ds_store_b32 v17, v4 offset:3072
	s_branch .LBB101_275
.LBB101_281:                            ;   in Loop: Header=BB101_278 Depth=2
	s_mov_b32 s29, -1
	s_mov_b32 s28, -1
                                        ; implicit-def: $vgpr3
                                        ; implicit-def: $vgpr2
	s_branch .LBB101_277
.LBB101_282:                            ;   in Loop: Header=BB101_6 Depth=1
	s_or_b32 exec_lo, exec_lo, s26
	s_delay_alu instid0(SALU_CYCLE_1)
	s_and_not1_b32 s25, s25, exec_lo
	s_and_b32 s26, s27, exec_lo
	v_lshrrev_b32_e32 v39, 16, v4
	s_or_b32 s25, s25, s26
.LBB101_283:                            ;   in Loop: Header=BB101_6 Depth=1
	s_or_b32 exec_lo, exec_lo, s16
	s_mov_b32 s16, 0
	s_mov_b32 s26, -1
.LBB101_284:                            ;   in Loop: Header=BB101_6 Depth=1
	s_or_not1_b32 s25, s25, exec_lo
.LBB101_285:                            ;   in Loop: Header=BB101_6 Depth=1
	s_or_b32 exec_lo, exec_lo, s24
                                        ; implicit-def: $vgpr5
                                        ; implicit-def: $vgpr2
	s_and_saveexec_b32 s24, s25
	s_cbranch_execz .LBB101_421
; %bb.286:                              ;   in Loop: Header=BB101_6 Depth=1
	v_dual_mov_b32 v5, 1 :: v_dual_mov_b32 v2, 1
	s_xor_b32 s25, s14, -1
	s_mov_b32 s28, 0
	s_and_saveexec_b32 s14, s25
	s_cbranch_execz .LBB101_295
; %bb.287:                              ;   in Loop: Header=BB101_6 Depth=1
	s_mov_b32 s25, exec_lo
	v_cmpx_ge_u32_e64 s22, v40
	s_xor_b32 s25, exec_lo, s25
	s_cbranch_execz .LBB101_292
; %bb.288:                              ;   in Loop: Header=BB101_6 Depth=1
	ds_load_b32 v2, v17 offset:4096
	v_or_b32_e32 v28, s18, v28
	v_or_b32_e32 v38, s18, v38
	s_wait_dscnt 0x0
	v_cmp_ne_u32_e32 vcc_lo, 0, v2
	s_cbranch_vccnz .LBB101_292
; %bb.289:                              ;   in Loop: Header=BB101_6 Depth=1
	s_and_saveexec_b32 s27, s5
; %bb.290:                              ;   in Loop: Header=BB101_6 Depth=1
	v_mov_b32_e32 v2, s22
	ds_store_b32 v17, v2 offset:4100
; %bb.291:                              ;   in Loop: Header=BB101_6 Depth=1
	s_or_b32 exec_lo, exec_lo, s27
	s_wait_dscnt 0x0
	s_barrier_signal -1
	s_barrier_wait -1
.LBB101_292:                            ;   in Loop: Header=BB101_6 Depth=1
	s_or_saveexec_b32 s25, s25
	v_mov_b32_e32 v2, 5
	s_mov_b32 s27, 0
	s_xor_b32 exec_lo, exec_lo, s25
; %bb.293:                              ;   in Loop: Header=BB101_6 Depth=1
	v_subrev_nc_u32_e32 v40, s22, v40
	v_mov_b32_e32 v2, 0
	s_mov_b32 s27, exec_lo
; %bb.294:                              ;   in Loop: Header=BB101_6 Depth=1
	s_or_b32 exec_lo, exec_lo, s25
	s_delay_alu instid0(VALU_DEP_2)
	v_mov_b32_e32 v5, v40
	s_and_b32 s28, s27, exec_lo
.LBB101_295:                            ;   in Loop: Header=BB101_6 Depth=1
	s_or_b32 exec_lo, exec_lo, s14
	s_mov_b32 s27, -1
                                        ; implicit-def: $sgpr22
                                        ; implicit-def: $sgpr25
	s_and_saveexec_b32 s14, s28
	s_delay_alu instid0(SALU_CYCLE_1)
	s_xor_b32 s14, exec_lo, s14
	s_cbranch_execz .LBB101_418
; %bb.296:                              ;   in Loop: Header=BB101_6 Depth=1
	v_cmp_eq_u32_e32 vcc_lo, 1, v5
	s_cmp_eq_u32 s21, 1
	s_mov_b32 s29, -1
	s_cselect_b32 s22, -1, 0
                                        ; implicit-def: $sgpr25
	s_delay_alu instid0(SALU_CYCLE_1) | instskip(NEXT) | instid1(SALU_CYCLE_1)
	s_and_b32 s28, s22, vcc_lo
                                        ; implicit-def: $sgpr22
	s_and_saveexec_b32 s27, s28
	s_cbranch_execz .LBB101_324
; %bb.297:                              ;   in Loop: Header=BB101_6 Depth=1
	ds_load_b32 v3, v17 offset:4096
	s_wait_dscnt 0x0
	s_barrier_signal -1
	s_barrier_wait -1
	v_readfirstlane_b32 s30, v3
	s_and_saveexec_b32 s22, s6
; %bb.298:                              ;   in Loop: Header=BB101_6 Depth=1
	ds_store_b16 v23, v17
; %bb.299:                              ;   in Loop: Header=BB101_6 Depth=1
	s_or_b32 exec_lo, exec_lo, s22
	s_lshl_b32 s22, 2, s93
	v_or_b32_e32 v38, s18, v38
	v_and_or_b32 v28, v28, s19, s22
	s_mov_b32 s22, -1
	s_mov_b32 s25, 0
	s_cmp_eq_u32 s30, 0
	s_mov_b32 s29, 0
	s_mov_b32 s31, -1
	s_wait_dscnt 0x0
	s_barrier_signal -1
	s_barrier_wait -1
                                        ; implicit-def: $vgpr39
	s_cbranch_scc1 .LBB101_311
; %bb.300:                              ;   in Loop: Header=BB101_6 Depth=1
	s_add_co_i32 s38, s30, s76
	s_mov_b32 s33, exec_lo
	s_mul_u64 s[40:41], s[38:39], s[64:65]
                                        ; implicit-def: $vgpr39
	s_delay_alu instid0(SALU_CYCLE_1) | instskip(NEXT) | instid1(SALU_CYCLE_1)
	s_mul_i32 s29, s41, s47
	s_sub_co_i32 s29, s38, s29
	s_delay_alu instid0(SALU_CYCLE_1) | instskip(SKIP_2) | instid1(SALU_CYCLE_1)
	s_sub_co_i32 s31, s29, s47
	s_cmp_ge_u32 s29, s47
	s_cselect_b32 s29, s31, s29
	s_sub_co_i32 s31, s29, s47
	s_cmp_ge_u32 s29, s47
	s_cselect_b32 s29, s31, s29
	s_mov_b32 s31, 0
	s_sub_co_i32 s34, s38, s29
	s_mov_b32 s29, 0
	v_cmpx_gt_u32_e64 s34, v0
	s_cbranch_execz .LBB101_310
; %bb.301:                              ;   in Loop: Header=BB101_6 Depth=1
	v_dual_mov_b32 v3, v22 :: v_dual_mov_b32 v4, v0
                                        ; implicit-def: $sgpr38
	s_branch .LBB101_305
.LBB101_302:                            ;   in Loop: Header=BB101_305 Depth=2
	s_or_b32 exec_lo, exec_lo, s40
	s_wait_dscnt 0x0
	s_barrier_signal -1
	s_barrier_wait -1
	ds_load_b32 v6, v17 offset:3072
	s_wait_dscnt 0x0
	s_barrier_signal -1
	s_barrier_wait -1
	v_cmp_neq_f16_e32 vcc_lo, 0, v6
	s_cbranch_vccnz .LBB101_308
; %bb.303:                              ;   in Loop: Header=BB101_305 Depth=2
	v_dual_add_nc_u32 v4, s47, v4 :: v_dual_add_nc_u32 v3, s92, v3
	s_mov_b32 s40, 0
	s_delay_alu instid0(VALU_DEP_1)
	v_cmp_le_u32_e32 vcc_lo, s34, v4
	s_or_not1_b32 s41, vcc_lo, exec_lo
.LBB101_304:                            ;   in Loop: Header=BB101_305 Depth=2
	s_delay_alu instid0(SALU_CYCLE_1) | instskip(NEXT) | instid1(SALU_CYCLE_1)
	s_and_b32 s41, exec_lo, s41
	s_or_b32 s29, s41, s29
	s_and_not1_b32 s38, s38, exec_lo
	s_and_b32 s40, s40, exec_lo
	s_delay_alu instid0(SALU_CYCLE_1)
	s_or_b32 s38, s38, s40
	s_and_not1_b32 exec_lo, exec_lo, s29
	s_cbranch_execz .LBB101_309
.LBB101_305:                            ;   Parent Loop BB101_6 Depth=1
                                        ; =>  This Inner Loop Header: Depth=2
	s_mov_b32 s40, exec_lo
	s_delay_alu instid0(VALU_DEP_1)
	v_cmpx_gt_u32_e64 s30, v4
	s_cbranch_execz .LBB101_302
; %bb.306:                              ;   in Loop: Header=BB101_305 Depth=2
	ds_load_u16 v6, v3
	s_wait_dscnt 0x0
	v_cmp_lt_i16_e32 vcc_lo, -1, v6
	v_and_b32_e32 v7, 0xffff, v6
	v_cndmask_b32_e32 v8, 0xffff, v37, vcc_lo
	v_cmp_o_f16_e32 vcc_lo, v6, v6
	s_delay_alu instid0(VALU_DEP_2) | instskip(NEXT) | instid1(VALU_DEP_1)
	v_xor_b32_e32 v7, v8, v7
	v_cndmask_b32_e32 v7, 0xffff, v7, vcc_lo
	s_delay_alu instid0(VALU_DEP_1) | instskip(NEXT) | instid1(VALU_DEP_1)
	v_and_b32_e32 v7, v7, v38
	v_cmp_eq_u32_e32 vcc_lo, v7, v28
	s_and_b32 exec_lo, exec_lo, vcc_lo
	s_cbranch_execz .LBB101_302
; %bb.307:                              ;   in Loop: Header=BB101_305 Depth=2
	v_perm_b32 v6, v6, s95, 0x5040100
	ds_store_b32 v17, v6 offset:3072
	s_branch .LBB101_302
.LBB101_308:                            ;   in Loop: Header=BB101_305 Depth=2
	s_mov_b32 s41, -1
	s_mov_b32 s40, -1
                                        ; implicit-def: $vgpr4
                                        ; implicit-def: $vgpr3
	s_branch .LBB101_304
.LBB101_309:                            ;   in Loop: Header=BB101_6 Depth=1
	s_or_b32 exec_lo, exec_lo, s29
	v_lshrrev_b32_e32 v39, 16, v6
	s_and_b32 s29, s38, exec_lo
.LBB101_310:                            ;   in Loop: Header=BB101_6 Depth=1
	s_or_b32 exec_lo, exec_lo, s33
.LBB101_311:                            ;   in Loop: Header=BB101_6 Depth=1
	s_delay_alu instid0(SALU_CYCLE_1)
	s_and_b32 vcc_lo, exec_lo, s31
	s_cbranch_vccz .LBB101_323
; %bb.312:                              ;   in Loop: Header=BB101_6 Depth=1
                                        ; implicit-def: $vgpr39
	s_and_saveexec_b32 s22, s13
	s_cbranch_execz .LBB101_322
; %bb.313:                              ;   in Loop: Header=BB101_6 Depth=1
	v_dual_mov_b32 v3, v18 :: v_dual_mov_b32 v4, v0
	s_mov_b32 s25, 0
                                        ; implicit-def: $sgpr30
	s_branch .LBB101_317
.LBB101_314:                            ;   in Loop: Header=BB101_317 Depth=2
	s_or_b32 exec_lo, exec_lo, s31
	s_wait_dscnt 0x0
	s_barrier_signal -1
	s_barrier_wait -1
	ds_load_b32 v6, v17 offset:3072
	s_wait_dscnt 0x0
	s_barrier_signal -1
	s_barrier_wait -1
	v_cmp_eq_f16_e32 vcc_lo, 0, v6
	s_cbranch_vccz .LBB101_320
; %bb.315:                              ;   in Loop: Header=BB101_317 Depth=2
	v_dual_add_nc_u32 v4, s47, v4 :: v_dual_add_nc_u32 v3, s51, v3
	s_mov_b32 s31, 0
	s_delay_alu instid0(VALU_DEP_1)
	v_cmp_le_u32_e32 vcc_lo, s89, v4
	s_or_not1_b32 s33, vcc_lo, exec_lo
.LBB101_316:                            ;   in Loop: Header=BB101_317 Depth=2
	s_delay_alu instid0(SALU_CYCLE_1) | instskip(NEXT) | instid1(SALU_CYCLE_1)
	s_and_b32 s33, exec_lo, s33
	s_or_b32 s25, s33, s25
	s_and_not1_b32 s30, s30, exec_lo
	s_and_b32 s31, s31, exec_lo
	s_delay_alu instid0(SALU_CYCLE_1)
	s_or_b32 s30, s30, s31
	s_and_not1_b32 exec_lo, exec_lo, s25
	s_cbranch_execz .LBB101_321
.LBB101_317:                            ;   Parent Loop BB101_6 Depth=1
                                        ; =>  This Inner Loop Header: Depth=2
	s_mov_b32 s31, exec_lo
	s_delay_alu instid0(VALU_DEP_1)
	v_cmpx_gt_u32_e64 s36, v4
	s_cbranch_execz .LBB101_314
; %bb.318:                              ;   in Loop: Header=BB101_317 Depth=2
	v_readfirstlane_b32 s40, v12
	v_readfirstlane_b32 s41, v13
	global_load_u16 v6, v3, s[40:41] scale_offset
	s_wait_loadcnt 0x0
	v_cmp_lt_i16_e32 vcc_lo, -1, v6
	v_and_b32_e32 v7, 0xffff, v6
	v_cndmask_b32_e32 v8, 0xffff, v37, vcc_lo
	v_cmp_o_f16_e32 vcc_lo, v6, v6
	s_delay_alu instid0(VALU_DEP_2) | instskip(NEXT) | instid1(VALU_DEP_1)
	v_xor_b32_e32 v7, v8, v7
	v_cndmask_b32_e32 v7, 0xffff, v7, vcc_lo
	s_delay_alu instid0(VALU_DEP_1) | instskip(NEXT) | instid1(VALU_DEP_1)
	v_and_b32_e32 v7, v7, v38
	v_cmp_eq_u32_e32 vcc_lo, v7, v28
	s_and_b32 exec_lo, exec_lo, vcc_lo
	s_cbranch_execz .LBB101_314
; %bb.319:                              ;   in Loop: Header=BB101_317 Depth=2
	v_perm_b32 v6, v6, s95, 0x5040100
	ds_store_b32 v17, v6 offset:3072
	s_branch .LBB101_314
.LBB101_320:                            ;   in Loop: Header=BB101_317 Depth=2
	s_mov_b32 s33, -1
	s_mov_b32 s31, -1
                                        ; implicit-def: $vgpr4
                                        ; implicit-def: $vgpr3
	s_branch .LBB101_316
.LBB101_321:                            ;   in Loop: Header=BB101_6 Depth=1
	s_or_b32 exec_lo, exec_lo, s25
	v_lshrrev_b32_e32 v39, 16, v6
	s_and_not1_b32 s25, s29, exec_lo
	s_and_b32 s29, s30, exec_lo
	s_delay_alu instid0(SALU_CYCLE_1)
	s_or_b32 s29, s25, s29
.LBB101_322:                            ;   in Loop: Header=BB101_6 Depth=1
	s_or_b32 exec_lo, exec_lo, s22
	s_mov_b32 s22, 0
	s_mov_b32 s25, -1
.LBB101_323:                            ;   in Loop: Header=BB101_6 Depth=1
	s_or_not1_b32 s29, s29, exec_lo
.LBB101_324:                            ;   in Loop: Header=BB101_6 Depth=1
	s_or_b32 exec_lo, exec_lo, s27
	s_mov_b32 s30, 0
	s_and_saveexec_b32 s27, s29
	s_cbranch_execz .LBB101_417
; %bb.325:                              ;   in Loop: Header=BB101_6 Depth=1
	v_dual_mov_b32 v3, 1 :: v_dual_mov_b32 v2, 1
	s_xor_b32 s29, s28, -1
	s_mov_b32 s31, 0
	s_and_saveexec_b32 s28, s29
	s_cbranch_execz .LBB101_334
; %bb.326:                              ;   in Loop: Header=BB101_6 Depth=1
	s_mov_b32 s29, exec_lo
	v_cmpx_ge_u32_e64 s21, v5
	s_xor_b32 s29, exec_lo, s29
	s_cbranch_execz .LBB101_331
; %bb.327:                              ;   in Loop: Header=BB101_6 Depth=1
	ds_load_b32 v2, v17 offset:4096
	s_lshl_b32 s30, 2, s93
	v_or_b32_e32 v38, s18, v38
	v_and_or_b32 v28, v28, s19, s30
	s_wait_dscnt 0x0
	v_cmp_ne_u32_e32 vcc_lo, 0, v2
	s_cbranch_vccnz .LBB101_331
; %bb.328:                              ;   in Loop: Header=BB101_6 Depth=1
	s_and_saveexec_b32 s30, s5
; %bb.329:                              ;   in Loop: Header=BB101_6 Depth=1
	v_mov_b32_e32 v2, s21
	ds_store_b32 v17, v2 offset:4100
; %bb.330:                              ;   in Loop: Header=BB101_6 Depth=1
	s_or_b32 exec_lo, exec_lo, s30
	s_wait_dscnt 0x0
	s_barrier_signal -1
	s_barrier_wait -1
.LBB101_331:                            ;   in Loop: Header=BB101_6 Depth=1
	s_or_saveexec_b32 s29, s29
	v_mov_b32_e32 v2, 5
	s_mov_b32 s30, 0
	s_xor_b32 exec_lo, exec_lo, s29
; %bb.332:                              ;   in Loop: Header=BB101_6 Depth=1
	v_subrev_nc_u32_e32 v5, s21, v5
	v_mov_b32_e32 v2, 0
	s_mov_b32 s30, exec_lo
; %bb.333:                              ;   in Loop: Header=BB101_6 Depth=1
	s_or_b32 exec_lo, exec_lo, s29
	s_delay_alu instid0(VALU_DEP_2)
	v_mov_b32_e32 v3, v5
	s_and_b32 s31, s30, exec_lo
.LBB101_334:                            ;   in Loop: Header=BB101_6 Depth=1
	s_or_b32 exec_lo, exec_lo, s28
	s_mov_b32 s30, -1
                                        ; implicit-def: $sgpr28
                                        ; implicit-def: $sgpr29
	s_and_saveexec_b32 s21, s31
	s_cbranch_execz .LBB101_416
; %bb.335:                              ;   in Loop: Header=BB101_6 Depth=1
	v_cmp_eq_u32_e32 vcc_lo, 1, v3
	s_cmp_eq_u32 s20, 1
	s_mov_b32 s33, -1
	s_cselect_b32 s28, -1, 0
                                        ; implicit-def: $sgpr29
	s_delay_alu instid0(SALU_CYCLE_1) | instskip(NEXT) | instid1(SALU_CYCLE_1)
	s_and_b32 s31, s28, vcc_lo
                                        ; implicit-def: $sgpr28
	s_and_saveexec_b32 s30, s31
	s_cbranch_execz .LBB101_363
; %bb.336:                              ;   in Loop: Header=BB101_6 Depth=1
	ds_load_b32 v4, v17 offset:4096
	s_wait_dscnt 0x0
	s_barrier_signal -1
	s_barrier_wait -1
	v_readfirstlane_b32 s34, v4
	s_and_saveexec_b32 s28, s6
; %bb.337:                              ;   in Loop: Header=BB101_6 Depth=1
	ds_store_b16 v23, v17
; %bb.338:                              ;   in Loop: Header=BB101_6 Depth=1
	s_or_b32 exec_lo, exec_lo, s28
	s_lshl_b32 s28, 1, s93
	v_or_b32_e32 v38, s18, v38
	v_and_or_b32 v28, v28, s19, s28
	s_mov_b32 s28, -1
	s_mov_b32 s29, 0
	s_cmp_eq_u32 s34, 0
	s_mov_b32 s33, 0
	s_mov_b32 s38, -1
	s_wait_dscnt 0x0
	s_barrier_signal -1
	s_barrier_wait -1
                                        ; implicit-def: $vgpr39
	s_cbranch_scc1 .LBB101_350
; %bb.339:                              ;   in Loop: Header=BB101_6 Depth=1
	s_add_co_i32 s38, s34, s76
	s_mov_b32 s45, exec_lo
	s_mul_u64 s[40:41], s[38:39], s[64:65]
                                        ; implicit-def: $vgpr39
	s_delay_alu instid0(SALU_CYCLE_1) | instskip(NEXT) | instid1(SALU_CYCLE_1)
	s_mul_i32 s33, s41, s47
	s_sub_co_i32 s33, s38, s33
	s_delay_alu instid0(SALU_CYCLE_1) | instskip(SKIP_2) | instid1(SALU_CYCLE_1)
	s_sub_co_i32 s40, s33, s47
	s_cmp_ge_u32 s33, s47
	s_cselect_b32 s33, s40, s33
	s_sub_co_i32 s40, s33, s47
	s_cmp_ge_u32 s33, s47
	s_cselect_b32 s33, s40, s33
	s_delay_alu instid0(SALU_CYCLE_1)
	s_sub_co_i32 s46, s38, s33
	s_mov_b32 s38, 0
	s_mov_b32 s33, 0
	v_cmpx_gt_u32_e64 s46, v0
	s_cbranch_execz .LBB101_349
; %bb.340:                              ;   in Loop: Header=BB101_6 Depth=1
	v_dual_mov_b32 v4, v22 :: v_dual_mov_b32 v5, v0
                                        ; implicit-def: $sgpr56
	s_branch .LBB101_344
.LBB101_341:                            ;   in Loop: Header=BB101_344 Depth=2
	s_or_b32 exec_lo, exec_lo, s57
	s_wait_dscnt 0x0
	s_barrier_signal -1
	s_barrier_wait -1
	ds_load_b32 v6, v17 offset:3072
	s_wait_dscnt 0x0
	s_barrier_signal -1
	s_barrier_wait -1
	v_cmp_neq_f16_e32 vcc_lo, 0, v6
	s_cbranch_vccnz .LBB101_347
; %bb.342:                              ;   in Loop: Header=BB101_344 Depth=2
	v_dual_add_nc_u32 v5, s47, v5 :: v_dual_add_nc_u32 v4, s92, v4
	s_mov_b32 s40, 0
	s_delay_alu instid0(VALU_DEP_1)
	v_cmp_le_u32_e32 vcc_lo, s46, v5
	s_or_not1_b32 s41, vcc_lo, exec_lo
.LBB101_343:                            ;   in Loop: Header=BB101_344 Depth=2
	s_delay_alu instid0(SALU_CYCLE_1) | instskip(NEXT) | instid1(SALU_CYCLE_1)
	s_and_b32 s41, exec_lo, s41
	s_or_b32 s33, s41, s33
	s_and_not1_b32 s41, s56, exec_lo
	s_and_b32 s40, s40, exec_lo
	s_delay_alu instid0(SALU_CYCLE_1)
	s_or_b32 s56, s41, s40
	s_and_not1_b32 exec_lo, exec_lo, s33
	s_cbranch_execz .LBB101_348
.LBB101_344:                            ;   Parent Loop BB101_6 Depth=1
                                        ; =>  This Inner Loop Header: Depth=2
	s_mov_b32 s57, exec_lo
	s_delay_alu instid0(VALU_DEP_1)
	v_cmpx_gt_u32_e64 s34, v5
	s_cbranch_execz .LBB101_341
; %bb.345:                              ;   in Loop: Header=BB101_344 Depth=2
	ds_load_u16 v6, v4
	s_wait_dscnt 0x0
	v_cmp_lt_i16_e32 vcc_lo, -1, v6
	v_and_b32_e32 v7, 0xffff, v6
	v_cndmask_b32_e32 v8, 0xffff, v37, vcc_lo
	v_cmp_o_f16_e32 vcc_lo, v6, v6
	s_delay_alu instid0(VALU_DEP_2) | instskip(NEXT) | instid1(VALU_DEP_1)
	v_xor_b32_e32 v7, v8, v7
	v_cndmask_b32_e32 v7, 0xffff, v7, vcc_lo
	s_delay_alu instid0(VALU_DEP_1) | instskip(NEXT) | instid1(VALU_DEP_1)
	v_and_b32_e32 v7, v7, v38
	v_cmp_eq_u32_e32 vcc_lo, v7, v28
	s_and_b32 exec_lo, exec_lo, vcc_lo
	s_cbranch_execz .LBB101_341
; %bb.346:                              ;   in Loop: Header=BB101_344 Depth=2
	v_perm_b32 v6, v6, s95, 0x5040100
	ds_store_b32 v17, v6 offset:3072
	s_branch .LBB101_341
.LBB101_347:                            ;   in Loop: Header=BB101_344 Depth=2
	s_mov_b32 s41, -1
	s_mov_b32 s40, -1
                                        ; implicit-def: $vgpr5
                                        ; implicit-def: $vgpr4
	s_branch .LBB101_343
.LBB101_348:                            ;   in Loop: Header=BB101_6 Depth=1
	s_or_b32 exec_lo, exec_lo, s33
	v_lshrrev_b32_e32 v39, 16, v6
	s_and_b32 s33, s56, exec_lo
.LBB101_349:                            ;   in Loop: Header=BB101_6 Depth=1
	s_or_b32 exec_lo, exec_lo, s45
.LBB101_350:                            ;   in Loop: Header=BB101_6 Depth=1
	s_delay_alu instid0(SALU_CYCLE_1)
	s_and_b32 vcc_lo, exec_lo, s38
	s_cbranch_vccz .LBB101_362
; %bb.351:                              ;   in Loop: Header=BB101_6 Depth=1
                                        ; implicit-def: $vgpr39
	s_and_saveexec_b32 s28, s13
	s_cbranch_execz .LBB101_361
; %bb.352:                              ;   in Loop: Header=BB101_6 Depth=1
	v_dual_mov_b32 v4, v18 :: v_dual_mov_b32 v5, v0
	s_mov_b32 s29, 0
                                        ; implicit-def: $sgpr34
	s_branch .LBB101_356
.LBB101_353:                            ;   in Loop: Header=BB101_356 Depth=2
	s_or_b32 exec_lo, exec_lo, s38
	s_wait_dscnt 0x0
	s_barrier_signal -1
	s_barrier_wait -1
	ds_load_b32 v6, v17 offset:3072
	s_wait_dscnt 0x0
	s_barrier_signal -1
	s_barrier_wait -1
	v_cmp_eq_f16_e32 vcc_lo, 0, v6
	s_cbranch_vccz .LBB101_359
; %bb.354:                              ;   in Loop: Header=BB101_356 Depth=2
	v_dual_add_nc_u32 v5, s47, v5 :: v_dual_add_nc_u32 v4, s51, v4
	s_mov_b32 s38, 0
	s_delay_alu instid0(VALU_DEP_1)
	v_cmp_le_u32_e32 vcc_lo, s89, v5
	s_or_not1_b32 s40, vcc_lo, exec_lo
.LBB101_355:                            ;   in Loop: Header=BB101_356 Depth=2
	s_delay_alu instid0(SALU_CYCLE_1) | instskip(NEXT) | instid1(SALU_CYCLE_1)
	s_and_b32 s40, exec_lo, s40
	s_or_b32 s29, s40, s29
	s_and_not1_b32 s34, s34, exec_lo
	s_and_b32 s38, s38, exec_lo
	s_delay_alu instid0(SALU_CYCLE_1)
	s_or_b32 s34, s34, s38
	s_and_not1_b32 exec_lo, exec_lo, s29
	s_cbranch_execz .LBB101_360
.LBB101_356:                            ;   Parent Loop BB101_6 Depth=1
                                        ; =>  This Inner Loop Header: Depth=2
	s_mov_b32 s38, exec_lo
	s_delay_alu instid0(VALU_DEP_1)
	v_cmpx_gt_u32_e64 s36, v5
	s_cbranch_execz .LBB101_353
; %bb.357:                              ;   in Loop: Header=BB101_356 Depth=2
	v_readfirstlane_b32 s40, v12
	v_readfirstlane_b32 s41, v13
	global_load_u16 v6, v4, s[40:41] scale_offset
	s_wait_loadcnt 0x0
	v_cmp_lt_i16_e32 vcc_lo, -1, v6
	v_and_b32_e32 v7, 0xffff, v6
	v_cndmask_b32_e32 v8, 0xffff, v37, vcc_lo
	v_cmp_o_f16_e32 vcc_lo, v6, v6
	s_delay_alu instid0(VALU_DEP_2) | instskip(NEXT) | instid1(VALU_DEP_1)
	v_xor_b32_e32 v7, v8, v7
	v_cndmask_b32_e32 v7, 0xffff, v7, vcc_lo
	s_delay_alu instid0(VALU_DEP_1) | instskip(NEXT) | instid1(VALU_DEP_1)
	v_and_b32_e32 v7, v7, v38
	v_cmp_eq_u32_e32 vcc_lo, v7, v28
	s_and_b32 exec_lo, exec_lo, vcc_lo
	s_cbranch_execz .LBB101_353
; %bb.358:                              ;   in Loop: Header=BB101_356 Depth=2
	v_perm_b32 v6, v6, s95, 0x5040100
	ds_store_b32 v17, v6 offset:3072
	s_branch .LBB101_353
.LBB101_359:                            ;   in Loop: Header=BB101_356 Depth=2
	s_mov_b32 s40, -1
	s_mov_b32 s38, -1
                                        ; implicit-def: $vgpr5
                                        ; implicit-def: $vgpr4
	s_branch .LBB101_355
.LBB101_360:                            ;   in Loop: Header=BB101_6 Depth=1
	s_or_b32 exec_lo, exec_lo, s29
	v_lshrrev_b32_e32 v39, 16, v6
	s_and_not1_b32 s29, s33, exec_lo
	s_and_b32 s33, s34, exec_lo
	s_delay_alu instid0(SALU_CYCLE_1)
	s_or_b32 s33, s29, s33
.LBB101_361:                            ;   in Loop: Header=BB101_6 Depth=1
	s_or_b32 exec_lo, exec_lo, s28
	s_mov_b32 s28, 0
	s_mov_b32 s29, -1
.LBB101_362:                            ;   in Loop: Header=BB101_6 Depth=1
	s_or_not1_b32 s33, s33, exec_lo
.LBB101_363:                            ;   in Loop: Header=BB101_6 Depth=1
	s_or_b32 exec_lo, exec_lo, s30
	s_mov_b32 s34, 0
	s_and_saveexec_b32 s30, s33
	s_cbranch_execz .LBB101_415
; %bb.364:                              ;   in Loop: Header=BB101_6 Depth=1
	v_dual_mov_b32 v4, 1 :: v_dual_mov_b32 v2, 1
	s_xor_b32 s33, s31, -1
	s_mov_b32 s38, 0
	s_and_saveexec_b32 s31, s33
	s_cbranch_execz .LBB101_373
; %bb.365:                              ;   in Loop: Header=BB101_6 Depth=1
	s_mov_b32 s33, exec_lo
	v_cmpx_ge_u32_e64 s20, v3
	s_xor_b32 s33, exec_lo, s33
	s_cbranch_execz .LBB101_370
; %bb.366:                              ;   in Loop: Header=BB101_6 Depth=1
	ds_load_b32 v2, v17 offset:4096
	s_lshl_b32 s34, 1, s93
	v_or_b32_e32 v38, s18, v38
	v_and_or_b32 v28, v28, s19, s34
	s_wait_dscnt 0x0
	v_cmp_ne_u32_e32 vcc_lo, 0, v2
	s_cbranch_vccnz .LBB101_370
; %bb.367:                              ;   in Loop: Header=BB101_6 Depth=1
	s_and_saveexec_b32 s34, s5
; %bb.368:                              ;   in Loop: Header=BB101_6 Depth=1
	v_mov_b32_e32 v2, s20
	ds_store_b32 v17, v2 offset:4100
; %bb.369:                              ;   in Loop: Header=BB101_6 Depth=1
	s_or_b32 exec_lo, exec_lo, s34
	s_wait_dscnt 0x0
	s_barrier_signal -1
	s_barrier_wait -1
.LBB101_370:                            ;   in Loop: Header=BB101_6 Depth=1
	s_or_saveexec_b32 s33, s33
	v_mov_b32_e32 v2, 5
	s_mov_b32 s34, 0
	s_xor_b32 exec_lo, exec_lo, s33
; %bb.371:                              ;   in Loop: Header=BB101_6 Depth=1
	v_subrev_nc_u32_e32 v3, s20, v3
	v_mov_b32_e32 v2, 0
	s_mov_b32 s34, exec_lo
; %bb.372:                              ;   in Loop: Header=BB101_6 Depth=1
	s_or_b32 exec_lo, exec_lo, s33
	s_delay_alu instid0(VALU_DEP_2)
	v_mov_b32_e32 v4, v3
	s_and_b32 s38, s34, exec_lo
.LBB101_373:                            ;   in Loop: Header=BB101_6 Depth=1
	s_or_b32 exec_lo, exec_lo, s31
	s_mov_b32 s31, -1
                                        ; implicit-def: $sgpr34
                                        ; implicit-def: $sgpr33
	s_and_saveexec_b32 s20, s38
	s_cbranch_execz .LBB101_414
; %bb.374:                              ;   in Loop: Header=BB101_6 Depth=1
	v_cmp_eq_u32_e32 vcc_lo, 1, v4
	s_cmp_eq_u32 s17, 1
	s_mov_b32 s46, -1
	s_cselect_b32 s31, -1, 0
                                        ; implicit-def: $sgpr34
                                        ; implicit-def: $sgpr33
	s_delay_alu instid0(SALU_CYCLE_1) | instskip(NEXT) | instid1(SALU_CYCLE_1)
	s_and_b32 s31, s31, vcc_lo
	s_and_saveexec_b32 s45, s31
	s_cbranch_execz .LBB101_402
; %bb.375:                              ;   in Loop: Header=BB101_6 Depth=1
	ds_load_b32 v3, v17 offset:4096
	s_wait_dscnt 0x0
	s_barrier_signal -1
	s_barrier_wait -1
	v_readfirstlane_b32 s46, v3
	s_and_saveexec_b32 s33, s6
; %bb.376:                              ;   in Loop: Header=BB101_6 Depth=1
	ds_store_b16 v23, v17
; %bb.377:                              ;   in Loop: Header=BB101_6 Depth=1
	s_or_b32 exec_lo, exec_lo, s33
	v_and_b32_e32 v28, s19, v28
	v_or_b32_e32 v38, s18, v38
	s_mov_b32 s33, -1
	s_mov_b32 s34, 0
	s_cmp_eq_u32 s46, 0
	s_mov_b32 s38, 0
	s_mov_b32 s56, -1
	s_wait_dscnt 0x0
	s_barrier_signal -1
	s_barrier_wait -1
                                        ; implicit-def: $vgpr39
	s_cbranch_scc1 .LBB101_389
; %bb.378:                              ;   in Loop: Header=BB101_6 Depth=1
	s_add_co_i32 s38, s46, s76
	s_mov_b32 s56, 0
	s_mul_u64 s[40:41], s[38:39], s[64:65]
	s_mov_b32 s57, exec_lo
	s_mul_i32 s40, s41, s47
                                        ; implicit-def: $vgpr39
	s_delay_alu instid0(SALU_CYCLE_1) | instskip(NEXT) | instid1(SALU_CYCLE_1)
	s_sub_co_i32 s40, s38, s40
	s_sub_co_i32 s41, s40, s47
	s_cmp_ge_u32 s40, s47
	s_cselect_b32 s40, s41, s40
	s_delay_alu instid0(SALU_CYCLE_1) | instskip(SKIP_2) | instid1(SALU_CYCLE_1)
	s_sub_co_i32 s41, s40, s47
	s_cmp_ge_u32 s40, s47
	s_cselect_b32 s40, s41, s40
	s_sub_co_i32 s68, s38, s40
	s_mov_b32 s38, 0
	v_cmpx_gt_u32_e64 s68, v0
	s_cbranch_execz .LBB101_388
; %bb.379:                              ;   in Loop: Header=BB101_6 Depth=1
	v_dual_mov_b32 v3, v22 :: v_dual_mov_b32 v5, v0
                                        ; implicit-def: $sgpr58
	s_branch .LBB101_383
.LBB101_380:                            ;   in Loop: Header=BB101_383 Depth=2
	s_or_b32 exec_lo, exec_lo, s59
	s_wait_dscnt 0x0
	s_barrier_signal -1
	s_barrier_wait -1
	ds_load_b32 v6, v17 offset:3072
	s_wait_dscnt 0x0
	s_barrier_signal -1
	s_barrier_wait -1
	v_cmp_neq_f16_e32 vcc_lo, 0, v6
	s_cbranch_vccnz .LBB101_386
; %bb.381:                              ;   in Loop: Header=BB101_383 Depth=2
	v_dual_add_nc_u32 v5, s47, v5 :: v_dual_add_nc_u32 v3, s92, v3
	s_mov_b32 s40, 0
	s_delay_alu instid0(VALU_DEP_1)
	v_cmp_le_u32_e32 vcc_lo, s68, v5
	s_or_not1_b32 s41, vcc_lo, exec_lo
.LBB101_382:                            ;   in Loop: Header=BB101_383 Depth=2
	s_delay_alu instid0(SALU_CYCLE_1) | instskip(NEXT) | instid1(SALU_CYCLE_1)
	s_and_b32 s41, exec_lo, s41
	s_or_b32 s38, s41, s38
	s_and_not1_b32 s41, s58, exec_lo
	s_and_b32 s40, s40, exec_lo
	s_delay_alu instid0(SALU_CYCLE_1)
	s_or_b32 s58, s41, s40
	s_and_not1_b32 exec_lo, exec_lo, s38
	s_cbranch_execz .LBB101_387
.LBB101_383:                            ;   Parent Loop BB101_6 Depth=1
                                        ; =>  This Inner Loop Header: Depth=2
	s_mov_b32 s59, exec_lo
	s_delay_alu instid0(VALU_DEP_1)
	v_cmpx_gt_u32_e64 s46, v5
	s_cbranch_execz .LBB101_380
; %bb.384:                              ;   in Loop: Header=BB101_383 Depth=2
	ds_load_u16 v6, v3
	s_wait_dscnt 0x0
	v_cmp_lt_i16_e32 vcc_lo, -1, v6
	v_and_b32_e32 v7, 0xffff, v6
	v_cndmask_b32_e32 v8, 0xffff, v37, vcc_lo
	v_cmp_o_f16_e32 vcc_lo, v6, v6
	s_delay_alu instid0(VALU_DEP_2) | instskip(NEXT) | instid1(VALU_DEP_1)
	v_xor_b32_e32 v7, v8, v7
	v_cndmask_b32_e32 v7, 0xffff, v7, vcc_lo
	s_delay_alu instid0(VALU_DEP_1) | instskip(NEXT) | instid1(VALU_DEP_1)
	v_and_b32_e32 v7, v7, v38
	v_cmp_eq_u32_e32 vcc_lo, v7, v28
	s_and_b32 exec_lo, exec_lo, vcc_lo
	s_cbranch_execz .LBB101_380
; %bb.385:                              ;   in Loop: Header=BB101_383 Depth=2
	v_perm_b32 v6, v6, s95, 0x5040100
	ds_store_b32 v17, v6 offset:3072
	s_branch .LBB101_380
.LBB101_386:                            ;   in Loop: Header=BB101_383 Depth=2
	s_mov_b32 s41, -1
	s_mov_b32 s40, -1
                                        ; implicit-def: $vgpr5
                                        ; implicit-def: $vgpr3
	s_branch .LBB101_382
.LBB101_387:                            ;   in Loop: Header=BB101_6 Depth=1
	s_or_b32 exec_lo, exec_lo, s38
	v_lshrrev_b32_e32 v39, 16, v6
	s_and_b32 s38, s58, exec_lo
.LBB101_388:                            ;   in Loop: Header=BB101_6 Depth=1
	s_or_b32 exec_lo, exec_lo, s57
.LBB101_389:                            ;   in Loop: Header=BB101_6 Depth=1
	s_delay_alu instid0(SALU_CYCLE_1)
	s_and_b32 vcc_lo, exec_lo, s56
	s_cbranch_vccz .LBB101_401
; %bb.390:                              ;   in Loop: Header=BB101_6 Depth=1
                                        ; implicit-def: $vgpr39
	s_and_saveexec_b32 s33, s13
	s_cbranch_execz .LBB101_400
; %bb.391:                              ;   in Loop: Header=BB101_6 Depth=1
	v_dual_mov_b32 v3, v18 :: v_dual_mov_b32 v5, v0
	s_mov_b32 s34, 0
                                        ; implicit-def: $sgpr46
	s_branch .LBB101_395
.LBB101_392:                            ;   in Loop: Header=BB101_395 Depth=2
	s_or_b32 exec_lo, exec_lo, s56
	s_wait_dscnt 0x0
	s_barrier_signal -1
	s_barrier_wait -1
	ds_load_b32 v6, v17 offset:3072
	s_wait_dscnt 0x0
	s_barrier_signal -1
	s_barrier_wait -1
	v_cmp_eq_f16_e32 vcc_lo, 0, v6
	s_cbranch_vccz .LBB101_398
; %bb.393:                              ;   in Loop: Header=BB101_395 Depth=2
	v_dual_add_nc_u32 v5, s47, v5 :: v_dual_add_nc_u32 v3, s51, v3
	s_mov_b32 s40, 0
	s_delay_alu instid0(VALU_DEP_1)
	v_cmp_le_u32_e32 vcc_lo, s89, v5
	s_or_not1_b32 s41, vcc_lo, exec_lo
.LBB101_394:                            ;   in Loop: Header=BB101_395 Depth=2
	s_delay_alu instid0(SALU_CYCLE_1) | instskip(NEXT) | instid1(SALU_CYCLE_1)
	s_and_b32 s41, exec_lo, s41
	s_or_b32 s34, s41, s34
	s_and_not1_b32 s41, s46, exec_lo
	s_and_b32 s40, s40, exec_lo
	s_delay_alu instid0(SALU_CYCLE_1)
	s_or_b32 s46, s41, s40
	s_and_not1_b32 exec_lo, exec_lo, s34
	s_cbranch_execz .LBB101_399
.LBB101_395:                            ;   Parent Loop BB101_6 Depth=1
                                        ; =>  This Inner Loop Header: Depth=2
	s_mov_b32 s56, exec_lo
	s_delay_alu instid0(VALU_DEP_1)
	v_cmpx_gt_u32_e64 s36, v5
	s_cbranch_execz .LBB101_392
; %bb.396:                              ;   in Loop: Header=BB101_395 Depth=2
	v_readfirstlane_b32 s40, v12
	v_readfirstlane_b32 s41, v13
	global_load_u16 v6, v3, s[40:41] scale_offset
	s_wait_loadcnt 0x0
	v_cmp_lt_i16_e32 vcc_lo, -1, v6
	v_and_b32_e32 v7, 0xffff, v6
	v_cndmask_b32_e32 v8, 0xffff, v37, vcc_lo
	v_cmp_o_f16_e32 vcc_lo, v6, v6
	s_delay_alu instid0(VALU_DEP_2) | instskip(NEXT) | instid1(VALU_DEP_1)
	v_xor_b32_e32 v7, v8, v7
	v_cndmask_b32_e32 v7, 0xffff, v7, vcc_lo
	s_delay_alu instid0(VALU_DEP_1) | instskip(NEXT) | instid1(VALU_DEP_1)
	v_and_b32_e32 v7, v7, v38
	v_cmp_eq_u32_e32 vcc_lo, v7, v28
	s_and_b32 exec_lo, exec_lo, vcc_lo
	s_cbranch_execz .LBB101_392
; %bb.397:                              ;   in Loop: Header=BB101_395 Depth=2
	v_perm_b32 v6, v6, s95, 0x5040100
	ds_store_b32 v17, v6 offset:3072
	s_branch .LBB101_392
.LBB101_398:                            ;   in Loop: Header=BB101_395 Depth=2
	s_mov_b32 s41, -1
	s_mov_b32 s40, -1
                                        ; implicit-def: $vgpr5
                                        ; implicit-def: $vgpr3
	s_branch .LBB101_394
.LBB101_399:                            ;   in Loop: Header=BB101_6 Depth=1
	s_or_b32 exec_lo, exec_lo, s34
	v_lshrrev_b32_e32 v39, 16, v6
	s_and_not1_b32 s34, s38, exec_lo
	s_and_b32 s38, s46, exec_lo
	s_delay_alu instid0(SALU_CYCLE_1)
	s_or_b32 s38, s34, s38
.LBB101_400:                            ;   in Loop: Header=BB101_6 Depth=1
	s_or_b32 exec_lo, exec_lo, s33
	s_mov_b32 s33, 0
	s_mov_b32 s34, -1
.LBB101_401:                            ;   in Loop: Header=BB101_6 Depth=1
	s_or_not1_b32 s46, s38, exec_lo
.LBB101_402:                            ;   in Loop: Header=BB101_6 Depth=1
	s_or_b32 exec_lo, exec_lo, s45
	s_mov_b32 s40, 0
	s_and_saveexec_b32 s38, s46
	s_cbranch_execz .LBB101_413
; %bb.403:                              ;   in Loop: Header=BB101_6 Depth=1
	v_dual_mov_b32 v2, 1 :: v_dual_mov_b32 v3, 1
	s_xor_b32 s40, s31, -1
	s_delay_alu instid0(SALU_CYCLE_1)
	s_and_saveexec_b32 s31, s40
	s_cbranch_execz .LBB101_412
; %bb.404:                              ;   in Loop: Header=BB101_6 Depth=1
	s_mov_b32 s40, exec_lo
	v_cmpx_ge_u32_e64 s17, v4
	s_xor_b32 s45, exec_lo, s40
	s_cbranch_execz .LBB101_409
; %bb.405:                              ;   in Loop: Header=BB101_6 Depth=1
	ds_load_b32 v2, v17 offset:4096
	v_and_b32_e32 v28, s19, v28
	v_or_b32_e32 v38, s18, v38
	s_wait_dscnt 0x0
	v_cmp_ne_u32_e32 vcc_lo, 0, v2
	s_cbranch_vccnz .LBB101_409
; %bb.406:                              ;   in Loop: Header=BB101_6 Depth=1
	s_and_saveexec_b32 s18, s5
; %bb.407:                              ;   in Loop: Header=BB101_6 Depth=1
	v_mov_b32_e32 v2, s17
	ds_store_b32 v17, v2 offset:4100
; %bb.408:                              ;   in Loop: Header=BB101_6 Depth=1
	s_or_b32 exec_lo, exec_lo, s18
	s_wait_dscnt 0x0
	s_barrier_signal -1
	s_barrier_wait -1
.LBB101_409:                            ;   in Loop: Header=BB101_6 Depth=1
	s_and_not1_saveexec_b32 s18, s45
; %bb.410:                              ;   in Loop: Header=BB101_6 Depth=1
	v_subrev_nc_u32_e32 v4, s17, v4
; %bb.411:                              ;   in Loop: Header=BB101_6 Depth=1
	s_or_b32 exec_lo, exec_lo, s18
	s_delay_alu instid0(VALU_DEP_1)
	v_dual_mov_b32 v2, 5 :: v_dual_mov_b32 v3, v4
.LBB101_412:                            ;   in Loop: Header=BB101_6 Depth=1
	s_or_b32 exec_lo, exec_lo, s31
	s_delay_alu instid0(VALU_DEP_1)
	v_mov_b32_e32 v4, v3
	s_mov_b32 s40, exec_lo
.LBB101_413:                            ;   in Loop: Header=BB101_6 Depth=1
	s_or_b32 exec_lo, exec_lo, s38
	s_delay_alu instid0(SALU_CYCLE_1)
	s_or_not1_b32 s31, s40, exec_lo
.LBB101_414:                            ;   in Loop: Header=BB101_6 Depth=1
	s_or_b32 exec_lo, exec_lo, s20
	s_delay_alu instid0(SALU_CYCLE_1)
	s_and_not1_b32 s17, s29, exec_lo
	s_and_b32 s18, s34, exec_lo
	s_and_not1_b32 s19, s28, exec_lo
	s_and_b32 s20, s33, exec_lo
	v_mov_b32_e32 v3, v4
	s_or_b32 s29, s17, s18
	s_or_b32 s28, s19, s20
	s_and_b32 s34, s31, exec_lo
.LBB101_415:                            ;   in Loop: Header=BB101_6 Depth=1
	s_or_b32 exec_lo, exec_lo, s30
	s_delay_alu instid0(SALU_CYCLE_1)
	s_or_not1_b32 s30, s34, exec_lo
.LBB101_416:                            ;   in Loop: Header=BB101_6 Depth=1
	s_or_b32 exec_lo, exec_lo, s21
	s_delay_alu instid0(SALU_CYCLE_1)
	s_and_not1_b32 s17, s25, exec_lo
	s_and_b32 s18, s29, exec_lo
	s_and_not1_b32 s19, s22, exec_lo
	s_and_b32 s20, s28, exec_lo
	v_mov_b32_e32 v5, v3
	s_or_b32 s25, s17, s18
	s_or_b32 s22, s19, s20
	s_and_b32 s30, s30, exec_lo
.LBB101_417:                            ;   in Loop: Header=BB101_6 Depth=1
	s_or_b32 exec_lo, exec_lo, s27
	s_delay_alu instid0(SALU_CYCLE_1)
	s_or_not1_b32 s27, s30, exec_lo
.LBB101_418:                            ;   in Loop: Header=BB101_6 Depth=1
	s_or_b32 exec_lo, exec_lo, s14
	s_mov_b32 s14, s23
	s_mov_b32 s17, s15
	s_and_saveexec_b32 s18, s27
; %bb.419:                              ;   in Loop: Header=BB101_6 Depth=1
	v_cmp_ne_u32_e32 vcc_lo, 5, v2
	v_cmp_eq_u32_e64 s14, 5, v2
	s_and_not1_b32 s17, s15, exec_lo
	s_and_not1_b32 s19, s23, exec_lo
	s_and_b32 s20, vcc_lo, exec_lo
	s_and_b32 s14, s14, exec_lo
	s_or_b32 s17, s17, s20
	s_or_b32 s14, s19, s14
; %bb.420:                              ;   in Loop: Header=BB101_6 Depth=1
	s_or_b32 exec_lo, exec_lo, s18
	s_delay_alu instid0(SALU_CYCLE_1)
	s_and_not1_b32 s18, s26, exec_lo
	s_and_b32 s19, s25, exec_lo
	s_and_not1_b32 s16, s16, exec_lo
	s_and_b32 s20, s22, exec_lo
	s_or_b32 s26, s18, s19
	s_and_not1_b32 s15, s15, exec_lo
	s_and_b32 s17, s17, exec_lo
	s_and_not1_b32 s18, s23, exec_lo
	s_and_b32 s14, s14, exec_lo
	s_or_b32 s16, s16, s20
	s_or_b32 s15, s15, s17
	;; [unrolled: 1-line block ×3, first 2 shown]
.LBB101_421:                            ;   in Loop: Header=BB101_6 Depth=1
	s_or_b32 exec_lo, exec_lo, s24
	s_mov_b32 s24, 0
	s_mov_b32 s25, 0
	s_and_saveexec_b32 s14, s23
.LBB101_422:                            ;   in Loop: Header=BB101_6 Depth=1
	v_mov_b32_e32 v2, 0
	s_or_b32 s15, s15, exec_lo
.LBB101_423:                            ;   in Loop: Header=BB101_6 Depth=1
	s_or_b32 exec_lo, exec_lo, s14
	s_delay_alu instid0(SALU_CYCLE_1)
	s_and_not1_b32 s14, s104, exec_lo
	s_and_b32 s18, s26, exec_lo
	s_and_not1_b32 s19, s102, exec_lo
	s_and_b32 s16, s16, exec_lo
	v_mov_b32_e32 v40, v5
	s_or_b32 s104, s14, s18
	s_or_b32 s102, s19, s16
	s_and_not1_b32 s14, s44, exec_lo
	s_and_b32 s16, s25, exec_lo
	s_and_not1_b32 s18, vcc_hi, exec_lo
	s_and_b32 s19, s24, exec_lo
	s_mov_b32 s17, -1
	s_and_not1_b32 s103, s103, exec_lo
	s_or_b32 s44, s14, s16
	s_or_b32 vcc_hi, s18, s19
	s_and_saveexec_b32 s14, s15
	s_delay_alu instid0(SALU_CYCLE_1)
	s_xor_b32 s14, exec_lo, s14
	s_cbranch_execz .LBB101_5
; %bb.424:                              ;   in Loop: Header=BB101_6 Depth=1
	s_mov_b32 s15, -1
	s_mov_b32 s16, -1
	s_mov_b32 s17, exec_lo
	v_cmpx_eq_u32_e32 0, v2
	s_cbranch_execz .LBB101_4
; %bb.425:                              ;   in Loop: Header=BB101_6 Depth=1
	s_xor_b32 s97, s97, 1
	s_add_co_i32 s18, s93, -2
	s_cmp_eq_u32 s93, 0
	s_mov_b32 s93, s18
	s_cselect_b32 s15, -1, 0
	s_xor_b32 s16, exec_lo, -1
	s_or_not1_b32 s15, s15, exec_lo
	s_branch .LBB101_4
.LBB101_426:
	s_or_b32 exec_lo, exec_lo, s94
	s_xor_b32 s7, s101, -1
	s_xor_b32 s9, s99, -1
	;; [unrolled: 1-line block ×5, first 2 shown]
	s_mov_b32 s8, 0
	s_and_saveexec_b32 s12, s11
	s_delay_alu instid0(SALU_CYCLE_1)
	s_xor_b32 s12, exec_lo, s12
	s_cbranch_execnz .LBB101_431
; %bb.427:
	s_and_not1_saveexec_b32 s0, s12
	s_cbranch_execnz .LBB101_450
.LBB101_428:
	s_or_b32 exec_lo, exec_lo, s0
	s_and_saveexec_b32 s0, s8
.LBB101_429:
	; divergent unreachable
.LBB101_430:
	s_sendmsg sendmsg(MSG_DEALLOC_VGPRS)
	s_endpgm
.LBB101_431:
	s_and_saveexec_b32 s11, s10
	s_delay_alu instid0(SALU_CYCLE_1)
	s_xor_b32 s13, exec_lo, s11
	s_cbranch_execz .LBB101_448
; %bb.432:
	s_and_saveexec_b32 s10, s9
	s_delay_alu instid0(SALU_CYCLE_1)
	s_xor_b32 s14, exec_lo, s10
	s_cbranch_execz .LBB101_446
; %bb.433:
	s_and_saveexec_b32 s9, s7
	s_delay_alu instid0(SALU_CYCLE_1)
	s_xor_b32 s15, exec_lo, s9
	s_cbranch_execz .LBB101_444
; %bb.434:
	s_and_saveexec_b32 s7, s6
	s_delay_alu instid0(SALU_CYCLE_1)
	s_xor_b32 s6, exec_lo, s7
; %bb.435:
	v_and_b32_e32 v1, 0x8000, v28
	v_mov_b32_e32 v2, 0xffff
	s_delay_alu instid0(VALU_DEP_2) | instskip(NEXT) | instid1(VALU_DEP_2)
	v_cmp_eq_u32_e32 vcc_lo, 0, v1
	v_cndmask_b32_e32 v1, 0x8000, v2, vcc_lo
	s_delay_alu instid0(VALU_DEP_1)
	v_xor_b32_e32 v39, v1, v28
; %bb.436:
	s_or_b32 exec_lo, exec_lo, s6
	s_and_saveexec_b32 s6, s5
; %bb.437:
	v_mov_b32_e32 v1, 0
	ds_store_b32 v1, v1 offset:4108
; %bb.438:
	s_or_b32 exec_lo, exec_lo, s6
	v_mov_b32_e32 v1, 0
	s_wait_dscnt 0x0
	s_barrier_signal -1
	s_barrier_wait -1
	s_and_saveexec_b32 s5, s3
	s_cbranch_execz .LBB101_440
; %bb.439:
	global_load_u16 v1, v[14:15], off
.LBB101_440:
	s_wait_xcnt 0x0
	s_or_b32 exec_lo, exec_lo, s5
	s_load_b96 s[16:18], s[0:1], 0x15c
	s_mul_i32 s7, s61, s52
	s_add_co_i32 s5, s36, 31
	s_mul_i32 s6, s50, s53
	s_sub_co_i32 s7, s50, s7
	s_and_not1_b32 s5, s5, 31
	s_sub_co_i32 s6, s72, s6
	s_add_co_i32 s8, s61, 1
	s_sub_co_i32 s9, s7, s52
	s_cmp_ge_u32 s7, s52
	v_mov_b32_e32 v5, 0x8000
	s_cselect_b32 s8, s8, s61
	s_cselect_b32 s7, s9, s7
	s_add_co_i32 s9, s8, 1
	s_cmp_ge_u32 s7, s52
	v_cmp_lt_i16_e32 vcc_lo, -1, v39
	s_cselect_b32 s7, s9, s8
	v_readlane_b32 s20, v71, 0
	s_mul_i32 s8, s7, s52
	v_readlane_b32 s21, v71, 1
	s_sub_co_i32 s8, s50, s8
	s_wait_kmcnt 0x0
	s_mul_i32 s6, s6, s18
	s_mul_i32 s8, s8, s17
	;; [unrolled: 1-line block ×3, first 2 shown]
	s_add_co_i32 s6, s8, s6
	s_add_co_i32 s8, s35, 1
	;; [unrolled: 1-line block ×3, first 2 shown]
	s_mul_i32 s7, s35, s48
	s_mul_i32 s6, s54, s49
	s_sub_co_i32 s7, s54, s7
	s_sub_co_i32 s6, s72, s6
	;; [unrolled: 1-line block ×3, first 2 shown]
	s_cmp_ge_u32 s7, s48
	s_clause 0x1
	s_load_b32 s16, s[0:1], 0x1c8
	s_load_b32 s17, s[0:1], 0x2a8
	s_cselect_b32 s8, s8, s35
	s_cselect_b32 s7, s9, s7
	s_add_co_i32 s9, s8, 1
	s_cmp_ge_u32 s7, s48
	v_readlane_b32 s22, v71, 2
	s_cselect_b32 s7, s9, s8
	v_and_b32_e32 v2, 0xffff, v39
	s_wait_xcnt 0x0
	s_mul_i32 s0, s7, s48
	v_cndmask_b32_e32 v3, 0xffff, v5, vcc_lo
	s_sub_co_i32 s0, s54, s0
	s_mul_i32 s6, s6, s22
	s_mul_i32 s0, s0, s21
	v_readlane_b32 s8, v71, 5
	v_readlane_b32 s9, v71, 6
	s_add_co_i32 s0, s0, s6
	s_mul_i32 s7, s7, s20
	s_mov_b32 s11, 0
	v_xor_b32_e32 v2, v3, v2
	v_cmp_o_f16_e32 vcc_lo, v39, v39
	s_add_co_i32 s0, s0, s7
	s_lshl_b64 s[6:7], s[10:11], 1
	s_mov_b32 s1, s11
	s_add_nc_u64 s[6:7], s[8:9], s[6:7]
	v_readlane_b32 s8, v71, 3
	v_readlane_b32 s9, v71, 4
	v_cndmask_b32_e32 v4, 0xffff, v2, vcc_lo
	v_cmp_gt_u32_e32 vcc_lo, s5, v0
	s_lshl_b64 s[0:1], s[0:1], 3
	s_mov_b32 s18, -1
	s_add_nc_u64 s[8:9], s[8:9], s[0:1]
	s_mov_b32 s1, 0
	s_and_saveexec_b32 s10, vcc_lo
	s_cbranch_execnz .LBB101_451
; %bb.441:
	s_or_b32 exec_lo, exec_lo, s10
	s_and_saveexec_b32 s4, s18
	s_cbranch_execnz .LBB101_468
.LBB101_442:
	s_or_b32 exec_lo, exec_lo, s4
	s_and_saveexec_b32 s0, s1
	s_delay_alu instid0(SALU_CYCLE_1)
	s_xor_b32 s0, exec_lo, s0
	s_cbranch_execnz .LBB101_491
.LBB101_443:
	s_or_b32 exec_lo, exec_lo, s0
	s_delay_alu instid0(SALU_CYCLE_1)
	s_and_b32 s8, s11, exec_lo
.LBB101_444:
	s_and_not1_saveexec_b32 s0, s15
	s_cbranch_execnz .LBB101_493
.LBB101_445:
	s_or_b32 exec_lo, exec_lo, s0
	s_delay_alu instid0(SALU_CYCLE_1)
	s_and_b32 s8, s8, exec_lo
.LBB101_446:
	s_and_not1_saveexec_b32 s0, s14
	s_cbranch_execnz .LBB101_492
.LBB101_447:
	s_or_b32 exec_lo, exec_lo, s0
	s_delay_alu instid0(SALU_CYCLE_1)
	s_and_b32 s8, s8, exec_lo
.LBB101_448:
	s_and_not1_saveexec_b32 s0, s13
	s_cbranch_execnz .LBB101_487
.LBB101_449:
	s_or_b32 exec_lo, exec_lo, s0
	s_delay_alu instid0(SALU_CYCLE_1)
	s_and_b32 s8, s8, exec_lo
	s_and_not1_saveexec_b32 s0, s12
	s_cbranch_execz .LBB101_428
.LBB101_450:
	s_or_b32 s8, s8, exec_lo
	s_trap 2
	s_or_b32 exec_lo, exec_lo, s0
	s_and_saveexec_b32 s0, s8
	s_cbranch_execnz .LBB101_429
	s_branch .LBB101_430
.LBB101_451:
	v_dual_mov_b32 v3, 0 :: v_dual_add_nc_u32 v2, s47, v0
	s_mov_b32 s18, 0
                                        ; implicit-def: $sgpr19
                                        ; implicit-def: $vgpr9
	s_delay_alu instid0(VALU_DEP_1)
	v_mul_lo_u32 v6, s43, v2
	v_mov_b32_e32 v2, v0
	s_branch .LBB101_453
.LBB101_452:                            ;   in Loop: Header=BB101_453 Depth=1
	s_or_b32 exec_lo, exec_lo, s21
	s_xor_b32 s0, s20, -1
	s_and_b32 s1, exec_lo, s1
	s_wait_loadcnt 0x0
	v_dual_mov_b32 v2, v7 :: v_dual_mov_b32 v1, v8
	s_or_b32 s18, s1, s18
	s_and_not1_b32 s1, s19, exec_lo
	s_and_b32 s0, s0, exec_lo
	s_delay_alu instid0(SALU_CYCLE_1)
	s_or_b32 s19, s1, s0
	s_and_not1_b32 exec_lo, exec_lo, s18
	s_cbranch_execz .LBB101_467
.LBB101_453:                            ; =>This Inner Loop Header: Depth=1
	s_delay_alu instid0(VALU_DEP_1) | instskip(SKIP_1) | instid1(VALU_DEP_1)
	v_dual_mov_b32 v8, 0 :: v_dual_add_nc_u32 v7, s47, v2
	s_mov_b32 s1, exec_lo
	v_cmpx_gt_u32_e64 s36, v7
	s_cbranch_execz .LBB101_455
; %bb.454:                              ;   in Loop: Header=BB101_453 Depth=1
	v_readfirstlane_b32 s20, v12
	v_readfirstlane_b32 s21, v13
	global_load_u16 v8, v6, s[20:21] scale_offset
.LBB101_455:                            ;   in Loop: Header=BB101_453 Depth=1
	s_wait_xcnt 0x0
	s_or_b32 exec_lo, exec_lo, s1
	s_mov_b32 s20, 0
	s_mov_b32 s1, exec_lo
	v_cmpx_gt_u32_e64 s36, v2
	s_cbranch_execz .LBB101_457
; %bb.456:                              ;   in Loop: Header=BB101_453 Depth=1
	s_wait_loadcnt 0x0
	v_cmp_lt_i16_e64 s0, -1, v1
	v_and_b32_e32 v11, 0xffff, v1
	s_delay_alu instid0(VALU_DEP_2) | instskip(SKIP_1) | instid1(VALU_DEP_2)
	v_cndmask_b32_e64 v16, 0xffff, v5, s0
	v_cmp_o_f16_e64 s0, v1, v1
	v_xor_b32_e32 v11, v16, v11
	s_delay_alu instid0(VALU_DEP_1) | instskip(NEXT) | instid1(VALU_DEP_1)
	v_cndmask_b32_e64 v11, 0xffff, v11, s0
	v_cmp_gt_u32_e64 s0, v11, v4
	s_delay_alu instid0(VALU_DEP_1) | instskip(SKIP_1) | instid1(VALU_DEP_1)
	v_cndmask_b32_e64 v16, 0, 1, s0
	v_cmp_lt_u32_e64 s0, v11, v4
	v_cndmask_b32_e64 v11, 0, 1, s0
	s_delay_alu instid0(VALU_DEP_1) | instskip(NEXT) | instid1(VALU_DEP_1)
	v_cndmask_b32_e64 v11, v11, v16, s4
	v_and_b32_e32 v11, 1, v11
	s_delay_alu instid0(VALU_DEP_1)
	v_cmp_eq_u32_e64 s0, 1, v11
	s_and_b32 s20, s0, exec_lo
.LBB101_457:                            ;   in Loop: Header=BB101_453 Depth=1
	s_or_b32 exec_lo, exec_lo, s1
	v_cndmask_b32_e64 v11, 0, 1, s20
	s_delay_alu instid0(VALU_DEP_1) | instskip(SKIP_2) | instid1(SALU_CYCLE_1)
	v_cmp_ne_u32_e64 s0, 0, v11
	s_cmp_lg_u32 s0, 0
	s_cselect_b32 s1, -1, 0
	s_and_b32 s1, s2, s1
	s_delay_alu instid0(SALU_CYCLE_1)
	s_and_saveexec_b32 s21, s1
	s_cbranch_execz .LBB101_461
; %bb.458:                              ;   in Loop: Header=BB101_453 Depth=1
	s_mov_b32 s24, exec_lo
	s_bcnt1_i32_b32 s22, s0
	s_wait_dscnt 0x0
	v_mbcnt_lo_u32_b32 v9, s24, 0
	s_mov_b32 s23, exec_lo
                                        ; implicit-def: $vgpr11
	s_delay_alu instid0(VALU_DEP_1)
	v_cmpx_eq_u32_e32 0, v9
; %bb.459:                              ;   in Loop: Header=BB101_453 Depth=1
	s_bcnt1_i32_b32 s1, s24
	s_delay_alu instid0(SALU_CYCLE_1) | instskip(NEXT) | instid1(SALU_CYCLE_1)
	s_mul_i32 s1, s22, s1
	v_mov_b32_e32 v11, s1
	ds_add_rtn_u32 v11, v3, v11 offset:4108
; %bb.460:                              ;   in Loop: Header=BB101_453 Depth=1
	s_or_b32 exec_lo, exec_lo, s23
	s_wait_dscnt 0x0
	v_readfirstlane_b32 s1, v11
	s_delay_alu instid0(VALU_DEP_1)
	v_mad_u32_u24 v9, s22, v9, s1
.LBB101_461:                            ;   in Loop: Header=BB101_453 Depth=1
	s_or_b32 exec_lo, exec_lo, s21
	s_wait_dscnt 0x0
	ds_bpermute_b32 v9, v3, v9
	s_mov_b32 s1, -1
	s_mov_b32 s22, -1
	s_and_saveexec_b32 s21, s20
	s_cbranch_execz .LBB101_465
; %bb.462:                              ;   in Loop: Header=BB101_453 Depth=1
	v_and_b32_e32 v11, s0, v10
	s_mov_b32 s20, 0
	s_mov_b32 s22, exec_lo
	s_wait_dscnt 0x0
	s_delay_alu instid0(VALU_DEP_1) | instskip(NEXT) | instid1(VALU_DEP_1)
	v_bcnt_u32_b32 v11, v11, v9
	v_cmpx_gt_u32_e64 s37, v11
	s_cbranch_execz .LBB101_464
; %bb.463:                              ;   in Loop: Header=BB101_453 Depth=1
	s_wait_kmcnt 0x0
	v_mul_lo_u32 v16, v11, s16
	v_mul_lo_u32 v11, v11, s17
	s_mov_b32 s20, exec_lo
	s_wait_loadcnt 0x0
	global_store_b16 v16, v1, s[6:7] scale_offset
	global_store_b64 v11, v[2:3], s[8:9] scale_offset
.LBB101_464:                            ;   in Loop: Header=BB101_453 Depth=1
	s_wait_xcnt 0x0
	s_or_b32 exec_lo, exec_lo, s22
	s_delay_alu instid0(SALU_CYCLE_1)
	s_or_not1_b32 s22, s20, exec_lo
.LBB101_465:                            ;   in Loop: Header=BB101_453 Depth=1
	s_or_b32 exec_lo, exec_lo, s21
	s_mov_b32 s20, -1
	s_and_saveexec_b32 s21, s22
	s_cbranch_execz .LBB101_452
; %bb.466:                              ;   in Loop: Header=BB101_453 Depth=1
	v_cmp_le_u32_e64 s0, s5, v7
	v_add_nc_u32_e32 v6, s51, v6
	s_xor_b32 s20, exec_lo, -1
	s_or_not1_b32 s1, s0, exec_lo
	s_branch .LBB101_452
.LBB101_467:
	s_or_b32 exec_lo, exec_lo, s18
	s_delay_alu instid0(SALU_CYCLE_1)
	s_mov_b32 s1, exec_lo
	s_or_not1_b32 s18, s19, exec_lo
	s_or_b32 exec_lo, exec_lo, s10
	s_and_saveexec_b32 s4, s18
	s_cbranch_execz .LBB101_442
.LBB101_468:
	v_mov_b32_e32 v8, 0
	s_wait_storecnt 0x0
	s_wait_loadcnt_dscnt 0x0
	s_barrier_signal -1
	s_barrier_wait -1
	s_and_saveexec_b32 s0, s3
	s_cbranch_execz .LBB101_470
; %bb.469:
	global_load_u16 v8, v[14:15], off
.LBB101_470:
	s_wait_xcnt 0x0
	s_or_b32 exec_lo, exec_lo, s0
	s_mov_b32 s0, 0
	s_and_saveexec_b32 s3, vcc_lo
	s_cbranch_execz .LBB101_490
; %bb.471:
	v_add_nc_u32_e32 v1, s47, v0
	v_mov_b32_e32 v3, 0x8000
	s_mov_b32 s10, 0
                                        ; implicit-def: $sgpr11
                                        ; implicit-def: $vgpr7
	s_delay_alu instid0(VALU_DEP_2)
	v_mul_lo_u32 v2, s43, v1
	v_mov_b32_e32 v1, 0
	s_branch .LBB101_474
.LBB101_472:                            ;   in Loop: Header=BB101_474 Depth=1
	s_or_b32 exec_lo, exec_lo, s20
	s_delay_alu instid0(SALU_CYCLE_1)
	s_or_not1_b32 s20, s18, exec_lo
	s_or_not1_b32 s19, s19, exec_lo
.LBB101_473:                            ;   in Loop: Header=BB101_474 Depth=1
	s_or_b32 exec_lo, exec_lo, s0
	s_xor_b32 s0, s20, -1
	s_and_b32 s18, exec_lo, s19
	v_dual_mov_b32 v0, v5 :: v_dual_mov_b32 v8, v6
	s_or_b32 s10, s18, s10
	s_and_not1_b32 s11, s11, exec_lo
	s_and_b32 s0, s0, exec_lo
	s_delay_alu instid0(SALU_CYCLE_1)
	s_or_b32 s11, s11, s0
	s_and_not1_b32 exec_lo, exec_lo, s10
	s_cbranch_execz .LBB101_488
.LBB101_474:                            ; =>This Inner Loop Header: Depth=1
	v_dual_mov_b32 v6, 0 :: v_dual_add_nc_u32 v5, s47, v0
	s_mov_b32 s0, exec_lo
	s_delay_alu instid0(VALU_DEP_1)
	v_cmpx_gt_u32_e64 s36, v5
	s_cbranch_execz .LBB101_476
; %bb.475:                              ;   in Loop: Header=BB101_474 Depth=1
	v_readfirstlane_b32 s18, v12
	v_readfirstlane_b32 s19, v13
	global_load_u16 v6, v2, s[18:19] scale_offset
.LBB101_476:                            ;   in Loop: Header=BB101_474 Depth=1
	s_wait_xcnt 0x0
	s_or_b32 exec_lo, exec_lo, s0
	s_wait_loadcnt 0x0
	v_cmp_lt_i16_e32 vcc_lo, -1, v8
	v_and_b32_e32 v9, 0xffff, v8
	v_cndmask_b32_e32 v11, 0xffff, v3, vcc_lo
	v_cmp_o_f16_e32 vcc_lo, v8, v8
	s_delay_alu instid0(VALU_DEP_2) | instskip(NEXT) | instid1(VALU_DEP_1)
	v_xor_b32_e32 v9, v11, v9
	v_cndmask_b32_e32 v9, 0xffff, v9, vcc_lo
	v_cmp_gt_u32_e32 vcc_lo, s36, v0
	s_delay_alu instid0(VALU_DEP_2) | instskip(SKIP_1) | instid1(SALU_CYCLE_1)
	v_cmp_eq_u32_e64 s0, v9, v4
	s_and_b32 s18, vcc_lo, s0
	v_cndmask_b32_e64 v9, 0, 1, s18
	s_delay_alu instid0(VALU_DEP_1) | instskip(SKIP_2) | instid1(SALU_CYCLE_1)
	v_cmp_ne_u32_e32 vcc_lo, 0, v9
	s_cmp_lg_u32 vcc_lo, 0
	s_cselect_b32 s0, -1, 0
	s_and_b32 s0, s2, s0
	s_delay_alu instid0(SALU_CYCLE_1)
	s_and_saveexec_b32 s19, s0
	s_cbranch_execz .LBB101_480
; %bb.477:                              ;   in Loop: Header=BB101_474 Depth=1
	s_mov_b32 s22, exec_lo
	s_bcnt1_i32_b32 s20, vcc_lo
	v_mbcnt_lo_u32_b32 v7, s22, 0
	s_mov_b32 s21, exec_lo
                                        ; implicit-def: $vgpr9
	s_delay_alu instid0(VALU_DEP_1)
	v_cmpx_eq_u32_e32 0, v7
; %bb.478:                              ;   in Loop: Header=BB101_474 Depth=1
	s_bcnt1_i32_b32 s0, s22
	s_delay_alu instid0(SALU_CYCLE_1) | instskip(NEXT) | instid1(SALU_CYCLE_1)
	s_mul_i32 s0, s20, s0
	v_mov_b32_e32 v9, s0
	ds_add_rtn_u32 v9, v1, v9 offset:4108
; %bb.479:                              ;   in Loop: Header=BB101_474 Depth=1
	s_or_b32 exec_lo, exec_lo, s21
	s_wait_dscnt 0x0
	v_readfirstlane_b32 s0, v9
	s_delay_alu instid0(VALU_DEP_1)
	v_mad_u32_u24 v7, s20, v7, s0
.LBB101_480:                            ;   in Loop: Header=BB101_474 Depth=1
	s_or_b32 exec_lo, exec_lo, s19
	ds_bpermute_b32 v7, v1, v7
	s_cmp_eq_u32 vcc_lo, 0
	s_mov_b32 s19, -1
	s_cselect_b32 s20, -1, 0
	s_wait_dscnt 0x0
	v_cmp_gt_u32_e64 s0, s37, v7
	s_or_b32 s21, s20, s0
	s_mov_b32 s20, -1
	s_and_saveexec_b32 s0, s21
	s_cbranch_execz .LBB101_473
; %bb.481:                              ;   in Loop: Header=BB101_474 Depth=1
	v_dual_sub_nc_u32 v11, s37, v7 :: v_dual_bitop2_b32 v9, vcc_lo, v10 bitop3:0x40
	s_mov_b32 s21, -1
	s_delay_alu instid0(VALU_DEP_1) | instskip(NEXT) | instid1(VALU_DEP_1)
	v_bcnt_u32_b32 v9, v9, 0
	v_bcnt_u32_b32 v9, 0, v9
	s_delay_alu instid0(VALU_DEP_1)
	v_cmp_gt_u32_e32 vcc_lo, v11, v9
	s_and_b32 s22, s18, vcc_lo
	s_mov_b32 s18, -1
	s_and_saveexec_b32 s20, s22
	s_cbranch_execz .LBB101_485
; %bb.482:                              ;   in Loop: Header=BB101_474 Depth=1
	v_add_nc_u32_e32 v9, v7, v9
	s_mov_b32 s21, 0
	s_mov_b32 s18, exec_lo
	s_delay_alu instid0(VALU_DEP_1)
	v_cmpx_gt_u32_e64 s37, v9
	s_cbranch_execz .LBB101_484
; %bb.483:                              ;   in Loop: Header=BB101_474 Depth=1
	s_wait_kmcnt 0x0
	v_mul_lo_u32 v11, v9, s16
	v_mul_lo_u32 v9, v9, s17
	s_mov_b32 s21, exec_lo
	global_store_b16 v11, v8, s[6:7] scale_offset
	global_store_b64 v9, v[0:1], s[8:9] scale_offset
.LBB101_484:                            ;   in Loop: Header=BB101_474 Depth=1
	s_wait_xcnt 0x0
	s_or_b32 exec_lo, exec_lo, s18
	s_delay_alu instid0(SALU_CYCLE_1)
	s_xor_b32 s18, exec_lo, -1
	s_or_not1_b32 s21, s21, exec_lo
.LBB101_485:                            ;   in Loop: Header=BB101_474 Depth=1
	s_or_b32 exec_lo, exec_lo, s20
	s_and_saveexec_b32 s20, s21
	s_cbranch_execz .LBB101_472
; %bb.486:                              ;   in Loop: Header=BB101_474 Depth=1
	v_cmp_le_u32_e32 vcc_lo, s5, v5
	v_add_nc_u32_e32 v2, s51, v2
	s_or_b32 s18, s18, exec_lo
	s_or_not1_b32 s19, vcc_lo, exec_lo
	s_branch .LBB101_472
.LBB101_487:
	s_or_b32 s8, s8, exec_lo
	s_trap 2
	s_branch .LBB101_449
.LBB101_488:
	s_or_b32 exec_lo, exec_lo, s10
	s_mov_b32 s0, 0
	s_and_saveexec_b32 s2, s11
	s_delay_alu instid0(SALU_CYCLE_1)
	s_xor_b32 s2, exec_lo, s2
	s_cbranch_execnz .LBB101_494
.LBB101_489:
	s_or_b32 exec_lo, exec_lo, s2
	s_delay_alu instid0(SALU_CYCLE_1)
	s_and_b32 s0, s0, exec_lo
.LBB101_490:
	s_or_b32 exec_lo, exec_lo, s3
	s_delay_alu instid0(SALU_CYCLE_1) | instskip(SKIP_3) | instid1(SALU_CYCLE_1)
	s_and_b32 s11, s0, exec_lo
	s_and_not1_b32 s1, s1, exec_lo
	s_or_b32 exec_lo, exec_lo, s4
	s_and_saveexec_b32 s0, s1
	s_xor_b32 s0, exec_lo, s0
	s_cbranch_execz .LBB101_443
.LBB101_491:
	s_or_b32 s11, s11, exec_lo
	s_trap 2
	s_branch .LBB101_443
.LBB101_492:
	s_or_b32 s8, s8, exec_lo
	s_trap 2
	s_branch .LBB101_447
.LBB101_493:
	s_or_b32 s8, s8, exec_lo
	s_trap 2
	s_branch .LBB101_445
.LBB101_494:
	s_mov_b32 s0, exec_lo
	s_trap 2
	s_branch .LBB101_489
	.section	.rodata,"a",@progbits
	.p2align	6, 0x0
	.amdhsa_kernel _ZN2at6native6sbtopk10gatherTopKIN3c104HalfEjLi3ELb0EEEvNS_4cuda6detail10TensorInfoIKT_T0_EESA_SA_bSA_SA_NS7_IS8_SA_EESA_NS7_IlSA_EESA_PS8_
		.amdhsa_group_segment_fixed_size 4112
		.amdhsa_private_segment_fixed_size 0
		.amdhsa_kernarg_size 952
		.amdhsa_user_sgpr_count 2
		.amdhsa_user_sgpr_dispatch_ptr 0
		.amdhsa_user_sgpr_queue_ptr 0
		.amdhsa_user_sgpr_kernarg_segment_ptr 1
		.amdhsa_user_sgpr_dispatch_id 0
		.amdhsa_user_sgpr_kernarg_preload_length 0
		.amdhsa_user_sgpr_kernarg_preload_offset 0
		.amdhsa_user_sgpr_private_segment_size 0
		.amdhsa_wavefront_size32 1
		.amdhsa_uses_dynamic_stack 0
		.amdhsa_enable_private_segment 0
		.amdhsa_system_sgpr_workgroup_id_x 1
		.amdhsa_system_sgpr_workgroup_id_y 1
		.amdhsa_system_sgpr_workgroup_id_z 1
		.amdhsa_system_sgpr_workgroup_info 0
		.amdhsa_system_vgpr_workitem_id 0
		.amdhsa_next_free_vgpr 72
		.amdhsa_next_free_sgpr 105
		.amdhsa_named_barrier_count 0
		.amdhsa_reserve_vcc 1
		.amdhsa_float_round_mode_32 0
		.amdhsa_float_round_mode_16_64 0
		.amdhsa_float_denorm_mode_32 3
		.amdhsa_float_denorm_mode_16_64 3
		.amdhsa_fp16_overflow 0
		.amdhsa_memory_ordered 1
		.amdhsa_forward_progress 1
		.amdhsa_inst_pref_size 143
		.amdhsa_round_robin_scheduling 0
		.amdhsa_exception_fp_ieee_invalid_op 0
		.amdhsa_exception_fp_denorm_src 0
		.amdhsa_exception_fp_ieee_div_zero 0
		.amdhsa_exception_fp_ieee_overflow 0
		.amdhsa_exception_fp_ieee_underflow 0
		.amdhsa_exception_fp_ieee_inexact 0
		.amdhsa_exception_int_div_zero 0
	.end_amdhsa_kernel
	.section	.text._ZN2at6native6sbtopk10gatherTopKIN3c104HalfEjLi3ELb0EEEvNS_4cuda6detail10TensorInfoIKT_T0_EESA_SA_bSA_SA_NS7_IS8_SA_EESA_NS7_IlSA_EESA_PS8_,"axG",@progbits,_ZN2at6native6sbtopk10gatherTopKIN3c104HalfEjLi3ELb0EEEvNS_4cuda6detail10TensorInfoIKT_T0_EESA_SA_bSA_SA_NS7_IS8_SA_EESA_NS7_IlSA_EESA_PS8_,comdat
.Lfunc_end101:
	.size	_ZN2at6native6sbtopk10gatherTopKIN3c104HalfEjLi3ELb0EEEvNS_4cuda6detail10TensorInfoIKT_T0_EESA_SA_bSA_SA_NS7_IS8_SA_EESA_NS7_IlSA_EESA_PS8_, .Lfunc_end101-_ZN2at6native6sbtopk10gatherTopKIN3c104HalfEjLi3ELb0EEEvNS_4cuda6detail10TensorInfoIKT_T0_EESA_SA_bSA_SA_NS7_IS8_SA_EESA_NS7_IlSA_EESA_PS8_
                                        ; -- End function
	.set _ZN2at6native6sbtopk10gatherTopKIN3c104HalfEjLi3ELb0EEEvNS_4cuda6detail10TensorInfoIKT_T0_EESA_SA_bSA_SA_NS7_IS8_SA_EESA_NS7_IlSA_EESA_PS8_.num_vgpr, 72
	.set _ZN2at6native6sbtopk10gatherTopKIN3c104HalfEjLi3ELb0EEEvNS_4cuda6detail10TensorInfoIKT_T0_EESA_SA_bSA_SA_NS7_IS8_SA_EESA_NS7_IlSA_EESA_PS8_.num_agpr, 0
	.set _ZN2at6native6sbtopk10gatherTopKIN3c104HalfEjLi3ELb0EEEvNS_4cuda6detail10TensorInfoIKT_T0_EESA_SA_bSA_SA_NS7_IS8_SA_EESA_NS7_IlSA_EESA_PS8_.numbered_sgpr, 105
	.set _ZN2at6native6sbtopk10gatherTopKIN3c104HalfEjLi3ELb0EEEvNS_4cuda6detail10TensorInfoIKT_T0_EESA_SA_bSA_SA_NS7_IS8_SA_EESA_NS7_IlSA_EESA_PS8_.num_named_barrier, 0
	.set _ZN2at6native6sbtopk10gatherTopKIN3c104HalfEjLi3ELb0EEEvNS_4cuda6detail10TensorInfoIKT_T0_EESA_SA_bSA_SA_NS7_IS8_SA_EESA_NS7_IlSA_EESA_PS8_.private_seg_size, 0
	.set _ZN2at6native6sbtopk10gatherTopKIN3c104HalfEjLi3ELb0EEEvNS_4cuda6detail10TensorInfoIKT_T0_EESA_SA_bSA_SA_NS7_IS8_SA_EESA_NS7_IlSA_EESA_PS8_.uses_vcc, 1
	.set _ZN2at6native6sbtopk10gatherTopKIN3c104HalfEjLi3ELb0EEEvNS_4cuda6detail10TensorInfoIKT_T0_EESA_SA_bSA_SA_NS7_IS8_SA_EESA_NS7_IlSA_EESA_PS8_.uses_flat_scratch, 0
	.set _ZN2at6native6sbtopk10gatherTopKIN3c104HalfEjLi3ELb0EEEvNS_4cuda6detail10TensorInfoIKT_T0_EESA_SA_bSA_SA_NS7_IS8_SA_EESA_NS7_IlSA_EESA_PS8_.has_dyn_sized_stack, 0
	.set _ZN2at6native6sbtopk10gatherTopKIN3c104HalfEjLi3ELb0EEEvNS_4cuda6detail10TensorInfoIKT_T0_EESA_SA_bSA_SA_NS7_IS8_SA_EESA_NS7_IlSA_EESA_PS8_.has_recursion, 0
	.set _ZN2at6native6sbtopk10gatherTopKIN3c104HalfEjLi3ELb0EEEvNS_4cuda6detail10TensorInfoIKT_T0_EESA_SA_bSA_SA_NS7_IS8_SA_EESA_NS7_IlSA_EESA_PS8_.has_indirect_call, 0
	.section	.AMDGPU.csdata,"",@progbits
; Kernel info:
; codeLenInByte = 18292
; TotalNumSgprs: 107
; NumVgprs: 72
; ScratchSize: 0
; MemoryBound: 0
; FloatMode: 240
; IeeeMode: 1
; LDSByteSize: 4112 bytes/workgroup (compile time only)
; SGPRBlocks: 0
; VGPRBlocks: 4
; NumSGPRsForWavesPerEU: 107
; NumVGPRsForWavesPerEU: 72
; NamedBarCnt: 0
; Occupancy: 12
; WaveLimiterHint : 1
; COMPUTE_PGM_RSRC2:SCRATCH_EN: 0
; COMPUTE_PGM_RSRC2:USER_SGPR: 2
; COMPUTE_PGM_RSRC2:TRAP_HANDLER: 0
; COMPUTE_PGM_RSRC2:TGID_X_EN: 1
; COMPUTE_PGM_RSRC2:TGID_Y_EN: 1
; COMPUTE_PGM_RSRC2:TGID_Z_EN: 1
; COMPUTE_PGM_RSRC2:TIDIG_COMP_CNT: 0
	.section	.text._ZN2at6native6mbtopk23computeBlockDigitCountsIN3c104HalfEjjLin1EEEvNS_4cuda6detail10TensorInfoIKT_T0_EEjPjjSA_iijT1_PSD_Ps,"axG",@progbits,_ZN2at6native6mbtopk23computeBlockDigitCountsIN3c104HalfEjjLin1EEEvNS_4cuda6detail10TensorInfoIKT_T0_EEjPjjSA_iijT1_PSD_Ps,comdat
	.protected	_ZN2at6native6mbtopk23computeBlockDigitCountsIN3c104HalfEjjLin1EEEvNS_4cuda6detail10TensorInfoIKT_T0_EEjPjjSA_iijT1_PSD_Ps ; -- Begin function _ZN2at6native6mbtopk23computeBlockDigitCountsIN3c104HalfEjjLin1EEEvNS_4cuda6detail10TensorInfoIKT_T0_EEjPjjSA_iijT1_PSD_Ps
	.globl	_ZN2at6native6mbtopk23computeBlockDigitCountsIN3c104HalfEjjLin1EEEvNS_4cuda6detail10TensorInfoIKT_T0_EEjPjjSA_iijT1_PSD_Ps
	.p2align	8
	.type	_ZN2at6native6mbtopk23computeBlockDigitCountsIN3c104HalfEjjLin1EEEvNS_4cuda6detail10TensorInfoIKT_T0_EEjPjjSA_iijT1_PSD_Ps,@function
_ZN2at6native6mbtopk23computeBlockDigitCountsIN3c104HalfEjjLin1EEEvNS_4cuda6detail10TensorInfoIKT_T0_EEjPjjSA_iijT1_PSD_Ps: ; @_ZN2at6native6mbtopk23computeBlockDigitCountsIN3c104HalfEjjLin1EEEvNS_4cuda6detail10TensorInfoIKT_T0_EEjPjjSA_iijT1_PSD_Ps
; %bb.0:
	s_load_b64 s[2:3], s[0:1], 0xf8
	s_bfe_u32 s4, ttmp6, 0x40010
	s_and_b32 s6, ttmp7, 0xffff
	s_add_co_i32 s7, s4, 1
	s_bfe_u32 s8, ttmp6, 0x40004
	s_mul_i32 s7, s6, s7
	s_load_b64 s[4:5], s[0:1], 0x110
	s_add_co_i32 s7, s8, s7
	s_bfe_u32 s9, ttmp6, 0x4000c
	s_bfe_u32 s11, ttmp6, 0x40014
	s_add_co_i32 s9, s9, 1
	s_and_b32 s10, ttmp6, 15
	s_mul_i32 s9, ttmp9, s9
	s_add_co_i32 s11, s11, 1
	s_add_co_i32 s12, s10, s9
	s_bfe_u32 s10, ttmp6, 0x40008
	s_mov_b32 s15, 0
	s_wait_kmcnt 0x0
	s_cvt_f32_u32 s8, s2
	s_delay_alu instid0(SALU_CYCLE_3) | instskip(SKIP_1) | instid1(SALU_CYCLE_1)
	v_rcp_iflag_f32_e32 v1, s8
	s_lshr_b32 s8, ttmp7, 16
	s_mul_i32 s9, s8, s11
	s_getreg_b32 s11, hwreg(HW_REG_IB_STS2, 6, 4)
	s_add_co_i32 s10, s10, s9
	s_cmp_eq_u32 s11, 0
	v_nop
	v_readfirstlane_b32 s13, v1
	s_cselect_b32 s14, s8, s10
	s_load_b128 s[8:11], s[0:1], 0xe8
	s_mul_i32 s5, s5, s14
	s_cselect_b32 s12, ttmp9, s12
	s_mul_f32 s13, s13, 0x4f7ffffe
	s_cselect_b32 s6, s6, s7
	s_sub_co_i32 s7, 0, s2
	s_add_co_i32 s5, s5, s6
	s_cvt_u32_f32 s13, s13
	s_mul_i32 s16, s5, s4
	s_delay_alu instid0(SALU_CYCLE_1) | instskip(NEXT) | instid1(SALU_CYCLE_1)
	s_add_co_i32 s16, s16, s12
	s_mul_i32 s7, s7, s13
	s_delay_alu instid0(SALU_CYCLE_1) | instskip(NEXT) | instid1(SALU_CYCLE_1)
	s_mul_hi_u32 s4, s13, s7
	s_add_co_i32 s13, s13, s4
	s_delay_alu instid0(SALU_CYCLE_1) | instskip(NEXT) | instid1(SALU_CYCLE_1)
	s_mul_hi_u32 s4, s16, s13
	s_mul_i32 s5, s4, s2
	s_add_co_i32 s6, s4, 1
	s_sub_co_i32 s5, s16, s5
	s_delay_alu instid0(SALU_CYCLE_1)
	s_sub_co_i32 s7, s5, s2
	s_cmp_ge_u32 s5, s2
	s_cselect_b32 s4, s6, s4
	s_cselect_b32 s5, s7, s5
	s_add_co_i32 s6, s4, 1
	s_cmp_ge_u32 s5, s2
	s_cselect_b32 s17, s6, s4
	s_wait_kmcnt 0x0
	s_cmp_ge_u32 s17, s8
	s_cbranch_scc1 .LBB102_30
; %bb.1:
	s_clause 0x1
	s_load_b32 s8, s[0:1], 0xd0
	s_load_b128 s[4:7], s[0:1], 0x100
	s_mov_b32 s18, s17
	s_wait_kmcnt 0x0
	s_cmp_lt_i32 s8, 2
	s_cbranch_scc1 .LBB102_4
; %bb.2:
	s_add_co_i32 s14, s8, -1
	s_add_co_i32 s8, s8, 1
	s_lshl_b64 s[12:13], s[14:15], 2
	s_mov_b32 s18, s17
	s_add_nc_u64 s[12:13], s[0:1], s[12:13]
	s_delay_alu instid0(SALU_CYCLE_1)
	s_add_nc_u64 s[12:13], s[12:13], 8
.LBB102_3:                              ; =>This Inner Loop Header: Depth=1
	s_clause 0x1
	s_load_b32 s14, s[12:13], 0x0
	s_load_b32 s19, s[12:13], 0x64
	s_mov_b32 s22, s18
	s_wait_xcnt 0x0
	s_add_nc_u64 s[12:13], s[12:13], -4
	s_wait_kmcnt 0x0
	s_cvt_f32_u32 s20, s14
	s_sub_co_i32 s21, 0, s14
	s_delay_alu instid0(SALU_CYCLE_2) | instskip(SKIP_1) | instid1(TRANS32_DEP_1)
	v_rcp_iflag_f32_e32 v1, s20
	v_nop
	v_readfirstlane_b32 s20, v1
	s_mul_f32 s20, s20, 0x4f7ffffe
	s_delay_alu instid0(SALU_CYCLE_3) | instskip(NEXT) | instid1(SALU_CYCLE_3)
	s_cvt_u32_f32 s20, s20
	s_mul_i32 s21, s21, s20
	s_delay_alu instid0(SALU_CYCLE_1) | instskip(NEXT) | instid1(SALU_CYCLE_1)
	s_mul_hi_u32 s21, s20, s21
	s_add_co_i32 s20, s20, s21
	s_delay_alu instid0(SALU_CYCLE_1) | instskip(NEXT) | instid1(SALU_CYCLE_1)
	s_mul_hi_u32 s18, s18, s20
	s_mul_i32 s20, s18, s14
	s_add_co_i32 s21, s18, 1
	s_sub_co_i32 s20, s22, s20
	s_delay_alu instid0(SALU_CYCLE_1)
	s_sub_co_i32 s23, s20, s14
	s_cmp_ge_u32 s20, s14
	s_cselect_b32 s18, s21, s18
	s_cselect_b32 s20, s23, s20
	s_add_co_i32 s21, s18, 1
	s_cmp_ge_u32 s20, s14
	s_cselect_b32 s18, s21, s18
	s_add_co_i32 s8, s8, -1
	s_mul_i32 s14, s18, s14
	s_delay_alu instid0(SALU_CYCLE_1) | instskip(NEXT) | instid1(SALU_CYCLE_1)
	s_sub_co_i32 s14, s22, s14
	s_mul_i32 s14, s19, s14
	s_delay_alu instid0(SALU_CYCLE_1)
	s_add_co_i32 s15, s14, s15
	s_cmp_gt_u32 s8, 2
	s_cbranch_scc1 .LBB102_3
.LBB102_4:
	s_load_b32 s8, s[4:5], s17 offset:0x0 scale_offset
	v_cmp_gt_u32_e32 vcc_lo, 0x100, v0
	v_lshlrev_b32_e32 v1, 2, v0
	s_wait_xcnt 0x0
	s_and_saveexec_b32 s4, vcc_lo
; %bb.5:
	v_mov_b32_e32 v2, 0
	ds_store_b32 v1, v2
; %bb.6:
	s_or_b32 exec_lo, exec_lo, s4
	s_load_b32 s14, s[0:1], 0xd8
	s_mul_i32 s17, s17, s2
	s_mov_b32 s13, 0
	s_sub_co_i32 s19, s16, s17
	s_wait_dscnt 0x0
	s_mul_i32 s4, s11, s19
	s_add_co_i32 s19, s19, 1
	s_lshl_b32 s17, s4, 8
	s_barrier_signal -1
	s_barrier_wait -1
	s_wait_kmcnt 0x0
	s_sub_co_i32 s12, s14, s17
	s_delay_alu instid0(SALU_CYCLE_1) | instskip(NEXT) | instid1(SALU_CYCLE_1)
	s_add_nc_u64 s[4:5], s[12:13], 0xff
	s_lshr_b64 s[4:5], s[4:5], 8
	s_cmp_lt_u32 s19, s2
	s_cselect_b32 s2, s11, s4
	s_delay_alu instid0(SALU_CYCLE_1)
	s_cmp_lt_i32 s2, 1
	s_cbranch_scc1 .LBB102_28
; %bb.7:
	s_clause 0x1
	s_load_b32 s11, s[0:1], 0x6c
	s_load_b64 s[4:5], s[0:1], 0x0
	s_wait_xcnt 0x0
	s_and_b32 s1, s10, 0xff
	s_wait_kmcnt 0x0
	s_mul_i32 s0, s11, s18
	s_delay_alu instid0(SALU_CYCLE_1) | instskip(NEXT) | instid1(SALU_CYCLE_1)
	s_add_co_i32 s12, s0, s15
	s_lshl_b64 s[18:19], s[12:13], 1
	s_cmp_lt_u32 s2, 4
	s_add_nc_u64 s[4:5], s[4:5], s[18:19]
	s_cbranch_scc1 .LBB102_22
; %bb.8:
	v_dual_mov_b32 v7, 1 :: v_dual_add_nc_u32 v6, s17, v0
	v_mov_b32_e32 v8, 0x8000
	s_and_b32 s13, s2, 0x7ffffffc
	s_lshl_b32 s10, s9, 10
	s_delay_alu instid0(VALU_DEP_2)
	v_add_nc_u32_e32 v2, 0x300, v6
	v_add_nc_u32_e32 v4, 0x200, v6
	;; [unrolled: 1-line block ×3, first 2 shown]
	v_mul_lo_u32 v6, s9, v6
	s_mov_b32 s11, 0
	v_mul_lo_u32 v3, s9, v2
	v_mul_lo_u32 v4, s9, v4
	;; [unrolled: 1-line block ×3, first 2 shown]
	s_mov_b32 s12, 0
	s_branch .LBB102_10
.LBB102_9:                              ;   in Loop: Header=BB102_10 Depth=1
	s_or_b32 exec_lo, exec_lo, s15
	v_add_nc_u32_e32 v2, 0x400, v2
	s_add_co_i32 s12, s12, 4
	s_add_co_i32 s11, s11, s10
	s_cmp_eq_u32 s13, s12
	s_cbranch_scc1 .LBB102_22
.LBB102_10:                             ; =>This Inner Loop Header: Depth=1
	v_add_nc_u32_e32 v9, 0xfffffd00, v2
	s_mov_b32 s15, exec_lo
	s_delay_alu instid0(VALU_DEP_1)
	v_cmpx_gt_u32_e64 s14, v9
	s_cbranch_execz .LBB102_13
; %bb.11:                               ;   in Loop: Header=BB102_10 Depth=1
	v_add_nc_u32_e32 v9, s11, v6
	global_load_u16 v9, v9, s[4:5] scale_offset
	s_wait_loadcnt 0x0
	v_cmp_lt_i16_e64 s0, -1, v9
	v_and_b32_e32 v10, 0xffff, v9
	s_delay_alu instid0(VALU_DEP_2) | instskip(SKIP_1) | instid1(VALU_DEP_2)
	v_cndmask_b32_e64 v11, 0xffff, v8, s0
	v_cmp_o_f16_e64 s0, v9, v9
	v_xor_b32_e32 v10, v11, v10
	s_wait_xcnt 0x0
	s_delay_alu instid0(VALU_DEP_1) | instskip(NEXT) | instid1(VALU_DEP_1)
	v_cndmask_b32_e64 v9, 0xffff, v10, s0
	v_bitop3_b32 v10, v9, s3, s8 bitop3:0x48
	s_delay_alu instid0(VALU_DEP_1)
	v_cmp_eq_u32_e64 s0, 0, v10
	s_and_b32 exec_lo, exec_lo, s0
; %bb.12:                               ;   in Loop: Header=BB102_10 Depth=1
	v_bfe_u32 v9, v9, s1, 8
	s_delay_alu instid0(VALU_DEP_1)
	v_lshlrev_b32_e32 v9, 2, v9
	ds_add_u32 v9, v7
.LBB102_13:                             ;   in Loop: Header=BB102_10 Depth=1
	s_or_b32 exec_lo, exec_lo, s15
	v_add_nc_u32_e32 v9, 0xfffffe00, v2
	s_mov_b32 s15, exec_lo
	s_delay_alu instid0(VALU_DEP_1)
	v_cmpx_gt_u32_e64 s14, v9
	s_cbranch_execz .LBB102_16
; %bb.14:                               ;   in Loop: Header=BB102_10 Depth=1
	v_add_nc_u32_e32 v9, s11, v5
	global_load_u16 v9, v9, s[4:5] scale_offset
	s_wait_loadcnt 0x0
	v_cmp_lt_i16_e64 s0, -1, v9
	v_and_b32_e32 v10, 0xffff, v9
	s_delay_alu instid0(VALU_DEP_2) | instskip(SKIP_1) | instid1(VALU_DEP_2)
	v_cndmask_b32_e64 v11, 0xffff, v8, s0
	v_cmp_o_f16_e64 s0, v9, v9
	v_xor_b32_e32 v10, v11, v10
	s_delay_alu instid0(VALU_DEP_1) | instskip(NEXT) | instid1(VALU_DEP_1)
	v_cndmask_b32_e64 v9, 0xffff, v10, s0
	v_bitop3_b32 v10, v9, s3, s8 bitop3:0x48
	s_delay_alu instid0(VALU_DEP_1)
	v_cmp_eq_u32_e64 s0, 0, v10
	s_and_b32 exec_lo, exec_lo, s0
; %bb.15:                               ;   in Loop: Header=BB102_10 Depth=1
	v_bfe_u32 v9, v9, s1, 8
	s_delay_alu instid0(VALU_DEP_1)
	v_lshlrev_b32_e32 v9, 2, v9
	ds_add_u32 v9, v7
.LBB102_16:                             ;   in Loop: Header=BB102_10 Depth=1
	s_or_b32 exec_lo, exec_lo, s15
	v_add_nc_u32_e32 v9, 0xffffff00, v2
	s_mov_b32 s15, exec_lo
	s_delay_alu instid0(VALU_DEP_1)
	v_cmpx_gt_u32_e64 s14, v9
	s_cbranch_execz .LBB102_19
; %bb.17:                               ;   in Loop: Header=BB102_10 Depth=1
	v_add_nc_u32_e32 v9, s11, v4
	global_load_u16 v9, v9, s[4:5] scale_offset
	s_wait_loadcnt 0x0
	v_cmp_lt_i16_e64 s0, -1, v9
	v_and_b32_e32 v10, 0xffff, v9
	s_delay_alu instid0(VALU_DEP_2) | instskip(SKIP_1) | instid1(VALU_DEP_2)
	v_cndmask_b32_e64 v11, 0xffff, v8, s0
	v_cmp_o_f16_e64 s0, v9, v9
	v_xor_b32_e32 v10, v11, v10
	s_delay_alu instid0(VALU_DEP_1) | instskip(NEXT) | instid1(VALU_DEP_1)
	v_cndmask_b32_e64 v9, 0xffff, v10, s0
	v_bitop3_b32 v10, v9, s3, s8 bitop3:0x48
	s_delay_alu instid0(VALU_DEP_1)
	v_cmp_eq_u32_e64 s0, 0, v10
	s_and_b32 exec_lo, exec_lo, s0
; %bb.18:                               ;   in Loop: Header=BB102_10 Depth=1
	v_bfe_u32 v9, v9, s1, 8
	s_delay_alu instid0(VALU_DEP_1)
	v_lshlrev_b32_e32 v9, 2, v9
	ds_add_u32 v9, v7
.LBB102_19:                             ;   in Loop: Header=BB102_10 Depth=1
	s_or_b32 exec_lo, exec_lo, s15
	s_delay_alu instid0(SALU_CYCLE_1)
	s_mov_b32 s15, exec_lo
	v_cmpx_gt_u32_e64 s14, v2
	s_cbranch_execz .LBB102_9
; %bb.20:                               ;   in Loop: Header=BB102_10 Depth=1
	v_add_nc_u32_e32 v9, s11, v3
	global_load_u16 v9, v9, s[4:5] scale_offset
	s_wait_loadcnt 0x0
	v_cmp_lt_i16_e64 s0, -1, v9
	v_and_b32_e32 v10, 0xffff, v9
	s_delay_alu instid0(VALU_DEP_2) | instskip(SKIP_1) | instid1(VALU_DEP_2)
	v_cndmask_b32_e64 v11, 0xffff, v8, s0
	v_cmp_o_f16_e64 s0, v9, v9
	v_xor_b32_e32 v10, v11, v10
	s_delay_alu instid0(VALU_DEP_1) | instskip(NEXT) | instid1(VALU_DEP_1)
	v_cndmask_b32_e64 v9, 0xffff, v10, s0
	v_bitop3_b32 v10, v9, s3, s8 bitop3:0x48
	s_delay_alu instid0(VALU_DEP_1)
	v_cmp_eq_u32_e64 s0, 0, v10
	s_and_b32 exec_lo, exec_lo, s0
	s_cbranch_execz .LBB102_9
; %bb.21:                               ;   in Loop: Header=BB102_10 Depth=1
	v_bfe_u32 v9, v9, s1, 8
	s_delay_alu instid0(VALU_DEP_1)
	v_lshlrev_b32_e32 v9, 2, v9
	ds_add_u32 v9, v7
	s_branch .LBB102_9
.LBB102_22:
	s_and_b32 s2, s2, 3
	s_delay_alu instid0(SALU_CYCLE_1)
	s_cmp_eq_u32 s2, 0
	s_cbranch_scc1 .LBB102_28
; %bb.23:
	s_lshl_b32 s0, s13, 8
	v_dual_mov_b32 v4, 1 :: v_dual_mov_b32 v5, 0x8000
	v_add3_u32 v2, s0, s17, v0
	s_delay_alu instid0(VALU_DEP_1)
	v_mul_lo_u32 v3, s9, v2
	s_lshl_b32 s9, s9, 8
	s_branch .LBB102_25
.LBB102_24:                             ;   in Loop: Header=BB102_25 Depth=1
	s_or_b32 exec_lo, exec_lo, s10
	s_delay_alu instid0(VALU_DEP_2) | instskip(SKIP_2) | instid1(SALU_CYCLE_1)
	v_add_nc_u32_e32 v3, s9, v3
	v_add_nc_u32_e32 v2, 0x100, v2
	s_add_co_i32 s2, s2, -1
	s_cmp_lg_u32 s2, 0
	s_cbranch_scc0 .LBB102_28
.LBB102_25:                             ; =>This Inner Loop Header: Depth=1
	s_mov_b32 s10, exec_lo
	v_cmpx_gt_u32_e64 s14, v2
	s_cbranch_execz .LBB102_24
; %bb.26:                               ;   in Loop: Header=BB102_25 Depth=1
	global_load_u16 v6, v3, s[4:5] scale_offset
	s_wait_loadcnt 0x0
	v_cmp_lt_i16_e64 s0, -1, v6
	v_and_b32_e32 v7, 0xffff, v6
	s_delay_alu instid0(VALU_DEP_2) | instskip(SKIP_1) | instid1(VALU_DEP_2)
	v_cndmask_b32_e64 v8, 0xffff, v5, s0
	v_cmp_o_f16_e64 s0, v6, v6
	v_xor_b32_e32 v7, v8, v7
	s_delay_alu instid0(VALU_DEP_1) | instskip(NEXT) | instid1(VALU_DEP_1)
	v_cndmask_b32_e64 v6, 0xffff, v7, s0
	v_bitop3_b32 v7, v6, s3, s8 bitop3:0x48
	s_delay_alu instid0(VALU_DEP_1)
	v_cmp_eq_u32_e64 s0, 0, v7
	s_and_b32 exec_lo, exec_lo, s0
	s_cbranch_execz .LBB102_24
; %bb.27:                               ;   in Loop: Header=BB102_25 Depth=1
	v_bfe_u32 v6, v6, s1, 8
	s_delay_alu instid0(VALU_DEP_1)
	v_lshlrev_b32_e32 v6, 2, v6
	ds_add_u32 v6, v4
	s_branch .LBB102_24
.LBB102_28:
	s_wait_dscnt 0x0
	s_barrier_signal -1
	s_barrier_wait -1
	s_and_saveexec_b32 s0, vcc_lo
	s_cbranch_execz .LBB102_30
; %bb.29:
	ds_load_b32 v1, v1
	v_lshl_or_b32 v0, s16, 8, v0
	s_wait_dscnt 0x0
	global_store_b16 v0, v1, s[6:7] scale_offset
.LBB102_30:
	s_endpgm
	.section	.rodata,"a",@progbits
	.p2align	6, 0x0
	.amdhsa_kernel _ZN2at6native6mbtopk23computeBlockDigitCountsIN3c104HalfEjjLin1EEEvNS_4cuda6detail10TensorInfoIKT_T0_EEjPjjSA_iijT1_PSD_Ps
		.amdhsa_group_segment_fixed_size 1024
		.amdhsa_private_segment_fixed_size 0
		.amdhsa_kernarg_size 528
		.amdhsa_user_sgpr_count 2
		.amdhsa_user_sgpr_dispatch_ptr 0
		.amdhsa_user_sgpr_queue_ptr 0
		.amdhsa_user_sgpr_kernarg_segment_ptr 1
		.amdhsa_user_sgpr_dispatch_id 0
		.amdhsa_user_sgpr_kernarg_preload_length 0
		.amdhsa_user_sgpr_kernarg_preload_offset 0
		.amdhsa_user_sgpr_private_segment_size 0
		.amdhsa_wavefront_size32 1
		.amdhsa_uses_dynamic_stack 0
		.amdhsa_enable_private_segment 0
		.amdhsa_system_sgpr_workgroup_id_x 1
		.amdhsa_system_sgpr_workgroup_id_y 1
		.amdhsa_system_sgpr_workgroup_id_z 1
		.amdhsa_system_sgpr_workgroup_info 0
		.amdhsa_system_vgpr_workitem_id 0
		.amdhsa_next_free_vgpr 12
		.amdhsa_next_free_sgpr 24
		.amdhsa_named_barrier_count 0
		.amdhsa_reserve_vcc 1
		.amdhsa_float_round_mode_32 0
		.amdhsa_float_round_mode_16_64 0
		.amdhsa_float_denorm_mode_32 3
		.amdhsa_float_denorm_mode_16_64 3
		.amdhsa_fp16_overflow 0
		.amdhsa_memory_ordered 1
		.amdhsa_forward_progress 1
		.amdhsa_inst_pref_size 14
		.amdhsa_round_robin_scheduling 0
		.amdhsa_exception_fp_ieee_invalid_op 0
		.amdhsa_exception_fp_denorm_src 0
		.amdhsa_exception_fp_ieee_div_zero 0
		.amdhsa_exception_fp_ieee_overflow 0
		.amdhsa_exception_fp_ieee_underflow 0
		.amdhsa_exception_fp_ieee_inexact 0
		.amdhsa_exception_int_div_zero 0
	.end_amdhsa_kernel
	.section	.text._ZN2at6native6mbtopk23computeBlockDigitCountsIN3c104HalfEjjLin1EEEvNS_4cuda6detail10TensorInfoIKT_T0_EEjPjjSA_iijT1_PSD_Ps,"axG",@progbits,_ZN2at6native6mbtopk23computeBlockDigitCountsIN3c104HalfEjjLin1EEEvNS_4cuda6detail10TensorInfoIKT_T0_EEjPjjSA_iijT1_PSD_Ps,comdat
.Lfunc_end102:
	.size	_ZN2at6native6mbtopk23computeBlockDigitCountsIN3c104HalfEjjLin1EEEvNS_4cuda6detail10TensorInfoIKT_T0_EEjPjjSA_iijT1_PSD_Ps, .Lfunc_end102-_ZN2at6native6mbtopk23computeBlockDigitCountsIN3c104HalfEjjLin1EEEvNS_4cuda6detail10TensorInfoIKT_T0_EEjPjjSA_iijT1_PSD_Ps
                                        ; -- End function
	.set _ZN2at6native6mbtopk23computeBlockDigitCountsIN3c104HalfEjjLin1EEEvNS_4cuda6detail10TensorInfoIKT_T0_EEjPjjSA_iijT1_PSD_Ps.num_vgpr, 12
	.set _ZN2at6native6mbtopk23computeBlockDigitCountsIN3c104HalfEjjLin1EEEvNS_4cuda6detail10TensorInfoIKT_T0_EEjPjjSA_iijT1_PSD_Ps.num_agpr, 0
	.set _ZN2at6native6mbtopk23computeBlockDigitCountsIN3c104HalfEjjLin1EEEvNS_4cuda6detail10TensorInfoIKT_T0_EEjPjjSA_iijT1_PSD_Ps.numbered_sgpr, 24
	.set _ZN2at6native6mbtopk23computeBlockDigitCountsIN3c104HalfEjjLin1EEEvNS_4cuda6detail10TensorInfoIKT_T0_EEjPjjSA_iijT1_PSD_Ps.num_named_barrier, 0
	.set _ZN2at6native6mbtopk23computeBlockDigitCountsIN3c104HalfEjjLin1EEEvNS_4cuda6detail10TensorInfoIKT_T0_EEjPjjSA_iijT1_PSD_Ps.private_seg_size, 0
	.set _ZN2at6native6mbtopk23computeBlockDigitCountsIN3c104HalfEjjLin1EEEvNS_4cuda6detail10TensorInfoIKT_T0_EEjPjjSA_iijT1_PSD_Ps.uses_vcc, 1
	.set _ZN2at6native6mbtopk23computeBlockDigitCountsIN3c104HalfEjjLin1EEEvNS_4cuda6detail10TensorInfoIKT_T0_EEjPjjSA_iijT1_PSD_Ps.uses_flat_scratch, 0
	.set _ZN2at6native6mbtopk23computeBlockDigitCountsIN3c104HalfEjjLin1EEEvNS_4cuda6detail10TensorInfoIKT_T0_EEjPjjSA_iijT1_PSD_Ps.has_dyn_sized_stack, 0
	.set _ZN2at6native6mbtopk23computeBlockDigitCountsIN3c104HalfEjjLin1EEEvNS_4cuda6detail10TensorInfoIKT_T0_EEjPjjSA_iijT1_PSD_Ps.has_recursion, 0
	.set _ZN2at6native6mbtopk23computeBlockDigitCountsIN3c104HalfEjjLin1EEEvNS_4cuda6detail10TensorInfoIKT_T0_EEjPjjSA_iijT1_PSD_Ps.has_indirect_call, 0
	.section	.AMDGPU.csdata,"",@progbits
; Kernel info:
; codeLenInByte = 1784
; TotalNumSgprs: 26
; NumVgprs: 12
; ScratchSize: 0
; MemoryBound: 0
; FloatMode: 240
; IeeeMode: 1
; LDSByteSize: 1024 bytes/workgroup (compile time only)
; SGPRBlocks: 0
; VGPRBlocks: 0
; NumSGPRsForWavesPerEU: 26
; NumVGPRsForWavesPerEU: 12
; NamedBarCnt: 0
; Occupancy: 16
; WaveLimiterHint : 1
; COMPUTE_PGM_RSRC2:SCRATCH_EN: 0
; COMPUTE_PGM_RSRC2:USER_SGPR: 2
; COMPUTE_PGM_RSRC2:TRAP_HANDLER: 0
; COMPUTE_PGM_RSRC2:TGID_X_EN: 1
; COMPUTE_PGM_RSRC2:TGID_Y_EN: 1
; COMPUTE_PGM_RSRC2:TGID_Z_EN: 1
; COMPUTE_PGM_RSRC2:TIDIG_COMP_CNT: 0
	.section	.text._ZN2at6native6mbtopk10gatherTopKIN3c104HalfEjLin1EEEvNS_4cuda6detail10TensorInfoIKT_T0_EESA_SA_bjSA_NS7_IS8_SA_EESA_NS7_IlSA_EESA_jjPS8_PjSF_j,"axG",@progbits,_ZN2at6native6mbtopk10gatherTopKIN3c104HalfEjLin1EEEvNS_4cuda6detail10TensorInfoIKT_T0_EESA_SA_bjSA_NS7_IS8_SA_EESA_NS7_IlSA_EESA_jjPS8_PjSF_j,comdat
	.protected	_ZN2at6native6mbtopk10gatherTopKIN3c104HalfEjLin1EEEvNS_4cuda6detail10TensorInfoIKT_T0_EESA_SA_bjSA_NS7_IS8_SA_EESA_NS7_IlSA_EESA_jjPS8_PjSF_j ; -- Begin function _ZN2at6native6mbtopk10gatherTopKIN3c104HalfEjLin1EEEvNS_4cuda6detail10TensorInfoIKT_T0_EESA_SA_bjSA_NS7_IS8_SA_EESA_NS7_IlSA_EESA_jjPS8_PjSF_j
	.globl	_ZN2at6native6mbtopk10gatherTopKIN3c104HalfEjLin1EEEvNS_4cuda6detail10TensorInfoIKT_T0_EESA_SA_bjSA_NS7_IS8_SA_EESA_NS7_IlSA_EESA_jjPS8_PjSF_j
	.p2align	8
	.type	_ZN2at6native6mbtopk10gatherTopKIN3c104HalfEjLin1EEEvNS_4cuda6detail10TensorInfoIKT_T0_EESA_SA_bjSA_NS7_IS8_SA_EESA_NS7_IlSA_EESA_jjPS8_PjSF_j,@function
_ZN2at6native6mbtopk10gatherTopKIN3c104HalfEjLin1EEEvNS_4cuda6detail10TensorInfoIKT_T0_EESA_SA_bjSA_NS7_IS8_SA_EESA_NS7_IlSA_EESA_jjPS8_PjSF_j: ; @_ZN2at6native6mbtopk10gatherTopKIN3c104HalfEjLin1EEEvNS_4cuda6detail10TensorInfoIKT_T0_EESA_SA_bjSA_NS7_IS8_SA_EESA_NS7_IlSA_EESA_jjPS8_PjSF_j
; %bb.0:
	s_bfe_u32 s2, ttmp6, 0x40010
	s_and_b32 s4, ttmp7, 0xffff
	s_add_co_i32 s5, s2, 1
	s_clause 0x1
	s_load_b32 s6, s[0:1], 0x2d0
	s_load_b64 s[2:3], s[0:1], 0x2d8
	s_bfe_u32 s8, ttmp6, 0x4000c
	s_mul_i32 s5, s4, s5
	s_bfe_u32 s7, ttmp6, 0x40004
	s_add_co_i32 s8, s8, 1
	s_bfe_u32 s9, ttmp6, 0x40014
	s_add_co_i32 s7, s7, s5
	s_and_b32 s5, ttmp6, 15
	s_mul_i32 s8, ttmp9, s8
	s_lshr_b32 s10, ttmp7, 16
	s_add_co_i32 s9, s9, 1
	s_add_co_i32 s5, s5, s8
	s_mul_i32 s8, s10, s9
	s_bfe_u32 s9, ttmp6, 0x40008
	s_getreg_b32 s11, hwreg(HW_REG_IB_STS2, 6, 4)
	s_add_co_i32 s9, s9, s8
	s_cmp_eq_u32 s11, 0
	s_mov_b32 s17, 0
	s_cselect_b32 s8, s10, s9
	s_cselect_b32 s4, s4, s7
	s_wait_kmcnt 0x0
	s_mul_i32 s3, s3, s8
	s_cselect_b32 s5, ttmp9, s5
	s_add_co_i32 s3, s3, s4
	s_delay_alu instid0(SALU_CYCLE_1) | instskip(NEXT) | instid1(SALU_CYCLE_1)
	s_mul_i32 s8, s3, s2
	s_add_co_i32 s8, s8, s5
	s_delay_alu instid0(SALU_CYCLE_1)
	s_cmp_ge_u32 s8, s6
	s_cbranch_scc1 .LBB103_49
; %bb.1:
	s_clause 0x1
	s_load_b96 s[12:14], s[0:1], 0x2a8
	s_load_b32 s2, s[0:1], 0xd0
	s_wait_kmcnt 0x0
	s_cvt_f32_u32 s3, s14
	s_sub_co_i32 s4, 0, s14
	s_delay_alu instid0(SALU_CYCLE_2) | instskip(SKIP_1) | instid1(TRANS32_DEP_1)
	v_rcp_iflag_f32_e32 v1, s3
	v_nop
	v_readfirstlane_b32 s3, v1
	s_mul_f32 s3, s3, 0x4f7ffffe
	s_delay_alu instid0(SALU_CYCLE_3) | instskip(NEXT) | instid1(SALU_CYCLE_3)
	s_cvt_u32_f32 s3, s3
	s_mul_i32 s4, s4, s3
	s_delay_alu instid0(SALU_CYCLE_1) | instskip(NEXT) | instid1(SALU_CYCLE_1)
	s_mul_hi_u32 s4, s3, s4
	s_add_co_i32 s3, s3, s4
	s_delay_alu instid0(SALU_CYCLE_1) | instskip(NEXT) | instid1(SALU_CYCLE_1)
	s_mul_hi_u32 s3, s8, s3
	s_mul_i32 s4, s3, s14
	s_add_co_i32 s5, s3, 1
	s_sub_co_i32 s4, s8, s4
	s_delay_alu instid0(SALU_CYCLE_1)
	s_sub_co_i32 s6, s4, s14
	s_cmp_ge_u32 s4, s14
	s_cselect_b32 s3, s5, s3
	s_cselect_b32 s4, s6, s4
	s_add_co_i32 s5, s3, 1
	s_cmp_ge_u32 s4, s14
	s_cselect_b32 s9, s5, s3
	s_cmp_lt_i32 s2, 2
	s_mov_b32 s15, s9
	s_cbranch_scc1 .LBB103_4
; %bb.2:
	s_add_co_i32 s16, s2, -1
	s_mov_b32 s15, s9
	s_lshl_b64 s[4:5], s[16:17], 2
	s_delay_alu instid0(SALU_CYCLE_1)
	s_add_nc_u64 s[6:7], s[0:1], s[4:5]
	s_add_co_i32 s4, s2, 1
	s_add_nc_u64 s[2:3], s[6:7], 8
.LBB103_3:                              ; =>This Inner Loop Header: Depth=1
	s_clause 0x1
	s_load_b32 s5, s[2:3], 0x0
	s_load_b32 s6, s[2:3], 0x64
	s_mov_b32 s11, s15
	s_wait_xcnt 0x0
	s_add_nc_u64 s[2:3], s[2:3], -4
	s_wait_kmcnt 0x0
	s_cvt_f32_u32 s7, s5
	s_sub_co_i32 s10, 0, s5
	s_delay_alu instid0(SALU_CYCLE_2) | instskip(SKIP_1) | instid1(TRANS32_DEP_1)
	v_rcp_iflag_f32_e32 v1, s7
	v_nop
	v_readfirstlane_b32 s7, v1
	s_mul_f32 s7, s7, 0x4f7ffffe
	s_delay_alu instid0(SALU_CYCLE_3) | instskip(NEXT) | instid1(SALU_CYCLE_3)
	s_cvt_u32_f32 s7, s7
	s_mul_i32 s10, s10, s7
	s_delay_alu instid0(SALU_CYCLE_1) | instskip(NEXT) | instid1(SALU_CYCLE_1)
	s_mul_hi_u32 s10, s7, s10
	s_add_co_i32 s7, s7, s10
	s_delay_alu instid0(SALU_CYCLE_1) | instskip(NEXT) | instid1(SALU_CYCLE_1)
	s_mul_hi_u32 s7, s15, s7
	s_mul_i32 s10, s7, s5
	s_delay_alu instid0(SALU_CYCLE_1)
	s_sub_co_i32 s10, s15, s10
	s_add_co_i32 s15, s7, 1
	s_sub_co_i32 s16, s10, s5
	s_cmp_ge_u32 s10, s5
	s_cselect_b32 s7, s15, s7
	s_cselect_b32 s10, s16, s10
	s_add_co_i32 s15, s7, 1
	s_cmp_ge_u32 s10, s5
	s_cselect_b32 s15, s15, s7
	s_add_co_i32 s4, s4, -1
	s_mul_i32 s5, s15, s5
	s_delay_alu instid0(SALU_CYCLE_1) | instskip(NEXT) | instid1(SALU_CYCLE_1)
	s_sub_co_i32 s5, s11, s5
	s_mul_i32 s5, s6, s5
	s_delay_alu instid0(SALU_CYCLE_1)
	s_add_co_i32 s17, s5, s17
	s_cmp_gt_u32 s4, 2
	s_cbranch_scc1 .LBB103_3
.LBB103_4:
	s_load_b32 s4, s[0:1], 0x1c0
	s_add_nc_u64 s[2:3], s[0:1], 0xf0
	s_mov_b32 s19, 0
	s_mov_b32 s16, s9
	s_wait_kmcnt 0x0
	s_cmp_lt_i32 s4, 2
	s_cbranch_scc1 .LBB103_7
; %bb.5:
	s_add_co_i32 s18, s4, -1
	s_mov_b32 s16, s9
	s_lshl_b64 s[6:7], s[18:19], 2
	s_delay_alu instid0(SALU_CYCLE_1)
	s_add_nc_u64 s[10:11], s[2:3], s[6:7]
	s_add_co_i32 s6, s4, 1
	s_add_nc_u64 s[4:5], s[10:11], 8
.LBB103_6:                              ; =>This Inner Loop Header: Depth=1
	s_clause 0x1
	s_load_b32 s7, s[4:5], 0x0
	s_load_b32 s10, s[4:5], 0x64
	s_mov_b32 s20, s16
	s_wait_xcnt 0x0
	s_add_nc_u64 s[4:5], s[4:5], -4
	s_wait_kmcnt 0x0
	s_cvt_f32_u32 s11, s7
	s_sub_co_i32 s18, 0, s7
	s_delay_alu instid0(SALU_CYCLE_2) | instskip(SKIP_1) | instid1(TRANS32_DEP_1)
	v_rcp_iflag_f32_e32 v1, s11
	v_nop
	v_readfirstlane_b32 s11, v1
	s_mul_f32 s11, s11, 0x4f7ffffe
	s_delay_alu instid0(SALU_CYCLE_3) | instskip(NEXT) | instid1(SALU_CYCLE_3)
	s_cvt_u32_f32 s11, s11
	s_mul_i32 s18, s18, s11
	s_delay_alu instid0(SALU_CYCLE_1) | instskip(NEXT) | instid1(SALU_CYCLE_1)
	s_mul_hi_u32 s18, s11, s18
	s_add_co_i32 s11, s11, s18
	s_delay_alu instid0(SALU_CYCLE_1) | instskip(NEXT) | instid1(SALU_CYCLE_1)
	s_mul_hi_u32 s11, s16, s11
	s_mul_i32 s16, s11, s7
	s_add_co_i32 s18, s11, 1
	s_sub_co_i32 s16, s20, s16
	s_delay_alu instid0(SALU_CYCLE_1)
	s_sub_co_i32 s21, s16, s7
	s_cmp_ge_u32 s16, s7
	s_cselect_b32 s11, s18, s11
	s_cselect_b32 s16, s21, s16
	s_add_co_i32 s18, s11, 1
	s_cmp_ge_u32 s16, s7
	s_cselect_b32 s16, s18, s11
	s_add_co_i32 s6, s6, -1
	s_mul_i32 s7, s16, s7
	s_delay_alu instid0(SALU_CYCLE_1) | instskip(NEXT) | instid1(SALU_CYCLE_1)
	s_sub_co_i32 s7, s20, s7
	s_mul_i32 s7, s10, s7
	s_delay_alu instid0(SALU_CYCLE_1)
	s_add_co_i32 s19, s7, s19
	s_cmp_gt_u32 s6, 2
	s_cbranch_scc1 .LBB103_6
.LBB103_7:
	s_clause 0x1
	s_load_b32 s18, s[0:1], 0x6c
	s_load_b32 s4, s[0:1], 0x2a0
	s_mov_b32 s21, 0
	s_mov_b32 s20, s9
	s_wait_kmcnt 0x0
	s_cmp_lt_i32 s4, 2
	s_cbranch_scc1 .LBB103_10
; %bb.8:
	s_add_co_i32 s20, s4, -1
	s_add_nc_u64 s[6:7], s[0:1], 0x1d0
	s_lshl_b64 s[10:11], s[20:21], 2
	s_mov_b32 s20, s9
	s_add_nc_u64 s[10:11], s[6:7], s[10:11]
	s_add_co_i32 s6, s4, 1
	s_add_nc_u64 s[4:5], s[10:11], 8
.LBB103_9:                              ; =>This Inner Loop Header: Depth=1
	s_clause 0x1
	s_load_b32 s7, s[4:5], 0x0
	s_load_b32 s10, s[4:5], 0x64
	s_mov_b32 s23, s20
	s_wait_xcnt 0x0
	s_add_nc_u64 s[4:5], s[4:5], -4
	s_wait_kmcnt 0x0
	s_cvt_f32_u32 s11, s7
	s_sub_co_i32 s22, 0, s7
	s_delay_alu instid0(SALU_CYCLE_2) | instskip(SKIP_1) | instid1(TRANS32_DEP_1)
	v_rcp_iflag_f32_e32 v1, s11
	v_nop
	v_readfirstlane_b32 s11, v1
	s_mul_f32 s11, s11, 0x4f7ffffe
	s_delay_alu instid0(SALU_CYCLE_3) | instskip(NEXT) | instid1(SALU_CYCLE_3)
	s_cvt_u32_f32 s11, s11
	s_mul_i32 s22, s22, s11
	s_delay_alu instid0(SALU_CYCLE_1) | instskip(NEXT) | instid1(SALU_CYCLE_1)
	s_mul_hi_u32 s22, s11, s22
	s_add_co_i32 s11, s11, s22
	s_delay_alu instid0(SALU_CYCLE_1) | instskip(NEXT) | instid1(SALU_CYCLE_1)
	s_mul_hi_u32 s11, s20, s11
	s_mul_i32 s20, s11, s7
	s_add_co_i32 s22, s11, 1
	s_sub_co_i32 s20, s23, s20
	s_delay_alu instid0(SALU_CYCLE_1)
	s_sub_co_i32 s24, s20, s7
	s_cmp_ge_u32 s20, s7
	s_cselect_b32 s11, s22, s11
	s_cselect_b32 s20, s24, s20
	s_add_co_i32 s22, s11, 1
	s_cmp_ge_u32 s20, s7
	s_cselect_b32 s20, s22, s11
	s_add_co_i32 s6, s6, -1
	s_mul_i32 s7, s20, s7
	s_delay_alu instid0(SALU_CYCLE_1) | instskip(NEXT) | instid1(SALU_CYCLE_1)
	s_sub_co_i32 s7, s23, s7
	s_mul_i32 s7, s10, s7
	s_delay_alu instid0(SALU_CYCLE_1)
	s_add_co_i32 s21, s7, s21
	s_cmp_gt_u32 s6, 2
	s_cbranch_scc1 .LBB103_9
.LBB103_10:
	s_clause 0x1
	s_load_b32 s31, s[2:3], 0x6c
	s_load_b128 s[4:7], s[0:1], 0x2b8
	v_mov_b32_e32 v1, s9
	s_wait_xcnt 0x0
	v_cmp_ne_u32_e64 s2, 0, v0
	v_cmp_eq_u32_e64 s3, 0, v0
	s_wait_kmcnt 0x0
	global_load_u16 v1, v1, s[4:5] scale_offset
	s_wait_xcnt 0x0
	s_mul_i32 s4, s9, s14
	s_mov_b32 s5, 0
	s_sub_co_i32 s33, s8, s4
	s_wait_loadcnt 0x0
	v_readfirstlane_b32 s30, v1
	s_and_saveexec_b32 s34, s3
	s_cbranch_execz .LBB103_26
; %bb.11:
	s_load_b64 s[24:25], s[0:1], 0x2c8
	s_lshl_b64 s[26:27], s[4:5], 2
	s_cmp_lt_u32 s14, 4
	s_cbranch_scc1 .LBB103_23
; %bb.12:
	s_mov_b64 s[22:23], 0
	s_mov_b32 s4, 0
.LBB103_13:                             ; =>This Inner Loop Header: Depth=1
	s_add_nc_u64 s[28:29], s[6:7], s[26:27]
	s_cmp_ge_u32 s4, s33
	s_load_b128 s[8:11], s[28:29], 0x0
	s_wait_kmcnt 0x0
	s_add_nc_u64 s[28:29], s[24:25], s[26:27]
	s_cbranch_scc0 .LBB103_20
; %bb.14:                               ;   in Loop: Header=BB103_13 Depth=1
	s_add_co_i32 s35, s4, 1
	s_delay_alu instid0(SALU_CYCLE_1)
	s_cmp_ge_u32 s35, s33
	s_cbranch_scc0 .LBB103_21
.LBB103_15:                             ;   in Loop: Header=BB103_13 Depth=1
	s_add_co_i32 s35, s35, 1
	s_delay_alu instid0(SALU_CYCLE_1)
	s_cmp_ge_u32 s35, s33
	s_cbranch_scc0 .LBB103_22
.LBB103_16:                             ;   in Loop: Header=BB103_13 Depth=1
	s_add_co_i32 s35, s35, 1
	s_delay_alu instid0(SALU_CYCLE_1)
	s_cmp_ge_u32 s35, s33
	s_cbranch_scc1 .LBB103_18
.LBB103_17:                             ;   in Loop: Header=BB103_13 Depth=1
	s_load_b32 s28, s[28:29], 0xc
	s_add_co_i32 s23, s11, s23
	s_wait_kmcnt 0x0
	s_add_co_i32 s22, s28, s22
.LBB103_18:                             ;   in Loop: Header=BB103_13 Depth=1
	s_add_co_i32 s5, s8, s5
	s_add_co_i32 s8, s35, 1
	;; [unrolled: 1-line block ×5, first 2 shown]
	s_add_nc_u64 s[6:7], s[6:7], 16
	s_add_co_i32 s5, s5, s11
	s_cmp_ge_u32 s9, s14
	s_add_nc_u64 s[24:25], s[24:25], 16
	s_cbranch_scc1 .LBB103_24
; %bb.19:                               ;   in Loop: Header=BB103_13 Depth=1
	s_mov_b32 s4, s8
	s_branch .LBB103_13
.LBB103_20:                             ;   in Loop: Header=BB103_13 Depth=1
	s_load_b32 s35, s[28:29], 0x0
	s_add_co_i32 s23, s8, s23
	s_wait_kmcnt 0x0
	s_add_co_i32 s22, s35, s22
	s_add_co_i32 s35, s4, 1
	s_delay_alu instid0(SALU_CYCLE_1)
	s_cmp_ge_u32 s35, s33
	s_cbranch_scc1 .LBB103_15
.LBB103_21:                             ;   in Loop: Header=BB103_13 Depth=1
	s_load_b32 s36, s[28:29], 0x4
	s_add_co_i32 s23, s9, s23
	s_wait_kmcnt 0x0
	s_add_co_i32 s22, s36, s22
	s_add_co_i32 s35, s35, 1
	s_delay_alu instid0(SALU_CYCLE_1)
	s_cmp_ge_u32 s35, s33
	s_cbranch_scc1 .LBB103_16
.LBB103_22:                             ;   in Loop: Header=BB103_13 Depth=1
	s_load_b32 s36, s[28:29], 0x8
	s_add_co_i32 s23, s10, s23
	s_wait_kmcnt 0x0
	s_add_co_i32 s22, s36, s22
	s_add_co_i32 s35, s35, 1
	s_delay_alu instid0(SALU_CYCLE_1)
	s_cmp_ge_u32 s35, s33
	s_cbranch_scc0 .LBB103_17
	s_branch .LBB103_18
.LBB103_23:
	s_mov_b64 s[22:23], 0
	s_add_nc_u64 s[6:7], s[6:7], s[26:27]
	s_wait_kmcnt 0x0
	s_add_nc_u64 s[8:9], s[24:25], s[26:27]
	s_mov_b32 s4, 0
	s_delay_alu instid0(SALU_CYCLE_1)
	s_cmp_ge_u32 s4, s14
	s_cbranch_scc0 .LBB103_47
	s_branch .LBB103_25
.LBB103_24:
	s_add_co_i32 s4, s4, 4
	s_add_nc_u64 s[8:9], s[24:25], s[26:27]
	s_add_nc_u64 s[6:7], s[6:7], s[26:27]
	s_cmp_ge_u32 s4, s14
	s_cbranch_scc0 .LBB103_47
.LBB103_25:
	v_dual_mov_b32 v2, s22 :: v_dual_mov_b32 v3, s5
	v_dual_mov_b32 v4, s23 :: v_dual_mov_b32 v1, 0
	ds_store_b96 v1, v[2:4] offset:1056
.LBB103_26:
	s_or_b32 exec_lo, exec_lo, s34
	s_clause 0x4
	s_load_b32 s26, s[0:1], 0x23c
	s_load_b64 s[8:9], s[0:1], 0x0
	s_load_b64 s[10:11], s[0:1], 0xf0
	;; [unrolled: 1-line block ×3, first 2 shown]
	s_load_b96 s[4:6], s[0:1], 0xd8
	s_mul_i32 s7, s13, s33
	s_mov_b32 s25, 0
	s_lshl_b32 s7, s7, 8
	s_add_co_i32 s33, s33, 1
	s_wait_dscnt 0x0
	s_barrier_signal -1
	s_barrier_wait -1
	s_wait_kmcnt 0x0
	s_sub_co_i32 s24, s4, s7
	s_delay_alu instid0(SALU_CYCLE_1) | instskip(NEXT) | instid1(SALU_CYCLE_1)
	s_add_nc_u64 s[28:29], s[24:25], 0xff
	s_lshr_b64 s[28:29], s[28:29], 8
	s_cmp_lt_u32 s33, s14
	s_cselect_b32 s13, s13, s28
	s_delay_alu instid0(SALU_CYCLE_1)
	s_cmp_eq_u32 s13, 0
	s_cbranch_scc1 .LBB103_49
; %bb.27:
	v_dual_mov_b32 v7, 0 :: v_dual_lshrrev_b32 v1, 3, v0
	s_mul_i32 s15, s18, s15
	s_mul_i32 s14, s31, s16
	s_add_co_i32 s24, s15, s17
	ds_load_b96 v[2:4], v7 offset:1056
	s_add_co_i32 s14, s14, s19
	s_lshl_b64 s[18:19], s[24:25], 1
	s_load_b32 s24, s[0:1], 0xe8
	s_mov_b32 s15, s25
	v_dual_add_nc_u32 v5, -1, v0 :: v_dual_bitop2_b32 v6, 28, v1 bitop3:0x40
	s_lshl_b64 s[14:15], s[14:15], 1
	s_mul_i32 s16, s26, s20
	s_add_nc_u64 s[10:11], s[10:11], s[14:15]
	s_load_b32 s15, s[0:1], 0x1c8
	s_add_co_i32 s16, s16, s21
	s_mov_b32 s17, s25
	v_lshrrev_b32_e32 v8, 3, v5
	s_sext_i32_i16 s20, s30
	s_lshl_b64 s[16:17], s[16:17], 3
	s_and_b32 s21, 0xffff, s30
	s_cmp_gt_i32 s20, -1
	s_mov_b32 s20, 0x8000
	v_and_b32_e32 v9, 0xfc, v0
	s_wait_dscnt 0x0
	v_add_nc_u32_e32 v1, v2, v3
	v_lshl_add_u32 v2, v0, 2, v6
	v_dual_add_nc_u32 v6, s7, v0 :: v_dual_lshlrev_b32 v10, 5, v0
	s_cselect_b32 s20, s20, 0xffff
	s_wait_xcnt 0x0
	v_cmp_gt_u32_e64 s0, 32, v0
	v_and_b32_e32 v8, 0x1ffffffc, v8
	s_wait_kmcnt 0x0
	v_mul_lo_u32 v0, s24, v6
	v_mbcnt_lo_u32_b32 v3, -1, 0
	s_xor_b32 s20, s20, s21
	s_cmp_o_f16 s30, s30
	v_lshl_add_u32 v5, v5, 2, v8
	s_delay_alu instid0(VALU_DEP_2)
	v_dual_add_nc_u32 v8, v9, v10 :: v_dual_bitop2_b32 v9, 15, v3 bitop3:0x40
	v_bfe_i32 v10, v3, 4, 1
	v_dual_mov_b32 v12, 0x8000 :: v_dual_add_nc_u32 v11, -1, v3
	s_cselect_b32 s14, s20, 0xffff
	s_bitcmp1_b32 s6, 0
	s_add_nc_u64 s[8:9], s[8:9], s[18:19]
	s_add_nc_u64 s[6:7], s[22:23], s[16:17]
	s_cselect_b32 s1, -1, 0
	s_lshl_b32 s16, s24, 8
                                        ; implicit-def: $vgpr13
	s_branch .LBB103_30
.LBB103_28:                             ;   in Loop: Header=BB103_30 Depth=1
	s_wait_xcnt 0x0
	s_or_b32 exec_lo, exec_lo, s17
	v_add_nc_u32_e32 v1, v16, v1
.LBB103_29:                             ;   in Loop: Header=BB103_30 Depth=1
	v_add_nc_u32_e32 v4, v15, v4
	v_add_nc_u32_e32 v0, s16, v0
	;; [unrolled: 1-line block ×3, first 2 shown]
	s_add_co_i32 s13, s13, -1
	s_delay_alu instid0(SALU_CYCLE_1)
	s_cmp_lg_u32 s13, 0
	s_cbranch_scc0 .LBB103_49
.LBB103_30:                             ; =>This Inner Loop Header: Depth=1
	v_dual_mov_b32 v16, 0 :: v_dual_mov_b32 v14, 0
	s_mov_b32 s17, exec_lo
	v_cmpx_gt_u32_e64 s4, v6
	s_cbranch_execz .LBB103_32
; %bb.31:                               ;   in Loop: Header=BB103_30 Depth=1
	global_load_u16 v13, v0, s[8:9] scale_offset
	s_wait_loadcnt 0x0
	v_cmp_lt_i16_e32 vcc_lo, -1, v13
	v_and_b32_e32 v14, 0xffff, v13
	v_cndmask_b32_e32 v15, 0xffff, v12, vcc_lo
	v_cmp_o_f16_e32 vcc_lo, v13, v13
	s_delay_alu instid0(VALU_DEP_2) | instskip(NEXT) | instid1(VALU_DEP_1)
	v_xor_b32_e32 v14, v15, v14
	v_cndmask_b32_e32 v14, 0xffff, v14, vcc_lo
	s_delay_alu instid0(VALU_DEP_1) | instskip(SKIP_4) | instid1(VALU_DEP_2)
	v_cmp_lt_u32_e32 vcc_lo, s14, v14
	v_cndmask_b32_e64 v15, 0, 1, vcc_lo
	v_cmp_gt_u32_e32 vcc_lo, s14, v14
	v_cndmask_b32_e64 v16, 0, 1, vcc_lo
	v_cmp_eq_u32_e32 vcc_lo, s14, v14
	v_cndmask_b32_e64 v15, v16, v15, s1
	v_cndmask_b32_e64 v14, 0, 1, vcc_lo
	s_delay_alu instid0(VALU_DEP_2)
	v_and_b32_e32 v16, 1, v15
.LBB103_32:                             ;   in Loop: Header=BB103_30 Depth=1
	s_wait_xcnt 0x0
	s_or_b32 exec_lo, exec_lo, s17
	ds_store_b32 v2, v16
	s_wait_dscnt 0x0
	s_barrier_signal -1
	s_barrier_wait -1
	s_and_saveexec_b32 s17, s0
	s_cbranch_execz .LBB103_34
; %bb.33:                               ;   in Loop: Header=BB103_30 Depth=1
	ds_load_2addr_b32 v[18:19], v8 offset1:1
	ds_load_2addr_b32 v[20:21], v8 offset0:2 offset1:3
	ds_load_2addr_b32 v[22:23], v8 offset0:4 offset1:5
	;; [unrolled: 1-line block ×3, first 2 shown]
	v_cmp_ne_u32_e32 vcc_lo, 0, v9
	; wave barrier
	s_wait_dscnt 0x3
	v_add_nc_u32_e32 v15, v19, v18
	s_wait_dscnt 0x2
	s_delay_alu instid0(VALU_DEP_1) | instskip(SKIP_1) | instid1(VALU_DEP_1)
	v_add3_u32 v15, v15, v20, v21
	s_wait_dscnt 0x1
	v_add3_u32 v15, v15, v22, v23
	s_wait_dscnt 0x0
	s_delay_alu instid0(VALU_DEP_1) | instskip(NEXT) | instid1(VALU_DEP_1)
	v_add3_u32 v15, v15, v24, v25
	v_mov_b32_dpp v17, v15 row_shr:1 row_mask:0xf bank_mask:0xf
	s_delay_alu instid0(VALU_DEP_1) | instskip(SKIP_1) | instid1(VALU_DEP_2)
	v_cndmask_b32_e32 v17, 0, v17, vcc_lo
	v_cmp_lt_u32_e32 vcc_lo, 1, v9
	v_add_nc_u32_e32 v15, v17, v15
	s_delay_alu instid0(VALU_DEP_1) | instskip(NEXT) | instid1(VALU_DEP_1)
	v_mov_b32_dpp v17, v15 row_shr:2 row_mask:0xf bank_mask:0xf
	v_cndmask_b32_e32 v17, 0, v17, vcc_lo
	v_cmp_lt_u32_e32 vcc_lo, 3, v9
	s_delay_alu instid0(VALU_DEP_2) | instskip(NEXT) | instid1(VALU_DEP_1)
	v_add_nc_u32_e32 v15, v15, v17
	v_mov_b32_dpp v17, v15 row_shr:4 row_mask:0xf bank_mask:0xf
	s_delay_alu instid0(VALU_DEP_1) | instskip(SKIP_1) | instid1(VALU_DEP_2)
	v_cndmask_b32_e32 v17, 0, v17, vcc_lo
	v_cmp_lt_u32_e32 vcc_lo, 7, v9
	v_add_nc_u32_e32 v15, v15, v17
	s_delay_alu instid0(VALU_DEP_1) | instskip(NEXT) | instid1(VALU_DEP_1)
	v_mov_b32_dpp v17, v15 row_shr:8 row_mask:0xf bank_mask:0xf
	v_cndmask_b32_e32 v17, 0, v17, vcc_lo
	v_cmp_gt_i32_e32 vcc_lo, 0, v11
	s_delay_alu instid0(VALU_DEP_2) | instskip(SKIP_4) | instid1(VALU_DEP_1)
	v_add_nc_u32_e32 v15, v15, v17
	v_cndmask_b32_e32 v19, v11, v3, vcc_lo
	ds_swizzle_b32 v17, v15 offset:swizzle(BROADCAST,32,15)
	s_wait_dscnt 0x0
	v_dual_lshlrev_b32 v19, 2, v19 :: v_dual_bitop2_b32 v17, v10, v17 bitop3:0x40
	v_add_nc_u32_e32 v15, v15, v17
	ds_bpermute_b32 v15, v19, v15
	s_wait_dscnt 0x0
	v_add_nc_u32_e32 v15, v15, v18
	s_delay_alu instid0(VALU_DEP_1)
	v_cndmask_b32_e64 v15, v15, v16, s3
	ds_store_b32 v8, v15
	; wave barrier
	ds_load_2addr_b32 v[18:19], v8 offset0:1 offset1:2
	ds_load_2addr_b32 v[20:21], v8 offset0:3 offset1:4
	;; [unrolled: 1-line block ×3, first 2 shown]
	ds_load_b32 v17, v8 offset:28
	s_wait_dscnt 0x3
	v_add_nc_u32_e32 v15, v18, v15
	s_delay_alu instid0(VALU_DEP_1) | instskip(SKIP_1) | instid1(VALU_DEP_1)
	v_add_nc_u32_e32 v18, v19, v15
	s_wait_dscnt 0x2
	v_add_nc_u32_e32 v19, v20, v18
	s_delay_alu instid0(VALU_DEP_1) | instskip(SKIP_1) | instid1(VALU_DEP_1)
	v_add_nc_u32_e32 v20, v21, v19
	;; [unrolled: 4-line block ×3, first 2 shown]
	s_wait_dscnt 0x0
	v_add_nc_u32_e32 v17, v17, v22
	ds_store_2addr_b32 v8, v15, v18 offset0:1 offset1:2
	ds_store_2addr_b32 v8, v19, v20 offset0:3 offset1:4
	;; [unrolled: 1-line block ×3, first 2 shown]
	ds_store_b32 v8, v17 offset:28
.LBB103_34:                             ;   in Loop: Header=BB103_30 Depth=1
	s_or_b32 exec_lo, exec_lo, s17
	v_mov_b32_e32 v17, 0
	s_wait_dscnt 0x0
	s_barrier_signal -1
	s_barrier_wait -1
	s_and_saveexec_b32 s17, s2
; %bb.35:                               ;   in Loop: Header=BB103_30 Depth=1
	ds_load_b32 v17, v5
; %bb.36:                               ;   in Loop: Header=BB103_30 Depth=1
	s_or_b32 exec_lo, exec_lo, s17
	ds_load_b32 v15, v7 offset:1048
	s_mov_b32 s17, exec_lo
	s_wait_dscnt 0x0
	s_barrier_signal -1
	s_barrier_wait -1
	v_cmpx_ne_u32_e32 0, v16
	s_cbranch_execz .LBB103_38
; %bb.37:                               ;   in Loop: Header=BB103_30 Depth=1
	v_add_nc_u32_e32 v16, v17, v4
	s_delay_alu instid0(VALU_DEP_1)
	v_mul_lo_u32 v17, v16, s15
	v_mul_lo_u32 v16, v16, s12
	global_store_b16 v17, v13, s[10:11] scale_offset
	global_store_b64 v16, v[6:7], s[6:7] scale_offset
.LBB103_38:                             ;   in Loop: Header=BB103_30 Depth=1
	s_wait_xcnt 0x0
	s_or_b32 exec_lo, exec_lo, s17
	v_cmp_le_u32_e32 vcc_lo, s5, v1
	s_cbranch_vccnz .LBB103_29
; %bb.39:                               ;   in Loop: Header=BB103_30 Depth=1
	ds_store_b32 v2, v14
	s_wait_storecnt_dscnt 0x0
	s_barrier_signal -1
	s_barrier_wait -1
	s_and_saveexec_b32 s17, s0
	s_cbranch_execz .LBB103_41
; %bb.40:                               ;   in Loop: Header=BB103_30 Depth=1
	ds_load_2addr_b32 v[16:17], v8 offset1:1
	ds_load_2addr_b32 v[18:19], v8 offset0:2 offset1:3
	ds_load_2addr_b32 v[20:21], v8 offset0:4 offset1:5
	;; [unrolled: 1-line block ×3, first 2 shown]
	v_cmp_ne_u32_e32 vcc_lo, 0, v9
	; wave barrier
	s_wait_dscnt 0x3
	v_add_nc_u32_e32 v17, v17, v16
	s_wait_dscnt 0x2
	s_delay_alu instid0(VALU_DEP_1) | instskip(SKIP_1) | instid1(VALU_DEP_1)
	v_add3_u32 v17, v17, v18, v19
	s_wait_dscnt 0x1
	v_add3_u32 v17, v17, v20, v21
	s_wait_dscnt 0x0
	s_delay_alu instid0(VALU_DEP_1) | instskip(NEXT) | instid1(VALU_DEP_1)
	v_add3_u32 v17, v17, v22, v23
	v_mov_b32_dpp v18, v17 row_shr:1 row_mask:0xf bank_mask:0xf
	s_delay_alu instid0(VALU_DEP_1) | instskip(SKIP_1) | instid1(VALU_DEP_2)
	v_cndmask_b32_e32 v18, 0, v18, vcc_lo
	v_cmp_lt_u32_e32 vcc_lo, 1, v9
	v_add_nc_u32_e32 v17, v18, v17
	s_delay_alu instid0(VALU_DEP_1) | instskip(NEXT) | instid1(VALU_DEP_1)
	v_mov_b32_dpp v18, v17 row_shr:2 row_mask:0xf bank_mask:0xf
	v_cndmask_b32_e32 v18, 0, v18, vcc_lo
	v_cmp_lt_u32_e32 vcc_lo, 3, v9
	s_delay_alu instid0(VALU_DEP_2) | instskip(NEXT) | instid1(VALU_DEP_1)
	v_add_nc_u32_e32 v17, v17, v18
	v_mov_b32_dpp v18, v17 row_shr:4 row_mask:0xf bank_mask:0xf
	s_delay_alu instid0(VALU_DEP_1) | instskip(SKIP_1) | instid1(VALU_DEP_2)
	v_cndmask_b32_e32 v18, 0, v18, vcc_lo
	v_cmp_lt_u32_e32 vcc_lo, 7, v9
	v_add_nc_u32_e32 v17, v17, v18
	s_delay_alu instid0(VALU_DEP_1) | instskip(NEXT) | instid1(VALU_DEP_1)
	v_mov_b32_dpp v18, v17 row_shr:8 row_mask:0xf bank_mask:0xf
	v_cndmask_b32_e32 v18, 0, v18, vcc_lo
	v_cmp_gt_i32_e32 vcc_lo, 0, v11
	s_delay_alu instid0(VALU_DEP_2) | instskip(SKIP_3) | instid1(VALU_DEP_1)
	v_dual_add_nc_u32 v17, v17, v18 :: v_dual_cndmask_b32 v19, v11, v3, vcc_lo
	ds_swizzle_b32 v18, v17 offset:swizzle(BROADCAST,32,15)
	s_wait_dscnt 0x0
	v_dual_lshlrev_b32 v19, 2, v19 :: v_dual_bitop2_b32 v18, v10, v18 bitop3:0x40
	v_add_nc_u32_e32 v17, v17, v18
	ds_bpermute_b32 v17, v19, v17
	s_wait_dscnt 0x0
	v_add_nc_u32_e32 v16, v17, v16
	s_delay_alu instid0(VALU_DEP_1)
	v_cndmask_b32_e64 v22, v16, v14, s3
	ds_store_b32 v8, v22
	; wave barrier
	ds_load_2addr_b32 v[16:17], v8 offset0:1 offset1:2
	ds_load_2addr_b32 v[18:19], v8 offset0:3 offset1:4
	;; [unrolled: 1-line block ×3, first 2 shown]
	ds_load_b32 v23, v8 offset:28
	s_wait_dscnt 0x3
	v_add_nc_u32_e32 v16, v16, v22
	s_delay_alu instid0(VALU_DEP_1) | instskip(SKIP_1) | instid1(VALU_DEP_1)
	v_add_nc_u32_e32 v17, v17, v16
	s_wait_dscnt 0x2
	v_add_nc_u32_e32 v18, v18, v17
	s_delay_alu instid0(VALU_DEP_1) | instskip(SKIP_1) | instid1(VALU_DEP_1)
	v_add_nc_u32_e32 v19, v19, v18
	;; [unrolled: 4-line block ×3, first 2 shown]
	s_wait_dscnt 0x0
	v_add_nc_u32_e32 v22, v23, v21
	ds_store_2addr_b32 v8, v16, v17 offset0:1 offset1:2
	ds_store_2addr_b32 v8, v18, v19 offset0:3 offset1:4
	;; [unrolled: 1-line block ×3, first 2 shown]
	ds_store_b32 v8, v22 offset:28
.LBB103_41:                             ;   in Loop: Header=BB103_30 Depth=1
	s_or_b32 exec_lo, exec_lo, s17
	v_mov_b32_e32 v17, 0
	s_wait_dscnt 0x0
	s_barrier_signal -1
	s_barrier_wait -1
	s_and_saveexec_b32 s17, s2
; %bb.42:                               ;   in Loop: Header=BB103_30 Depth=1
	ds_load_b32 v17, v5
; %bb.43:                               ;   in Loop: Header=BB103_30 Depth=1
	s_or_b32 exec_lo, exec_lo, s17
	ds_load_b32 v16, v7 offset:1048
	s_mov_b32 s17, exec_lo
	s_wait_dscnt 0x0
	s_barrier_signal -1
	s_barrier_wait -1
	v_cmpx_ne_u32_e32 0, v14
	s_cbranch_execz .LBB103_28
; %bb.44:                               ;   in Loop: Header=BB103_30 Depth=1
	v_add_nc_u32_e32 v14, v17, v1
	s_delay_alu instid0(VALU_DEP_1)
	v_cmp_gt_u32_e32 vcc_lo, s5, v14
	s_and_b32 exec_lo, exec_lo, vcc_lo
	s_cbranch_execz .LBB103_28
; %bb.45:                               ;   in Loop: Header=BB103_30 Depth=1
	v_mul_lo_u32 v17, v14, s15
	v_mul_lo_u32 v14, v14, s12
	global_store_b16 v17, v13, s[10:11] scale_offset
	global_store_b64 v14, v[6:7], s[6:7] scale_offset
	s_branch .LBB103_28
.LBB103_46:                             ;   in Loop: Header=BB103_47 Depth=1
	s_add_co_i32 s4, s4, 1
	s_wait_kmcnt 0x0
	s_add_co_i32 s5, s10, s5
	s_add_nc_u64 s[6:7], s[6:7], 4
	s_cmp_lt_u32 s4, s14
	s_add_nc_u64 s[8:9], s[8:9], 4
	s_cbranch_scc0 .LBB103_25
.LBB103_47:                             ; =>This Inner Loop Header: Depth=1
	s_load_b32 s10, s[6:7], 0x0
	s_cmp_ge_u32 s4, s33
	s_cbranch_scc1 .LBB103_46
; %bb.48:                               ;   in Loop: Header=BB103_47 Depth=1
	s_load_b32 s11, s[8:9], 0x0
	s_wait_kmcnt 0x0
	s_add_co_i32 s23, s10, s23
	s_add_co_i32 s22, s11, s22
	s_branch .LBB103_46
.LBB103_49:
	s_endpgm
	.section	.rodata,"a",@progbits
	.p2align	6, 0x0
	.amdhsa_kernel _ZN2at6native6mbtopk10gatherTopKIN3c104HalfEjLin1EEEvNS_4cuda6detail10TensorInfoIKT_T0_EESA_SA_bjSA_NS7_IS8_SA_EESA_NS7_IlSA_EESA_jjPS8_PjSF_j
		.amdhsa_group_segment_fixed_size 1068
		.amdhsa_private_segment_fixed_size 0
		.amdhsa_kernarg_size 984
		.amdhsa_user_sgpr_count 2
		.amdhsa_user_sgpr_dispatch_ptr 0
		.amdhsa_user_sgpr_queue_ptr 0
		.amdhsa_user_sgpr_kernarg_segment_ptr 1
		.amdhsa_user_sgpr_dispatch_id 0
		.amdhsa_user_sgpr_kernarg_preload_length 0
		.amdhsa_user_sgpr_kernarg_preload_offset 0
		.amdhsa_user_sgpr_private_segment_size 0
		.amdhsa_wavefront_size32 1
		.amdhsa_uses_dynamic_stack 0
		.amdhsa_enable_private_segment 0
		.amdhsa_system_sgpr_workgroup_id_x 1
		.amdhsa_system_sgpr_workgroup_id_y 1
		.amdhsa_system_sgpr_workgroup_id_z 1
		.amdhsa_system_sgpr_workgroup_info 0
		.amdhsa_system_vgpr_workitem_id 0
		.amdhsa_next_free_vgpr 26
		.amdhsa_next_free_sgpr 37
		.amdhsa_named_barrier_count 0
		.amdhsa_reserve_vcc 1
		.amdhsa_float_round_mode_32 0
		.amdhsa_float_round_mode_16_64 0
		.amdhsa_float_denorm_mode_32 3
		.amdhsa_float_denorm_mode_16_64 3
		.amdhsa_fp16_overflow 0
		.amdhsa_memory_ordered 1
		.amdhsa_forward_progress 1
		.amdhsa_inst_pref_size 26
		.amdhsa_round_robin_scheduling 0
		.amdhsa_exception_fp_ieee_invalid_op 0
		.amdhsa_exception_fp_denorm_src 0
		.amdhsa_exception_fp_ieee_div_zero 0
		.amdhsa_exception_fp_ieee_overflow 0
		.amdhsa_exception_fp_ieee_underflow 0
		.amdhsa_exception_fp_ieee_inexact 0
		.amdhsa_exception_int_div_zero 0
	.end_amdhsa_kernel
	.section	.text._ZN2at6native6mbtopk10gatherTopKIN3c104HalfEjLin1EEEvNS_4cuda6detail10TensorInfoIKT_T0_EESA_SA_bjSA_NS7_IS8_SA_EESA_NS7_IlSA_EESA_jjPS8_PjSF_j,"axG",@progbits,_ZN2at6native6mbtopk10gatherTopKIN3c104HalfEjLin1EEEvNS_4cuda6detail10TensorInfoIKT_T0_EESA_SA_bjSA_NS7_IS8_SA_EESA_NS7_IlSA_EESA_jjPS8_PjSF_j,comdat
.Lfunc_end103:
	.size	_ZN2at6native6mbtopk10gatherTopKIN3c104HalfEjLin1EEEvNS_4cuda6detail10TensorInfoIKT_T0_EESA_SA_bjSA_NS7_IS8_SA_EESA_NS7_IlSA_EESA_jjPS8_PjSF_j, .Lfunc_end103-_ZN2at6native6mbtopk10gatherTopKIN3c104HalfEjLin1EEEvNS_4cuda6detail10TensorInfoIKT_T0_EESA_SA_bjSA_NS7_IS8_SA_EESA_NS7_IlSA_EESA_jjPS8_PjSF_j
                                        ; -- End function
	.set _ZN2at6native6mbtopk10gatherTopKIN3c104HalfEjLin1EEEvNS_4cuda6detail10TensorInfoIKT_T0_EESA_SA_bjSA_NS7_IS8_SA_EESA_NS7_IlSA_EESA_jjPS8_PjSF_j.num_vgpr, 26
	.set _ZN2at6native6mbtopk10gatherTopKIN3c104HalfEjLin1EEEvNS_4cuda6detail10TensorInfoIKT_T0_EESA_SA_bjSA_NS7_IS8_SA_EESA_NS7_IlSA_EESA_jjPS8_PjSF_j.num_agpr, 0
	.set _ZN2at6native6mbtopk10gatherTopKIN3c104HalfEjLin1EEEvNS_4cuda6detail10TensorInfoIKT_T0_EESA_SA_bjSA_NS7_IS8_SA_EESA_NS7_IlSA_EESA_jjPS8_PjSF_j.numbered_sgpr, 37
	.set _ZN2at6native6mbtopk10gatherTopKIN3c104HalfEjLin1EEEvNS_4cuda6detail10TensorInfoIKT_T0_EESA_SA_bjSA_NS7_IS8_SA_EESA_NS7_IlSA_EESA_jjPS8_PjSF_j.num_named_barrier, 0
	.set _ZN2at6native6mbtopk10gatherTopKIN3c104HalfEjLin1EEEvNS_4cuda6detail10TensorInfoIKT_T0_EESA_SA_bjSA_NS7_IS8_SA_EESA_NS7_IlSA_EESA_jjPS8_PjSF_j.private_seg_size, 0
	.set _ZN2at6native6mbtopk10gatherTopKIN3c104HalfEjLin1EEEvNS_4cuda6detail10TensorInfoIKT_T0_EESA_SA_bjSA_NS7_IS8_SA_EESA_NS7_IlSA_EESA_jjPS8_PjSF_j.uses_vcc, 1
	.set _ZN2at6native6mbtopk10gatherTopKIN3c104HalfEjLin1EEEvNS_4cuda6detail10TensorInfoIKT_T0_EESA_SA_bjSA_NS7_IS8_SA_EESA_NS7_IlSA_EESA_jjPS8_PjSF_j.uses_flat_scratch, 0
	.set _ZN2at6native6mbtopk10gatherTopKIN3c104HalfEjLin1EEEvNS_4cuda6detail10TensorInfoIKT_T0_EESA_SA_bjSA_NS7_IS8_SA_EESA_NS7_IlSA_EESA_jjPS8_PjSF_j.has_dyn_sized_stack, 0
	.set _ZN2at6native6mbtopk10gatherTopKIN3c104HalfEjLin1EEEvNS_4cuda6detail10TensorInfoIKT_T0_EESA_SA_bjSA_NS7_IS8_SA_EESA_NS7_IlSA_EESA_jjPS8_PjSF_j.has_recursion, 0
	.set _ZN2at6native6mbtopk10gatherTopKIN3c104HalfEjLin1EEEvNS_4cuda6detail10TensorInfoIKT_T0_EESA_SA_bjSA_NS7_IS8_SA_EESA_NS7_IlSA_EESA_jjPS8_PjSF_j.has_indirect_call, 0
	.section	.AMDGPU.csdata,"",@progbits
; Kernel info:
; codeLenInByte = 3236
; TotalNumSgprs: 39
; NumVgprs: 26
; ScratchSize: 0
; MemoryBound: 0
; FloatMode: 240
; IeeeMode: 1
; LDSByteSize: 1068 bytes/workgroup (compile time only)
; SGPRBlocks: 0
; VGPRBlocks: 1
; NumSGPRsForWavesPerEU: 39
; NumVGPRsForWavesPerEU: 26
; NamedBarCnt: 0
; Occupancy: 16
; WaveLimiterHint : 1
; COMPUTE_PGM_RSRC2:SCRATCH_EN: 0
; COMPUTE_PGM_RSRC2:USER_SGPR: 2
; COMPUTE_PGM_RSRC2:TRAP_HANDLER: 0
; COMPUTE_PGM_RSRC2:TGID_X_EN: 1
; COMPUTE_PGM_RSRC2:TGID_Y_EN: 1
; COMPUTE_PGM_RSRC2:TGID_Z_EN: 1
; COMPUTE_PGM_RSRC2:TIDIG_COMP_CNT: 0
	.section	.text._ZN2at6native6sbtopk10gatherTopKIN3c104HalfEjLin1ELb0EEEvNS_4cuda6detail10TensorInfoIKT_T0_EESA_SA_bSA_SA_NS7_IS8_SA_EESA_NS7_IlSA_EESA_PS8_,"axG",@progbits,_ZN2at6native6sbtopk10gatherTopKIN3c104HalfEjLin1ELb0EEEvNS_4cuda6detail10TensorInfoIKT_T0_EESA_SA_bSA_SA_NS7_IS8_SA_EESA_NS7_IlSA_EESA_PS8_,comdat
	.protected	_ZN2at6native6sbtopk10gatherTopKIN3c104HalfEjLin1ELb0EEEvNS_4cuda6detail10TensorInfoIKT_T0_EESA_SA_bSA_SA_NS7_IS8_SA_EESA_NS7_IlSA_EESA_PS8_ ; -- Begin function _ZN2at6native6sbtopk10gatherTopKIN3c104HalfEjLin1ELb0EEEvNS_4cuda6detail10TensorInfoIKT_T0_EESA_SA_bSA_SA_NS7_IS8_SA_EESA_NS7_IlSA_EESA_PS8_
	.globl	_ZN2at6native6sbtopk10gatherTopKIN3c104HalfEjLin1ELb0EEEvNS_4cuda6detail10TensorInfoIKT_T0_EESA_SA_bSA_SA_NS7_IS8_SA_EESA_NS7_IlSA_EESA_PS8_
	.p2align	8
	.type	_ZN2at6native6sbtopk10gatherTopKIN3c104HalfEjLin1ELb0EEEvNS_4cuda6detail10TensorInfoIKT_T0_EESA_SA_bSA_SA_NS7_IS8_SA_EESA_NS7_IlSA_EESA_PS8_,@function
_ZN2at6native6sbtopk10gatherTopKIN3c104HalfEjLin1ELb0EEEvNS_4cuda6detail10TensorInfoIKT_T0_EESA_SA_bSA_SA_NS7_IS8_SA_EESA_NS7_IlSA_EESA_PS8_: ; @_ZN2at6native6sbtopk10gatherTopKIN3c104HalfEjLin1ELb0EEEvNS_4cuda6detail10TensorInfoIKT_T0_EESA_SA_bSA_SA_NS7_IS8_SA_EESA_NS7_IlSA_EESA_PS8_
; %bb.0:
	s_clause 0x1
	s_load_b128 s[36:39], s[0:1], 0xd8
	s_load_b64 s[8:9], s[0:1], 0x2b8
	s_bfe_u32 s2, ttmp6, 0x40010
	s_and_b32 s3, ttmp7, 0xffff
	s_add_co_i32 s2, s2, 1
	s_bfe_u32 s5, ttmp6, 0x4000c
	s_mul_i32 s2, s3, s2
	s_bfe_u32 s4, ttmp6, 0x40004
	s_add_co_i32 s5, s5, 1
	s_bfe_u32 s6, ttmp6, 0x40014
	s_add_co_i32 s4, s4, s2
	s_and_b32 s2, ttmp6, 15
	s_mul_i32 s5, ttmp9, s5
	s_lshr_b32 s7, ttmp7, 16
	s_add_co_i32 s6, s6, 1
	s_add_co_i32 s2, s2, s5
	s_mul_i32 s5, s7, s6
	s_bfe_u32 s6, ttmp6, 0x40008
	s_getreg_b32 s10, hwreg(HW_REG_IB_STS2, 6, 4)
	s_add_co_i32 s6, s6, s5
	s_cmp_eq_u32 s10, 0
	s_cselect_b32 s5, s7, s6
	s_cselect_b32 s3, s3, s4
	s_wait_kmcnt 0x0
	s_mul_i32 s5, s9, s5
	s_cselect_b32 s9, ttmp9, s2
	s_add_co_i32 s2, s5, s3
	s_delay_alu instid0(SALU_CYCLE_1) | instskip(NEXT) | instid1(SALU_CYCLE_1)
	s_mul_i32 s2, s2, s8
	s_add_co_i32 s57, s2, s9
	s_delay_alu instid0(SALU_CYCLE_1)
	s_cmp_ge_u32 s57, s39
	s_cbranch_scc1 .LBB104_439
; %bb.1:
	s_clause 0x1
	s_load_b32 s2, s[0:1], 0xd0
	s_load_b32 s56, s[0:1], 0xe8
	v_dual_mov_b32 v2, s57 :: v_dual_mov_b32 v1, 0
	s_wait_kmcnt 0x0
	s_cmp_lt_i32 s2, 2
	s_cbranch_scc1 .LBB104_4
; %bb.2:
	s_add_co_i32 s4, s2, -1
	s_mov_b32 s5, 0
	v_dual_mov_b32 v2, s57 :: v_dual_mov_b32 v1, 0
	s_lshl_b64 s[4:5], s[4:5], 2
	s_delay_alu instid0(SALU_CYCLE_1)
	s_add_nc_u64 s[6:7], s[0:1], s[4:5]
	s_add_co_i32 s4, s2, 1
	s_add_nc_u64 s[2:3], s[6:7], 8
.LBB104_3:                              ; =>This Inner Loop Header: Depth=1
	s_clause 0x1
	s_load_b32 s5, s[2:3], 0x0
	s_load_b32 s6, s[2:3], 0x64
	s_add_co_i32 s4, s4, -1
	s_wait_xcnt 0x0
	s_add_nc_u64 s[2:3], s[2:3], -4
	s_wait_kmcnt 0x0
	s_cvt_f32_u32 s7, s5
	s_delay_alu instid0(SALU_CYCLE_3) | instskip(SKIP_3) | instid1(TRANS32_DEP_1)
	v_rcp_iflag_f32_e32 v3, s7
	s_sub_co_i32 s7, 0, s5
	s_cmp_gt_u32 s4, 2
	v_nop
	v_mul_f32_e32 v3, 0x4f7ffffe, v3
	s_delay_alu instid0(VALU_DEP_1) | instskip(NEXT) | instid1(VALU_DEP_1)
	v_cvt_u32_f32_e32 v3, v3
	v_mul_lo_u32 v4, s7, v3
	s_delay_alu instid0(VALU_DEP_1) | instskip(NEXT) | instid1(VALU_DEP_1)
	v_mul_hi_u32 v4, v3, v4
	v_dual_mov_b32 v5, v2 :: v_dual_add_nc_u32 v2, v3, v4
	s_delay_alu instid0(VALU_DEP_1) | instskip(NEXT) | instid1(VALU_DEP_1)
	v_mul_hi_u32 v2, v5, v2
	v_mul_lo_u32 v3, v2, s5
	s_delay_alu instid0(VALU_DEP_1) | instskip(NEXT) | instid1(VALU_DEP_1)
	v_dual_add_nc_u32 v4, 1, v2 :: v_dual_sub_nc_u32 v3, v5, v3
	v_cmp_le_u32_e32 vcc_lo, s5, v3
	s_delay_alu instid0(VALU_DEP_2) | instskip(SKIP_1) | instid1(VALU_DEP_2)
	v_cndmask_b32_e32 v2, v2, v4, vcc_lo
	v_subrev_nc_u32_e32 v6, s5, v3
	v_add_nc_u32_e32 v4, 1, v2
	s_delay_alu instid0(VALU_DEP_2) | instskip(NEXT) | instid1(VALU_DEP_1)
	v_cndmask_b32_e32 v3, v3, v6, vcc_lo
	v_cmp_le_u32_e32 vcc_lo, s5, v3
	s_delay_alu instid0(VALU_DEP_3) | instskip(NEXT) | instid1(VALU_DEP_1)
	v_cndmask_b32_e32 v2, v2, v4, vcc_lo
	v_mul_lo_u32 v3, v2, s5
	s_delay_alu instid0(VALU_DEP_1) | instskip(NEXT) | instid1(VALU_DEP_1)
	v_sub_nc_u32_e32 v3, v5, v3
	v_mul_lo_u32 v3, s6, v3
	s_delay_alu instid0(VALU_DEP_1)
	v_add_nc_u32_e32 v1, v3, v1
	s_cbranch_scc1 .LBB104_3
.LBB104_4:
	s_load_b32 s4, s[0:1], 0x1c0
	s_add_nc_u64 s[14:15], s[0:1], 0x2b8
	s_add_nc_u64 s[2:3], s[0:1], 0xf0
	s_mov_b32 s35, 0
	s_mov_b32 s59, s57
	s_wait_kmcnt 0x0
	s_cmp_lt_i32 s4, 2
	s_cbranch_scc1 .LBB104_7
; %bb.5:
	s_add_co_i32 s34, s4, -1
	s_mov_b32 s59, s57
	s_lshl_b64 s[6:7], s[34:35], 2
	s_delay_alu instid0(SALU_CYCLE_1)
	s_add_nc_u64 s[10:11], s[2:3], s[6:7]
	s_add_co_i32 s6, s4, 1
	s_add_nc_u64 s[4:5], s[10:11], 8
.LBB104_6:                              ; =>This Inner Loop Header: Depth=1
	s_clause 0x1
	s_load_b32 s7, s[4:5], 0x0
	s_load_b32 s10, s[4:5], 0x64
	s_mov_b32 s13, s59
	s_wait_xcnt 0x0
	s_add_nc_u64 s[4:5], s[4:5], -4
	s_wait_kmcnt 0x0
	s_cvt_f32_u32 s11, s7
	s_sub_co_i32 s12, 0, s7
	s_delay_alu instid0(SALU_CYCLE_2) | instskip(SKIP_1) | instid1(TRANS32_DEP_1)
	v_rcp_iflag_f32_e32 v3, s11
	v_nop
	v_readfirstlane_b32 s11, v3
	s_mul_f32 s11, s11, 0x4f7ffffe
	s_delay_alu instid0(SALU_CYCLE_3) | instskip(NEXT) | instid1(SALU_CYCLE_3)
	s_cvt_u32_f32 s11, s11
	s_mul_i32 s12, s12, s11
	s_delay_alu instid0(SALU_CYCLE_1) | instskip(NEXT) | instid1(SALU_CYCLE_1)
	s_mul_hi_u32 s12, s11, s12
	s_add_co_i32 s11, s11, s12
	s_delay_alu instid0(SALU_CYCLE_1) | instskip(NEXT) | instid1(SALU_CYCLE_1)
	s_mul_hi_u32 s11, s59, s11
	s_mul_i32 s12, s11, s7
	s_add_co_i32 s16, s11, 1
	s_sub_co_i32 s12, s59, s12
	s_delay_alu instid0(SALU_CYCLE_1)
	s_sub_co_i32 s17, s12, s7
	s_cmp_ge_u32 s12, s7
	s_cselect_b32 s11, s16, s11
	s_cselect_b32 s12, s17, s12
	s_add_co_i32 s16, s11, 1
	s_cmp_ge_u32 s12, s7
	s_cselect_b32 s59, s16, s11
	s_add_co_i32 s6, s6, -1
	s_mul_i32 s7, s59, s7
	s_delay_alu instid0(SALU_CYCLE_1) | instskip(NEXT) | instid1(SALU_CYCLE_1)
	s_sub_co_i32 s7, s13, s7
	s_mul_i32 s7, s10, s7
	s_delay_alu instid0(SALU_CYCLE_1)
	s_add_co_i32 s35, s7, s35
	s_cmp_gt_u32 s6, 2
	s_cbranch_scc1 .LBB104_6
.LBB104_7:
	s_clause 0x1
	s_load_b32 s10, s[0:1], 0x6c
	s_load_b32 s4, s[0:1], 0x2a0
	s_mov_b32 s41, 0
	s_wait_kmcnt 0x0
	s_cmp_lt_i32 s4, 2
	s_cbranch_scc1 .LBB104_10
; %bb.8:
	s_add_co_i32 s40, s4, -1
	s_add_nc_u64 s[6:7], s[0:1], 0x1d0
	s_lshl_b64 s[12:13], s[40:41], 2
	s_delay_alu instid0(SALU_CYCLE_1)
	s_add_nc_u64 s[12:13], s[6:7], s[12:13]
	s_add_co_i32 s6, s4, 1
	s_add_nc_u64 s[4:5], s[12:13], 8
.LBB104_9:                              ; =>This Inner Loop Header: Depth=1
	s_clause 0x1
	s_load_b32 s7, s[4:5], 0x0
	s_load_b32 s11, s[4:5], 0x64
	s_mov_b32 s16, s57
	s_wait_xcnt 0x0
	s_add_nc_u64 s[4:5], s[4:5], -4
	s_wait_kmcnt 0x0
	s_cvt_f32_u32 s12, s7
	s_sub_co_i32 s13, 0, s7
	s_delay_alu instid0(SALU_CYCLE_2) | instskip(SKIP_1) | instid1(TRANS32_DEP_1)
	v_rcp_iflag_f32_e32 v3, s12
	v_nop
	v_readfirstlane_b32 s12, v3
	s_mul_f32 s12, s12, 0x4f7ffffe
	s_delay_alu instid0(SALU_CYCLE_3) | instskip(NEXT) | instid1(SALU_CYCLE_3)
	s_cvt_u32_f32 s12, s12
	s_mul_i32 s13, s13, s12
	s_delay_alu instid0(SALU_CYCLE_1) | instskip(NEXT) | instid1(SALU_CYCLE_1)
	s_mul_hi_u32 s13, s12, s13
	s_add_co_i32 s12, s12, s13
	s_delay_alu instid0(SALU_CYCLE_1) | instskip(NEXT) | instid1(SALU_CYCLE_1)
	s_mul_hi_u32 s12, s57, s12
	s_mul_i32 s13, s12, s7
	s_add_co_i32 s17, s12, 1
	s_sub_co_i32 s13, s57, s13
	s_delay_alu instid0(SALU_CYCLE_1)
	s_sub_co_i32 s18, s13, s7
	s_cmp_ge_u32 s13, s7
	s_cselect_b32 s12, s17, s12
	s_cselect_b32 s13, s18, s13
	s_add_co_i32 s17, s12, 1
	s_cmp_ge_u32 s13, s7
	s_cselect_b32 s57, s17, s12
	s_add_co_i32 s6, s6, -1
	s_mul_i32 s7, s57, s7
	s_delay_alu instid0(SALU_CYCLE_1) | instskip(NEXT) | instid1(SALU_CYCLE_1)
	s_sub_co_i32 s7, s16, s7
	s_mul_i32 s7, s11, s7
	s_delay_alu instid0(SALU_CYCLE_1)
	s_add_co_i32 s41, s7, s41
	s_cmp_gt_u32 s6, 2
	s_cbranch_scc1 .LBB104_9
.LBB104_10:
	s_clause 0x1
	s_load_b32 s60, s[2:3], 0x6c
	s_load_b64 s[6:7], s[0:1], 0x0
	v_cmp_eq_u32_e64 s5, 0, v0
	s_mov_b32 s39, 0
	s_wait_xcnt 0x0
	s_and_saveexec_b32 s2, s5
; %bb.11:
	v_dual_mov_b32 v4, 0 :: v_dual_mov_b32 v5, s36
	s_delay_alu instid0(VALU_DEP_1)
	v_mov_b32_e32 v6, v4
	ds_store_b96 v4, v[4:6] offset:4096
; %bb.12:
	s_or_b32 exec_lo, exec_lo, s2
	v_mul_lo_u32 v2, s10, v2
	s_wait_dscnt 0x0
	s_barrier_signal -1
	s_barrier_wait -1
	s_load_b32 s10, s[14:15], 0xc
	s_clause 0x2
	s_load_b32 s61, s[0:1], 0x23c
	s_load_b64 s[42:43], s[0:1], 0xf0
	s_load_b64 s[44:45], s[0:1], 0x1d0
	v_mov_b32_e32 v17, 0
	v_mbcnt_lo_u32_b32 v13, -1, 0
	v_cmp_gt_u32_e32 vcc_lo, 32, v0
	s_bitcmp1_b32 s38, 0
	v_mul_lo_u32 v18, s56, v0
	v_add_nc_u32_e32 v16, v2, v1
	v_cmp_gt_i32_e64 s2, 4, v13
	s_cselect_b32 s4, -1, 0
	v_mov_b32_e32 v19, v17
	s_xor_b32 s62, s4, -1
	v_lshlrev_b64_e32 v[2:3], 1, v[16:17]
	s_and_b32 s63, vcc_lo, s2
	v_dual_lshlrev_b32 v1, 2, v0 :: v_dual_lshlrev_b32 v22, 1, v0
	v_cmp_eq_u32_e64 s2, 0, v13
	v_cmp_gt_u32_e64 s3, s36, v0
	s_wait_kmcnt 0x0
	s_and_b32 s40, s10, 0xffff
	v_add_nc_u64_e32 v[10:11], s[6:7], v[2:3]
	s_lshl_b32 s64, s40, 2
	v_lshlrev_b64_e64 v[2:3], v13, -1
	s_cmp_gt_u32 s36, 0x600
	s_movk_i32 s7, 0x1f0
	s_cselect_b32 s65, -1, 0
	s_cmp_gt_u32 s40, 31
	v_add_max_u32_e64 v3, v0, 2, s36
	s_cselect_b32 s66, -1, 0
	s_add_co_i32 s67, s40, -1
	v_not_b32_e32 v12, v2
	s_add_co_i32 s13, s67, s36
	v_lshrrev_b32_e32 v2, 1, v0
	s_cmp_lt_u32 s9, s8
	s_cvt_f32_u32 s9, s64
	s_cselect_b32 s38, 12, 18
	s_bfe_u32 s68, s10, 0xb0005
	v_and_or_b32 v23, v2, s7, 0xc00
	v_rcp_iflag_f32_e32 v2, s9
	s_add_co_i32 s8, s68, -2
	s_cvt_f32_u32 s9, s40
	s_lshr_b32 s10, s8, 1
	v_xad_u32 v3, v0, -1, v3
	s_add_co_i32 s10, s10, 1
	s_cmp_gt_u32 s40, 63
	v_readfirstlane_b32 s7, v2
	s_cselect_b32 s69, -1, 0
	s_and_b32 s70, s68, 0x7fe
	s_and_b32 s71, s10, 7
	s_cmp_gt_u32 s8, 13
	s_mul_f32 s7, s7, 0x4f7ffffe
	s_cselect_b32 s72, -1, 0
	s_and_b32 s73, s10, -8
	s_cmp_lg_u32 s71, 0
	s_cvt_u32_f32 s8, s7
	s_cselect_b32 s74, -1, 0
	s_cmp_lg_u32 s70, s68
	v_rcp_iflag_f32_e32 v5, s9
	s_cselect_b32 s75, -1, 0
	s_sub_co_i32 s7, 0, s64
	v_add_nc_u32_e32 v4, -4, v3
	s_mul_i32 s7, s7, s8
	v_and_b32_e32 v24, -4, v3
	s_mul_hi_u32 s10, s8, s7
	v_readfirstlane_b32 s9, v5
	s_add_co_i32 s46, s8, s10
	v_lshrrev_b32_e32 v2, 2, v4
	s_mul_hi_u32 s8, s36, s46
	v_cmp_lt_u32_e64 s7, 31, v3
	s_mul_i32 s8, s8, s64
	s_mul_f32 s9, s9, 0x4f7ffffe
	s_sub_co_i32 s8, s36, s8
	v_add_nc_u32_e32 v2, 1, v2
	s_sub_co_i32 s10, s8, s64
	s_cmp_ge_u32 s8, s64
	s_cvt_u32_f32 s9, s9
	s_cselect_b32 s8, s10, s8
	v_dual_add_nc_u32 v25, v0, v24 :: v_dual_bitop2_b32 v5, 3, v2 bitop3:0x40
	s_sub_co_i32 s10, s8, s64
	s_cmp_ge_u32 s8, s64
	v_and_b32_e32 v27, 0x7ffffffc, v2
	s_cselect_b32 s16, s10, s8
	s_sub_co_i32 s10, 0, s40
	s_sub_co_i32 s79, s36, s16
	s_mul_i32 s10, s10, s9
	v_dual_add_nc_u32 v26, s79, v0 :: v_dual_lshlrev_b32 v29, 3, v5
	s_mul_hi_u32 s10, s9, s10
	v_add3_u32 v2, s40, s36, v0
	s_add_co_i32 s48, s9, s10
	v_cmp_lt_u32_e64 s8, 11, v4
	s_mul_hi_u32 s10, s13, s48
	v_mul_lo_u32 v16, v26, s56
	s_mul_i32 s10, s10, s40
	v_dual_lshlrev_b32 v35, 3, v0 :: v_dual_bitop2_b32 v4, 3, v1 bitop3:0x54
	s_sub_co_i32 s11, s13, s10
	v_cmp_ne_u32_e64 s10, v3, v24
	s_sub_co_i32 s12, s11, s40
	s_cmp_ge_u32 s11, s40
	v_dual_lshlrev_b32 v33, 2, v18 :: v_dual_bitop2_b32 v3, 2, v1 bitop3:0x54
	v_subrev_nc_u32_e32 v2, s16, v2
	s_cselect_b32 s17, s12, s11
	v_mad_u32 v30, s56, v1, s56
	s_sub_co_i32 s18, s17, s40
	s_cmp_ge_u32 s17, s40
	v_mul_lo_u32 v31, s56, v3
	v_mul_lo_u32 v32, s56, v4
	;; [unrolled: 1-line block ×3, first 2 shown]
	s_cselect_b32 s17, s18, s17
	v_lshl_add_u64 v[14:15], v[18:19], 1, v[10:11]
	s_sub_co_i32 s80, s13, s17
	v_cmp_gt_u32_e64 s6, 2, v0
	v_dual_mov_b32 v40, s37 :: v_dual_add_nc_u32 v19, 0xc00, v22
	v_cmp_ne_u32_e64 s9, 0, v5
	v_cmp_gt_u32_e64 s11, s79, v1
	v_cmp_gt_u32_e64 s12, s36, v26
	v_lshl_add_u64 v[20:21], v[16:17], 1, v[10:11]
	v_cmp_gt_u32_e64 s13, s80, v0
	v_lshl_or_b32 v36, v13, 2, 0xc00
	v_dual_mov_b32 v37, 0x8000 :: v_dual_mov_b32 v28, 0
	v_dual_mov_b32 v39, 0 :: v_dual_mov_b32 v38, 0
	s_mul_i32 s58, s56, s40
	s_mov_b32 s76, s56
	s_mov_b32 s77, s56
	;; [unrolled: 1-line block ×5, first 2 shown]
	s_lshl_b32 s81, s58, 2
	s_lshl_b32 s82, s40, 3
	;; [unrolled: 1-line block ×3, first 2 shown]
	s_mov_b32 s84, 14
	s_add_nc_u64 s[50:51], s[14:15], s[38:39]
	s_movk_i32 s86, 0x3c00
	s_mov_b32 s85, 0
	s_mov_b32 s88, 0
                                        ; implicit-def: $sgpr87
                                        ; implicit-def: $sgpr91
                                        ; implicit-def: $sgpr90
                                        ; implicit-def: $sgpr92
                                        ; implicit-def: $sgpr89
                                        ; implicit-def: $sgpr96
                                        ; implicit-def: $sgpr97
                                        ; implicit-def: $sgpr93
                                        ; implicit-def: $sgpr95
                                        ; implicit-def: $sgpr94
	s_branch .LBB104_15
.LBB104_13:                             ;   in Loop: Header=BB104_15 Depth=1
	s_or_b32 exec_lo, exec_lo, s17
	v_mov_b32_e32 v40, v5
	s_and_not1_b32 s17, s94, exec_lo
	s_and_b32 s16, s16, exec_lo
	s_and_not1_b32 s95, s95, exec_lo
	s_or_b32 s94, s17, s16
	s_and_not1_b32 s93, s93, exec_lo
	s_and_not1_b32 s97, s97, exec_lo
	;; [unrolled: 1-line block ×3, first 2 shown]
	s_or_not1_b32 s17, s15, exec_lo
.LBB104_14:                             ;   in Loop: Header=BB104_15 Depth=1
	s_or_b32 exec_lo, exec_lo, s14
	s_delay_alu instid0(SALU_CYCLE_1) | instskip(NEXT) | instid1(SALU_CYCLE_1)
	s_and_b32 s14, exec_lo, s17
	s_or_b32 s85, s14, s85
	s_and_not1_b32 s14, s89, exec_lo
	s_and_b32 s15, s94, exec_lo
	s_and_not1_b32 s16, s92, exec_lo
	s_or_b32 s89, s14, s15
	s_and_b32 s14, s95, exec_lo
	s_and_not1_b32 s15, s90, exec_lo
	s_and_b32 s17, s93, exec_lo
	s_or_b32 s92, s16, s14
	s_or_b32 s90, s15, s17
	s_and_not1_b32 s14, s91, exec_lo
	s_and_b32 s15, s97, exec_lo
	s_and_not1_b32 s16, s87, exec_lo
	s_and_b32 s17, s96, exec_lo
	s_or_b32 s91, s14, s15
	s_or_b32 s87, s16, s17
	s_and_not1_b32 exec_lo, exec_lo, s85
	s_cbranch_execz .LBB104_435
.LBB104_15:                             ; =>This Loop Header: Depth=1
                                        ;     Child Loop BB104_20 Depth 2
                                        ;     Child Loop BB104_41 Depth 2
                                        ;     Child Loop BB104_45 Depth 2
                                        ;     Child Loop BB104_51 Depth 2
                                        ;     Child Loop BB104_86 Depth 2
                                        ;     Child Loop BB104_90 Depth 2
                                        ;     Child Loop BB104_75 Depth 2
                                        ;     Child Loop BB104_80 Depth 2
                                        ;     Child Loop BB104_69 Depth 2
                                        ;     Child Loop BB104_71 Depth 2
                                        ;     Child Loop BB104_95 Depth 2
                                        ;     Child Loop BB104_107 Depth 2
                                        ;     Child Loop BB104_119 Depth 2
                                        ;     Child Loop BB104_147 Depth 2
                                        ;     Child Loop BB104_159 Depth 2
                                        ;     Child Loop BB104_186 Depth 2
                                        ;     Child Loop BB104_198 Depth 2
                                        ;     Child Loop BB104_225 Depth 2
                                        ;     Child Loop BB104_237 Depth 2
                                        ;     Child Loop BB104_274 Depth 2
                                        ;     Child Loop BB104_287 Depth 2
                                        ;     Child Loop BB104_314 Depth 2
                                        ;     Child Loop BB104_326 Depth 2
                                        ;     Child Loop BB104_353 Depth 2
                                        ;     Child Loop BB104_365 Depth 2
                                        ;     Child Loop BB104_392 Depth 2
                                        ;     Child Loop BB104_404 Depth 2
	ds_load_b64 v[2:3], v17 offset:4096
	s_wait_dscnt 0x0
	v_readfirstlane_b32 s38, v2
	s_cmp_lg_u32 s38, 0
	s_cbranch_scc1 .LBB104_60
; %bb.16:                               ;   in Loop: Header=BB104_15 Depth=1
	s_and_b32 vcc_lo, exec_lo, s65
	s_cbranch_vccz .LBB104_28
; %bb.17:                               ;   in Loop: Header=BB104_15 Depth=1
	v_cmp_gt_u32_e32 vcc_lo, 0x601, v3
	s_mov_b32 s16, 0
	s_mov_b32 s14, 0
	s_cbranch_vccz .LBB104_29
; %bb.18:                               ;   in Loop: Header=BB104_15 Depth=1
	global_load_u16 v3, v[14:15], off
	s_load_u16 s17, s[50:51], 0x0
	s_mov_b32 s18, 0
	s_wait_kmcnt 0x0
	v_dual_mov_b32 v4, v0 :: v_dual_add_nc_u32 v2, s17, v0
	s_mul_i32 s19, s56, s17
	s_delay_alu instid0(VALU_DEP_1)
	v_mul_lo_u32 v2, s56, v2
	s_branch .LBB104_20
.LBB104_19:                             ;   in Loop: Header=BB104_20 Depth=2
	s_or_b32 exec_lo, exec_lo, s15
	v_dual_mov_b32 v3, v5 :: v_dual_add_nc_u32 v2, s19, v2
	s_and_not1_b32 exec_lo, exec_lo, s18
	s_cbranch_execz .LBB104_35
.LBB104_20:                             ;   Parent Loop BB104_15 Depth=1
                                        ; =>  This Inner Loop Header: Depth=2
	s_wait_dscnt 0x0
	v_dual_add_nc_u32 v4, s17, v4 :: v_dual_mov_b32 v6, 0
	v_mov_b32_e32 v5, 0
	s_mov_b32 s15, exec_lo
	s_delay_alu instid0(VALU_DEP_2)
	v_cmp_le_u32_e32 vcc_lo, s36, v4
	v_cmpx_gt_u32_e64 s36, v4
	s_cbranch_execz .LBB104_22
; %bb.21:                               ;   in Loop: Header=BB104_20 Depth=2
	v_readfirstlane_b32 s20, v10
	v_readfirstlane_b32 s21, v11
	global_load_u16 v5, v2, s[20:21] scale_offset
.LBB104_22:                             ;   in Loop: Header=BB104_20 Depth=2
	s_wait_xcnt 0x0
	s_or_b32 exec_lo, exec_lo, s15
	s_wait_loadcnt 0x0
	v_cmp_lt_i16_e64 s14, -1, v3
	v_and_b32_e32 v7, 0xffff, v3
	s_delay_alu instid0(VALU_DEP_2) | instskip(SKIP_1) | instid1(VALU_DEP_2)
	v_cndmask_b32_e64 v8, 0xffff, v37, s14
	v_cmp_o_f16_e64 s14, v3, v3
	v_xor_b32_e32 v7, v8, v7
	s_delay_alu instid0(VALU_DEP_1) | instskip(NEXT) | instid1(VALU_DEP_1)
	v_cndmask_b32_e64 v7, 0xffff, v7, s14
	v_and_b32_e32 v7, v7, v38
	s_delay_alu instid0(VALU_DEP_1) | instskip(SKIP_2) | instid1(SALU_CYCLE_1)
	v_cmp_eq_u32_e64 s14, v7, v28
	s_cmp_lg_u32 s14, 0
	s_cselect_b32 s15, -1, 0
	s_and_b32 s15, s2, s15
	s_delay_alu instid0(SALU_CYCLE_1)
	s_and_saveexec_b32 s20, s15
	s_cbranch_execz .LBB104_26
; %bb.23:                               ;   in Loop: Header=BB104_20 Depth=2
	s_mov_b32 s23, exec_lo
	s_bcnt1_i32_b32 s21, s14
	v_mbcnt_lo_u32_b32 v6, s23, 0
	s_mov_b32 s22, exec_lo
                                        ; implicit-def: $vgpr7
	s_delay_alu instid0(VALU_DEP_1)
	v_cmpx_eq_u32_e32 0, v6
; %bb.24:                               ;   in Loop: Header=BB104_20 Depth=2
	s_bcnt1_i32_b32 s15, s23
	s_delay_alu instid0(SALU_CYCLE_1) | instskip(NEXT) | instid1(SALU_CYCLE_1)
	s_mul_i32 s15, s21, s15
	v_mov_b32_e32 v7, s15
	ds_add_rtn_u32 v7, v17, v7 offset:4104
; %bb.25:                               ;   in Loop: Header=BB104_20 Depth=2
	s_or_b32 exec_lo, exec_lo, s22
	s_wait_dscnt 0x0
	v_readfirstlane_b32 s15, v7
	s_delay_alu instid0(VALU_DEP_1)
	v_mad_u32_u24 v6, s21, v6, s15
.LBB104_26:                             ;   in Loop: Header=BB104_20 Depth=2
	s_or_b32 exec_lo, exec_lo, s20
	ds_bpermute_b32 v6, v17, v6
	s_and_b32 s15, exec_lo, vcc_lo
	s_delay_alu instid0(SALU_CYCLE_1)
	s_or_b32 s18, s15, s18
	s_and_saveexec_b32 s15, s14
	s_cbranch_execz .LBB104_19
; %bb.27:                               ;   in Loop: Header=BB104_20 Depth=2
	v_and_b32_e32 v7, s14, v12
	s_delay_alu instid0(VALU_DEP_1) | instskip(NEXT) | instid1(VALU_DEP_1)
	v_bcnt_u32_b32 v7, v7, 0
	v_lshlrev_b32_e32 v7, 1, v7
	s_wait_dscnt 0x0
	s_delay_alu instid0(VALU_DEP_1)
	v_lshl_add_u32 v6, v6, 1, v7
	ds_store_b16 v6, v3
	s_branch .LBB104_19
.LBB104_28:                             ;   in Loop: Header=BB104_15 Depth=1
	s_mov_b32 s16, -1
	s_mov_b32 s14, 0
.LBB104_29:                             ;   in Loop: Header=BB104_15 Depth=1
	s_and_b32 vcc_lo, exec_lo, s16
	s_cbranch_vccz .LBB104_58
.LBB104_30:                             ;   in Loop: Header=BB104_15 Depth=1
	s_and_saveexec_b32 s15, s3
	s_cbranch_execz .LBB104_55
; %bb.31:                               ;   in Loop: Header=BB104_15 Depth=1
	global_load_u16 v16, v[14:15], off
	s_load_u16 s17, s[50:51], 0x0
	s_mov_b32 s16, exec_lo
	s_wait_kmcnt 0x0
	v_dual_mov_b32 v4, v0 :: v_dual_add_nc_u32 v2, s17, v0
	s_delay_alu instid0(VALU_DEP_1)
	v_cmpx_gt_u32_e64 s36, v2
	s_cbranch_execz .LBB104_54
; %bb.32:                               ;   in Loop: Header=BB104_15 Depth=1
	s_mov_b32 s14, 0
	s_mul_i32 s18, s56, s17
                                        ; implicit-def: $vgpr4
                                        ; implicit-def: $vgpr3
                                        ; implicit-def: $vgpr5
	s_and_saveexec_b32 s19, s7
	s_delay_alu instid0(SALU_CYCLE_1)
	s_xor_b32 s19, exec_lo, s19
	s_cbranch_execnz .LBB104_38
; %bb.33:                               ;   in Loop: Header=BB104_15 Depth=1
	s_and_not1_saveexec_b32 s19, s19
	s_cbranch_execnz .LBB104_49
.LBB104_34:                             ;   in Loop: Header=BB104_15 Depth=1
	s_or_b32 exec_lo, exec_lo, s19
	s_and_saveexec_b32 s18, s14
	s_cbranch_execnz .LBB104_50
	s_branch .LBB104_53
.LBB104_35:                             ;   in Loop: Header=BB104_15 Depth=1
	s_or_b32 exec_lo, exec_lo, s18
	s_wait_dscnt 0x0
	s_barrier_signal -1
	s_barrier_wait -1
	s_and_saveexec_b32 s14, s5
	s_cbranch_execz .LBB104_37
; %bb.36:                               ;   in Loop: Header=BB104_15 Depth=1
	ds_load_b32 v2, v17 offset:4104
	s_wait_dscnt 0x0
	ds_store_b32 v17, v2 offset:4096
.LBB104_37:                             ;   in Loop: Header=BB104_15 Depth=1
	s_or_b32 exec_lo, exec_lo, s14
	s_wait_dscnt 0x0
	s_barrier_signal -1
	s_mov_b32 s14, -1
	s_barrier_wait -1
	s_and_b32 vcc_lo, exec_lo, s16
	s_cbranch_vccnz .LBB104_30
	s_branch .LBB104_58
.LBB104_38:                             ;   in Loop: Header=BB104_15 Depth=1
	s_cvt_f32_u32 s14, s17
	v_add_max_u32_e64 v3, v2, s17, s36
	s_delay_alu instid0(SALU_CYCLE_2) | instskip(SKIP_1) | instid1(VALU_DEP_1)
	v_rcp_iflag_f32_e32 v4, s14
	s_lshl_b32 s14, s17, 1
	v_sub_nc_u32_e32 v3, v3, v0
	s_delay_alu instid0(VALU_DEP_1) | instskip(NEXT) | instid1(TRANS32_DEP_1)
	v_cmp_ne_u32_e32 vcc_lo, s14, v3
	v_readfirstlane_b32 s20, v4
	v_cndmask_b32_e64 v4, 0, 1, vcc_lo
	s_mul_f32 s20, s20, 0x4f7ffffe
	s_delay_alu instid0(VALU_DEP_1) | instskip(NEXT) | instid1(SALU_CYCLE_2)
	v_or_b32_e32 v4, s14, v4
	s_cvt_u32_f32 s14, s20
	s_sub_co_i32 s20, 0, s17
	s_delay_alu instid0(SALU_CYCLE_2) | instskip(NEXT) | instid1(VALU_DEP_1)
	s_mul_i32 s20, s20, s14
	v_sub_nc_u32_e32 v3, v3, v4
	s_mul_hi_u32 s20, s14, s20
	s_delay_alu instid0(SALU_CYCLE_1)
	s_add_co_i32 s14, s14, s20
	s_delay_alu instid0(VALU_DEP_1) | instid1(SALU_CYCLE_1)
	v_mul_hi_u32 v4, v3, s14
	s_delay_alu instid0(VALU_DEP_1) | instskip(NEXT) | instid1(VALU_DEP_1)
	v_mul_lo_u32 v5, v4, s17
	v_dual_sub_nc_u32 v3, v3, v5 :: v_dual_add_nc_u32 v5, 1, v4
	s_delay_alu instid0(VALU_DEP_1) | instskip(SKIP_1) | instid1(VALU_DEP_1)
	v_subrev_nc_u32_e32 v6, s17, v3
	v_cmp_le_u32_e64 s14, s17, v3
	v_dual_cndmask_b32 v4, v4, v5, s14 :: v_dual_cndmask_b32 v3, v3, v6, s14
	s_delay_alu instid0(VALU_DEP_1) | instskip(NEXT) | instid1(VALU_DEP_2)
	v_add_nc_u32_e32 v5, 1, v4
	v_cmp_le_u32_e64 s14, s17, v3
	s_delay_alu instid0(VALU_DEP_1) | instskip(SKIP_2) | instid1(VALU_DEP_2)
	v_cndmask_b32_e64 v3, v4, v5, s14
	v_mul_lo_u32 v4, s56, v2
	s_abs_i32 s14, s18
	v_add_co_ci_u32_e64 v3, null, 0, v3, vcc_lo
	s_delay_alu instid0(VALU_DEP_1) | instskip(SKIP_2) | instid1(SALU_CYCLE_1)
	v_mul_hi_u32 v5, s14, v3
	v_mul_lo_u32 v3, s14, v3
	s_not_b32 s14, s18
	s_ashr_i32 s14, s14, 31
	s_cmp_eq_u32 s17, 1
	s_delay_alu instid0(VALU_DEP_4) | instskip(SKIP_1) | instid1(VALU_DEP_3)
	v_xor_b32_e32 v4, s14, v4
	s_cselect_b32 s20, -1, 0
	v_cmp_eq_u32_e32 vcc_lo, 0, v5
	s_delay_alu instid0(VALU_DEP_2) | instskip(SKIP_2) | instid1(SALU_CYCLE_1)
	v_cmp_le_u32_e64 s14, v3, v4
	v_mov_b32_e32 v3, v0
                                        ; implicit-def: $vgpr4
	s_and_b32 s20, vcc_lo, s20
	s_and_b32 s21, s20, s14
	s_mov_b32 s20, -1
	s_and_saveexec_b32 s14, s21
	s_cbranch_execz .LBB104_48
; %bb.39:                               ;   in Loop: Header=BB104_15 Depth=1
	v_dual_add_nc_u32 v5, 3, v2 :: v_dual_add_nc_u32 v4, 2, v2
	s_wait_loadcnt 0x0
	v_dual_add_nc_u32 v3, 1, v2 :: v_dual_lshlrev_b32 v41, 16, v16
	v_mov_b32_e32 v44, 0
                                        ; implicit-def: $vgpr16
	s_delay_alu instid0(VALU_DEP_3) | instskip(NEXT) | instid1(VALU_DEP_3)
	v_mov_b64_e32 v[8:9], v[4:5]
	v_mov_b64_e32 v[6:7], v[2:3]
	s_and_saveexec_b32 s20, s8
	s_cbranch_execz .LBB104_43
; %bb.40:                               ;   in Loop: Header=BB104_15 Depth=1
	v_mov_b64_e32 v[8:9], v[4:5]
	v_mov_b64_e32 v[6:7], v[2:3]
	v_dual_mov_b32 v42, v27 :: v_dual_mov_b32 v43, v22
	s_mov_b32 s21, 0
	s_mov_b32 s22, 0
.LBB104_41:                             ;   Parent Loop BB104_15 Depth=1
                                        ; =>  This Inner Loop Header: Depth=2
	s_delay_alu instid0(VALU_DEP_2) | instskip(SKIP_1) | instid1(VALU_DEP_4)
	v_mul_lo_u32 v16, v6, s56
	v_dual_mov_b32 v5, v17 :: v_dual_add_nc_u32 v3, 4, v6
	v_dual_add_nc_u32 v48, 4, v7 :: v_dual_add_nc_u32 v50, 4, v8
	v_mul_lo_u32 v46, v7, s76
	v_dual_mov_b32 v47, v17 :: v_dual_mov_b32 v45, v17
	s_delay_alu instid0(VALU_DEP_3)
	v_mul_lo_u32 v48, v48, s76
	v_dual_mov_b32 v49, v17 :: v_dual_add_nc_u32 v52, 4, v9
	v_lshl_add_u64 v[66:67], v[16:17], 1, v[10:11]
	v_mul_lo_u32 v16, v3, s56
	v_dual_add_nc_u32 v68, 8, v6 :: v_dual_add_nc_u32 v54, 8, v7
	v_dual_add_nc_u32 v56, 8, v8 :: v_dual_add_nc_u32 v58, 8, v9
	v_lshl_add_u64 v[46:47], v[46:47], 1, v[10:11]
	s_clause 0x1
	global_load_u16 v3, v[66:67], off
	global_load_u16 v70, v[46:47], off
	s_wait_xcnt 0x0
	v_lshl_add_u64 v[46:47], v[48:49], 1, v[10:11]
	v_lshl_add_u64 v[48:49], v[16:17], 1, v[10:11]
	v_mul_lo_u32 v16, v68, s56
	v_dual_add_nc_u32 v60, 12, v7 :: v_dual_add_nc_u32 v62, 12, v8
	v_mul_lo_u32 v44, v8, s77
	v_dual_mov_b32 v59, v17 :: v_dual_add_nc_u32 v69, 12, v6
	v_mul_lo_u32 v4, v9, s78
	v_dual_mov_b32 v61, v17 :: v_dual_add_nc_u32 v64, 12, v9
	v_mul_lo_u32 v58, v58, s78
	v_mul_lo_u32 v60, v60, s76
	;; [unrolled: 1-line block ×7, first 2 shown]
	v_lshl_add_u64 v[66:67], v[16:17], 1, v[10:11]
	v_mul_lo_u32 v16, v69, s56
	v_mul_lo_u32 v64, v64, s78
	v_dual_mov_b32 v51, v17 :: v_dual_mov_b32 v53, v17
	v_dual_mov_b32 v55, v17 :: v_dual_mov_b32 v57, v17
	;; [unrolled: 1-line block ×3, first 2 shown]
	v_lshl_add_u64 v[44:45], v[44:45], 1, v[10:11]
	v_lshl_add_u64 v[4:5], v[4:5], 1, v[10:11]
	;; [unrolled: 1-line block ×9, first 2 shown]
	s_clause 0x8
	global_load_u16 v45, v[44:45], off
	global_load_u16 v68, v[4:5], off
	;; [unrolled: 1-line block ×9, first 2 shown]
	v_lshl_add_u64 v[4:5], v[16:17], 1, v[10:11]
	v_lshl_add_u64 v[64:65], v[64:65], 1, v[10:11]
	s_clause 0x4
	global_load_u16 v55, v[58:59], off
	global_load_u16 v56, v[60:61], off
	;; [unrolled: 1-line block ×5, first 2 shown]
	s_add_co_i32 s22, s22, 16
	s_delay_alu instid0(SALU_CYCLE_1) | instskip(SKIP_2) | instid1(VALU_DEP_3)
	v_dual_add_nc_u32 v42, -4, v42 :: v_dual_mov_b32 v44, s22
	v_dual_add_nc_u32 v9, 16, v9 :: v_dual_add_nc_u32 v8, 16, v8
	v_dual_add_nc_u32 v7, 16, v7 :: v_dual_add_nc_u32 v6, 16, v6
	v_cmp_eq_u32_e32 vcc_lo, 0, v42
	s_or_b32 s21, vcc_lo, s21
	s_wait_loadcnt 0xf
	v_alignbit_b32 v46, v3, v41, 16
	s_wait_loadcnt 0xd
	v_perm_b32 v47, v45, v70, 0x5040100
	s_wait_loadcnt 0xb
	v_perm_b32 v48, v48, v68, 0x5040100
	;; [unrolled: 2-line block ×8, first 2 shown]
	ds_store_b128 v43, v[46:49]
	ds_store_b128 v43, v[50:53] offset:16
	v_add_nc_u32_e32 v43, 32, v43
	s_wait_xcnt 0x0
	s_and_not1_b32 exec_lo, exec_lo, s21
	s_cbranch_execnz .LBB104_41
; %bb.42:                               ;   in Loop: Header=BB104_15 Depth=1
	s_or_b32 exec_lo, exec_lo, s21
.LBB104_43:                             ;   in Loop: Header=BB104_15 Depth=1
	s_delay_alu instid0(SALU_CYCLE_1)
	s_or_b32 exec_lo, exec_lo, s20
	s_and_saveexec_b32 s20, s9
	s_cbranch_execz .LBB104_47
; %bb.44:                               ;   in Loop: Header=BB104_15 Depth=1
	v_lshl_add_u32 v3, v44, 1, v22
	v_mov_b32_e32 v4, v29
	s_mov_b32 s21, 0
.LBB104_45:                             ;   Parent Loop BB104_15 Depth=1
                                        ; =>  This Inner Loop Header: Depth=2
	v_mul_lo_u32 v42, v7, s76
	v_mul_lo_u32 v44, v8, s77
	;; [unrolled: 1-line block ×4, first 2 shown]
	v_dual_mov_b32 v43, v17 :: v_dual_mov_b32 v45, v17
	v_dual_mov_b32 v47, v17 :: v_dual_add_nc_u32 v9, 4, v9
	v_dual_add_nc_u32 v4, -8, v4 :: v_dual_add_nc_u32 v6, 4, v6
	v_dual_add_nc_u32 v8, 4, v8 :: v_dual_add_nc_u32 v7, 4, v7
	s_delay_alu instid0(VALU_DEP_4)
	v_lshl_add_u64 v[42:43], v[42:43], 1, v[10:11]
	v_lshl_add_u64 v[44:45], v[44:45], 1, v[10:11]
	;; [unrolled: 1-line block ×4, first 2 shown]
	s_clause 0x3
	global_load_u16 v5, v[42:43], off
	global_load_u16 v44, v[44:45], off
	;; [unrolled: 1-line block ×4, first 2 shown]
	v_cmp_eq_u32_e32 vcc_lo, 0, v4
	s_or_b32 s21, vcc_lo, s21
	s_wait_loadcnt 0x2
	v_perm_b32 v43, v44, v5, 0x5040100
	s_wait_loadcnt 0x1
	v_alignbit_b32 v42, v42, v41, 16
	s_wait_loadcnt 0x0
	v_perm_b32 v41, v16, v44, 0x5040100
	ds_store_b64 v3, v[42:43]
	v_add_nc_u32_e32 v3, 8, v3
	s_and_not1_b32 exec_lo, exec_lo, s21
	s_cbranch_execnz .LBB104_45
; %bb.46:                               ;   in Loop: Header=BB104_15 Depth=1
	s_or_b32 exec_lo, exec_lo, s21
.LBB104_47:                             ;   in Loop: Header=BB104_15 Depth=1
	s_delay_alu instid0(SALU_CYCLE_1) | instskip(SKIP_2) | instid1(VALU_DEP_1)
	s_or_b32 exec_lo, exec_lo, s20
	v_dual_mov_b32 v3, v25 :: v_dual_add_nc_u32 v2, v2, v24
	s_or_not1_b32 s20, s10, exec_lo
	v_add_nc_u32_e32 v4, -1, v2
.LBB104_48:                             ;   in Loop: Header=BB104_15 Depth=1
	s_or_b32 exec_lo, exec_lo, s14
	v_mov_b32_e32 v5, s18
	s_and_b32 s14, s20, exec_lo
	s_and_not1_saveexec_b32 s19, s19
	s_cbranch_execz .LBB104_34
.LBB104_49:                             ;   in Loop: Header=BB104_15 Depth=1
	v_dual_mov_b32 v5, s18 :: v_dual_mov_b32 v3, v0
	s_or_b32 s14, s14, exec_lo
	s_or_b32 exec_lo, exec_lo, s19
	s_and_saveexec_b32 s18, s14
	s_cbranch_execz .LBB104_53
.LBB104_50:                             ;   in Loop: Header=BB104_15 Depth=1
	v_mul_lo_u32 v4, s56, v2
	s_mov_b32 s19, 0
	s_sub_co_i32 s14, 0, s17
.LBB104_51:                             ;   Parent Loop BB104_15 Depth=1
                                        ; =>  This Inner Loop Header: Depth=2
	v_readfirstlane_b32 s20, v10
	v_readfirstlane_b32 s21, v11
	s_wait_loadcnt 0x0
	v_dual_mov_b32 v6, v16 :: v_dual_mov_b32 v7, v2
	v_lshlrev_b32_e32 v8, 1, v3
	global_load_u16 v16, v4, s[20:21] scale_offset
	s_wait_xcnt 0x0
	v_dual_add_nc_u32 v4, v4, v5 :: v_dual_add_nc_u32 v2, s17, v7
	v_mov_b32_e32 v3, v7
	ds_store_b16 v8, v6
	v_cmp_le_u32_e32 vcc_lo, s36, v2
	s_or_b32 s19, vcc_lo, s19
	s_delay_alu instid0(SALU_CYCLE_1)
	s_and_not1_b32 exec_lo, exec_lo, s19
	s_cbranch_execnz .LBB104_51
; %bb.52:                               ;   in Loop: Header=BB104_15 Depth=1
	s_or_b32 exec_lo, exec_lo, s19
	v_add_nc_u32_e32 v4, s14, v2
.LBB104_53:                             ;   in Loop: Header=BB104_15 Depth=1
	s_or_b32 exec_lo, exec_lo, s18
.LBB104_54:                             ;   in Loop: Header=BB104_15 Depth=1
	s_delay_alu instid0(SALU_CYCLE_1) | instskip(NEXT) | instid1(VALU_DEP_1)
	s_or_b32 exec_lo, exec_lo, s16
	v_lshlrev_b32_e32 v2, 1, v4
	s_wait_loadcnt 0x0
	ds_store_b16 v2, v16
.LBB104_55:                             ;   in Loop: Header=BB104_15 Depth=1
	s_or_b32 exec_lo, exec_lo, s15
	s_wait_dscnt 0x0
	s_barrier_signal -1
	s_barrier_wait -1
	s_and_saveexec_b32 s14, s5
; %bb.56:                               ;   in Loop: Header=BB104_15 Depth=1
	v_mov_b32_e32 v2, s36
	ds_store_b32 v17, v2 offset:4096
; %bb.57:                               ;   in Loop: Header=BB104_15 Depth=1
	s_or_b32 exec_lo, exec_lo, s14
	s_mov_b32 s14, -1
	s_wait_dscnt 0x0
	s_barrier_signal -1
	s_barrier_wait -1
.LBB104_58:                             ;   in Loop: Header=BB104_15 Depth=1
	s_and_b32 vcc_lo, exec_lo, s14
	s_mov_b32 s38, 0
	s_cbranch_vccz .LBB104_60
; %bb.59:                               ;   in Loop: Header=BB104_15 Depth=1
	ds_load_b32 v2, v17 offset:4096
	s_wait_dscnt 0x0
	v_readfirstlane_b32 s38, v2
.LBB104_60:                             ;   in Loop: Header=BB104_15 Depth=1
	s_delay_alu instid0(VALU_DEP_1)
	s_cmp_lt_i32 s38, 1
	s_mov_b32 s14, -1
                                        ; implicit-def: $vgpr4_vgpr5
	s_cbranch_scc1 .LBB104_73
; %bb.61:                               ;   in Loop: Header=BB104_15 Depth=1
	s_and_b32 vcc_lo, exec_lo, s14
	s_cbranch_vccnz .LBB104_84
.LBB104_62:                             ;   in Loop: Header=BB104_15 Depth=1
	s_lshl_b32 s16, s88, 7
	s_and_saveexec_b32 s14, s2
.LBB104_63:                             ;   in Loop: Header=BB104_15 Depth=1
	v_lshl_add_u32 v6, s16, 2, v23
	ds_store_b128 v6, v[2:5]
.LBB104_64:                             ;   in Loop: Header=BB104_15 Depth=1
	s_or_b32 exec_lo, exec_lo, s14
	s_wait_dscnt 0x0
	s_barrier_signal -1
	s_barrier_wait -1
	s_and_saveexec_b32 s17, s63
	s_cbranch_execz .LBB104_97
; %bb.65:                               ;   in Loop: Header=BB104_15 Depth=1
	v_dual_add_nc_u32 v4, s16, v13 :: v_dual_mov_b32 v2, 0
	s_and_not1_b32 vcc_lo, exec_lo, s66
	s_cbranch_vccnz .LBB104_96
; %bb.66:                               ;   in Loop: Header=BB104_15 Depth=1
	s_and_not1_b32 vcc_lo, exec_lo, s69
	s_cbranch_vccnz .LBB104_93
; %bb.67:                               ;   in Loop: Header=BB104_15 Depth=1
	v_lshl_add_u32 v5, v4, 2, 0xc00
	s_and_not1_b32 vcc_lo, exec_lo, s72
	s_cbranch_vccnz .LBB104_123
; %bb.68:                               ;   in Loop: Header=BB104_15 Depth=1
	v_dual_mov_b32 v2, 0 :: v_dual_mov_b32 v3, 0
	s_mov_b32 s15, 1
	s_mov_b32 s14, 0
	s_mov_b32 s18, s73
.LBB104_69:                             ;   Parent Loop BB104_15 Depth=1
                                        ; =>  This Inner Loop Header: Depth=2
	v_lshl_add_u32 v16, s15, 4, v5
	v_lshl_add_u32 v41, s14, 4, v5
	s_add_co_i32 s18, s18, -8
	s_add_co_i32 s15, s15, 16
	s_add_co_i32 s14, s14, 16
	ds_load_2addr_b32 v[6:7], v16 offset1:8
	ds_load_2addr_b32 v[8:9], v41 offset1:8
	ds_load_2addr_b32 v[42:43], v16 offset0:16 offset1:24
	ds_load_2addr_b32 v[44:45], v41 offset0:16 offset1:24
	;; [unrolled: 1-line block ×6, first 2 shown]
	s_cmp_lg_u32 s18, 0
	s_wait_dscnt 0x7
	v_add3_u32 v3, v6, v3, v7
	s_wait_dscnt 0x6
	v_add3_u32 v2, v8, v2, v9
	s_wait_dscnt 0x5
	s_delay_alu instid0(VALU_DEP_2) | instskip(SKIP_1) | instid1(VALU_DEP_2)
	v_add3_u32 v3, v42, v3, v43
	s_wait_dscnt 0x4
	v_add3_u32 v2, v44, v2, v45
	s_wait_dscnt 0x3
	s_delay_alu instid0(VALU_DEP_2) | instskip(SKIP_1) | instid1(VALU_DEP_2)
	;; [unrolled: 5-line block ×3, first 2 shown]
	v_add3_u32 v3, v50, v3, v51
	s_wait_dscnt 0x0
	v_add3_u32 v2, v52, v2, v53
	s_cbranch_scc1 .LBB104_69
; %bb.70:                               ;   in Loop: Header=BB104_15 Depth=1
	s_and_not1_b32 vcc_lo, exec_lo, s74
	s_mov_b32 s18, s71
	s_cbranch_vccnz .LBB104_72
.LBB104_71:                             ;   Parent Loop BB104_15 Depth=1
                                        ; =>  This Inner Loop Header: Depth=2
	v_lshl_add_u32 v6, s15, 4, v5
	v_lshl_add_u32 v7, s14, 4, v5
	s_add_co_i32 s18, s18, -1
	s_add_co_i32 s15, s15, 2
	s_add_co_i32 s14, s14, 2
	ds_load_b32 v6, v6
	ds_load_b32 v7, v7
	s_cmp_lg_u32 s18, 0
	s_wait_dscnt 0x0
	v_dual_add_nc_u32 v3, v6, v3 :: v_dual_add_nc_u32 v2, v7, v2
	s_cbranch_scc1 .LBB104_71
.LBB104_72:                             ;   in Loop: Header=BB104_15 Depth=1
	s_delay_alu instid0(VALU_DEP_1) | instskip(SKIP_2) | instid1(SALU_CYCLE_1)
	v_add_nc_u32_e32 v2, v2, v3
	s_mov_b32 s14, s70
	s_mov_b32 s15, s75
	s_and_b32 vcc_lo, exec_lo, s15
	s_cbranch_vccnz .LBB104_94
	s_branch .LBB104_96
.LBB104_73:                             ;   in Loop: Header=BB104_15 Depth=1
	v_mov_b64_e32 v[4:5], 0
	v_mov_b64_e32 v[2:3], 0
	s_and_saveexec_b32 s98, s11
	s_cbranch_execz .LBB104_77
; %bb.74:                               ;   in Loop: Header=BB104_15 Depth=1
	v_mov_b32_e32 v6, v1
	s_mov_b32 s99, 0
	s_mov_b32 s100, 0
	;; [unrolled: 1-line block ×6, first 2 shown]
.LBB104_75:                             ;   Parent Loop BB104_15 Depth=1
                                        ; =>  This Inner Loop Header: Depth=2
	v_dual_add_nc_u32 v2, s100, v33 :: v_dual_add_nc_u32 v3, s100, v30
	v_readfirstlane_b32 s14, v10
	v_readfirstlane_b32 s15, v11
	v_dual_add_nc_u32 v4, s100, v31 :: v_dual_add_nc_u32 v5, s100, v32
	s_clause 0x3
	global_load_u16 v2, v2, s[14:15] scale_offset
	global_load_u16 v3, v3, s[14:15] scale_offset
	;; [unrolled: 1-line block ×4, first 2 shown]
	s_add_co_i32 s100, s100, s81
	s_wait_loadcnt 0x3
	s_wait_xcnt 0x0
	v_cmp_lt_i16_e64 s14, -1, v2
	v_and_b32_e32 v7, 0xffff, v2
	s_wait_loadcnt 0x2
	v_and_b32_e32 v9, 0xffff, v3
	s_wait_loadcnt 0x1
	v_and_b32_e32 v41, 0xffff, v4
	v_cmp_o_f16_e64 s17, v2, v2
	v_cndmask_b32_e64 v8, 0xffff, v37, s14
	v_cmp_lt_i16_e64 s14, -1, v3
	v_add_nc_u32_e32 v6, s64, v6
	s_wait_loadcnt 0x0
	v_and_b32_e32 v43, 0xffff, v5
	v_cmp_o_f16_e64 s15, v4, v4
	v_xor_b32_e32 v7, v8, v7
	v_cndmask_b32_e64 v16, 0xffff, v37, s14
	v_cmp_lt_i16_e64 s14, -1, v4
	v_cmp_o_f16_e64 s16, v5, v5
	v_cmp_le_u32_e32 vcc_lo, s79, v6
	v_cndmask_b32_e64 v2, 0xffff, v7, s17
	v_xor_b32_e32 v8, v16, v9
	v_cndmask_b32_e64 v42, 0xffff, v37, s14
	v_cmp_lt_i16_e64 s14, -1, v5
	s_delay_alu instid0(VALU_DEP_4) | instskip(SKIP_1) | instid1(VALU_DEP_3)
	v_and_b32_e32 v7, v2, v38
	v_bfe_u32 v2, v2, s84, 2
	v_cndmask_b32_e64 v44, 0xffff, v37, s14
	v_cmp_o_f16_e64 s14, v3, v3
	v_xor_b32_e32 v3, v42, v41
	s_delay_alu instid0(VALU_DEP_4)
	v_cmp_eq_u32_e64 s18, 0, v2
	v_cmp_eq_u32_e64 s22, 1, v2
	v_xor_b32_e32 v4, v44, v43
	v_cndmask_b32_e64 v5, 0xffff, v8, s14
	v_cndmask_b32_e64 v3, 0xffff, v3, s15
	v_cmp_eq_u32_e64 s14, v7, v28
	v_cmp_eq_u32_e64 s26, 2, v2
	v_cndmask_b32_e64 v4, 0xffff, v4, s16
	v_and_b32_e32 v8, v5, v38
	v_bfe_u32 v5, v5, s84, 2
	v_and_b32_e32 v9, v3, v38
	v_bfe_u32 v3, v3, s84, 2
	;; [unrolled: 2-line block ×3, first 2 shown]
	v_cmp_eq_u32_e64 s15, v8, v28
	v_cmp_eq_u32_e64 s19, 0, v5
	;; [unrolled: 1-line block ×4, first 2 shown]
	s_and_b32 s18, s14, s18
	v_cmp_eq_u32_e64 s17, v16, v28
	v_cmp_eq_u32_e64 s21, 0, v4
	;; [unrolled: 1-line block ×3, first 2 shown]
	v_cndmask_b32_e64 v2, 0, 1, s18
	s_and_b32 s18, s15, s19
	v_cmp_eq_u32_e64 s24, 1, v3
	v_cmp_eq_u32_e64 s28, 2, v3
	;; [unrolled: 1-line block ×3, first 2 shown]
	v_cndmask_b32_e64 v3, 0, 1, s18
	s_and_b32 s18, s16, s20
	v_cmp_eq_u32_e64 s23, 1, v5
	v_cmp_eq_u32_e64 s25, 1, v4
	;; [unrolled: 1-line block ×4, first 2 shown]
	v_cndmask_b32_e64 v4, 0, 1, s18
	s_and_b32 s18, s17, s21
	v_cmp_eq_u32_e64 s27, 2, v5
	v_cmp_eq_u32_e64 s31, 3, v5
	v_cndmask_b32_e64 v5, 0, 1, s18
	s_and_b32 s18, s14, s22
	s_delay_alu instid0(SALU_CYCLE_1) | instskip(SKIP_1) | instid1(SALU_CYCLE_1)
	v_cndmask_b32_e64 v7, 0, 1, s18
	s_and_b32 s18, s15, s23
	v_cndmask_b32_e64 v8, 0, 1, s18
	s_and_b32 s18, s16, s24
	s_delay_alu instid0(SALU_CYCLE_1) | instskip(SKIP_1) | instid1(VALU_DEP_2)
	v_cndmask_b32_e64 v9, 0, 1, s18
	s_and_b32 s18, s17, s25
	v_cmp_ne_u32_e64 s19, 0, v8
	v_cndmask_b32_e64 v16, 0, 1, s18
	s_and_b32 s18, s14, s26
	s_and_b32 s14, s14, s30
	v_cndmask_b32_e64 v41, 0, 1, s18
	s_and_b32 s18, s15, s27
	v_cndmask_b32_e64 v45, 0, 1, s14
	;; [unrolled: 2-line block ×7, first 2 shown]
	v_cndmask_b32_e64 v48, 0, 1, s14
	v_cmp_ne_u32_e64 s14, 0, v2
	v_cmp_ne_u32_e64 s18, 0, v7
	;; [unrolled: 1-line block ×11, first 2 shown]
	s_bcnt1_i32_b32 s14, s14
	s_bcnt1_i32_b32 s18, s18
	;; [unrolled: 1-line block ×4, first 2 shown]
	v_cmp_ne_u32_e64 s17, 0, v5
	v_cmp_ne_u32_e64 s21, 0, v16
	;; [unrolled: 1-line block ×4, first 2 shown]
	s_bcnt1_i32_b32 s15, s15
	s_bcnt1_i32_b32 s19, s19
	s_bcnt1_i32_b32 s23, s23
	s_bcnt1_i32_b32 s27, s27
	s_add_co_i32 s14, s14, s52
	s_add_co_i32 s18, s18, s53
	s_add_co_i32 s22, s22, s54
	s_add_co_i32 s26, s26, s55
	s_bcnt1_i32_b32 s16, s16
	s_bcnt1_i32_b32 s20, s20
	s_bcnt1_i32_b32 s24, s24
	s_bcnt1_i32_b32 s28, s28
	s_add_co_i32 s18, s18, s19
	s_add_co_i32 s14, s14, s15
	s_add_co_i32 s15, s26, s27
	s_add_co_i32 s19, s22, s23
	;; [unrolled: 8-line block ×3, first 2 shown]
	s_add_co_i32 s53, s16, s21
	s_add_co_i32 s52, s14, s17
	;; [unrolled: 1-line block ×4, first 2 shown]
	v_mov_b64_e32 v[2:3], s[52:53]
	v_mov_b64_e32 v[4:5], s[54:55]
	s_or_b32 s99, vcc_lo, s99
	s_delay_alu instid0(SALU_CYCLE_1)
	s_and_not1_b32 exec_lo, exec_lo, s99
	s_cbranch_execnz .LBB104_75
; %bb.76:                               ;   in Loop: Header=BB104_15 Depth=1
	s_or_b32 exec_lo, exec_lo, s99
.LBB104_77:                             ;   in Loop: Header=BB104_15 Depth=1
	s_delay_alu instid0(SALU_CYCLE_1)
	s_or_b32 exec_lo, exec_lo, s98
	s_and_saveexec_b32 s18, s12
	s_cbranch_execz .LBB104_83
; %bb.78:                               ;   in Loop: Header=BB104_15 Depth=1
	global_load_u16 v9, v[20:21], off
	v_dual_mov_b32 v6, v34 :: v_dual_mov_b32 v7, v26
	s_mov_b32 s19, 0
	s_branch .LBB104_80
.LBB104_79:                             ;   in Loop: Header=BB104_80 Depth=2
	s_wait_xcnt 0x0
	s_or_b32 exec_lo, exec_lo, s15
	s_wait_loadcnt 0x0
	v_cmp_lt_i16_e64 s14, -1, v9
	v_and_b32_e32 v16, 0xffff, v9
	s_and_b32 s15, exec_lo, vcc_lo
	v_add_nc_u32_e32 v6, s58, v6
	s_or_b32 s19, s15, s19
	v_cndmask_b32_e64 v41, 0xffff, v37, s14
	v_cmp_o_f16_e64 s14, v9, v9
	s_delay_alu instid0(VALU_DEP_2) | instskip(NEXT) | instid1(VALU_DEP_1)
	v_xor_b32_e32 v16, v41, v16
	v_cndmask_b32_e64 v9, 0xffff, v16, s14
	s_delay_alu instid0(VALU_DEP_1) | instskip(SKIP_1) | instid1(VALU_DEP_2)
	v_and_b32_e32 v16, v9, v38
	v_bfe_u32 v9, v9, s84, 2
	v_cmp_eq_u32_e32 vcc_lo, v16, v28
	s_delay_alu instid0(VALU_DEP_2) | instskip(SKIP_4) | instid1(SALU_CYCLE_1)
	v_cmp_eq_u32_e64 s14, 0, v9
	v_cmp_eq_u32_e64 s15, 1, v9
	;; [unrolled: 1-line block ×4, first 2 shown]
	s_and_b32 s14, vcc_lo, s14
	v_cndmask_b32_e64 v9, 0, 1, s14
	s_and_b32 s14, vcc_lo, s15
	s_delay_alu instid0(SALU_CYCLE_1) | instskip(SKIP_1) | instid1(SALU_CYCLE_1)
	v_cndmask_b32_e64 v16, 0, 1, s14
	s_and_b32 s14, vcc_lo, s16
	v_cndmask_b32_e64 v41, 0, 1, s14
	s_and_b32 s14, vcc_lo, s17
	v_cmp_ne_u32_e32 vcc_lo, 0, v9
	v_cndmask_b32_e64 v42, 0, 1, s14
	v_cmp_ne_u32_e64 s14, 0, v16
	v_cmp_ne_u32_e64 s15, 0, v41
	v_mov_b32_e32 v9, v8
	s_bcnt1_i32_b32 s17, vcc_lo
	v_cmp_ne_u32_e64 s16, 0, v42
	s_bcnt1_i32_b32 s14, s14
	s_bcnt1_i32_b32 s15, s15
	s_delay_alu instid0(SALU_CYCLE_1) | instskip(SKIP_1) | instid1(SALU_CYCLE_1)
	v_dual_add_nc_u32 v3, s14, v3 :: v_dual_add_nc_u32 v4, s15, v4
	s_bcnt1_i32_b32 s16, s16
	v_dual_add_nc_u32 v2, s17, v2 :: v_dual_add_nc_u32 v5, s16, v5
	s_and_not1_b32 exec_lo, exec_lo, s19
	s_cbranch_execz .LBB104_82
.LBB104_80:                             ;   Parent Loop BB104_15 Depth=1
                                        ; =>  This Inner Loop Header: Depth=2
	s_delay_alu instid0(VALU_DEP_1) | instskip(SKIP_1) | instid1(VALU_DEP_1)
	v_dual_mov_b32 v8, 0 :: v_dual_add_nc_u32 v7, s40, v7
	s_mov_b32 s15, exec_lo
	v_cmp_le_u32_e32 vcc_lo, s36, v7
	s_wait_xcnt 0x0
	v_cmpx_gt_u32_e64 s36, v7
	s_cbranch_execz .LBB104_79
; %bb.81:                               ;   in Loop: Header=BB104_80 Depth=2
	v_readfirstlane_b32 s16, v10
	v_readfirstlane_b32 s17, v11
	global_load_u16 v8, v6, s[16:17] scale_offset
	s_branch .LBB104_79
.LBB104_82:                             ;   in Loop: Header=BB104_15 Depth=1
	s_or_b32 exec_lo, exec_lo, s19
.LBB104_83:                             ;   in Loop: Header=BB104_15 Depth=1
	s_delay_alu instid0(SALU_CYCLE_1)
	s_or_b32 exec_lo, exec_lo, s18
	s_branch .LBB104_62
.LBB104_84:                             ;   in Loop: Header=BB104_15 Depth=1
	s_mul_u64 s[14:15], s[38:39], s[46:47]
	v_mov_b64_e32 v[4:5], 0
	s_mul_i32 s14, s15, s64
	v_mov_b64_e32 v[2:3], 0
	s_sub_co_i32 s14, s38, s14
	s_mov_b32 s34, exec_lo
	s_sub_co_i32 s15, s14, s64
	s_cmp_ge_u32 s14, s64
	s_cselect_b32 s14, s15, s14
	s_delay_alu instid0(SALU_CYCLE_1) | instskip(SKIP_2) | instid1(SALU_CYCLE_1)
	s_sub_co_i32 s15, s14, s64
	s_cmp_ge_u32 s14, s64
	s_cselect_b32 s14, s15, s14
	s_sub_co_i32 s33, s38, s14
	s_delay_alu instid0(SALU_CYCLE_1)
	v_cmpx_gt_u32_e64 s33, v1
	s_cbranch_execz .LBB104_88
; %bb.85:                               ;   in Loop: Header=BB104_15 Depth=1
	v_dual_mov_b32 v6, v35 :: v_dual_mov_b32 v7, v1
	s_mov_b32 s52, 0
	s_mov_b32 s28, 0
	;; [unrolled: 1-line block ×5, first 2 shown]
.LBB104_86:                             ;   Parent Loop BB104_15 Depth=1
                                        ; =>  This Inner Loop Header: Depth=2
	ds_load_b64 v[2:3], v6
	v_dual_add_nc_u32 v7, s64, v7 :: v_dual_add_nc_u32 v6, s82, v6
	s_delay_alu instid0(VALU_DEP_1) | instskip(SKIP_3) | instid1(VALU_DEP_2)
	v_cmp_le_u32_e32 vcc_lo, s33, v7
	s_wait_dscnt 0x0
	v_cmp_lt_i16_e64 s14, -1, v2
	v_dual_lshrrev_b32 v5, 16, v2 :: v_dual_lshrrev_b32 v9, 16, v3
	v_cndmask_b32_e64 v4, 0xffff, v37, s14
	v_cmp_lt_i16_e64 s14, -1, v3
	s_delay_alu instid0(VALU_DEP_3) | instskip(NEXT) | instid1(VALU_DEP_3)
	v_cmp_lt_i16_e64 s15, -1, v9
	v_bitop3_b32 v4, v4, v2, 0xffff bitop3:0x78
	s_delay_alu instid0(VALU_DEP_3) | instskip(SKIP_1) | instid1(VALU_DEP_2)
	v_cndmask_b32_e64 v8, 0xffff, v37, s14
	v_cmp_lt_i16_e64 s14, -1, v5
	v_bitop3_b32 v8, v8, v3, 0xffff bitop3:0x78
	s_delay_alu instid0(VALU_DEP_2) | instskip(SKIP_3) | instid1(VALU_DEP_3)
	v_cndmask_b32_e64 v16, 0xffff, v37, s14
	v_cmp_o_f16_e64 s14, v3, v3
	v_cndmask_b32_e64 v3, 0xffff, v37, s15
	v_cmp_o_f16_e64 s15, v2, v2
	v_cndmask_b32_e64 v8, 0xffff, v8, s14
	s_delay_alu instid0(VALU_DEP_3) | instskip(NEXT) | instid1(VALU_DEP_3)
	v_xor_b32_e32 v3, v3, v9
	v_cndmask_b32_e64 v2, 0xffff, v4, s15
	v_xor_b32_e32 v4, v16, v5
	v_cmp_o_f16_e64 s14, v9, v9
	v_cmp_o_f16_e64 s15, v5, v5
	v_and_b32_e32 v9, v8, v38
	v_and_b32_e32 v5, v2, v38
	v_bfe_u32 v2, v2, s84, 2
	v_bfe_u32 v8, v8, s84, 2
	v_cndmask_b32_e64 v4, 0xffff, v4, s15
	v_cndmask_b32_e64 v3, 0xffff, v3, s14
	v_cmp_eq_u32_e64 s14, v5, v28
	v_cmp_eq_u32_e64 s16, 0, v2
	v_cmp_eq_u32_e64 s18, 1, v2
	v_cmp_eq_u32_e64 s20, 2, v2
	v_cmp_eq_u32_e64 s15, v9, v28
	v_cmp_eq_u32_e64 s17, 0, v8
	v_cmp_eq_u32_e64 s19, 1, v8
	v_cmp_eq_u32_e64 s21, 2, v8
	v_and_b32_e32 v5, v4, v38
	v_and_b32_e32 v9, v3, v38
	v_bfe_u32 v4, v4, s84, 2
	v_bfe_u32 v3, v3, s84, 2
	v_cmp_eq_u32_e64 s22, 3, v2
	s_and_b32 s16, s14, s16
	s_and_b32 s18, s14, s18
	;; [unrolled: 1-line block ×3, first 2 shown]
	v_cmp_eq_u32_e64 s23, 3, v8
	v_cndmask_b32_e64 v2, 0, 1, s16
	s_and_b32 s16, s15, s17
	v_cndmask_b32_e64 v8, 0, 1, s18
	s_and_b32 s18, s15, s19
	;; [unrolled: 2-line block ×3, first 2 shown]
	v_cmp_eq_u32_e64 s24, v5, v28
	v_cmp_eq_u32_e64 s25, v9, v28
	v_cmp_eq_u32_e64 s26, 0, v4
	v_cmp_eq_u32_e64 s27, 0, v3
	v_cndmask_b32_e64 v5, 0, 1, s16
	v_cmp_eq_u32_e64 s16, 1, v4
	v_cmp_eq_u32_e64 s17, 1, v3
	v_cndmask_b32_e64 v9, 0, 1, s18
	v_cmp_eq_u32_e64 s18, 2, v4
	v_cmp_eq_u32_e64 s19, 2, v3
	v_cndmask_b32_e64 v41, 0, 1, s20
	v_cmp_eq_u32_e64 s20, 3, v4
	s_and_b32 s14, s14, s22
	v_cmp_eq_u32_e64 s21, 3, v3
	v_cndmask_b32_e64 v3, 0, 1, s14
	s_and_b32 s14, s15, s23
	s_and_b32 s15, s24, s26
	;; [unrolled: 1-line block ×8, first 2 shown]
	v_cndmask_b32_e64 v4, 0, 1, s14
	v_cmp_ne_u32_e64 s14, 0, v2
	v_cndmask_b32_e64 v2, 0, 1, s15
	v_cmp_ne_u32_e64 s15, 0, v5
	;; [unrolled: 2-line block ×7, first 2 shown]
	v_cndmask_b32_e64 v3, 0, 1, s20
	s_and_b32 s21, s25, s21
	v_cmp_ne_u32_e64 s20, 0, v4
	v_cndmask_b32_e64 v4, 0, 1, s21
	s_bcnt1_i32_b32 s23, s14
	v_cmp_ne_u32_e64 s14, 0, v2
	v_cmp_ne_u32_e64 s21, 0, v8
	s_bcnt1_i32_b32 s26, s17
	v_cmp_ne_u32_e64 s17, 0, v16
	s_bcnt1_i32_b32 s53, s19
	v_cmp_ne_u32_e64 s19, 0, v3
	s_bcnt1_i32_b32 s22, s22
	s_bcnt1_i32_b32 s24, s15
	v_cmp_ne_u32_e64 s15, 0, v5
	s_bcnt1_i32_b32 s25, s16
	v_cmp_ne_u32_e64 s16, 0, v9
	;; [unrolled: 2-line block ×4, first 2 shown]
	s_add_co_i32 s23, s23, s28
	s_add_co_i32 s22, s22, s29
	;; [unrolled: 1-line block ×4, first 2 shown]
	s_bcnt1_i32_b32 s14, s14
	s_bcnt1_i32_b32 s21, s21
	;; [unrolled: 1-line block ×4, first 2 shown]
	s_add_co_i32 s21, s22, s21
	s_add_co_i32 s14, s23, s14
	;; [unrolled: 1-line block ×4, first 2 shown]
	s_bcnt1_i32_b32 s15, s15
	s_bcnt1_i32_b32 s16, s16
	s_bcnt1_i32_b32 s18, s18
	s_bcnt1_i32_b32 s20, s20
	s_add_co_i32 s14, s14, s24
	s_add_co_i32 s21, s21, s25
	;; [unrolled: 1-line block ×8, first 2 shown]
	v_mov_b64_e32 v[2:3], s[28:29]
	v_mov_b64_e32 v[4:5], s[30:31]
	s_or_b32 s52, vcc_lo, s52
	s_delay_alu instid0(SALU_CYCLE_1)
	s_and_not1_b32 exec_lo, exec_lo, s52
	s_cbranch_execnz .LBB104_86
; %bb.87:                               ;   in Loop: Header=BB104_15 Depth=1
	s_or_b32 exec_lo, exec_lo, s52
.LBB104_88:                             ;   in Loop: Header=BB104_15 Depth=1
	s_delay_alu instid0(SALU_CYCLE_1) | instskip(SKIP_2) | instid1(VALU_DEP_1)
	s_or_b32 exec_lo, exec_lo, s34
	v_add_nc_u32_e32 v6, s33, v0
	s_mov_b32 s19, exec_lo
	v_cmpx_gt_u32_e64 s38, v6
	s_cbranch_execz .LBB104_92
; %bb.89:                               ;   in Loop: Header=BB104_15 Depth=1
	v_lshlrev_b32_e32 v7, 1, v6
	s_mov_b32 s20, 0
.LBB104_90:                             ;   Parent Loop BB104_15 Depth=1
                                        ; =>  This Inner Loop Header: Depth=2
	ds_load_u16 v8, v7
	v_dual_add_nc_u32 v6, s40, v6 :: v_dual_add_nc_u32 v7, s83, v7
	s_delay_alu instid0(VALU_DEP_1) | instskip(SKIP_3) | instid1(VALU_DEP_2)
	v_cmp_le_u32_e32 vcc_lo, s38, v6
	s_wait_dscnt 0x0
	v_cmp_lt_i16_e64 s14, -1, v8
	v_and_b32_e32 v9, 0xffff, v8
	v_cndmask_b32_e64 v16, 0xffff, v37, s14
	v_cmp_o_f16_e64 s14, v8, v8
	s_delay_alu instid0(VALU_DEP_2) | instskip(NEXT) | instid1(VALU_DEP_1)
	v_xor_b32_e32 v9, v16, v9
	v_cndmask_b32_e64 v8, 0xffff, v9, s14
	s_delay_alu instid0(VALU_DEP_1) | instskip(SKIP_1) | instid1(VALU_DEP_2)
	v_and_b32_e32 v9, v8, v38
	v_bfe_u32 v8, v8, s84, 2
	v_cmp_eq_u32_e64 s14, v9, v28
	s_delay_alu instid0(VALU_DEP_2) | instskip(SKIP_4) | instid1(SALU_CYCLE_1)
	v_cmp_eq_u32_e64 s15, 0, v8
	v_cmp_eq_u32_e64 s16, 1, v8
	;; [unrolled: 1-line block ×4, first 2 shown]
	s_and_b32 s15, s14, s15
	v_cndmask_b32_e64 v8, 0, 1, s15
	s_and_b32 s15, s14, s16
	s_delay_alu instid0(SALU_CYCLE_1)
	v_cndmask_b32_e64 v9, 0, 1, s15
	s_and_b32 s15, s14, s17
	s_and_b32 s14, s14, s18
	v_cndmask_b32_e64 v16, 0, 1, s15
	v_cndmask_b32_e64 v41, 0, 1, s14
	v_cmp_ne_u32_e64 s14, 0, v8
	v_cmp_ne_u32_e64 s15, 0, v9
	s_delay_alu instid0(VALU_DEP_4) | instskip(NEXT) | instid1(VALU_DEP_4)
	v_cmp_ne_u32_e64 s16, 0, v16
	v_cmp_ne_u32_e64 s17, 0, v41
	s_bcnt1_i32_b32 s14, s14
	s_bcnt1_i32_b32 s15, s15
	s_bcnt1_i32_b32 s16, s16
	s_bcnt1_i32_b32 s17, s17
	v_dual_add_nc_u32 v3, s15, v3 :: v_dual_add_nc_u32 v2, s14, v2
	v_dual_add_nc_u32 v4, s16, v4 :: v_dual_add_nc_u32 v5, s17, v5
	s_or_b32 s20, vcc_lo, s20
	s_delay_alu instid0(SALU_CYCLE_1)
	s_and_not1_b32 exec_lo, exec_lo, s20
	s_cbranch_execnz .LBB104_90
; %bb.91:                               ;   in Loop: Header=BB104_15 Depth=1
	s_or_b32 exec_lo, exec_lo, s20
.LBB104_92:                             ;   in Loop: Header=BB104_15 Depth=1
	s_delay_alu instid0(SALU_CYCLE_1)
	s_or_b32 exec_lo, exec_lo, s19
	s_lshl_b32 s16, s88, 7
	s_and_saveexec_b32 s14, s2
	s_cbranch_execnz .LBB104_63
	s_branch .LBB104_64
.LBB104_93:                             ;   in Loop: Header=BB104_15 Depth=1
	v_mov_b32_e32 v2, 0
	s_mov_b32 s14, 0
	s_cbranch_execz .LBB104_96
.LBB104_94:                             ;   in Loop: Header=BB104_15 Depth=1
	s_lshl_b32 s15, s88, 9
	s_lshl_b32 s18, s14, 4
	s_sub_co_i32 s14, s68, s14
	v_add3_u32 v3, s15, s18, v36
.LBB104_95:                             ;   Parent Loop BB104_15 Depth=1
                                        ; =>  This Inner Loop Header: Depth=2
	ds_load_b32 v5, v3
	v_add_nc_u32_e32 v3, 16, v3
	s_add_co_i32 s14, s14, -1
	s_delay_alu instid0(SALU_CYCLE_1)
	s_cmp_eq_u32 s14, 0
	s_wait_dscnt 0x0
	v_add_nc_u32_e32 v2, v5, v2
	s_cbranch_scc0 .LBB104_95
.LBB104_96:                             ;   in Loop: Header=BB104_15 Depth=1
	s_delay_alu instid0(VALU_DEP_1)
	v_lshlrev_b32_e32 v3, 2, v4
	ds_store_b32 v3, v2 offset:3072
.LBB104_97:                             ;   in Loop: Header=BB104_15 Depth=1
	s_or_b32 exec_lo, exec_lo, s17
	s_lshl_b32 s14, s16, 2
	s_wait_dscnt 0x0
	v_mov_b32_e32 v2, s14
	s_barrier_signal -1
	s_barrier_wait -1
	v_cmp_eq_u32_e64 s14, 1, v40
	ds_load_b128 v[2:5], v2 offset:3072
	s_lshl_b32 s18, 3, s84
	s_mov_b32 s26, -1
	s_not_b32 s19, s18
	s_mov_b32 s16, 0
	s_and_not1_b32 vcc_lo, exec_lo, s62
	s_mov_b32 s23, 0
	s_mov_b32 s15, 0
                                        ; implicit-def: $sgpr24
                                        ; implicit-def: $sgpr25
                                        ; implicit-def: $vgpr6
	s_wait_dscnt 0x0
	v_readfirstlane_b32 s17, v2
	v_readfirstlane_b32 s20, v3
	;; [unrolled: 1-line block ×4, first 2 shown]
                                        ; implicit-def: $vgpr5
                                        ; implicit-def: $vgpr2
                                        ; implicit-def: $vgpr3
                                        ; implicit-def: $vgpr4
	s_cbranch_vccnz .LBB104_264
; %bb.98:                               ;   in Loop: Header=BB104_15 Depth=1
	s_cmp_eq_u32 s17, 1
	v_dual_mov_b32 v3, v28 :: v_dual_mov_b32 v4, v38
	v_mov_b32_e32 v6, v39
	s_cselect_b32 s15, -1, 0
	s_mov_b32 s29, -1
	s_and_b32 s28, s15, s14
                                        ; implicit-def: $sgpr25
                                        ; implicit-def: $sgpr24
	s_delay_alu instid0(SALU_CYCLE_1)
	s_and_saveexec_b32 s15, s28
	s_cbranch_execz .LBB104_127
; %bb.99:                               ;   in Loop: Header=BB104_15 Depth=1
	ds_load_b32 v2, v17 offset:4096
	s_wait_dscnt 0x0
	s_barrier_signal -1
	s_barrier_wait -1
	v_readfirstlane_b32 s26, v2
	s_and_saveexec_b32 s23, s6
; %bb.100:                              ;   in Loop: Header=BB104_15 Depth=1
	ds_store_b16 v19, v17
; %bb.101:                              ;   in Loop: Header=BB104_15 Depth=1
	s_or_b32 exec_lo, exec_lo, s23
	v_and_b32_e32 v3, s19, v28
	v_or_b32_e32 v4, s18, v38
	s_mov_b32 s24, -1
	s_mov_b32 s25, 0
	s_cmp_eq_u32 s26, 0
	s_mov_b32 s23, 0
	s_mov_b32 s27, -1
	s_wait_dscnt 0x0
	s_barrier_signal -1
	s_barrier_wait -1
                                        ; implicit-def: $vgpr6
	s_cbranch_scc1 .LBB104_113
; %bb.102:                              ;   in Loop: Header=BB104_15 Depth=1
	s_add_co_i32 s38, s26, s67
	s_mov_b32 s29, exec_lo
	s_mul_u64 s[30:31], s[38:39], s[48:49]
                                        ; implicit-def: $vgpr6
	s_delay_alu instid0(SALU_CYCLE_1) | instskip(NEXT) | instid1(SALU_CYCLE_1)
	s_mul_i32 s23, s31, s40
	s_sub_co_i32 s23, s38, s23
	s_delay_alu instid0(SALU_CYCLE_1) | instskip(SKIP_2) | instid1(SALU_CYCLE_1)
	s_sub_co_i32 s27, s23, s40
	s_cmp_ge_u32 s23, s40
	s_cselect_b32 s23, s27, s23
	s_sub_co_i32 s27, s23, s40
	s_cmp_ge_u32 s23, s40
	s_cselect_b32 s23, s27, s23
	s_mov_b32 s27, 0
	s_sub_co_i32 s30, s38, s23
	s_mov_b32 s23, 0
	v_cmpx_gt_u32_e64 s30, v0
	s_cbranch_execz .LBB104_112
; %bb.103:                              ;   in Loop: Header=BB104_15 Depth=1
	v_dual_mov_b32 v2, v22 :: v_dual_mov_b32 v5, v0
                                        ; implicit-def: $sgpr31
	s_branch .LBB104_107
.LBB104_104:                            ;   in Loop: Header=BB104_107 Depth=2
	s_or_b32 exec_lo, exec_lo, s33
	s_wait_dscnt 0x0
	s_barrier_signal -1
	s_barrier_wait -1
	ds_load_b32 v6, v17 offset:3072
	s_wait_dscnt 0x0
	s_barrier_signal -1
	s_barrier_wait -1
	v_cmp_neq_f16_e32 vcc_lo, 0, v6
	s_cbranch_vccnz .LBB104_110
; %bb.105:                              ;   in Loop: Header=BB104_107 Depth=2
	v_dual_add_nc_u32 v5, s40, v5 :: v_dual_add_nc_u32 v2, s83, v2
	s_mov_b32 s33, 0
	s_delay_alu instid0(VALU_DEP_1)
	v_cmp_le_u32_e32 vcc_lo, s30, v5
	s_or_not1_b32 s34, vcc_lo, exec_lo
.LBB104_106:                            ;   in Loop: Header=BB104_107 Depth=2
	s_delay_alu instid0(SALU_CYCLE_1) | instskip(NEXT) | instid1(SALU_CYCLE_1)
	s_and_b32 s34, exec_lo, s34
	s_or_b32 s23, s34, s23
	s_and_not1_b32 s31, s31, exec_lo
	s_and_b32 s33, s33, exec_lo
	s_delay_alu instid0(SALU_CYCLE_1)
	s_or_b32 s31, s31, s33
	s_and_not1_b32 exec_lo, exec_lo, s23
	s_cbranch_execz .LBB104_111
.LBB104_107:                            ;   Parent Loop BB104_15 Depth=1
                                        ; =>  This Inner Loop Header: Depth=2
	s_mov_b32 s33, exec_lo
	s_delay_alu instid0(VALU_DEP_1)
	v_cmpx_gt_u32_e64 s26, v5
	s_cbranch_execz .LBB104_104
; %bb.108:                              ;   in Loop: Header=BB104_107 Depth=2
	ds_load_u16 v6, v2
	s_wait_dscnt 0x0
	v_cmp_lt_i16_e32 vcc_lo, -1, v6
	v_and_b32_e32 v7, 0xffff, v6
	v_cndmask_b32_e32 v8, 0xffff, v37, vcc_lo
	v_cmp_o_f16_e32 vcc_lo, v6, v6
	s_delay_alu instid0(VALU_DEP_2) | instskip(NEXT) | instid1(VALU_DEP_1)
	v_xor_b32_e32 v7, v8, v7
	v_cndmask_b32_e32 v7, 0xffff, v7, vcc_lo
	s_delay_alu instid0(VALU_DEP_1) | instskip(NEXT) | instid1(VALU_DEP_1)
	v_and_b32_e32 v7, v7, v4
	v_cmp_eq_u32_e32 vcc_lo, v7, v3
	s_and_b32 exec_lo, exec_lo, vcc_lo
	s_cbranch_execz .LBB104_104
; %bb.109:                              ;   in Loop: Header=BB104_107 Depth=2
	v_perm_b32 v6, v6, s86, 0x5040100
	ds_store_b32 v17, v6 offset:3072
	s_branch .LBB104_104
.LBB104_110:                            ;   in Loop: Header=BB104_107 Depth=2
	s_mov_b32 s34, -1
	s_mov_b32 s33, -1
                                        ; implicit-def: $vgpr5
                                        ; implicit-def: $vgpr2
	s_branch .LBB104_106
.LBB104_111:                            ;   in Loop: Header=BB104_15 Depth=1
	s_or_b32 exec_lo, exec_lo, s23
	v_lshrrev_b32_e32 v6, 16, v6
	s_and_b32 s23, s31, exec_lo
.LBB104_112:                            ;   in Loop: Header=BB104_15 Depth=1
	s_or_b32 exec_lo, exec_lo, s29
.LBB104_113:                            ;   in Loop: Header=BB104_15 Depth=1
	s_delay_alu instid0(SALU_CYCLE_1)
	s_and_b32 vcc_lo, exec_lo, s27
	s_cbranch_vccz .LBB104_126
; %bb.114:                              ;   in Loop: Header=BB104_15 Depth=1
                                        ; implicit-def: $vgpr6
	s_and_saveexec_b32 s24, s13
	s_cbranch_execz .LBB104_125
; %bb.115:                              ;   in Loop: Header=BB104_15 Depth=1
	v_dual_mov_b32 v2, v18 :: v_dual_mov_b32 v5, v0
	s_mov_b32 s25, 0
                                        ; implicit-def: $sgpr26
	s_branch .LBB104_119
.LBB104_116:                            ;   in Loop: Header=BB104_119 Depth=2
	s_or_b32 exec_lo, exec_lo, s27
	s_wait_dscnt 0x0
	s_barrier_signal -1
	s_barrier_wait -1
	ds_load_b32 v6, v17 offset:3072
	s_wait_dscnt 0x0
	s_barrier_signal -1
	s_barrier_wait -1
	v_cmp_neq_f16_e32 vcc_lo, 0, v6
	s_cbranch_vccnz .LBB104_122
; %bb.117:                              ;   in Loop: Header=BB104_119 Depth=2
	v_dual_add_nc_u32 v5, s40, v5 :: v_dual_add_nc_u32 v2, s58, v2
	s_mov_b32 s27, 0
	s_delay_alu instid0(VALU_DEP_1)
	v_cmp_le_u32_e32 vcc_lo, s80, v5
	s_or_not1_b32 s29, vcc_lo, exec_lo
.LBB104_118:                            ;   in Loop: Header=BB104_119 Depth=2
	s_delay_alu instid0(SALU_CYCLE_1) | instskip(NEXT) | instid1(SALU_CYCLE_1)
	s_and_b32 s29, exec_lo, s29
	s_or_b32 s25, s29, s25
	s_and_not1_b32 s26, s26, exec_lo
	s_and_b32 s27, s27, exec_lo
	s_delay_alu instid0(SALU_CYCLE_1)
	s_or_b32 s26, s26, s27
	s_and_not1_b32 exec_lo, exec_lo, s25
	s_cbranch_execz .LBB104_124
.LBB104_119:                            ;   Parent Loop BB104_15 Depth=1
                                        ; =>  This Inner Loop Header: Depth=2
	s_mov_b32 s27, exec_lo
	s_delay_alu instid0(VALU_DEP_1)
	v_cmpx_gt_u32_e64 s36, v5
	s_cbranch_execz .LBB104_116
; %bb.120:                              ;   in Loop: Header=BB104_119 Depth=2
	v_readfirstlane_b32 s30, v10
	v_readfirstlane_b32 s31, v11
	global_load_u16 v6, v2, s[30:31] scale_offset
	s_wait_loadcnt 0x0
	v_cmp_lt_i16_e32 vcc_lo, -1, v6
	v_and_b32_e32 v7, 0xffff, v6
	v_cndmask_b32_e32 v8, 0xffff, v37, vcc_lo
	v_cmp_o_f16_e32 vcc_lo, v6, v6
	s_delay_alu instid0(VALU_DEP_2) | instskip(NEXT) | instid1(VALU_DEP_1)
	v_xor_b32_e32 v7, v8, v7
	v_cndmask_b32_e32 v7, 0xffff, v7, vcc_lo
	s_delay_alu instid0(VALU_DEP_1) | instskip(NEXT) | instid1(VALU_DEP_1)
	v_and_b32_e32 v7, v7, v4
	v_cmp_eq_u32_e32 vcc_lo, v7, v3
	s_and_b32 exec_lo, exec_lo, vcc_lo
	s_cbranch_execz .LBB104_116
; %bb.121:                              ;   in Loop: Header=BB104_119 Depth=2
	v_perm_b32 v6, v6, s86, 0x5040100
	ds_store_b32 v17, v6 offset:3072
	s_branch .LBB104_116
.LBB104_122:                            ;   in Loop: Header=BB104_119 Depth=2
	s_mov_b32 s29, -1
	s_mov_b32 s27, -1
                                        ; implicit-def: $vgpr5
                                        ; implicit-def: $vgpr2
	s_branch .LBB104_118
.LBB104_123:                            ;   in Loop: Header=BB104_15 Depth=1
	s_mov_b64 s[14:15], 0x100000000
	v_mov_b64_e32 v[2:3], 0
	s_and_not1_b32 vcc_lo, exec_lo, s74
	s_mov_b32 s18, s71
	s_cbranch_vccz .LBB104_71
	s_branch .LBB104_72
.LBB104_124:                            ;   in Loop: Header=BB104_15 Depth=1
	s_or_b32 exec_lo, exec_lo, s25
	v_lshrrev_b32_e32 v6, 16, v6
	s_and_not1_b32 s23, s23, exec_lo
	s_and_b32 s25, s26, exec_lo
	s_delay_alu instid0(SALU_CYCLE_1)
	s_or_b32 s23, s23, s25
.LBB104_125:                            ;   in Loop: Header=BB104_15 Depth=1
	s_or_b32 exec_lo, exec_lo, s24
	s_mov_b32 s24, 0
	s_mov_b32 s25, -1
.LBB104_126:                            ;   in Loop: Header=BB104_15 Depth=1
	s_or_not1_b32 s29, s23, exec_lo
.LBB104_127:                            ;   in Loop: Header=BB104_15 Depth=1
	s_or_b32 exec_lo, exec_lo, s15
	s_mov_b32 s26, 0
	s_mov_b32 s23, 0
	;; [unrolled: 1-line block ×3, first 2 shown]
                                        ; implicit-def: $vgpr5
                                        ; implicit-def: $vgpr2
	s_and_saveexec_b32 s27, s29
	s_cbranch_execz .LBB104_263
; %bb.128:                              ;   in Loop: Header=BB104_15 Depth=1
	v_dual_mov_b32 v5, 1 :: v_dual_mov_b32 v2, 1
	s_xor_b32 s23, s28, -1
	s_mov_b32 s30, 0
	s_and_saveexec_b32 s15, s23
	s_cbranch_execz .LBB104_137
; %bb.129:                              ;   in Loop: Header=BB104_15 Depth=1
	s_mov_b32 s23, exec_lo
	v_cmpx_ge_u32_e64 s17, v40
	s_xor_b32 s23, exec_lo, s23
	s_cbranch_execz .LBB104_134
; %bb.130:                              ;   in Loop: Header=BB104_15 Depth=1
	ds_load_b32 v2, v17 offset:4096
	v_and_b32_e32 v3, s19, v3
	v_or_b32_e32 v4, s18, v4
	s_wait_dscnt 0x0
	v_cmp_ne_u32_e32 vcc_lo, 0, v2
	s_cbranch_vccnz .LBB104_134
; %bb.131:                              ;   in Loop: Header=BB104_15 Depth=1
	s_and_saveexec_b32 s28, s5
; %bb.132:                              ;   in Loop: Header=BB104_15 Depth=1
	v_mov_b32_e32 v2, s17
	ds_store_b32 v17, v2 offset:4100
; %bb.133:                              ;   in Loop: Header=BB104_15 Depth=1
	s_or_b32 exec_lo, exec_lo, s28
	s_wait_dscnt 0x0
	s_barrier_signal -1
	s_barrier_wait -1
.LBB104_134:                            ;   in Loop: Header=BB104_15 Depth=1
	s_or_saveexec_b32 s23, s23
	v_dual_mov_b32 v2, 8 :: v_dual_mov_b32 v5, v40
	s_mov_b32 s28, 0
	s_xor_b32 exec_lo, exec_lo, s23
; %bb.135:                              ;   in Loop: Header=BB104_15 Depth=1
	v_subrev_nc_u32_e32 v5, s17, v40
	v_mov_b32_e32 v2, 0
	s_mov_b32 s28, exec_lo
; %bb.136:                              ;   in Loop: Header=BB104_15 Depth=1
	s_or_b32 exec_lo, exec_lo, s23
	s_delay_alu instid0(SALU_CYCLE_1)
	s_and_b32 s30, s28, exec_lo
.LBB104_137:                            ;   in Loop: Header=BB104_15 Depth=1
	s_or_b32 exec_lo, exec_lo, s15
	s_mov_b32 s29, -1
                                        ; implicit-def: $sgpr23
                                        ; implicit-def: $sgpr28
	s_and_saveexec_b32 s15, s30
	s_delay_alu instid0(SALU_CYCLE_1)
	s_xor_b32 s15, exec_lo, s15
	s_cbranch_execz .LBB104_260
; %bb.138:                              ;   in Loop: Header=BB104_15 Depth=1
	v_cmp_eq_u32_e32 vcc_lo, 1, v5
	s_cmp_eq_u32 s20, 1
	s_mov_b32 s31, -1
	s_cselect_b32 s23, -1, 0
                                        ; implicit-def: $sgpr28
	s_delay_alu instid0(SALU_CYCLE_1) | instskip(NEXT) | instid1(SALU_CYCLE_1)
	s_and_b32 s30, s23, vcc_lo
                                        ; implicit-def: $sgpr23
	s_and_saveexec_b32 s29, s30
	s_cbranch_execz .LBB104_166
; %bb.139:                              ;   in Loop: Header=BB104_15 Depth=1
	ds_load_b32 v6, v17 offset:4096
	s_wait_dscnt 0x0
	s_barrier_signal -1
	s_barrier_wait -1
	v_readfirstlane_b32 s33, v6
	s_and_saveexec_b32 s23, s6
; %bb.140:                              ;   in Loop: Header=BB104_15 Depth=1
	ds_store_b16 v19, v17
; %bb.141:                              ;   in Loop: Header=BB104_15 Depth=1
	s_or_b32 exec_lo, exec_lo, s23
	s_lshl_b32 s23, 1, s84
	v_or_b32_e32 v4, s18, v4
	v_and_or_b32 v3, v3, s19, s23
	s_mov_b32 s23, -1
	s_mov_b32 s28, 0
	s_cmp_eq_u32 s33, 0
	s_mov_b32 s31, 0
	s_mov_b32 s34, -1
	s_wait_dscnt 0x0
	s_barrier_signal -1
	s_barrier_wait -1
                                        ; implicit-def: $vgpr6
	s_cbranch_scc1 .LBB104_153
; %bb.142:                              ;   in Loop: Header=BB104_15 Depth=1
	s_add_co_i32 s38, s33, s67
                                        ; implicit-def: $vgpr6
	s_delay_alu instid0(SALU_CYCLE_1) | instskip(NEXT) | instid1(SALU_CYCLE_1)
	s_mul_u64 s[52:53], s[38:39], s[48:49]
	s_mul_i32 s31, s53, s40
	s_delay_alu instid0(SALU_CYCLE_1) | instskip(NEXT) | instid1(SALU_CYCLE_1)
	s_sub_co_i32 s31, s38, s31
	s_sub_co_i32 s34, s31, s40
	s_cmp_ge_u32 s31, s40
	s_cselect_b32 s31, s34, s31
	s_delay_alu instid0(SALU_CYCLE_1)
	s_sub_co_i32 s34, s31, s40
	s_cmp_ge_u32 s31, s40
	s_cselect_b32 s31, s34, s31
	s_mov_b32 s34, 0
	s_sub_co_i32 s52, s38, s31
	s_mov_b32 s31, 0
	s_mov_b32 s38, exec_lo
	v_cmpx_gt_u32_e64 s52, v0
	s_cbranch_execz .LBB104_152
; %bb.143:                              ;   in Loop: Header=BB104_15 Depth=1
	v_dual_mov_b32 v6, v22 :: v_dual_mov_b32 v7, v0
                                        ; implicit-def: $sgpr53
	s_branch .LBB104_147
.LBB104_144:                            ;   in Loop: Header=BB104_147 Depth=2
	s_or_b32 exec_lo, exec_lo, s54
	s_wait_dscnt 0x0
	s_barrier_signal -1
	s_barrier_wait -1
	ds_load_b32 v8, v17 offset:3072
	s_wait_dscnt 0x0
	s_barrier_signal -1
	s_barrier_wait -1
	v_cmp_neq_f16_e32 vcc_lo, 0, v8
	s_cbranch_vccnz .LBB104_150
; %bb.145:                              ;   in Loop: Header=BB104_147 Depth=2
	v_dual_add_nc_u32 v7, s40, v7 :: v_dual_add_nc_u32 v6, s83, v6
	s_mov_b32 s54, 0
	s_delay_alu instid0(VALU_DEP_1)
	v_cmp_le_u32_e32 vcc_lo, s52, v7
	s_or_not1_b32 s55, vcc_lo, exec_lo
.LBB104_146:                            ;   in Loop: Header=BB104_147 Depth=2
	s_delay_alu instid0(SALU_CYCLE_1) | instskip(NEXT) | instid1(SALU_CYCLE_1)
	s_and_b32 s55, exec_lo, s55
	s_or_b32 s31, s55, s31
	s_and_not1_b32 s53, s53, exec_lo
	s_and_b32 s54, s54, exec_lo
	s_delay_alu instid0(SALU_CYCLE_1)
	s_or_b32 s53, s53, s54
	s_and_not1_b32 exec_lo, exec_lo, s31
	s_cbranch_execz .LBB104_151
.LBB104_147:                            ;   Parent Loop BB104_15 Depth=1
                                        ; =>  This Inner Loop Header: Depth=2
	s_mov_b32 s54, exec_lo
	s_delay_alu instid0(VALU_DEP_1)
	v_cmpx_gt_u32_e64 s33, v7
	s_cbranch_execz .LBB104_144
; %bb.148:                              ;   in Loop: Header=BB104_147 Depth=2
	ds_load_u16 v8, v6
	s_wait_dscnt 0x0
	v_cmp_lt_i16_e32 vcc_lo, -1, v8
	v_and_b32_e32 v9, 0xffff, v8
	v_cndmask_b32_e32 v16, 0xffff, v37, vcc_lo
	v_cmp_o_f16_e32 vcc_lo, v8, v8
	s_delay_alu instid0(VALU_DEP_2) | instskip(NEXT) | instid1(VALU_DEP_1)
	v_xor_b32_e32 v9, v16, v9
	v_cndmask_b32_e32 v9, 0xffff, v9, vcc_lo
	s_delay_alu instid0(VALU_DEP_1) | instskip(NEXT) | instid1(VALU_DEP_1)
	v_and_b32_e32 v9, v9, v4
	v_cmp_eq_u32_e32 vcc_lo, v9, v3
	s_and_b32 exec_lo, exec_lo, vcc_lo
	s_cbranch_execz .LBB104_144
; %bb.149:                              ;   in Loop: Header=BB104_147 Depth=2
	v_perm_b32 v8, v8, s86, 0x5040100
	ds_store_b32 v17, v8 offset:3072
	s_branch .LBB104_144
.LBB104_150:                            ;   in Loop: Header=BB104_147 Depth=2
	s_mov_b32 s55, -1
	s_mov_b32 s54, -1
                                        ; implicit-def: $vgpr7
                                        ; implicit-def: $vgpr6
	s_branch .LBB104_146
.LBB104_151:                            ;   in Loop: Header=BB104_15 Depth=1
	s_or_b32 exec_lo, exec_lo, s31
	v_lshrrev_b32_e32 v6, 16, v8
	s_and_b32 s31, s53, exec_lo
.LBB104_152:                            ;   in Loop: Header=BB104_15 Depth=1
	s_or_b32 exec_lo, exec_lo, s38
.LBB104_153:                            ;   in Loop: Header=BB104_15 Depth=1
	s_delay_alu instid0(SALU_CYCLE_1)
	s_and_b32 vcc_lo, exec_lo, s34
	s_cbranch_vccz .LBB104_165
; %bb.154:                              ;   in Loop: Header=BB104_15 Depth=1
                                        ; implicit-def: $vgpr6
	s_and_saveexec_b32 s23, s13
	s_cbranch_execz .LBB104_164
; %bb.155:                              ;   in Loop: Header=BB104_15 Depth=1
	v_dual_mov_b32 v6, v18 :: v_dual_mov_b32 v7, v0
	s_mov_b32 s28, 0
                                        ; implicit-def: $sgpr33
	s_branch .LBB104_159
.LBB104_156:                            ;   in Loop: Header=BB104_159 Depth=2
	s_or_b32 exec_lo, exec_lo, s34
	s_wait_dscnt 0x0
	s_barrier_signal -1
	s_barrier_wait -1
	ds_load_b32 v8, v17 offset:3072
	s_wait_dscnt 0x0
	s_barrier_signal -1
	s_barrier_wait -1
	v_cmp_eq_f16_e32 vcc_lo, 0, v8
	s_cbranch_vccz .LBB104_162
; %bb.157:                              ;   in Loop: Header=BB104_159 Depth=2
	v_dual_add_nc_u32 v7, s40, v7 :: v_dual_add_nc_u32 v6, s58, v6
	s_mov_b32 s34, 0
	s_delay_alu instid0(VALU_DEP_1)
	v_cmp_le_u32_e32 vcc_lo, s80, v7
	s_or_not1_b32 s38, vcc_lo, exec_lo
.LBB104_158:                            ;   in Loop: Header=BB104_159 Depth=2
	s_delay_alu instid0(SALU_CYCLE_1) | instskip(NEXT) | instid1(SALU_CYCLE_1)
	s_and_b32 s38, exec_lo, s38
	s_or_b32 s28, s38, s28
	s_and_not1_b32 s33, s33, exec_lo
	s_and_b32 s34, s34, exec_lo
	s_delay_alu instid0(SALU_CYCLE_1)
	s_or_b32 s33, s33, s34
	s_and_not1_b32 exec_lo, exec_lo, s28
	s_cbranch_execz .LBB104_163
.LBB104_159:                            ;   Parent Loop BB104_15 Depth=1
                                        ; =>  This Inner Loop Header: Depth=2
	s_mov_b32 s34, exec_lo
	s_delay_alu instid0(VALU_DEP_1)
	v_cmpx_gt_u32_e64 s36, v7
	s_cbranch_execz .LBB104_156
; %bb.160:                              ;   in Loop: Header=BB104_159 Depth=2
	v_readfirstlane_b32 s52, v10
	v_readfirstlane_b32 s53, v11
	global_load_u16 v8, v6, s[52:53] scale_offset
	s_wait_loadcnt 0x0
	v_cmp_lt_i16_e32 vcc_lo, -1, v8
	v_and_b32_e32 v9, 0xffff, v8
	v_cndmask_b32_e32 v16, 0xffff, v37, vcc_lo
	v_cmp_o_f16_e32 vcc_lo, v8, v8
	s_delay_alu instid0(VALU_DEP_2) | instskip(NEXT) | instid1(VALU_DEP_1)
	v_xor_b32_e32 v9, v16, v9
	v_cndmask_b32_e32 v9, 0xffff, v9, vcc_lo
	s_delay_alu instid0(VALU_DEP_1) | instskip(NEXT) | instid1(VALU_DEP_1)
	v_and_b32_e32 v9, v9, v4
	v_cmp_eq_u32_e32 vcc_lo, v9, v3
	s_and_b32 exec_lo, exec_lo, vcc_lo
	s_cbranch_execz .LBB104_156
; %bb.161:                              ;   in Loop: Header=BB104_159 Depth=2
	v_perm_b32 v8, v8, s86, 0x5040100
	ds_store_b32 v17, v8 offset:3072
	s_branch .LBB104_156
.LBB104_162:                            ;   in Loop: Header=BB104_159 Depth=2
	s_mov_b32 s38, -1
	s_mov_b32 s34, -1
                                        ; implicit-def: $vgpr7
                                        ; implicit-def: $vgpr6
	s_branch .LBB104_158
.LBB104_163:                            ;   in Loop: Header=BB104_15 Depth=1
	s_or_b32 exec_lo, exec_lo, s28
	v_lshrrev_b32_e32 v6, 16, v8
	s_and_not1_b32 s28, s31, exec_lo
	s_and_b32 s31, s33, exec_lo
	s_delay_alu instid0(SALU_CYCLE_1)
	s_or_b32 s31, s28, s31
.LBB104_164:                            ;   in Loop: Header=BB104_15 Depth=1
	s_or_b32 exec_lo, exec_lo, s23
	s_mov_b32 s23, 0
	s_mov_b32 s28, -1
.LBB104_165:                            ;   in Loop: Header=BB104_15 Depth=1
	s_or_not1_b32 s31, s31, exec_lo
.LBB104_166:                            ;   in Loop: Header=BB104_15 Depth=1
	s_or_b32 exec_lo, exec_lo, s29
	s_mov_b32 s33, 0
	s_and_saveexec_b32 s29, s31
	s_cbranch_execz .LBB104_259
; %bb.167:                              ;   in Loop: Header=BB104_15 Depth=1
	v_dual_mov_b32 v7, 1 :: v_dual_mov_b32 v2, 1
	s_xor_b32 s31, s30, -1
	s_mov_b32 s38, 0
	s_and_saveexec_b32 s30, s31
	s_cbranch_execz .LBB104_176
; %bb.168:                              ;   in Loop: Header=BB104_15 Depth=1
	s_mov_b32 s31, exec_lo
	v_cmpx_ge_u32_e64 s20, v5
	s_xor_b32 s31, exec_lo, s31
	s_cbranch_execz .LBB104_173
; %bb.169:                              ;   in Loop: Header=BB104_15 Depth=1
	ds_load_b32 v2, v17 offset:4096
	s_lshl_b32 s33, 1, s84
	v_or_b32_e32 v4, s18, v4
	v_and_or_b32 v3, v3, s19, s33
	s_wait_dscnt 0x0
	v_cmp_ne_u32_e32 vcc_lo, 0, v2
	s_cbranch_vccnz .LBB104_173
; %bb.170:                              ;   in Loop: Header=BB104_15 Depth=1
	s_and_saveexec_b32 s33, s5
; %bb.171:                              ;   in Loop: Header=BB104_15 Depth=1
	v_mov_b32_e32 v2, s20
	ds_store_b32 v17, v2 offset:4100
; %bb.172:                              ;   in Loop: Header=BB104_15 Depth=1
	s_or_b32 exec_lo, exec_lo, s33
	s_wait_dscnt 0x0
	s_barrier_signal -1
	s_barrier_wait -1
.LBB104_173:                            ;   in Loop: Header=BB104_15 Depth=1
	s_or_saveexec_b32 s31, s31
	v_mov_b32_e32 v2, 8
	s_mov_b32 s33, 0
	s_xor_b32 exec_lo, exec_lo, s31
; %bb.174:                              ;   in Loop: Header=BB104_15 Depth=1
	v_subrev_nc_u32_e32 v5, s20, v5
	v_mov_b32_e32 v2, 0
	s_mov_b32 s33, exec_lo
; %bb.175:                              ;   in Loop: Header=BB104_15 Depth=1
	s_or_b32 exec_lo, exec_lo, s31
	s_delay_alu instid0(VALU_DEP_2)
	v_mov_b32_e32 v7, v5
	s_and_b32 s38, s33, exec_lo
.LBB104_176:                            ;   in Loop: Header=BB104_15 Depth=1
	s_or_b32 exec_lo, exec_lo, s30
	s_mov_b32 s34, -1
                                        ; implicit-def: $sgpr31
                                        ; implicit-def: $sgpr33
	s_and_saveexec_b32 s30, s38
	s_cbranch_execz .LBB104_258
; %bb.177:                              ;   in Loop: Header=BB104_15 Depth=1
	v_cmp_eq_u32_e32 vcc_lo, 1, v7
	s_cmp_eq_u32 s21, 1
	s_mov_b32 s38, -1
	s_cselect_b32 s31, -1, 0
                                        ; implicit-def: $sgpr33
	s_delay_alu instid0(SALU_CYCLE_1) | instskip(NEXT) | instid1(SALU_CYCLE_1)
	s_and_b32 s52, s31, vcc_lo
                                        ; implicit-def: $sgpr31
	s_and_saveexec_b32 s34, s52
	s_cbranch_execz .LBB104_205
; %bb.178:                              ;   in Loop: Header=BB104_15 Depth=1
	ds_load_b32 v5, v17 offset:4096
	s_wait_dscnt 0x0
	s_barrier_signal -1
	s_barrier_wait -1
	v_readfirstlane_b32 s53, v5
	s_and_saveexec_b32 s31, s6
; %bb.179:                              ;   in Loop: Header=BB104_15 Depth=1
	ds_store_b16 v19, v17
; %bb.180:                              ;   in Loop: Header=BB104_15 Depth=1
	s_or_b32 exec_lo, exec_lo, s31
	s_lshl_b32 s31, 2, s84
	v_or_b32_e32 v4, s18, v4
	v_and_or_b32 v3, v3, s19, s31
	s_mov_b32 s31, -1
	s_mov_b32 s33, 0
	s_cmp_eq_u32 s53, 0
	s_mov_b32 s38, 0
	s_mov_b32 s54, -1
	s_wait_dscnt 0x0
	s_barrier_signal -1
	s_barrier_wait -1
                                        ; implicit-def: $vgpr6
	s_cbranch_scc1 .LBB104_192
; %bb.181:                              ;   in Loop: Header=BB104_15 Depth=1
	s_add_co_i32 s38, s53, s67
                                        ; implicit-def: $vgpr6
	s_delay_alu instid0(SALU_CYCLE_1) | instskip(NEXT) | instid1(SALU_CYCLE_1)
	s_mul_u64 s[54:55], s[38:39], s[48:49]
	s_mul_i32 s54, s55, s40
	s_delay_alu instid0(SALU_CYCLE_1) | instskip(NEXT) | instid1(SALU_CYCLE_1)
	s_sub_co_i32 s54, s38, s54
	s_sub_co_i32 s55, s54, s40
	s_cmp_ge_u32 s54, s40
	s_cselect_b32 s54, s55, s54
	s_delay_alu instid0(SALU_CYCLE_1)
	s_sub_co_i32 s55, s54, s40
	s_cmp_ge_u32 s54, s40
	s_cselect_b32 s54, s55, s54
	s_mov_b32 s55, exec_lo
	s_sub_co_i32 s98, s38, s54
	s_mov_b32 s54, 0
	s_mov_b32 s38, 0
	v_cmpx_gt_u32_e64 s98, v0
	s_cbranch_execz .LBB104_191
; %bb.182:                              ;   in Loop: Header=BB104_15 Depth=1
	v_dual_mov_b32 v5, v22 :: v_dual_mov_b32 v6, v0
                                        ; implicit-def: $sgpr99
	s_branch .LBB104_186
.LBB104_183:                            ;   in Loop: Header=BB104_186 Depth=2
	s_or_b32 exec_lo, exec_lo, s100
	s_wait_dscnt 0x0
	s_barrier_signal -1
	s_barrier_wait -1
	ds_load_b32 v8, v17 offset:3072
	s_wait_dscnt 0x0
	s_barrier_signal -1
	s_barrier_wait -1
	v_cmp_neq_f16_e32 vcc_lo, 0, v8
	s_cbranch_vccnz .LBB104_189
; %bb.184:                              ;   in Loop: Header=BB104_186 Depth=2
	v_dual_add_nc_u32 v6, s40, v6 :: v_dual_add_nc_u32 v5, s83, v5
	s_mov_b32 s100, 0
	s_delay_alu instid0(VALU_DEP_1)
	v_cmp_le_u32_e32 vcc_lo, s98, v6
	s_or_not1_b32 s101, vcc_lo, exec_lo
.LBB104_185:                            ;   in Loop: Header=BB104_186 Depth=2
	s_delay_alu instid0(SALU_CYCLE_1) | instskip(NEXT) | instid1(SALU_CYCLE_1)
	s_and_b32 s101, exec_lo, s101
	s_or_b32 s38, s101, s38
	s_and_not1_b32 s99, s99, exec_lo
	s_and_b32 s100, s100, exec_lo
	s_delay_alu instid0(SALU_CYCLE_1)
	s_or_b32 s99, s99, s100
	s_and_not1_b32 exec_lo, exec_lo, s38
	s_cbranch_execz .LBB104_190
.LBB104_186:                            ;   Parent Loop BB104_15 Depth=1
                                        ; =>  This Inner Loop Header: Depth=2
	s_mov_b32 s100, exec_lo
	s_delay_alu instid0(VALU_DEP_1)
	v_cmpx_gt_u32_e64 s53, v6
	s_cbranch_execz .LBB104_183
; %bb.187:                              ;   in Loop: Header=BB104_186 Depth=2
	ds_load_u16 v8, v5
	s_wait_dscnt 0x0
	v_cmp_lt_i16_e32 vcc_lo, -1, v8
	v_and_b32_e32 v9, 0xffff, v8
	v_cndmask_b32_e32 v16, 0xffff, v37, vcc_lo
	v_cmp_o_f16_e32 vcc_lo, v8, v8
	s_delay_alu instid0(VALU_DEP_2) | instskip(NEXT) | instid1(VALU_DEP_1)
	v_xor_b32_e32 v9, v16, v9
	v_cndmask_b32_e32 v9, 0xffff, v9, vcc_lo
	s_delay_alu instid0(VALU_DEP_1) | instskip(NEXT) | instid1(VALU_DEP_1)
	v_and_b32_e32 v9, v9, v4
	v_cmp_eq_u32_e32 vcc_lo, v9, v3
	s_and_b32 exec_lo, exec_lo, vcc_lo
	s_cbranch_execz .LBB104_183
; %bb.188:                              ;   in Loop: Header=BB104_186 Depth=2
	v_perm_b32 v8, v8, s86, 0x5040100
	ds_store_b32 v17, v8 offset:3072
	s_branch .LBB104_183
.LBB104_189:                            ;   in Loop: Header=BB104_186 Depth=2
	s_mov_b32 s101, -1
	s_mov_b32 s100, -1
                                        ; implicit-def: $vgpr6
                                        ; implicit-def: $vgpr5
	s_branch .LBB104_185
.LBB104_190:                            ;   in Loop: Header=BB104_15 Depth=1
	s_or_b32 exec_lo, exec_lo, s38
	v_lshrrev_b32_e32 v6, 16, v8
	s_and_b32 s38, s99, exec_lo
.LBB104_191:                            ;   in Loop: Header=BB104_15 Depth=1
	s_or_b32 exec_lo, exec_lo, s55
.LBB104_192:                            ;   in Loop: Header=BB104_15 Depth=1
	s_delay_alu instid0(SALU_CYCLE_1)
	s_and_b32 vcc_lo, exec_lo, s54
	s_cbranch_vccz .LBB104_204
; %bb.193:                              ;   in Loop: Header=BB104_15 Depth=1
                                        ; implicit-def: $vgpr6
	s_and_saveexec_b32 s31, s13
	s_cbranch_execz .LBB104_203
; %bb.194:                              ;   in Loop: Header=BB104_15 Depth=1
	v_dual_mov_b32 v5, v18 :: v_dual_mov_b32 v6, v0
	s_mov_b32 s33, 0
                                        ; implicit-def: $sgpr53
	s_branch .LBB104_198
.LBB104_195:                            ;   in Loop: Header=BB104_198 Depth=2
	s_or_b32 exec_lo, exec_lo, s54
	s_wait_dscnt 0x0
	s_barrier_signal -1
	s_barrier_wait -1
	ds_load_b32 v8, v17 offset:3072
	s_wait_dscnt 0x0
	s_barrier_signal -1
	s_barrier_wait -1
	v_cmp_eq_f16_e32 vcc_lo, 0, v8
	s_cbranch_vccz .LBB104_201
; %bb.196:                              ;   in Loop: Header=BB104_198 Depth=2
	v_dual_add_nc_u32 v6, s40, v6 :: v_dual_add_nc_u32 v5, s58, v5
	s_mov_b32 s54, 0
	s_delay_alu instid0(VALU_DEP_1)
	v_cmp_le_u32_e32 vcc_lo, s80, v6
	s_or_not1_b32 s55, vcc_lo, exec_lo
.LBB104_197:                            ;   in Loop: Header=BB104_198 Depth=2
	s_delay_alu instid0(SALU_CYCLE_1) | instskip(NEXT) | instid1(SALU_CYCLE_1)
	s_and_b32 s55, exec_lo, s55
	s_or_b32 s33, s55, s33
	s_and_not1_b32 s53, s53, exec_lo
	s_and_b32 s54, s54, exec_lo
	s_delay_alu instid0(SALU_CYCLE_1)
	s_or_b32 s53, s53, s54
	s_and_not1_b32 exec_lo, exec_lo, s33
	s_cbranch_execz .LBB104_202
.LBB104_198:                            ;   Parent Loop BB104_15 Depth=1
                                        ; =>  This Inner Loop Header: Depth=2
	s_mov_b32 s54, exec_lo
	s_delay_alu instid0(VALU_DEP_1)
	v_cmpx_gt_u32_e64 s36, v6
	s_cbranch_execz .LBB104_195
; %bb.199:                              ;   in Loop: Header=BB104_198 Depth=2
	v_readfirstlane_b32 s98, v10
	v_readfirstlane_b32 s99, v11
	global_load_u16 v8, v5, s[98:99] scale_offset
	s_wait_loadcnt 0x0
	v_cmp_lt_i16_e32 vcc_lo, -1, v8
	v_and_b32_e32 v9, 0xffff, v8
	v_cndmask_b32_e32 v16, 0xffff, v37, vcc_lo
	v_cmp_o_f16_e32 vcc_lo, v8, v8
	s_delay_alu instid0(VALU_DEP_2) | instskip(NEXT) | instid1(VALU_DEP_1)
	v_xor_b32_e32 v9, v16, v9
	v_cndmask_b32_e32 v9, 0xffff, v9, vcc_lo
	s_delay_alu instid0(VALU_DEP_1) | instskip(NEXT) | instid1(VALU_DEP_1)
	v_and_b32_e32 v9, v9, v4
	v_cmp_eq_u32_e32 vcc_lo, v9, v3
	s_and_b32 exec_lo, exec_lo, vcc_lo
	s_cbranch_execz .LBB104_195
; %bb.200:                              ;   in Loop: Header=BB104_198 Depth=2
	v_perm_b32 v8, v8, s86, 0x5040100
	ds_store_b32 v17, v8 offset:3072
	s_branch .LBB104_195
.LBB104_201:                            ;   in Loop: Header=BB104_198 Depth=2
	s_mov_b32 s55, -1
	s_mov_b32 s54, -1
                                        ; implicit-def: $vgpr6
                                        ; implicit-def: $vgpr5
	s_branch .LBB104_197
.LBB104_202:                            ;   in Loop: Header=BB104_15 Depth=1
	s_or_b32 exec_lo, exec_lo, s33
	v_lshrrev_b32_e32 v6, 16, v8
	s_and_not1_b32 s33, s38, exec_lo
	s_and_b32 s38, s53, exec_lo
	s_delay_alu instid0(SALU_CYCLE_1)
	s_or_b32 s38, s33, s38
.LBB104_203:                            ;   in Loop: Header=BB104_15 Depth=1
	s_or_b32 exec_lo, exec_lo, s31
	s_mov_b32 s31, 0
	s_mov_b32 s33, -1
.LBB104_204:                            ;   in Loop: Header=BB104_15 Depth=1
	s_or_not1_b32 s38, s38, exec_lo
.LBB104_205:                            ;   in Loop: Header=BB104_15 Depth=1
	s_or_b32 exec_lo, exec_lo, s34
	s_mov_b32 s53, 0
	s_and_saveexec_b32 s34, s38
	s_cbranch_execz .LBB104_257
; %bb.206:                              ;   in Loop: Header=BB104_15 Depth=1
	v_dual_mov_b32 v5, 1 :: v_dual_mov_b32 v2, 1
	s_xor_b32 s52, s52, -1
	s_delay_alu instid0(SALU_CYCLE_1)
	s_and_saveexec_b32 s38, s52
	s_cbranch_execz .LBB104_215
; %bb.207:                              ;   in Loop: Header=BB104_15 Depth=1
	s_mov_b32 s52, exec_lo
	v_cmpx_ge_u32_e64 s21, v7
	s_xor_b32 s52, exec_lo, s52
	s_cbranch_execz .LBB104_212
; %bb.208:                              ;   in Loop: Header=BB104_15 Depth=1
	ds_load_b32 v2, v17 offset:4096
	s_lshl_b32 s53, 2, s84
	v_or_b32_e32 v4, s18, v4
	v_and_or_b32 v3, v3, s19, s53
	s_wait_dscnt 0x0
	v_cmp_ne_u32_e32 vcc_lo, 0, v2
	s_cbranch_vccnz .LBB104_212
; %bb.209:                              ;   in Loop: Header=BB104_15 Depth=1
	s_and_saveexec_b32 s53, s5
; %bb.210:                              ;   in Loop: Header=BB104_15 Depth=1
	v_mov_b32_e32 v2, s21
	ds_store_b32 v17, v2 offset:4100
; %bb.211:                              ;   in Loop: Header=BB104_15 Depth=1
	s_or_b32 exec_lo, exec_lo, s53
	s_wait_dscnt 0x0
	s_barrier_signal -1
	s_barrier_wait -1
.LBB104_212:                            ;   in Loop: Header=BB104_15 Depth=1
	s_or_saveexec_b32 s52, s52
	v_mov_b32_e32 v2, 8
	s_mov_b32 s53, 0
	s_xor_b32 exec_lo, exec_lo, s52
; %bb.213:                              ;   in Loop: Header=BB104_15 Depth=1
	v_subrev_nc_u32_e32 v7, s21, v7
	v_mov_b32_e32 v2, 0
	s_mov_b32 s53, exec_lo
; %bb.214:                              ;   in Loop: Header=BB104_15 Depth=1
	s_or_b32 exec_lo, exec_lo, s52
	s_delay_alu instid0(VALU_DEP_2)
	v_mov_b32_e32 v5, v7
	s_and_b32 s53, s53, exec_lo
.LBB104_215:                            ;   in Loop: Header=BB104_15 Depth=1
	s_or_b32 exec_lo, exec_lo, s38
	s_mov_b32 s38, -1
                                        ; implicit-def: $sgpr55
                                        ; implicit-def: $sgpr54
	s_and_saveexec_b32 s52, s53
	s_cbranch_execz .LBB104_256
; %bb.216:                              ;   in Loop: Header=BB104_15 Depth=1
	v_cmp_eq_u32_e32 vcc_lo, 1, v5
	s_cmp_eq_u32 s22, 1
	s_mov_b32 s99, -1
	s_cselect_b32 s38, -1, 0
                                        ; implicit-def: $sgpr55
                                        ; implicit-def: $sgpr54
	s_delay_alu instid0(SALU_CYCLE_1) | instskip(NEXT) | instid1(SALU_CYCLE_1)
	s_and_b32 s53, s38, vcc_lo
	s_and_saveexec_b32 s98, s53
	s_cbranch_execz .LBB104_244
; %bb.217:                              ;   in Loop: Header=BB104_15 Depth=1
	ds_load_b32 v6, v17 offset:4096
	s_wait_dscnt 0x0
	s_barrier_signal -1
	s_barrier_wait -1
	v_readfirstlane_b32 s99, v6
	s_and_saveexec_b32 s38, s6
; %bb.218:                              ;   in Loop: Header=BB104_15 Depth=1
	ds_store_b16 v19, v17
; %bb.219:                              ;   in Loop: Header=BB104_15 Depth=1
	s_or_b32 exec_lo, exec_lo, s38
	v_or_b32_e32 v3, s18, v3
	v_or_b32_e32 v4, s18, v4
	s_mov_b32 s54, -1
	s_mov_b32 s55, 0
	s_cmp_eq_u32 s99, 0
	s_mov_b32 s38, 0
	s_mov_b32 s100, -1
	s_wait_dscnt 0x0
	s_barrier_signal -1
	s_barrier_wait -1
                                        ; implicit-def: $vgpr6
	s_cbranch_scc1 .LBB104_231
; %bb.220:                              ;   in Loop: Header=BB104_15 Depth=1
	s_add_co_i32 s38, s99, s67
                                        ; implicit-def: $vgpr6
	s_delay_alu instid0(SALU_CYCLE_1) | instskip(NEXT) | instid1(SALU_CYCLE_1)
	s_mul_u64 s[100:101], s[38:39], s[48:49]
	s_mul_i32 s100, s101, s40
	s_delay_alu instid0(SALU_CYCLE_1) | instskip(NEXT) | instid1(SALU_CYCLE_1)
	s_sub_co_i32 s100, s38, s100
	s_sub_co_i32 s101, s100, s40
	s_cmp_ge_u32 s100, s40
	s_cselect_b32 s100, s101, s100
	s_delay_alu instid0(SALU_CYCLE_1)
	s_sub_co_i32 s101, s100, s40
	s_cmp_ge_u32 s100, s40
	s_cselect_b32 s100, s101, s100
	s_mov_b32 s101, exec_lo
	s_sub_co_i32 s102, s38, s100
	s_mov_b32 s100, 0
	s_mov_b32 s38, 0
	v_cmpx_gt_u32_e64 s102, v0
	s_cbranch_execz .LBB104_230
; %bb.221:                              ;   in Loop: Header=BB104_15 Depth=1
	v_dual_mov_b32 v6, v22 :: v_dual_mov_b32 v7, v0
                                        ; implicit-def: $sgpr103
	s_branch .LBB104_225
.LBB104_222:                            ;   in Loop: Header=BB104_225 Depth=2
	s_or_b32 exec_lo, exec_lo, s104
	s_wait_dscnt 0x0
	s_barrier_signal -1
	s_barrier_wait -1
	ds_load_b32 v8, v17 offset:3072
	s_wait_dscnt 0x0
	s_barrier_signal -1
	s_barrier_wait -1
	v_cmp_neq_f16_e32 vcc_lo, 0, v8
	s_cbranch_vccnz .LBB104_228
; %bb.223:                              ;   in Loop: Header=BB104_225 Depth=2
	v_dual_add_nc_u32 v7, s40, v7 :: v_dual_add_nc_u32 v6, s83, v6
	s_mov_b32 s104, 0
	s_delay_alu instid0(VALU_DEP_1)
	v_cmp_le_u32_e32 vcc_lo, s102, v7
	s_or_not1_b32 vcc_lo, vcc_lo, exec_lo
.LBB104_224:                            ;   in Loop: Header=BB104_225 Depth=2
	s_delay_alu instid0(SALU_CYCLE_1) | instskip(NEXT) | instid1(SALU_CYCLE_1)
	s_and_b32 vcc_lo, exec_lo, vcc_lo
	s_or_b32 s38, vcc_lo, s38
	s_and_not1_b32 s103, s103, exec_lo
	s_and_b32 s104, s104, exec_lo
	s_delay_alu instid0(SALU_CYCLE_1)
	s_or_b32 s103, s103, s104
	s_and_not1_b32 exec_lo, exec_lo, s38
	s_cbranch_execz .LBB104_229
.LBB104_225:                            ;   Parent Loop BB104_15 Depth=1
                                        ; =>  This Inner Loop Header: Depth=2
	s_mov_b32 s104, exec_lo
	s_delay_alu instid0(VALU_DEP_1)
	v_cmpx_gt_u32_e64 s99, v7
	s_cbranch_execz .LBB104_222
; %bb.226:                              ;   in Loop: Header=BB104_225 Depth=2
	ds_load_u16 v8, v6
	s_wait_dscnt 0x0
	v_cmp_lt_i16_e32 vcc_lo, -1, v8
	v_and_b32_e32 v9, 0xffff, v8
	v_cndmask_b32_e32 v16, 0xffff, v37, vcc_lo
	v_cmp_o_f16_e32 vcc_lo, v8, v8
	s_delay_alu instid0(VALU_DEP_2) | instskip(NEXT) | instid1(VALU_DEP_1)
	v_xor_b32_e32 v9, v16, v9
	v_cndmask_b32_e32 v9, 0xffff, v9, vcc_lo
	s_delay_alu instid0(VALU_DEP_1) | instskip(NEXT) | instid1(VALU_DEP_1)
	v_and_b32_e32 v9, v9, v4
	v_cmp_eq_u32_e32 vcc_lo, v9, v3
	s_and_b32 exec_lo, exec_lo, vcc_lo
	s_cbranch_execz .LBB104_222
; %bb.227:                              ;   in Loop: Header=BB104_225 Depth=2
	v_perm_b32 v8, v8, s86, 0x5040100
	ds_store_b32 v17, v8 offset:3072
	s_branch .LBB104_222
.LBB104_228:                            ;   in Loop: Header=BB104_225 Depth=2
	s_mov_b32 vcc_lo, -1
	s_mov_b32 s104, -1
                                        ; implicit-def: $vgpr7
                                        ; implicit-def: $vgpr6
	s_branch .LBB104_224
.LBB104_229:                            ;   in Loop: Header=BB104_15 Depth=1
	s_or_b32 exec_lo, exec_lo, s38
	v_lshrrev_b32_e32 v6, 16, v8
	s_and_b32 s38, s103, exec_lo
.LBB104_230:                            ;   in Loop: Header=BB104_15 Depth=1
	s_or_b32 exec_lo, exec_lo, s101
.LBB104_231:                            ;   in Loop: Header=BB104_15 Depth=1
	s_delay_alu instid0(SALU_CYCLE_1)
	s_and_b32 vcc_lo, exec_lo, s100
	s_cbranch_vccz .LBB104_243
; %bb.232:                              ;   in Loop: Header=BB104_15 Depth=1
                                        ; implicit-def: $vgpr6
	s_and_saveexec_b32 s54, s13
	s_cbranch_execz .LBB104_242
; %bb.233:                              ;   in Loop: Header=BB104_15 Depth=1
	v_dual_mov_b32 v6, v18 :: v_dual_mov_b32 v7, v0
	s_mov_b32 s55, 0
                                        ; implicit-def: $sgpr99
	s_branch .LBB104_237
.LBB104_234:                            ;   in Loop: Header=BB104_237 Depth=2
	s_or_b32 exec_lo, exec_lo, s100
	s_wait_dscnt 0x0
	s_barrier_signal -1
	s_barrier_wait -1
	ds_load_b32 v8, v17 offset:3072
	s_wait_dscnt 0x0
	s_barrier_signal -1
	s_barrier_wait -1
	v_cmp_eq_f16_e32 vcc_lo, 0, v8
	s_cbranch_vccz .LBB104_240
; %bb.235:                              ;   in Loop: Header=BB104_237 Depth=2
	v_dual_add_nc_u32 v7, s40, v7 :: v_dual_add_nc_u32 v6, s58, v6
	s_mov_b32 s100, 0
	s_delay_alu instid0(VALU_DEP_1)
	v_cmp_le_u32_e32 vcc_lo, s80, v7
	s_or_not1_b32 s101, vcc_lo, exec_lo
.LBB104_236:                            ;   in Loop: Header=BB104_237 Depth=2
	s_delay_alu instid0(SALU_CYCLE_1) | instskip(NEXT) | instid1(SALU_CYCLE_1)
	s_and_b32 s101, exec_lo, s101
	s_or_b32 s55, s101, s55
	s_and_not1_b32 s99, s99, exec_lo
	s_and_b32 s100, s100, exec_lo
	s_delay_alu instid0(SALU_CYCLE_1)
	s_or_b32 s99, s99, s100
	s_and_not1_b32 exec_lo, exec_lo, s55
	s_cbranch_execz .LBB104_241
.LBB104_237:                            ;   Parent Loop BB104_15 Depth=1
                                        ; =>  This Inner Loop Header: Depth=2
	s_mov_b32 s100, exec_lo
	s_delay_alu instid0(VALU_DEP_1)
	v_cmpx_gt_u32_e64 s36, v7
	s_cbranch_execz .LBB104_234
; %bb.238:                              ;   in Loop: Header=BB104_237 Depth=2
	v_readfirstlane_b32 s102, v10
	v_readfirstlane_b32 s103, v11
	global_load_u16 v8, v6, s[102:103] scale_offset
	s_wait_loadcnt 0x0
	v_cmp_lt_i16_e32 vcc_lo, -1, v8
	v_and_b32_e32 v9, 0xffff, v8
	v_cndmask_b32_e32 v16, 0xffff, v37, vcc_lo
	v_cmp_o_f16_e32 vcc_lo, v8, v8
	s_delay_alu instid0(VALU_DEP_2) | instskip(NEXT) | instid1(VALU_DEP_1)
	v_xor_b32_e32 v9, v16, v9
	v_cndmask_b32_e32 v9, 0xffff, v9, vcc_lo
	s_delay_alu instid0(VALU_DEP_1) | instskip(NEXT) | instid1(VALU_DEP_1)
	v_and_b32_e32 v9, v9, v4
	v_cmp_eq_u32_e32 vcc_lo, v9, v3
	s_and_b32 exec_lo, exec_lo, vcc_lo
	s_cbranch_execz .LBB104_234
; %bb.239:                              ;   in Loop: Header=BB104_237 Depth=2
	v_perm_b32 v8, v8, s86, 0x5040100
	ds_store_b32 v17, v8 offset:3072
	s_branch .LBB104_234
.LBB104_240:                            ;   in Loop: Header=BB104_237 Depth=2
	s_mov_b32 s101, -1
	s_mov_b32 s100, -1
                                        ; implicit-def: $vgpr7
                                        ; implicit-def: $vgpr6
	s_branch .LBB104_236
.LBB104_241:                            ;   in Loop: Header=BB104_15 Depth=1
	s_or_b32 exec_lo, exec_lo, s55
	v_lshrrev_b32_e32 v6, 16, v8
	s_and_not1_b32 s38, s38, exec_lo
	s_and_b32 s55, s99, exec_lo
	s_delay_alu instid0(SALU_CYCLE_1)
	s_or_b32 s38, s38, s55
.LBB104_242:                            ;   in Loop: Header=BB104_15 Depth=1
	s_or_b32 exec_lo, exec_lo, s54
	s_mov_b32 s54, 0
	s_mov_b32 s55, -1
.LBB104_243:                            ;   in Loop: Header=BB104_15 Depth=1
	s_or_not1_b32 s99, s38, exec_lo
.LBB104_244:                            ;   in Loop: Header=BB104_15 Depth=1
	s_or_b32 exec_lo, exec_lo, s98
	s_mov_b32 s98, 0
	s_and_saveexec_b32 s38, s99
	s_cbranch_execz .LBB104_255
; %bb.245:                              ;   in Loop: Header=BB104_15 Depth=1
	v_dual_mov_b32 v2, 1 :: v_dual_mov_b32 v7, 1
	s_xor_b32 s98, s53, -1
	s_delay_alu instid0(SALU_CYCLE_1)
	s_and_saveexec_b32 s53, s98
	s_cbranch_execz .LBB104_254
; %bb.246:                              ;   in Loop: Header=BB104_15 Depth=1
	s_mov_b32 s98, exec_lo
	v_cmpx_ge_u32_e64 s22, v5
	s_xor_b32 s98, exec_lo, s98
	s_cbranch_execz .LBB104_251
; %bb.247:                              ;   in Loop: Header=BB104_15 Depth=1
	ds_load_b32 v2, v17 offset:4096
	v_or_b32_e32 v3, s18, v3
	v_or_b32_e32 v4, s18, v4
	s_wait_dscnt 0x0
	v_cmp_ne_u32_e32 vcc_lo, 0, v2
	s_cbranch_vccnz .LBB104_251
; %bb.248:                              ;   in Loop: Header=BB104_15 Depth=1
	s_and_saveexec_b32 s99, s5
; %bb.249:                              ;   in Loop: Header=BB104_15 Depth=1
	v_mov_b32_e32 v2, s22
	ds_store_b32 v17, v2 offset:4100
; %bb.250:                              ;   in Loop: Header=BB104_15 Depth=1
	s_or_b32 exec_lo, exec_lo, s99
	s_wait_dscnt 0x0
	s_barrier_signal -1
	s_barrier_wait -1
.LBB104_251:                            ;   in Loop: Header=BB104_15 Depth=1
	s_and_not1_saveexec_b32 s98, s98
; %bb.252:                              ;   in Loop: Header=BB104_15 Depth=1
	v_subrev_nc_u32_e32 v5, s22, v5
; %bb.253:                              ;   in Loop: Header=BB104_15 Depth=1
	s_or_b32 exec_lo, exec_lo, s98
	s_delay_alu instid0(VALU_DEP_1)
	v_dual_mov_b32 v2, 8 :: v_dual_mov_b32 v7, v5
.LBB104_254:                            ;   in Loop: Header=BB104_15 Depth=1
	s_or_b32 exec_lo, exec_lo, s53
	s_delay_alu instid0(VALU_DEP_1)
	v_mov_b32_e32 v5, v7
	s_mov_b32 s98, exec_lo
.LBB104_255:                            ;   in Loop: Header=BB104_15 Depth=1
	s_or_b32 exec_lo, exec_lo, s38
	s_delay_alu instid0(SALU_CYCLE_1)
	s_or_not1_b32 s38, s98, exec_lo
.LBB104_256:                            ;   in Loop: Header=BB104_15 Depth=1
	s_or_b32 exec_lo, exec_lo, s52
	v_mov_b32_e32 v7, v5
	s_and_not1_b32 s33, s33, exec_lo
	s_and_b32 s52, s55, exec_lo
	s_and_not1_b32 s31, s31, exec_lo
	s_and_b32 s53, s54, exec_lo
	s_or_b32 s33, s33, s52
	s_or_b32 s31, s31, s53
	s_and_b32 s53, s38, exec_lo
.LBB104_257:                            ;   in Loop: Header=BB104_15 Depth=1
	s_or_b32 exec_lo, exec_lo, s34
	s_delay_alu instid0(SALU_CYCLE_1)
	s_or_not1_b32 s34, s53, exec_lo
.LBB104_258:                            ;   in Loop: Header=BB104_15 Depth=1
	s_or_b32 exec_lo, exec_lo, s30
	v_mov_b32_e32 v5, v7
	s_and_not1_b32 s28, s28, exec_lo
	s_and_b32 s30, s33, exec_lo
	s_and_not1_b32 s23, s23, exec_lo
	s_and_b32 s31, s31, exec_lo
	s_or_b32 s28, s28, s30
	s_or_b32 s23, s23, s31
	s_and_b32 s33, s34, exec_lo
.LBB104_259:                            ;   in Loop: Header=BB104_15 Depth=1
	s_or_b32 exec_lo, exec_lo, s29
	s_delay_alu instid0(SALU_CYCLE_1)
	s_or_not1_b32 s29, s33, exec_lo
.LBB104_260:                            ;   in Loop: Header=BB104_15 Depth=1
	s_or_b32 exec_lo, exec_lo, s15
	s_mov_b32 s30, 0
	s_mov_b32 s31, 0
	s_and_saveexec_b32 s15, s29
	s_delay_alu instid0(SALU_CYCLE_1)
	s_xor_b32 s29, exec_lo, s15
; %bb.261:                              ;   in Loop: Header=BB104_15 Depth=1
	v_cmp_ne_u32_e32 vcc_lo, 8, v2
	v_cmp_eq_u32_e64 s15, 8, v2
	s_and_b32 s31, vcc_lo, exec_lo
	s_and_b32 s30, s15, exec_lo
; %bb.262:                              ;   in Loop: Header=BB104_15 Depth=1
	s_or_b32 exec_lo, exec_lo, s29
	s_delay_alu instid0(SALU_CYCLE_1)
	s_and_not1_b32 s15, s25, exec_lo
	s_and_b32 s25, s28, exec_lo
	s_and_not1_b32 s24, s24, exec_lo
	s_and_b32 s23, s23, exec_lo
	s_or_b32 s25, s15, s25
	s_or_b32 s24, s24, s23
	s_and_b32 s15, s31, exec_lo
	s_and_b32 s23, s30, exec_lo
.LBB104_263:                            ;   in Loop: Header=BB104_15 Depth=1
	s_or_b32 exec_lo, exec_lo, s27
.LBB104_264:                            ;   in Loop: Header=BB104_15 Depth=1
	s_delay_alu instid0(SALU_CYCLE_1)
	s_and_b32 vcc_lo, exec_lo, s26
	s_cbranch_vccz .LBB104_278
; %bb.265:                              ;   in Loop: Header=BB104_15 Depth=1
	s_cmp_eq_u32 s22, 1
	s_mov_b32 s25, -1
	s_cselect_b32 s16, -1, 0
                                        ; implicit-def: $sgpr26
	s_delay_alu instid0(SALU_CYCLE_1) | instskip(NEXT) | instid1(SALU_CYCLE_1)
	s_and_b32 s14, s16, s14
                                        ; implicit-def: $sgpr16
	s_and_saveexec_b32 s24, s14
	s_cbranch_execz .LBB104_294
; %bb.266:                              ;   in Loop: Header=BB104_15 Depth=1
	ds_load_b32 v2, v17 offset:4096
	s_wait_dscnt 0x0
	s_barrier_signal -1
	s_barrier_wait -1
	v_readfirstlane_b32 s27, v2
	s_and_saveexec_b32 s16, s6
; %bb.267:                              ;   in Loop: Header=BB104_15 Depth=1
	ds_store_b16 v19, v17
; %bb.268:                              ;   in Loop: Header=BB104_15 Depth=1
	s_or_b32 exec_lo, exec_lo, s16
	v_or_b32_e32 v28, s18, v28
	v_or_b32_e32 v38, s18, v38
	s_mov_b32 s16, -1
	s_mov_b32 s26, 0
	s_cmp_eq_u32 s27, 0
	s_mov_b32 s25, 0
	s_mov_b32 s28, -1
	s_wait_dscnt 0x0
	s_barrier_signal -1
	s_barrier_wait -1
                                        ; implicit-def: $vgpr39
	s_cbranch_scc1 .LBB104_281
; %bb.269:                              ;   in Loop: Header=BB104_15 Depth=1
	s_add_co_i32 s38, s27, s67
                                        ; implicit-def: $vgpr39
	s_delay_alu instid0(SALU_CYCLE_1) | instskip(NEXT) | instid1(SALU_CYCLE_1)
	s_mul_u64 s[28:29], s[38:39], s[48:49]
	s_mul_i32 s25, s29, s40
	s_mov_b32 s29, exec_lo
	s_sub_co_i32 s25, s38, s25
	s_delay_alu instid0(SALU_CYCLE_1) | instskip(SKIP_2) | instid1(SALU_CYCLE_1)
	s_sub_co_i32 s28, s25, s40
	s_cmp_ge_u32 s25, s40
	s_cselect_b32 s25, s28, s25
	s_sub_co_i32 s28, s25, s40
	s_cmp_ge_u32 s25, s40
	s_cselect_b32 s25, s28, s25
	s_mov_b32 s28, 0
	s_sub_co_i32 s30, s38, s25
	s_mov_b32 s25, 0
	v_cmpx_gt_u32_e64 s30, v0
	s_cbranch_execz .LBB104_280
; %bb.270:                              ;   in Loop: Header=BB104_15 Depth=1
	v_dual_mov_b32 v2, v22 :: v_dual_mov_b32 v3, v0
                                        ; implicit-def: $sgpr31
	s_branch .LBB104_274
.LBB104_271:                            ;   in Loop: Header=BB104_274 Depth=2
	s_or_b32 exec_lo, exec_lo, s33
	s_wait_dscnt 0x0
	s_barrier_signal -1
	s_barrier_wait -1
	ds_load_b32 v4, v17 offset:3072
	s_wait_dscnt 0x0
	s_barrier_signal -1
	s_barrier_wait -1
	v_cmp_neq_f16_e32 vcc_lo, 0, v4
	s_cbranch_vccnz .LBB104_277
; %bb.272:                              ;   in Loop: Header=BB104_274 Depth=2
	v_dual_add_nc_u32 v3, s40, v3 :: v_dual_add_nc_u32 v2, s83, v2
	s_mov_b32 s33, 0
	s_delay_alu instid0(VALU_DEP_1)
	v_cmp_le_u32_e32 vcc_lo, s30, v3
	s_or_not1_b32 s34, vcc_lo, exec_lo
.LBB104_273:                            ;   in Loop: Header=BB104_274 Depth=2
	s_delay_alu instid0(SALU_CYCLE_1) | instskip(NEXT) | instid1(SALU_CYCLE_1)
	s_and_b32 s34, exec_lo, s34
	s_or_b32 s25, s34, s25
	s_and_not1_b32 s31, s31, exec_lo
	s_and_b32 s33, s33, exec_lo
	s_delay_alu instid0(SALU_CYCLE_1)
	s_or_b32 s31, s31, s33
	s_and_not1_b32 exec_lo, exec_lo, s25
	s_cbranch_execz .LBB104_279
.LBB104_274:                            ;   Parent Loop BB104_15 Depth=1
                                        ; =>  This Inner Loop Header: Depth=2
	s_mov_b32 s33, exec_lo
	s_delay_alu instid0(VALU_DEP_1)
	v_cmpx_gt_u32_e64 s27, v3
	s_cbranch_execz .LBB104_271
; %bb.275:                              ;   in Loop: Header=BB104_274 Depth=2
	ds_load_u16 v4, v2
	s_wait_dscnt 0x0
	v_cmp_lt_i16_e32 vcc_lo, -1, v4
	v_and_b32_e32 v5, 0xffff, v4
	v_cndmask_b32_e32 v6, 0xffff, v37, vcc_lo
	v_cmp_o_f16_e32 vcc_lo, v4, v4
	s_delay_alu instid0(VALU_DEP_2) | instskip(NEXT) | instid1(VALU_DEP_1)
	v_xor_b32_e32 v5, v6, v5
	v_cndmask_b32_e32 v5, 0xffff, v5, vcc_lo
	s_delay_alu instid0(VALU_DEP_1) | instskip(NEXT) | instid1(VALU_DEP_1)
	v_and_b32_e32 v5, v5, v38
	v_cmp_eq_u32_e32 vcc_lo, v5, v28
	s_and_b32 exec_lo, exec_lo, vcc_lo
	s_cbranch_execz .LBB104_271
; %bb.276:                              ;   in Loop: Header=BB104_274 Depth=2
	v_perm_b32 v4, v4, s86, 0x5040100
	ds_store_b32 v17, v4 offset:3072
	s_branch .LBB104_271
.LBB104_277:                            ;   in Loop: Header=BB104_274 Depth=2
	s_mov_b32 s34, -1
	s_mov_b32 s33, -1
                                        ; implicit-def: $vgpr3
                                        ; implicit-def: $vgpr2
	s_branch .LBB104_273
.LBB104_278:                            ;   in Loop: Header=BB104_15 Depth=1
	v_dual_mov_b32 v28, v3 :: v_dual_mov_b32 v38, v4
	v_mov_b32_e32 v39, v6
	s_mov_b32 s26, 0
	s_and_saveexec_b32 s14, s23
	s_cbranch_execnz .LBB104_431
	s_branch .LBB104_432
.LBB104_279:                            ;   in Loop: Header=BB104_15 Depth=1
	s_or_b32 exec_lo, exec_lo, s25
	v_lshrrev_b32_e32 v39, 16, v4
	s_and_b32 s25, s31, exec_lo
.LBB104_280:                            ;   in Loop: Header=BB104_15 Depth=1
	s_or_b32 exec_lo, exec_lo, s29
.LBB104_281:                            ;   in Loop: Header=BB104_15 Depth=1
	s_delay_alu instid0(SALU_CYCLE_1)
	s_and_b32 vcc_lo, exec_lo, s28
	s_cbranch_vccz .LBB104_293
; %bb.282:                              ;   in Loop: Header=BB104_15 Depth=1
                                        ; implicit-def: $vgpr39
	s_and_saveexec_b32 s16, s13
	s_cbranch_execz .LBB104_292
; %bb.283:                              ;   in Loop: Header=BB104_15 Depth=1
	v_dual_mov_b32 v2, v18 :: v_dual_mov_b32 v3, v0
	s_mov_b32 s26, 0
                                        ; implicit-def: $sgpr27
	s_branch .LBB104_287
.LBB104_284:                            ;   in Loop: Header=BB104_287 Depth=2
	s_or_b32 exec_lo, exec_lo, s28
	s_wait_dscnt 0x0
	s_barrier_signal -1
	s_barrier_wait -1
	ds_load_b32 v4, v17 offset:3072
	s_wait_dscnt 0x0
	s_barrier_signal -1
	s_barrier_wait -1
	v_cmp_neq_f16_e32 vcc_lo, 0, v4
	s_cbranch_vccnz .LBB104_290
; %bb.285:                              ;   in Loop: Header=BB104_287 Depth=2
	v_dual_add_nc_u32 v3, s40, v3 :: v_dual_add_nc_u32 v2, s58, v2
	s_mov_b32 s28, 0
	s_delay_alu instid0(VALU_DEP_1)
	v_cmp_le_u32_e32 vcc_lo, s80, v3
	s_or_not1_b32 s29, vcc_lo, exec_lo
.LBB104_286:                            ;   in Loop: Header=BB104_287 Depth=2
	s_delay_alu instid0(SALU_CYCLE_1) | instskip(NEXT) | instid1(SALU_CYCLE_1)
	s_and_b32 s29, exec_lo, s29
	s_or_b32 s26, s29, s26
	s_and_not1_b32 s27, s27, exec_lo
	s_and_b32 s28, s28, exec_lo
	s_delay_alu instid0(SALU_CYCLE_1)
	s_or_b32 s27, s27, s28
	s_and_not1_b32 exec_lo, exec_lo, s26
	s_cbranch_execz .LBB104_291
.LBB104_287:                            ;   Parent Loop BB104_15 Depth=1
                                        ; =>  This Inner Loop Header: Depth=2
	s_mov_b32 s28, exec_lo
	s_delay_alu instid0(VALU_DEP_1)
	v_cmpx_gt_u32_e64 s36, v3
	s_cbranch_execz .LBB104_284
; %bb.288:                              ;   in Loop: Header=BB104_287 Depth=2
	v_readfirstlane_b32 s30, v10
	v_readfirstlane_b32 s31, v11
	global_load_u16 v4, v2, s[30:31] scale_offset
	s_wait_loadcnt 0x0
	v_cmp_lt_i16_e32 vcc_lo, -1, v4
	v_and_b32_e32 v5, 0xffff, v4
	v_cndmask_b32_e32 v6, 0xffff, v37, vcc_lo
	v_cmp_o_f16_e32 vcc_lo, v4, v4
	s_delay_alu instid0(VALU_DEP_2) | instskip(NEXT) | instid1(VALU_DEP_1)
	v_xor_b32_e32 v5, v6, v5
	v_cndmask_b32_e32 v5, 0xffff, v5, vcc_lo
	s_delay_alu instid0(VALU_DEP_1) | instskip(NEXT) | instid1(VALU_DEP_1)
	v_and_b32_e32 v5, v5, v38
	v_cmp_eq_u32_e32 vcc_lo, v5, v28
	s_and_b32 exec_lo, exec_lo, vcc_lo
	s_cbranch_execz .LBB104_284
; %bb.289:                              ;   in Loop: Header=BB104_287 Depth=2
	v_perm_b32 v4, v4, s86, 0x5040100
	ds_store_b32 v17, v4 offset:3072
	s_branch .LBB104_284
.LBB104_290:                            ;   in Loop: Header=BB104_287 Depth=2
	s_mov_b32 s29, -1
	s_mov_b32 s28, -1
                                        ; implicit-def: $vgpr3
                                        ; implicit-def: $vgpr2
	s_branch .LBB104_286
.LBB104_291:                            ;   in Loop: Header=BB104_15 Depth=1
	s_or_b32 exec_lo, exec_lo, s26
	s_delay_alu instid0(SALU_CYCLE_1)
	s_and_not1_b32 s25, s25, exec_lo
	s_and_b32 s26, s27, exec_lo
	v_lshrrev_b32_e32 v39, 16, v4
	s_or_b32 s25, s25, s26
.LBB104_292:                            ;   in Loop: Header=BB104_15 Depth=1
	s_or_b32 exec_lo, exec_lo, s16
	s_mov_b32 s16, 0
	s_mov_b32 s26, -1
.LBB104_293:                            ;   in Loop: Header=BB104_15 Depth=1
	s_or_not1_b32 s25, s25, exec_lo
.LBB104_294:                            ;   in Loop: Header=BB104_15 Depth=1
	s_or_b32 exec_lo, exec_lo, s24
                                        ; implicit-def: $vgpr5
                                        ; implicit-def: $vgpr2
	s_and_saveexec_b32 s24, s25
	s_cbranch_execz .LBB104_430
; %bb.295:                              ;   in Loop: Header=BB104_15 Depth=1
	v_dual_mov_b32 v5, 1 :: v_dual_mov_b32 v2, 1
	s_xor_b32 s25, s14, -1
	s_mov_b32 s28, 0
	s_and_saveexec_b32 s14, s25
	s_cbranch_execz .LBB104_304
; %bb.296:                              ;   in Loop: Header=BB104_15 Depth=1
	s_mov_b32 s25, exec_lo
	v_cmpx_ge_u32_e64 s22, v40
	s_xor_b32 s25, exec_lo, s25
	s_cbranch_execz .LBB104_301
; %bb.297:                              ;   in Loop: Header=BB104_15 Depth=1
	ds_load_b32 v2, v17 offset:4096
	v_or_b32_e32 v28, s18, v28
	v_or_b32_e32 v38, s18, v38
	s_wait_dscnt 0x0
	v_cmp_ne_u32_e32 vcc_lo, 0, v2
	s_cbranch_vccnz .LBB104_301
; %bb.298:                              ;   in Loop: Header=BB104_15 Depth=1
	s_and_saveexec_b32 s27, s5
; %bb.299:                              ;   in Loop: Header=BB104_15 Depth=1
	v_mov_b32_e32 v2, s22
	ds_store_b32 v17, v2 offset:4100
; %bb.300:                              ;   in Loop: Header=BB104_15 Depth=1
	s_or_b32 exec_lo, exec_lo, s27
	s_wait_dscnt 0x0
	s_barrier_signal -1
	s_barrier_wait -1
.LBB104_301:                            ;   in Loop: Header=BB104_15 Depth=1
	s_or_saveexec_b32 s25, s25
	v_mov_b32_e32 v2, 5
	s_mov_b32 s27, 0
	s_xor_b32 exec_lo, exec_lo, s25
; %bb.302:                              ;   in Loop: Header=BB104_15 Depth=1
	v_subrev_nc_u32_e32 v40, s22, v40
	v_mov_b32_e32 v2, 0
	s_mov_b32 s27, exec_lo
; %bb.303:                              ;   in Loop: Header=BB104_15 Depth=1
	s_or_b32 exec_lo, exec_lo, s25
	s_delay_alu instid0(VALU_DEP_2)
	v_mov_b32_e32 v5, v40
	s_and_b32 s28, s27, exec_lo
.LBB104_304:                            ;   in Loop: Header=BB104_15 Depth=1
	s_or_b32 exec_lo, exec_lo, s14
	s_mov_b32 s27, -1
                                        ; implicit-def: $sgpr22
                                        ; implicit-def: $sgpr25
	s_and_saveexec_b32 s14, s28
	s_delay_alu instid0(SALU_CYCLE_1)
	s_xor_b32 s14, exec_lo, s14
	s_cbranch_execz .LBB104_427
; %bb.305:                              ;   in Loop: Header=BB104_15 Depth=1
	v_cmp_eq_u32_e32 vcc_lo, 1, v5
	s_cmp_eq_u32 s21, 1
	s_mov_b32 s29, -1
	s_cselect_b32 s22, -1, 0
                                        ; implicit-def: $sgpr25
	s_delay_alu instid0(SALU_CYCLE_1) | instskip(NEXT) | instid1(SALU_CYCLE_1)
	s_and_b32 s28, s22, vcc_lo
                                        ; implicit-def: $sgpr22
	s_and_saveexec_b32 s27, s28
	s_cbranch_execz .LBB104_333
; %bb.306:                              ;   in Loop: Header=BB104_15 Depth=1
	ds_load_b32 v3, v17 offset:4096
	s_wait_dscnt 0x0
	s_barrier_signal -1
	s_barrier_wait -1
	v_readfirstlane_b32 s30, v3
	s_and_saveexec_b32 s22, s6
; %bb.307:                              ;   in Loop: Header=BB104_15 Depth=1
	ds_store_b16 v19, v17
; %bb.308:                              ;   in Loop: Header=BB104_15 Depth=1
	s_or_b32 exec_lo, exec_lo, s22
	s_lshl_b32 s22, 2, s84
	v_or_b32_e32 v38, s18, v38
	v_and_or_b32 v28, v28, s19, s22
	s_mov_b32 s22, -1
	s_mov_b32 s25, 0
	s_cmp_eq_u32 s30, 0
	s_mov_b32 s29, 0
	s_mov_b32 s31, -1
	s_wait_dscnt 0x0
	s_barrier_signal -1
	s_barrier_wait -1
                                        ; implicit-def: $vgpr39
	s_cbranch_scc1 .LBB104_320
; %bb.309:                              ;   in Loop: Header=BB104_15 Depth=1
	s_add_co_i32 s38, s30, s67
	s_mov_b32 s33, exec_lo
	s_mul_u64 s[52:53], s[38:39], s[48:49]
                                        ; implicit-def: $vgpr39
	s_delay_alu instid0(SALU_CYCLE_1) | instskip(NEXT) | instid1(SALU_CYCLE_1)
	s_mul_i32 s29, s53, s40
	s_sub_co_i32 s29, s38, s29
	s_delay_alu instid0(SALU_CYCLE_1) | instskip(SKIP_2) | instid1(SALU_CYCLE_1)
	s_sub_co_i32 s31, s29, s40
	s_cmp_ge_u32 s29, s40
	s_cselect_b32 s29, s31, s29
	s_sub_co_i32 s31, s29, s40
	s_cmp_ge_u32 s29, s40
	s_cselect_b32 s29, s31, s29
	s_mov_b32 s31, 0
	s_sub_co_i32 s34, s38, s29
	s_mov_b32 s29, 0
	v_cmpx_gt_u32_e64 s34, v0
	s_cbranch_execz .LBB104_319
; %bb.310:                              ;   in Loop: Header=BB104_15 Depth=1
	v_dual_mov_b32 v3, v22 :: v_dual_mov_b32 v4, v0
                                        ; implicit-def: $sgpr38
	s_branch .LBB104_314
.LBB104_311:                            ;   in Loop: Header=BB104_314 Depth=2
	s_or_b32 exec_lo, exec_lo, s52
	s_wait_dscnt 0x0
	s_barrier_signal -1
	s_barrier_wait -1
	ds_load_b32 v6, v17 offset:3072
	s_wait_dscnt 0x0
	s_barrier_signal -1
	s_barrier_wait -1
	v_cmp_neq_f16_e32 vcc_lo, 0, v6
	s_cbranch_vccnz .LBB104_317
; %bb.312:                              ;   in Loop: Header=BB104_314 Depth=2
	v_dual_add_nc_u32 v4, s40, v4 :: v_dual_add_nc_u32 v3, s83, v3
	s_mov_b32 s52, 0
	s_delay_alu instid0(VALU_DEP_1)
	v_cmp_le_u32_e32 vcc_lo, s34, v4
	s_or_not1_b32 s53, vcc_lo, exec_lo
.LBB104_313:                            ;   in Loop: Header=BB104_314 Depth=2
	s_delay_alu instid0(SALU_CYCLE_1) | instskip(NEXT) | instid1(SALU_CYCLE_1)
	s_and_b32 s53, exec_lo, s53
	s_or_b32 s29, s53, s29
	s_and_not1_b32 s38, s38, exec_lo
	s_and_b32 s52, s52, exec_lo
	s_delay_alu instid0(SALU_CYCLE_1)
	s_or_b32 s38, s38, s52
	s_and_not1_b32 exec_lo, exec_lo, s29
	s_cbranch_execz .LBB104_318
.LBB104_314:                            ;   Parent Loop BB104_15 Depth=1
                                        ; =>  This Inner Loop Header: Depth=2
	s_mov_b32 s52, exec_lo
	s_delay_alu instid0(VALU_DEP_1)
	v_cmpx_gt_u32_e64 s30, v4
	s_cbranch_execz .LBB104_311
; %bb.315:                              ;   in Loop: Header=BB104_314 Depth=2
	ds_load_u16 v6, v3
	s_wait_dscnt 0x0
	v_cmp_lt_i16_e32 vcc_lo, -1, v6
	v_and_b32_e32 v7, 0xffff, v6
	v_cndmask_b32_e32 v8, 0xffff, v37, vcc_lo
	v_cmp_o_f16_e32 vcc_lo, v6, v6
	s_delay_alu instid0(VALU_DEP_2) | instskip(NEXT) | instid1(VALU_DEP_1)
	v_xor_b32_e32 v7, v8, v7
	v_cndmask_b32_e32 v7, 0xffff, v7, vcc_lo
	s_delay_alu instid0(VALU_DEP_1) | instskip(NEXT) | instid1(VALU_DEP_1)
	v_and_b32_e32 v7, v7, v38
	v_cmp_eq_u32_e32 vcc_lo, v7, v28
	s_and_b32 exec_lo, exec_lo, vcc_lo
	s_cbranch_execz .LBB104_311
; %bb.316:                              ;   in Loop: Header=BB104_314 Depth=2
	v_perm_b32 v6, v6, s86, 0x5040100
	ds_store_b32 v17, v6 offset:3072
	s_branch .LBB104_311
.LBB104_317:                            ;   in Loop: Header=BB104_314 Depth=2
	s_mov_b32 s53, -1
	s_mov_b32 s52, -1
                                        ; implicit-def: $vgpr4
                                        ; implicit-def: $vgpr3
	s_branch .LBB104_313
.LBB104_318:                            ;   in Loop: Header=BB104_15 Depth=1
	s_or_b32 exec_lo, exec_lo, s29
	v_lshrrev_b32_e32 v39, 16, v6
	s_and_b32 s29, s38, exec_lo
.LBB104_319:                            ;   in Loop: Header=BB104_15 Depth=1
	s_or_b32 exec_lo, exec_lo, s33
.LBB104_320:                            ;   in Loop: Header=BB104_15 Depth=1
	s_delay_alu instid0(SALU_CYCLE_1)
	s_and_b32 vcc_lo, exec_lo, s31
	s_cbranch_vccz .LBB104_332
; %bb.321:                              ;   in Loop: Header=BB104_15 Depth=1
                                        ; implicit-def: $vgpr39
	s_and_saveexec_b32 s22, s13
	s_cbranch_execz .LBB104_331
; %bb.322:                              ;   in Loop: Header=BB104_15 Depth=1
	v_dual_mov_b32 v3, v18 :: v_dual_mov_b32 v4, v0
	s_mov_b32 s25, 0
                                        ; implicit-def: $sgpr30
	s_branch .LBB104_326
.LBB104_323:                            ;   in Loop: Header=BB104_326 Depth=2
	s_or_b32 exec_lo, exec_lo, s31
	s_wait_dscnt 0x0
	s_barrier_signal -1
	s_barrier_wait -1
	ds_load_b32 v6, v17 offset:3072
	s_wait_dscnt 0x0
	s_barrier_signal -1
	s_barrier_wait -1
	v_cmp_eq_f16_e32 vcc_lo, 0, v6
	s_cbranch_vccz .LBB104_329
; %bb.324:                              ;   in Loop: Header=BB104_326 Depth=2
	v_dual_add_nc_u32 v4, s40, v4 :: v_dual_add_nc_u32 v3, s58, v3
	s_mov_b32 s31, 0
	s_delay_alu instid0(VALU_DEP_1)
	v_cmp_le_u32_e32 vcc_lo, s80, v4
	s_or_not1_b32 s33, vcc_lo, exec_lo
.LBB104_325:                            ;   in Loop: Header=BB104_326 Depth=2
	s_delay_alu instid0(SALU_CYCLE_1) | instskip(NEXT) | instid1(SALU_CYCLE_1)
	s_and_b32 s33, exec_lo, s33
	s_or_b32 s25, s33, s25
	s_and_not1_b32 s30, s30, exec_lo
	s_and_b32 s31, s31, exec_lo
	s_delay_alu instid0(SALU_CYCLE_1)
	s_or_b32 s30, s30, s31
	s_and_not1_b32 exec_lo, exec_lo, s25
	s_cbranch_execz .LBB104_330
.LBB104_326:                            ;   Parent Loop BB104_15 Depth=1
                                        ; =>  This Inner Loop Header: Depth=2
	s_mov_b32 s31, exec_lo
	s_delay_alu instid0(VALU_DEP_1)
	v_cmpx_gt_u32_e64 s36, v4
	s_cbranch_execz .LBB104_323
; %bb.327:                              ;   in Loop: Header=BB104_326 Depth=2
	v_readfirstlane_b32 s52, v10
	v_readfirstlane_b32 s53, v11
	global_load_u16 v6, v3, s[52:53] scale_offset
	s_wait_loadcnt 0x0
	v_cmp_lt_i16_e32 vcc_lo, -1, v6
	v_and_b32_e32 v7, 0xffff, v6
	v_cndmask_b32_e32 v8, 0xffff, v37, vcc_lo
	v_cmp_o_f16_e32 vcc_lo, v6, v6
	s_delay_alu instid0(VALU_DEP_2) | instskip(NEXT) | instid1(VALU_DEP_1)
	v_xor_b32_e32 v7, v8, v7
	v_cndmask_b32_e32 v7, 0xffff, v7, vcc_lo
	s_delay_alu instid0(VALU_DEP_1) | instskip(NEXT) | instid1(VALU_DEP_1)
	v_and_b32_e32 v7, v7, v38
	v_cmp_eq_u32_e32 vcc_lo, v7, v28
	s_and_b32 exec_lo, exec_lo, vcc_lo
	s_cbranch_execz .LBB104_323
; %bb.328:                              ;   in Loop: Header=BB104_326 Depth=2
	v_perm_b32 v6, v6, s86, 0x5040100
	ds_store_b32 v17, v6 offset:3072
	s_branch .LBB104_323
.LBB104_329:                            ;   in Loop: Header=BB104_326 Depth=2
	s_mov_b32 s33, -1
	s_mov_b32 s31, -1
                                        ; implicit-def: $vgpr4
                                        ; implicit-def: $vgpr3
	s_branch .LBB104_325
.LBB104_330:                            ;   in Loop: Header=BB104_15 Depth=1
	s_or_b32 exec_lo, exec_lo, s25
	v_lshrrev_b32_e32 v39, 16, v6
	s_and_not1_b32 s25, s29, exec_lo
	s_and_b32 s29, s30, exec_lo
	s_delay_alu instid0(SALU_CYCLE_1)
	s_or_b32 s29, s25, s29
.LBB104_331:                            ;   in Loop: Header=BB104_15 Depth=1
	s_or_b32 exec_lo, exec_lo, s22
	s_mov_b32 s22, 0
	s_mov_b32 s25, -1
.LBB104_332:                            ;   in Loop: Header=BB104_15 Depth=1
	s_or_not1_b32 s29, s29, exec_lo
.LBB104_333:                            ;   in Loop: Header=BB104_15 Depth=1
	s_or_b32 exec_lo, exec_lo, s27
	s_mov_b32 s30, 0
	s_and_saveexec_b32 s27, s29
	s_cbranch_execz .LBB104_426
; %bb.334:                              ;   in Loop: Header=BB104_15 Depth=1
	v_dual_mov_b32 v3, 1 :: v_dual_mov_b32 v2, 1
	s_xor_b32 s29, s28, -1
	s_mov_b32 s31, 0
	s_and_saveexec_b32 s28, s29
	s_cbranch_execz .LBB104_343
; %bb.335:                              ;   in Loop: Header=BB104_15 Depth=1
	s_mov_b32 s29, exec_lo
	v_cmpx_ge_u32_e64 s21, v5
	s_xor_b32 s29, exec_lo, s29
	s_cbranch_execz .LBB104_340
; %bb.336:                              ;   in Loop: Header=BB104_15 Depth=1
	ds_load_b32 v2, v17 offset:4096
	s_lshl_b32 s30, 2, s84
	v_or_b32_e32 v38, s18, v38
	v_and_or_b32 v28, v28, s19, s30
	s_wait_dscnt 0x0
	v_cmp_ne_u32_e32 vcc_lo, 0, v2
	s_cbranch_vccnz .LBB104_340
; %bb.337:                              ;   in Loop: Header=BB104_15 Depth=1
	s_and_saveexec_b32 s30, s5
; %bb.338:                              ;   in Loop: Header=BB104_15 Depth=1
	v_mov_b32_e32 v2, s21
	ds_store_b32 v17, v2 offset:4100
; %bb.339:                              ;   in Loop: Header=BB104_15 Depth=1
	s_or_b32 exec_lo, exec_lo, s30
	s_wait_dscnt 0x0
	s_barrier_signal -1
	s_barrier_wait -1
.LBB104_340:                            ;   in Loop: Header=BB104_15 Depth=1
	s_or_saveexec_b32 s29, s29
	v_mov_b32_e32 v2, 5
	s_mov_b32 s30, 0
	s_xor_b32 exec_lo, exec_lo, s29
; %bb.341:                              ;   in Loop: Header=BB104_15 Depth=1
	v_subrev_nc_u32_e32 v5, s21, v5
	v_mov_b32_e32 v2, 0
	s_mov_b32 s30, exec_lo
; %bb.342:                              ;   in Loop: Header=BB104_15 Depth=1
	s_or_b32 exec_lo, exec_lo, s29
	s_delay_alu instid0(VALU_DEP_2)
	v_mov_b32_e32 v3, v5
	s_and_b32 s31, s30, exec_lo
.LBB104_343:                            ;   in Loop: Header=BB104_15 Depth=1
	s_or_b32 exec_lo, exec_lo, s28
	s_mov_b32 s30, -1
                                        ; implicit-def: $sgpr28
                                        ; implicit-def: $sgpr29
	s_and_saveexec_b32 s21, s31
	s_cbranch_execz .LBB104_425
; %bb.344:                              ;   in Loop: Header=BB104_15 Depth=1
	v_cmp_eq_u32_e32 vcc_lo, 1, v3
	s_cmp_eq_u32 s20, 1
	s_mov_b32 s33, -1
	s_cselect_b32 s28, -1, 0
                                        ; implicit-def: $sgpr29
	s_delay_alu instid0(SALU_CYCLE_1) | instskip(NEXT) | instid1(SALU_CYCLE_1)
	s_and_b32 s31, s28, vcc_lo
                                        ; implicit-def: $sgpr28
	s_and_saveexec_b32 s30, s31
	s_cbranch_execz .LBB104_372
; %bb.345:                              ;   in Loop: Header=BB104_15 Depth=1
	ds_load_b32 v4, v17 offset:4096
	s_wait_dscnt 0x0
	s_barrier_signal -1
	s_barrier_wait -1
	v_readfirstlane_b32 s34, v4
	s_and_saveexec_b32 s28, s6
; %bb.346:                              ;   in Loop: Header=BB104_15 Depth=1
	ds_store_b16 v19, v17
; %bb.347:                              ;   in Loop: Header=BB104_15 Depth=1
	s_or_b32 exec_lo, exec_lo, s28
	s_lshl_b32 s28, 1, s84
	v_or_b32_e32 v38, s18, v38
	v_and_or_b32 v28, v28, s19, s28
	s_mov_b32 s28, -1
	s_mov_b32 s29, 0
	s_cmp_eq_u32 s34, 0
	s_mov_b32 s33, 0
	s_mov_b32 s38, -1
	s_wait_dscnt 0x0
	s_barrier_signal -1
	s_barrier_wait -1
                                        ; implicit-def: $vgpr39
	s_cbranch_scc1 .LBB104_359
; %bb.348:                              ;   in Loop: Header=BB104_15 Depth=1
	s_add_co_i32 s38, s34, s67
                                        ; implicit-def: $vgpr39
	s_delay_alu instid0(SALU_CYCLE_1) | instskip(NEXT) | instid1(SALU_CYCLE_1)
	s_mul_u64 s[52:53], s[38:39], s[48:49]
	s_mul_i32 s33, s53, s40
	s_delay_alu instid0(SALU_CYCLE_1) | instskip(NEXT) | instid1(SALU_CYCLE_1)
	s_sub_co_i32 s33, s38, s33
	s_sub_co_i32 s52, s33, s40
	s_cmp_ge_u32 s33, s40
	s_cselect_b32 s33, s52, s33
	s_delay_alu instid0(SALU_CYCLE_1)
	s_sub_co_i32 s52, s33, s40
	s_cmp_ge_u32 s33, s40
	s_cselect_b32 s33, s52, s33
	s_mov_b32 s52, exec_lo
	s_sub_co_i32 s53, s38, s33
	s_mov_b32 s38, 0
	s_mov_b32 s33, 0
	v_cmpx_gt_u32_e64 s53, v0
	s_cbranch_execz .LBB104_358
; %bb.349:                              ;   in Loop: Header=BB104_15 Depth=1
	v_dual_mov_b32 v4, v22 :: v_dual_mov_b32 v5, v0
                                        ; implicit-def: $sgpr54
	s_branch .LBB104_353
.LBB104_350:                            ;   in Loop: Header=BB104_353 Depth=2
	s_or_b32 exec_lo, exec_lo, s55
	s_wait_dscnt 0x0
	s_barrier_signal -1
	s_barrier_wait -1
	ds_load_b32 v6, v17 offset:3072
	s_wait_dscnt 0x0
	s_barrier_signal -1
	s_barrier_wait -1
	v_cmp_neq_f16_e32 vcc_lo, 0, v6
	s_cbranch_vccnz .LBB104_356
; %bb.351:                              ;   in Loop: Header=BB104_353 Depth=2
	v_dual_add_nc_u32 v5, s40, v5 :: v_dual_add_nc_u32 v4, s83, v4
	s_mov_b32 s55, 0
	s_delay_alu instid0(VALU_DEP_1)
	v_cmp_le_u32_e32 vcc_lo, s53, v5
	s_or_not1_b32 s98, vcc_lo, exec_lo
.LBB104_352:                            ;   in Loop: Header=BB104_353 Depth=2
	s_delay_alu instid0(SALU_CYCLE_1) | instskip(NEXT) | instid1(SALU_CYCLE_1)
	s_and_b32 s98, exec_lo, s98
	s_or_b32 s33, s98, s33
	s_and_not1_b32 s54, s54, exec_lo
	s_and_b32 s55, s55, exec_lo
	s_delay_alu instid0(SALU_CYCLE_1)
	s_or_b32 s54, s54, s55
	s_and_not1_b32 exec_lo, exec_lo, s33
	s_cbranch_execz .LBB104_357
.LBB104_353:                            ;   Parent Loop BB104_15 Depth=1
                                        ; =>  This Inner Loop Header: Depth=2
	s_mov_b32 s55, exec_lo
	s_delay_alu instid0(VALU_DEP_1)
	v_cmpx_gt_u32_e64 s34, v5
	s_cbranch_execz .LBB104_350
; %bb.354:                              ;   in Loop: Header=BB104_353 Depth=2
	ds_load_u16 v6, v4
	s_wait_dscnt 0x0
	v_cmp_lt_i16_e32 vcc_lo, -1, v6
	v_and_b32_e32 v7, 0xffff, v6
	v_cndmask_b32_e32 v8, 0xffff, v37, vcc_lo
	v_cmp_o_f16_e32 vcc_lo, v6, v6
	s_delay_alu instid0(VALU_DEP_2) | instskip(NEXT) | instid1(VALU_DEP_1)
	v_xor_b32_e32 v7, v8, v7
	v_cndmask_b32_e32 v7, 0xffff, v7, vcc_lo
	s_delay_alu instid0(VALU_DEP_1) | instskip(NEXT) | instid1(VALU_DEP_1)
	v_and_b32_e32 v7, v7, v38
	v_cmp_eq_u32_e32 vcc_lo, v7, v28
	s_and_b32 exec_lo, exec_lo, vcc_lo
	s_cbranch_execz .LBB104_350
; %bb.355:                              ;   in Loop: Header=BB104_353 Depth=2
	v_perm_b32 v6, v6, s86, 0x5040100
	ds_store_b32 v17, v6 offset:3072
	s_branch .LBB104_350
.LBB104_356:                            ;   in Loop: Header=BB104_353 Depth=2
	s_mov_b32 s98, -1
	s_mov_b32 s55, -1
                                        ; implicit-def: $vgpr5
                                        ; implicit-def: $vgpr4
	s_branch .LBB104_352
.LBB104_357:                            ;   in Loop: Header=BB104_15 Depth=1
	s_or_b32 exec_lo, exec_lo, s33
	v_lshrrev_b32_e32 v39, 16, v6
	s_and_b32 s33, s54, exec_lo
.LBB104_358:                            ;   in Loop: Header=BB104_15 Depth=1
	s_or_b32 exec_lo, exec_lo, s52
.LBB104_359:                            ;   in Loop: Header=BB104_15 Depth=1
	s_delay_alu instid0(SALU_CYCLE_1)
	s_and_b32 vcc_lo, exec_lo, s38
	s_cbranch_vccz .LBB104_371
; %bb.360:                              ;   in Loop: Header=BB104_15 Depth=1
                                        ; implicit-def: $vgpr39
	s_and_saveexec_b32 s28, s13
	s_cbranch_execz .LBB104_370
; %bb.361:                              ;   in Loop: Header=BB104_15 Depth=1
	v_dual_mov_b32 v4, v18 :: v_dual_mov_b32 v5, v0
	s_mov_b32 s29, 0
                                        ; implicit-def: $sgpr34
	s_branch .LBB104_365
.LBB104_362:                            ;   in Loop: Header=BB104_365 Depth=2
	s_or_b32 exec_lo, exec_lo, s38
	s_wait_dscnt 0x0
	s_barrier_signal -1
	s_barrier_wait -1
	ds_load_b32 v6, v17 offset:3072
	s_wait_dscnt 0x0
	s_barrier_signal -1
	s_barrier_wait -1
	v_cmp_eq_f16_e32 vcc_lo, 0, v6
	s_cbranch_vccz .LBB104_368
; %bb.363:                              ;   in Loop: Header=BB104_365 Depth=2
	v_dual_add_nc_u32 v5, s40, v5 :: v_dual_add_nc_u32 v4, s58, v4
	s_mov_b32 s38, 0
	s_delay_alu instid0(VALU_DEP_1)
	v_cmp_le_u32_e32 vcc_lo, s80, v5
	s_or_not1_b32 s52, vcc_lo, exec_lo
.LBB104_364:                            ;   in Loop: Header=BB104_365 Depth=2
	s_delay_alu instid0(SALU_CYCLE_1) | instskip(NEXT) | instid1(SALU_CYCLE_1)
	s_and_b32 s52, exec_lo, s52
	s_or_b32 s29, s52, s29
	s_and_not1_b32 s34, s34, exec_lo
	s_and_b32 s38, s38, exec_lo
	s_delay_alu instid0(SALU_CYCLE_1)
	s_or_b32 s34, s34, s38
	s_and_not1_b32 exec_lo, exec_lo, s29
	s_cbranch_execz .LBB104_369
.LBB104_365:                            ;   Parent Loop BB104_15 Depth=1
                                        ; =>  This Inner Loop Header: Depth=2
	s_mov_b32 s38, exec_lo
	s_delay_alu instid0(VALU_DEP_1)
	v_cmpx_gt_u32_e64 s36, v5
	s_cbranch_execz .LBB104_362
; %bb.366:                              ;   in Loop: Header=BB104_365 Depth=2
	v_readfirstlane_b32 s52, v10
	v_readfirstlane_b32 s53, v11
	global_load_u16 v6, v4, s[52:53] scale_offset
	s_wait_loadcnt 0x0
	v_cmp_lt_i16_e32 vcc_lo, -1, v6
	v_and_b32_e32 v7, 0xffff, v6
	v_cndmask_b32_e32 v8, 0xffff, v37, vcc_lo
	v_cmp_o_f16_e32 vcc_lo, v6, v6
	s_delay_alu instid0(VALU_DEP_2) | instskip(NEXT) | instid1(VALU_DEP_1)
	v_xor_b32_e32 v7, v8, v7
	v_cndmask_b32_e32 v7, 0xffff, v7, vcc_lo
	s_delay_alu instid0(VALU_DEP_1) | instskip(NEXT) | instid1(VALU_DEP_1)
	v_and_b32_e32 v7, v7, v38
	v_cmp_eq_u32_e32 vcc_lo, v7, v28
	s_and_b32 exec_lo, exec_lo, vcc_lo
	s_cbranch_execz .LBB104_362
; %bb.367:                              ;   in Loop: Header=BB104_365 Depth=2
	v_perm_b32 v6, v6, s86, 0x5040100
	ds_store_b32 v17, v6 offset:3072
	s_branch .LBB104_362
.LBB104_368:                            ;   in Loop: Header=BB104_365 Depth=2
	s_mov_b32 s52, -1
	s_mov_b32 s38, -1
                                        ; implicit-def: $vgpr5
                                        ; implicit-def: $vgpr4
	s_branch .LBB104_364
.LBB104_369:                            ;   in Loop: Header=BB104_15 Depth=1
	s_or_b32 exec_lo, exec_lo, s29
	v_lshrrev_b32_e32 v39, 16, v6
	s_and_not1_b32 s29, s33, exec_lo
	s_and_b32 s33, s34, exec_lo
	s_delay_alu instid0(SALU_CYCLE_1)
	s_or_b32 s33, s29, s33
.LBB104_370:                            ;   in Loop: Header=BB104_15 Depth=1
	s_or_b32 exec_lo, exec_lo, s28
	s_mov_b32 s28, 0
	s_mov_b32 s29, -1
.LBB104_371:                            ;   in Loop: Header=BB104_15 Depth=1
	s_or_not1_b32 s33, s33, exec_lo
.LBB104_372:                            ;   in Loop: Header=BB104_15 Depth=1
	s_or_b32 exec_lo, exec_lo, s30
	s_mov_b32 s34, 0
	s_and_saveexec_b32 s30, s33
	s_cbranch_execz .LBB104_424
; %bb.373:                              ;   in Loop: Header=BB104_15 Depth=1
	v_dual_mov_b32 v4, 1 :: v_dual_mov_b32 v2, 1
	s_xor_b32 s33, s31, -1
	s_mov_b32 s38, 0
	s_and_saveexec_b32 s31, s33
	s_cbranch_execz .LBB104_382
; %bb.374:                              ;   in Loop: Header=BB104_15 Depth=1
	s_mov_b32 s33, exec_lo
	v_cmpx_ge_u32_e64 s20, v3
	s_xor_b32 s33, exec_lo, s33
	s_cbranch_execz .LBB104_379
; %bb.375:                              ;   in Loop: Header=BB104_15 Depth=1
	ds_load_b32 v2, v17 offset:4096
	s_lshl_b32 s34, 1, s84
	v_or_b32_e32 v38, s18, v38
	v_and_or_b32 v28, v28, s19, s34
	s_wait_dscnt 0x0
	v_cmp_ne_u32_e32 vcc_lo, 0, v2
	s_cbranch_vccnz .LBB104_379
; %bb.376:                              ;   in Loop: Header=BB104_15 Depth=1
	s_and_saveexec_b32 s34, s5
; %bb.377:                              ;   in Loop: Header=BB104_15 Depth=1
	v_mov_b32_e32 v2, s20
	ds_store_b32 v17, v2 offset:4100
; %bb.378:                              ;   in Loop: Header=BB104_15 Depth=1
	s_or_b32 exec_lo, exec_lo, s34
	s_wait_dscnt 0x0
	s_barrier_signal -1
	s_barrier_wait -1
.LBB104_379:                            ;   in Loop: Header=BB104_15 Depth=1
	s_or_saveexec_b32 s33, s33
	v_mov_b32_e32 v2, 5
	s_mov_b32 s34, 0
	s_xor_b32 exec_lo, exec_lo, s33
; %bb.380:                              ;   in Loop: Header=BB104_15 Depth=1
	v_subrev_nc_u32_e32 v3, s20, v3
	v_mov_b32_e32 v2, 0
	s_mov_b32 s34, exec_lo
; %bb.381:                              ;   in Loop: Header=BB104_15 Depth=1
	s_or_b32 exec_lo, exec_lo, s33
	s_delay_alu instid0(VALU_DEP_2)
	v_mov_b32_e32 v4, v3
	s_and_b32 s38, s34, exec_lo
.LBB104_382:                            ;   in Loop: Header=BB104_15 Depth=1
	s_or_b32 exec_lo, exec_lo, s31
	s_mov_b32 s31, -1
                                        ; implicit-def: $sgpr34
                                        ; implicit-def: $sgpr33
	s_and_saveexec_b32 s20, s38
	s_cbranch_execz .LBB104_423
; %bb.383:                              ;   in Loop: Header=BB104_15 Depth=1
	v_cmp_eq_u32_e32 vcc_lo, 1, v4
	s_cmp_eq_u32 s17, 1
	s_mov_b32 s53, -1
	s_cselect_b32 s31, -1, 0
                                        ; implicit-def: $sgpr34
                                        ; implicit-def: $sgpr33
	s_delay_alu instid0(SALU_CYCLE_1) | instskip(NEXT) | instid1(SALU_CYCLE_1)
	s_and_b32 s31, s31, vcc_lo
	s_and_saveexec_b32 s52, s31
	s_cbranch_execz .LBB104_411
; %bb.384:                              ;   in Loop: Header=BB104_15 Depth=1
	ds_load_b32 v3, v17 offset:4096
	s_wait_dscnt 0x0
	s_barrier_signal -1
	s_barrier_wait -1
	v_readfirstlane_b32 s53, v3
	s_and_saveexec_b32 s33, s6
; %bb.385:                              ;   in Loop: Header=BB104_15 Depth=1
	ds_store_b16 v19, v17
; %bb.386:                              ;   in Loop: Header=BB104_15 Depth=1
	s_or_b32 exec_lo, exec_lo, s33
	v_and_b32_e32 v28, s19, v28
	v_or_b32_e32 v38, s18, v38
	s_mov_b32 s33, -1
	s_mov_b32 s34, 0
	s_cmp_eq_u32 s53, 0
	s_mov_b32 s38, 0
	s_mov_b32 s54, -1
	s_wait_dscnt 0x0
	s_barrier_signal -1
	s_barrier_wait -1
                                        ; implicit-def: $vgpr39
	s_cbranch_scc1 .LBB104_398
; %bb.387:                              ;   in Loop: Header=BB104_15 Depth=1
	s_add_co_i32 s38, s53, s67
                                        ; implicit-def: $vgpr39
	s_delay_alu instid0(SALU_CYCLE_1) | instskip(NEXT) | instid1(SALU_CYCLE_1)
	s_mul_u64 s[54:55], s[38:39], s[48:49]
	s_mul_i32 s54, s55, s40
	s_delay_alu instid0(SALU_CYCLE_1) | instskip(NEXT) | instid1(SALU_CYCLE_1)
	s_sub_co_i32 s54, s38, s54
	s_sub_co_i32 s55, s54, s40
	s_cmp_ge_u32 s54, s40
	s_cselect_b32 s54, s55, s54
	s_delay_alu instid0(SALU_CYCLE_1)
	s_sub_co_i32 s55, s54, s40
	s_cmp_ge_u32 s54, s40
	s_cselect_b32 s54, s55, s54
	s_mov_b32 s55, exec_lo
	s_sub_co_i32 s98, s38, s54
	s_mov_b32 s54, 0
	s_mov_b32 s38, 0
	v_cmpx_gt_u32_e64 s98, v0
	s_cbranch_execz .LBB104_397
; %bb.388:                              ;   in Loop: Header=BB104_15 Depth=1
	v_dual_mov_b32 v3, v22 :: v_dual_mov_b32 v5, v0
                                        ; implicit-def: $sgpr99
	s_branch .LBB104_392
.LBB104_389:                            ;   in Loop: Header=BB104_392 Depth=2
	s_or_b32 exec_lo, exec_lo, s100
	s_wait_dscnt 0x0
	s_barrier_signal -1
	s_barrier_wait -1
	ds_load_b32 v6, v17 offset:3072
	s_wait_dscnt 0x0
	s_barrier_signal -1
	s_barrier_wait -1
	v_cmp_neq_f16_e32 vcc_lo, 0, v6
	s_cbranch_vccnz .LBB104_395
; %bb.390:                              ;   in Loop: Header=BB104_392 Depth=2
	v_dual_add_nc_u32 v5, s40, v5 :: v_dual_add_nc_u32 v3, s83, v3
	s_mov_b32 s100, 0
	s_delay_alu instid0(VALU_DEP_1)
	v_cmp_le_u32_e32 vcc_lo, s98, v5
	s_or_not1_b32 s101, vcc_lo, exec_lo
.LBB104_391:                            ;   in Loop: Header=BB104_392 Depth=2
	s_delay_alu instid0(SALU_CYCLE_1) | instskip(NEXT) | instid1(SALU_CYCLE_1)
	s_and_b32 s101, exec_lo, s101
	s_or_b32 s38, s101, s38
	s_and_not1_b32 s99, s99, exec_lo
	s_and_b32 s100, s100, exec_lo
	s_delay_alu instid0(SALU_CYCLE_1)
	s_or_b32 s99, s99, s100
	s_and_not1_b32 exec_lo, exec_lo, s38
	s_cbranch_execz .LBB104_396
.LBB104_392:                            ;   Parent Loop BB104_15 Depth=1
                                        ; =>  This Inner Loop Header: Depth=2
	s_mov_b32 s100, exec_lo
	s_delay_alu instid0(VALU_DEP_1)
	v_cmpx_gt_u32_e64 s53, v5
	s_cbranch_execz .LBB104_389
; %bb.393:                              ;   in Loop: Header=BB104_392 Depth=2
	ds_load_u16 v6, v3
	s_wait_dscnt 0x0
	v_cmp_lt_i16_e32 vcc_lo, -1, v6
	v_and_b32_e32 v7, 0xffff, v6
	v_cndmask_b32_e32 v8, 0xffff, v37, vcc_lo
	v_cmp_o_f16_e32 vcc_lo, v6, v6
	s_delay_alu instid0(VALU_DEP_2) | instskip(NEXT) | instid1(VALU_DEP_1)
	v_xor_b32_e32 v7, v8, v7
	v_cndmask_b32_e32 v7, 0xffff, v7, vcc_lo
	s_delay_alu instid0(VALU_DEP_1) | instskip(NEXT) | instid1(VALU_DEP_1)
	v_and_b32_e32 v7, v7, v38
	v_cmp_eq_u32_e32 vcc_lo, v7, v28
	s_and_b32 exec_lo, exec_lo, vcc_lo
	s_cbranch_execz .LBB104_389
; %bb.394:                              ;   in Loop: Header=BB104_392 Depth=2
	v_perm_b32 v6, v6, s86, 0x5040100
	ds_store_b32 v17, v6 offset:3072
	s_branch .LBB104_389
.LBB104_395:                            ;   in Loop: Header=BB104_392 Depth=2
	s_mov_b32 s101, -1
	s_mov_b32 s100, -1
                                        ; implicit-def: $vgpr5
                                        ; implicit-def: $vgpr3
	s_branch .LBB104_391
.LBB104_396:                            ;   in Loop: Header=BB104_15 Depth=1
	s_or_b32 exec_lo, exec_lo, s38
	v_lshrrev_b32_e32 v39, 16, v6
	s_and_b32 s38, s99, exec_lo
.LBB104_397:                            ;   in Loop: Header=BB104_15 Depth=1
	s_or_b32 exec_lo, exec_lo, s55
.LBB104_398:                            ;   in Loop: Header=BB104_15 Depth=1
	s_delay_alu instid0(SALU_CYCLE_1)
	s_and_b32 vcc_lo, exec_lo, s54
	s_cbranch_vccz .LBB104_410
; %bb.399:                              ;   in Loop: Header=BB104_15 Depth=1
                                        ; implicit-def: $vgpr39
	s_and_saveexec_b32 s33, s13
	s_cbranch_execz .LBB104_409
; %bb.400:                              ;   in Loop: Header=BB104_15 Depth=1
	v_dual_mov_b32 v3, v18 :: v_dual_mov_b32 v5, v0
	s_mov_b32 s34, 0
                                        ; implicit-def: $sgpr53
	s_branch .LBB104_404
.LBB104_401:                            ;   in Loop: Header=BB104_404 Depth=2
	s_or_b32 exec_lo, exec_lo, s54
	s_wait_dscnt 0x0
	s_barrier_signal -1
	s_barrier_wait -1
	ds_load_b32 v6, v17 offset:3072
	s_wait_dscnt 0x0
	s_barrier_signal -1
	s_barrier_wait -1
	v_cmp_eq_f16_e32 vcc_lo, 0, v6
	s_cbranch_vccz .LBB104_407
; %bb.402:                              ;   in Loop: Header=BB104_404 Depth=2
	v_dual_add_nc_u32 v5, s40, v5 :: v_dual_add_nc_u32 v3, s58, v3
	s_mov_b32 s54, 0
	s_delay_alu instid0(VALU_DEP_1)
	v_cmp_le_u32_e32 vcc_lo, s80, v5
	s_or_not1_b32 s55, vcc_lo, exec_lo
.LBB104_403:                            ;   in Loop: Header=BB104_404 Depth=2
	s_delay_alu instid0(SALU_CYCLE_1) | instskip(NEXT) | instid1(SALU_CYCLE_1)
	s_and_b32 s55, exec_lo, s55
	s_or_b32 s34, s55, s34
	s_and_not1_b32 s53, s53, exec_lo
	s_and_b32 s54, s54, exec_lo
	s_delay_alu instid0(SALU_CYCLE_1)
	s_or_b32 s53, s53, s54
	s_and_not1_b32 exec_lo, exec_lo, s34
	s_cbranch_execz .LBB104_408
.LBB104_404:                            ;   Parent Loop BB104_15 Depth=1
                                        ; =>  This Inner Loop Header: Depth=2
	s_mov_b32 s54, exec_lo
	s_delay_alu instid0(VALU_DEP_1)
	v_cmpx_gt_u32_e64 s36, v5
	s_cbranch_execz .LBB104_401
; %bb.405:                              ;   in Loop: Header=BB104_404 Depth=2
	v_readfirstlane_b32 s98, v10
	v_readfirstlane_b32 s99, v11
	global_load_u16 v6, v3, s[98:99] scale_offset
	s_wait_loadcnt 0x0
	v_cmp_lt_i16_e32 vcc_lo, -1, v6
	v_and_b32_e32 v7, 0xffff, v6
	v_cndmask_b32_e32 v8, 0xffff, v37, vcc_lo
	v_cmp_o_f16_e32 vcc_lo, v6, v6
	s_delay_alu instid0(VALU_DEP_2) | instskip(NEXT) | instid1(VALU_DEP_1)
	v_xor_b32_e32 v7, v8, v7
	v_cndmask_b32_e32 v7, 0xffff, v7, vcc_lo
	s_delay_alu instid0(VALU_DEP_1) | instskip(NEXT) | instid1(VALU_DEP_1)
	v_and_b32_e32 v7, v7, v38
	v_cmp_eq_u32_e32 vcc_lo, v7, v28
	s_and_b32 exec_lo, exec_lo, vcc_lo
	s_cbranch_execz .LBB104_401
; %bb.406:                              ;   in Loop: Header=BB104_404 Depth=2
	v_perm_b32 v6, v6, s86, 0x5040100
	ds_store_b32 v17, v6 offset:3072
	s_branch .LBB104_401
.LBB104_407:                            ;   in Loop: Header=BB104_404 Depth=2
	s_mov_b32 s55, -1
	s_mov_b32 s54, -1
                                        ; implicit-def: $vgpr5
                                        ; implicit-def: $vgpr3
	s_branch .LBB104_403
.LBB104_408:                            ;   in Loop: Header=BB104_15 Depth=1
	s_or_b32 exec_lo, exec_lo, s34
	v_lshrrev_b32_e32 v39, 16, v6
	s_and_not1_b32 s34, s38, exec_lo
	s_and_b32 s38, s53, exec_lo
	s_delay_alu instid0(SALU_CYCLE_1)
	s_or_b32 s38, s34, s38
.LBB104_409:                            ;   in Loop: Header=BB104_15 Depth=1
	s_or_b32 exec_lo, exec_lo, s33
	s_mov_b32 s33, 0
	s_mov_b32 s34, -1
.LBB104_410:                            ;   in Loop: Header=BB104_15 Depth=1
	s_or_not1_b32 s53, s38, exec_lo
.LBB104_411:                            ;   in Loop: Header=BB104_15 Depth=1
	s_or_b32 exec_lo, exec_lo, s52
	s_mov_b32 s52, 0
	s_and_saveexec_b32 s38, s53
	s_cbranch_execz .LBB104_422
; %bb.412:                              ;   in Loop: Header=BB104_15 Depth=1
	v_dual_mov_b32 v2, 1 :: v_dual_mov_b32 v3, 1
	s_xor_b32 s52, s31, -1
	s_delay_alu instid0(SALU_CYCLE_1)
	s_and_saveexec_b32 s31, s52
	s_cbranch_execz .LBB104_421
; %bb.413:                              ;   in Loop: Header=BB104_15 Depth=1
	s_mov_b32 s52, exec_lo
	v_cmpx_ge_u32_e64 s17, v4
	s_xor_b32 s52, exec_lo, s52
	s_cbranch_execz .LBB104_418
; %bb.414:                              ;   in Loop: Header=BB104_15 Depth=1
	ds_load_b32 v2, v17 offset:4096
	v_and_b32_e32 v28, s19, v28
	v_or_b32_e32 v38, s18, v38
	s_wait_dscnt 0x0
	v_cmp_ne_u32_e32 vcc_lo, 0, v2
	s_cbranch_vccnz .LBB104_418
; %bb.415:                              ;   in Loop: Header=BB104_15 Depth=1
	s_and_saveexec_b32 s18, s5
; %bb.416:                              ;   in Loop: Header=BB104_15 Depth=1
	v_mov_b32_e32 v2, s17
	ds_store_b32 v17, v2 offset:4100
; %bb.417:                              ;   in Loop: Header=BB104_15 Depth=1
	s_or_b32 exec_lo, exec_lo, s18
	s_wait_dscnt 0x0
	s_barrier_signal -1
	s_barrier_wait -1
.LBB104_418:                            ;   in Loop: Header=BB104_15 Depth=1
	s_and_not1_saveexec_b32 s18, s52
; %bb.419:                              ;   in Loop: Header=BB104_15 Depth=1
	v_subrev_nc_u32_e32 v4, s17, v4
; %bb.420:                              ;   in Loop: Header=BB104_15 Depth=1
	s_or_b32 exec_lo, exec_lo, s18
	s_delay_alu instid0(VALU_DEP_1)
	v_dual_mov_b32 v2, 5 :: v_dual_mov_b32 v3, v4
.LBB104_421:                            ;   in Loop: Header=BB104_15 Depth=1
	s_or_b32 exec_lo, exec_lo, s31
	s_delay_alu instid0(VALU_DEP_1)
	v_mov_b32_e32 v4, v3
	s_mov_b32 s52, exec_lo
.LBB104_422:                            ;   in Loop: Header=BB104_15 Depth=1
	s_or_b32 exec_lo, exec_lo, s38
	s_delay_alu instid0(SALU_CYCLE_1)
	s_or_not1_b32 s31, s52, exec_lo
.LBB104_423:                            ;   in Loop: Header=BB104_15 Depth=1
	s_or_b32 exec_lo, exec_lo, s20
	s_delay_alu instid0(SALU_CYCLE_1)
	s_and_not1_b32 s17, s29, exec_lo
	s_and_b32 s18, s34, exec_lo
	s_and_not1_b32 s19, s28, exec_lo
	s_and_b32 s20, s33, exec_lo
	v_mov_b32_e32 v3, v4
	s_or_b32 s29, s17, s18
	s_or_b32 s28, s19, s20
	s_and_b32 s34, s31, exec_lo
.LBB104_424:                            ;   in Loop: Header=BB104_15 Depth=1
	s_or_b32 exec_lo, exec_lo, s30
	s_delay_alu instid0(SALU_CYCLE_1)
	s_or_not1_b32 s30, s34, exec_lo
.LBB104_425:                            ;   in Loop: Header=BB104_15 Depth=1
	s_or_b32 exec_lo, exec_lo, s21
	s_delay_alu instid0(SALU_CYCLE_1)
	s_and_not1_b32 s17, s25, exec_lo
	s_and_b32 s18, s29, exec_lo
	s_and_not1_b32 s19, s22, exec_lo
	s_and_b32 s20, s28, exec_lo
	v_mov_b32_e32 v5, v3
	s_or_b32 s25, s17, s18
	s_or_b32 s22, s19, s20
	s_and_b32 s30, s30, exec_lo
.LBB104_426:                            ;   in Loop: Header=BB104_15 Depth=1
	s_or_b32 exec_lo, exec_lo, s27
	s_delay_alu instid0(SALU_CYCLE_1)
	s_or_not1_b32 s27, s30, exec_lo
.LBB104_427:                            ;   in Loop: Header=BB104_15 Depth=1
	s_or_b32 exec_lo, exec_lo, s14
	s_mov_b32 s14, s23
	s_mov_b32 s17, s15
	s_and_saveexec_b32 s18, s27
; %bb.428:                              ;   in Loop: Header=BB104_15 Depth=1
	v_cmp_ne_u32_e32 vcc_lo, 5, v2
	v_cmp_eq_u32_e64 s14, 5, v2
	s_and_not1_b32 s17, s15, exec_lo
	s_and_not1_b32 s19, s23, exec_lo
	s_and_b32 s20, vcc_lo, exec_lo
	s_and_b32 s14, s14, exec_lo
	s_or_b32 s17, s17, s20
	s_or_b32 s14, s19, s14
; %bb.429:                              ;   in Loop: Header=BB104_15 Depth=1
	s_or_b32 exec_lo, exec_lo, s18
	s_delay_alu instid0(SALU_CYCLE_1)
	s_and_not1_b32 s18, s26, exec_lo
	s_and_b32 s19, s25, exec_lo
	s_and_not1_b32 s16, s16, exec_lo
	s_and_b32 s20, s22, exec_lo
	s_or_b32 s26, s18, s19
	s_and_not1_b32 s15, s15, exec_lo
	s_and_b32 s17, s17, exec_lo
	s_and_not1_b32 s18, s23, exec_lo
	s_and_b32 s14, s14, exec_lo
	s_or_b32 s16, s16, s20
	s_or_b32 s15, s15, s17
	;; [unrolled: 1-line block ×3, first 2 shown]
.LBB104_430:                            ;   in Loop: Header=BB104_15 Depth=1
	s_or_b32 exec_lo, exec_lo, s24
	s_mov_b32 s24, 0
	s_mov_b32 s25, 0
	s_and_saveexec_b32 s14, s23
.LBB104_431:                            ;   in Loop: Header=BB104_15 Depth=1
	v_mov_b32_e32 v2, 0
	s_or_b32 s15, s15, exec_lo
.LBB104_432:                            ;   in Loop: Header=BB104_15 Depth=1
	s_or_b32 exec_lo, exec_lo, s14
	s_delay_alu instid0(SALU_CYCLE_1)
	s_and_not1_b32 s14, s95, exec_lo
	s_and_b32 s18, s26, exec_lo
	s_and_not1_b32 s19, s93, exec_lo
	s_and_b32 s16, s16, exec_lo
	v_mov_b32_e32 v40, v5
	s_or_b32 s95, s14, s18
	s_or_b32 s93, s19, s16
	s_and_not1_b32 s14, s97, exec_lo
	s_and_b32 s16, s25, exec_lo
	s_and_not1_b32 s18, s96, exec_lo
	s_and_b32 s19, s24, exec_lo
	s_mov_b32 s17, -1
	s_and_not1_b32 s94, s94, exec_lo
	s_or_b32 s97, s14, s16
	s_or_b32 s96, s18, s19
	s_and_saveexec_b32 s14, s15
	s_delay_alu instid0(SALU_CYCLE_1)
	s_xor_b32 s14, exec_lo, s14
	s_cbranch_execz .LBB104_14
; %bb.433:                              ;   in Loop: Header=BB104_15 Depth=1
	s_mov_b32 s15, -1
	s_mov_b32 s16, -1
	s_mov_b32 s17, exec_lo
	v_cmpx_eq_u32_e32 0, v2
	s_cbranch_execz .LBB104_13
; %bb.434:                              ;   in Loop: Header=BB104_15 Depth=1
	s_xor_b32 s88, s88, 1
	s_add_co_i32 s18, s84, -2
	s_cmp_eq_u32 s84, 0
	s_mov_b32 s84, s18
	s_cselect_b32 s15, -1, 0
	s_xor_b32 s16, exec_lo, -1
	s_or_not1_b32 s15, s15, exec_lo
	s_branch .LBB104_13
.LBB104_435:
	s_or_b32 exec_lo, exec_lo, s85
	s_xor_b32 s7, s92, -1
	s_xor_b32 s9, s90, -1
	s_xor_b32 s10, s91, -1
	s_xor_b32 s11, s87, -1
	s_xor_b32 s6, s89, -1
	s_mov_b32 s8, 0
	s_and_saveexec_b32 s12, s11
	s_delay_alu instid0(SALU_CYCLE_1)
	s_xor_b32 s12, exec_lo, s12
	s_cbranch_execnz .LBB104_440
; %bb.436:
	s_and_not1_saveexec_b32 s0, s12
	s_cbranch_execnz .LBB104_459
.LBB104_437:
	s_or_b32 exec_lo, exec_lo, s0
	s_and_saveexec_b32 s0, s8
.LBB104_438:
	; divergent unreachable
.LBB104_439:
	s_sendmsg sendmsg(MSG_DEALLOC_VGPRS)
	s_endpgm
.LBB104_440:
	s_and_saveexec_b32 s11, s10
	s_delay_alu instid0(SALU_CYCLE_1)
	s_xor_b32 s13, exec_lo, s11
	s_cbranch_execz .LBB104_457
; %bb.441:
	s_and_saveexec_b32 s10, s9
	s_delay_alu instid0(SALU_CYCLE_1)
	s_xor_b32 s14, exec_lo, s10
	s_cbranch_execz .LBB104_455
; %bb.442:
	;; [unrolled: 5-line block ×3, first 2 shown]
	s_and_saveexec_b32 s7, s6
	s_delay_alu instid0(SALU_CYCLE_1)
	s_xor_b32 s6, exec_lo, s7
; %bb.444:
	v_and_b32_e32 v1, 0x8000, v28
	v_mov_b32_e32 v2, 0xffff
	s_delay_alu instid0(VALU_DEP_2) | instskip(NEXT) | instid1(VALU_DEP_2)
	v_cmp_eq_u32_e32 vcc_lo, 0, v1
	v_cndmask_b32_e32 v1, 0x8000, v2, vcc_lo
	s_delay_alu instid0(VALU_DEP_1)
	v_xor_b32_e32 v39, v1, v28
; %bb.445:
	s_or_b32 exec_lo, exec_lo, s6
	s_and_saveexec_b32 s6, s5
; %bb.446:
	v_mov_b32_e32 v1, 0
	ds_store_b32 v1, v1 offset:4108
; %bb.447:
	s_or_b32 exec_lo, exec_lo, s6
	v_mov_b32_e32 v5, 0
	s_wait_dscnt 0x0
	s_barrier_signal -1
	s_barrier_wait -1
	s_and_saveexec_b32 s5, s3
	s_cbranch_execz .LBB104_449
; %bb.448:
	global_load_u16 v5, v[14:15], off
.LBB104_449:
	s_wait_xcnt 0x0
	s_or_b32 exec_lo, exec_lo, s5
	v_mov_b32_e32 v1, 0x8000
	s_clause 0x1
	s_load_b32 s5, s[0:1], 0x1c8
	s_load_b32 s16, s[0:1], 0x2a8
	v_cmp_lt_i16_e32 vcc_lo, -1, v39
	v_and_b32_e32 v2, 0xffff, v39
	s_add_co_i32 s17, s36, 31
	s_wait_xcnt 0x0
	s_mul_i32 s1, s60, s59
	s_mul_i32 s6, s61, s57
	v_cndmask_b32_e32 v3, 0xffff, v1, vcc_lo
	v_cmp_o_f16_e32 vcc_lo, v39, v39
	s_mov_b32 s11, 0
	s_and_not1_b32 s17, s17, 31
	s_add_co_i32 s10, s1, s35
	v_xor_b32_e32 v2, v3, v2
	s_add_co_i32 s6, s6, s41
	s_mov_b32 s7, s11
	s_lshl_b64 s[8:9], s[10:11], 1
	s_lshl_b64 s[18:19], s[6:7], 3
	v_cndmask_b32_e32 v4, 0xffff, v2, vcc_lo
	v_cmp_gt_u32_e32 vcc_lo, s17, v0
	s_mov_b32 s0, -1
	s_add_nc_u64 s[6:7], s[42:43], s[8:9]
	s_add_nc_u64 s[8:9], s[44:45], s[18:19]
	s_mov_b32 s1, 0
	s_and_saveexec_b32 s10, vcc_lo
	s_cbranch_execnz .LBB104_460
; %bb.450:
	s_or_b32 exec_lo, exec_lo, s10
	s_and_saveexec_b32 s4, s0
	s_cbranch_execnz .LBB104_477
.LBB104_451:
	s_or_b32 exec_lo, exec_lo, s4
	s_and_saveexec_b32 s0, s1
	s_delay_alu instid0(SALU_CYCLE_1)
	s_xor_b32 s0, exec_lo, s0
	s_cbranch_execnz .LBB104_500
.LBB104_452:
	s_or_b32 exec_lo, exec_lo, s0
	s_delay_alu instid0(SALU_CYCLE_1)
	s_and_b32 s8, s11, exec_lo
.LBB104_453:
	s_and_not1_saveexec_b32 s0, s15
	s_cbranch_execnz .LBB104_502
.LBB104_454:
	s_or_b32 exec_lo, exec_lo, s0
	s_delay_alu instid0(SALU_CYCLE_1)
	s_and_b32 s8, s8, exec_lo
.LBB104_455:
	s_and_not1_saveexec_b32 s0, s14
	s_cbranch_execnz .LBB104_501
.LBB104_456:
	s_or_b32 exec_lo, exec_lo, s0
	s_delay_alu instid0(SALU_CYCLE_1)
	s_and_b32 s8, s8, exec_lo
.LBB104_457:
	s_and_not1_saveexec_b32 s0, s13
	s_cbranch_execnz .LBB104_496
.LBB104_458:
	s_or_b32 exec_lo, exec_lo, s0
	s_delay_alu instid0(SALU_CYCLE_1)
	s_and_b32 s8, s8, exec_lo
	s_and_not1_saveexec_b32 s0, s12
	s_cbranch_execz .LBB104_437
.LBB104_459:
	s_or_b32 s8, s8, exec_lo
	s_trap 2
	s_or_b32 exec_lo, exec_lo, s0
	s_and_saveexec_b32 s0, s8
	s_cbranch_execnz .LBB104_438
	s_branch .LBB104_439
.LBB104_460:
	v_dual_mov_b32 v3, 0 :: v_dual_add_nc_u32 v2, s40, v0
	s_mov_b32 s18, 0
                                        ; implicit-def: $sgpr19
                                        ; implicit-def: $vgpr9
	s_delay_alu instid0(VALU_DEP_1)
	v_mul_lo_u32 v6, s56, v2
	v_mov_b32_e32 v2, v0
	s_branch .LBB104_462
.LBB104_461:                            ;   in Loop: Header=BB104_462 Depth=1
	s_or_b32 exec_lo, exec_lo, s21
	s_xor_b32 s0, s20, -1
	s_and_b32 s1, exec_lo, s1
	s_wait_loadcnt 0x0
	v_dual_mov_b32 v2, v7 :: v_dual_mov_b32 v5, v8
	s_or_b32 s18, s1, s18
	s_and_not1_b32 s1, s19, exec_lo
	s_and_b32 s0, s0, exec_lo
	s_delay_alu instid0(SALU_CYCLE_1)
	s_or_b32 s19, s1, s0
	s_and_not1_b32 exec_lo, exec_lo, s18
	s_cbranch_execz .LBB104_476
.LBB104_462:                            ; =>This Inner Loop Header: Depth=1
	s_delay_alu instid0(VALU_DEP_1) | instskip(SKIP_1) | instid1(VALU_DEP_1)
	v_dual_mov_b32 v8, 0 :: v_dual_add_nc_u32 v7, s40, v2
	s_mov_b32 s1, exec_lo
	v_cmpx_gt_u32_e64 s36, v7
	s_cbranch_execz .LBB104_464
; %bb.463:                              ;   in Loop: Header=BB104_462 Depth=1
	v_readfirstlane_b32 s20, v10
	v_readfirstlane_b32 s21, v11
	global_load_u16 v8, v6, s[20:21] scale_offset
.LBB104_464:                            ;   in Loop: Header=BB104_462 Depth=1
	s_wait_xcnt 0x0
	s_or_b32 exec_lo, exec_lo, s1
	s_mov_b32 s20, 0
	s_mov_b32 s1, exec_lo
	v_cmpx_gt_u32_e64 s36, v2
	s_cbranch_execz .LBB104_466
; %bb.465:                              ;   in Loop: Header=BB104_462 Depth=1
	s_wait_loadcnt 0x0
	v_cmp_lt_i16_e64 s0, -1, v5
	v_and_b32_e32 v13, 0xffff, v5
	s_delay_alu instid0(VALU_DEP_2) | instskip(SKIP_1) | instid1(VALU_DEP_2)
	v_cndmask_b32_e64 v16, 0xffff, v1, s0
	v_cmp_o_f16_e64 s0, v5, v5
	v_xor_b32_e32 v13, v16, v13
	s_delay_alu instid0(VALU_DEP_1) | instskip(NEXT) | instid1(VALU_DEP_1)
	v_cndmask_b32_e64 v13, 0xffff, v13, s0
	v_cmp_gt_u32_e64 s0, v13, v4
	s_delay_alu instid0(VALU_DEP_1) | instskip(SKIP_1) | instid1(VALU_DEP_1)
	v_cndmask_b32_e64 v16, 0, 1, s0
	v_cmp_lt_u32_e64 s0, v13, v4
	v_cndmask_b32_e64 v13, 0, 1, s0
	s_delay_alu instid0(VALU_DEP_1) | instskip(NEXT) | instid1(VALU_DEP_1)
	v_cndmask_b32_e64 v13, v13, v16, s4
	v_and_b32_e32 v13, 1, v13
	s_delay_alu instid0(VALU_DEP_1)
	v_cmp_eq_u32_e64 s0, 1, v13
	s_and_b32 s20, s0, exec_lo
.LBB104_466:                            ;   in Loop: Header=BB104_462 Depth=1
	s_or_b32 exec_lo, exec_lo, s1
	v_cndmask_b32_e64 v13, 0, 1, s20
	s_delay_alu instid0(VALU_DEP_1) | instskip(SKIP_2) | instid1(SALU_CYCLE_1)
	v_cmp_ne_u32_e64 s0, 0, v13
	s_cmp_lg_u32 s0, 0
	s_cselect_b32 s1, -1, 0
	s_and_b32 s1, s2, s1
	s_delay_alu instid0(SALU_CYCLE_1)
	s_and_saveexec_b32 s21, s1
	s_cbranch_execz .LBB104_470
; %bb.467:                              ;   in Loop: Header=BB104_462 Depth=1
	s_mov_b32 s24, exec_lo
	s_bcnt1_i32_b32 s22, s0
	s_wait_dscnt 0x0
	v_mbcnt_lo_u32_b32 v9, s24, 0
	s_mov_b32 s23, exec_lo
                                        ; implicit-def: $vgpr13
	s_delay_alu instid0(VALU_DEP_1)
	v_cmpx_eq_u32_e32 0, v9
; %bb.468:                              ;   in Loop: Header=BB104_462 Depth=1
	s_bcnt1_i32_b32 s1, s24
	s_delay_alu instid0(SALU_CYCLE_1) | instskip(NEXT) | instid1(SALU_CYCLE_1)
	s_mul_i32 s1, s22, s1
	v_mov_b32_e32 v13, s1
	ds_add_rtn_u32 v13, v3, v13 offset:4108
; %bb.469:                              ;   in Loop: Header=BB104_462 Depth=1
	s_or_b32 exec_lo, exec_lo, s23
	s_wait_dscnt 0x0
	v_readfirstlane_b32 s1, v13
	s_delay_alu instid0(VALU_DEP_1)
	v_mad_u32_u24 v9, s22, v9, s1
.LBB104_470:                            ;   in Loop: Header=BB104_462 Depth=1
	s_or_b32 exec_lo, exec_lo, s21
	s_wait_dscnt 0x0
	ds_bpermute_b32 v9, v3, v9
	s_mov_b32 s1, -1
	s_mov_b32 s22, -1
	s_and_saveexec_b32 s21, s20
	s_cbranch_execz .LBB104_474
; %bb.471:                              ;   in Loop: Header=BB104_462 Depth=1
	v_and_b32_e32 v13, s0, v12
	s_mov_b32 s20, 0
	s_mov_b32 s22, exec_lo
	s_wait_dscnt 0x0
	s_delay_alu instid0(VALU_DEP_1) | instskip(NEXT) | instid1(VALU_DEP_1)
	v_bcnt_u32_b32 v13, v13, v9
	v_cmpx_gt_u32_e64 s37, v13
	s_cbranch_execz .LBB104_473
; %bb.472:                              ;   in Loop: Header=BB104_462 Depth=1
	s_wait_kmcnt 0x0
	v_mul_lo_u32 v16, v13, s5
	v_mul_lo_u32 v13, v13, s16
	s_mov_b32 s20, exec_lo
	s_wait_loadcnt 0x0
	global_store_b16 v16, v5, s[6:7] scale_offset
	global_store_b64 v13, v[2:3], s[8:9] scale_offset
.LBB104_473:                            ;   in Loop: Header=BB104_462 Depth=1
	s_wait_xcnt 0x0
	s_or_b32 exec_lo, exec_lo, s22
	s_delay_alu instid0(SALU_CYCLE_1)
	s_or_not1_b32 s22, s20, exec_lo
.LBB104_474:                            ;   in Loop: Header=BB104_462 Depth=1
	s_or_b32 exec_lo, exec_lo, s21
	s_mov_b32 s20, -1
	s_and_saveexec_b32 s21, s22
	s_cbranch_execz .LBB104_461
; %bb.475:                              ;   in Loop: Header=BB104_462 Depth=1
	v_cmp_le_u32_e64 s0, s17, v7
	v_add_nc_u32_e32 v6, s58, v6
	s_xor_b32 s20, exec_lo, -1
	s_or_not1_b32 s1, s0, exec_lo
	s_branch .LBB104_461
.LBB104_476:
	s_or_b32 exec_lo, exec_lo, s18
	s_delay_alu instid0(SALU_CYCLE_1)
	s_mov_b32 s1, exec_lo
	s_or_not1_b32 s0, s19, exec_lo
	s_or_b32 exec_lo, exec_lo, s10
	s_and_saveexec_b32 s4, s0
	s_cbranch_execz .LBB104_451
.LBB104_477:
	v_mov_b32_e32 v8, 0
	s_wait_storecnt 0x0
	s_wait_loadcnt_dscnt 0x0
	s_barrier_signal -1
	s_barrier_wait -1
	s_and_saveexec_b32 s0, s3
	s_cbranch_execz .LBB104_479
; %bb.478:
	global_load_u16 v8, v[14:15], off
.LBB104_479:
	s_wait_xcnt 0x0
	s_or_b32 exec_lo, exec_lo, s0
	s_mov_b32 s0, 0
	s_and_saveexec_b32 s3, vcc_lo
	s_cbranch_execz .LBB104_499
; %bb.480:
	v_add_nc_u32_e32 v1, s40, v0
	v_mov_b32_e32 v3, 0x8000
	s_mov_b32 s10, 0
                                        ; implicit-def: $sgpr11
                                        ; implicit-def: $vgpr7
	s_delay_alu instid0(VALU_DEP_2)
	v_mul_lo_u32 v2, s56, v1
	v_mov_b32_e32 v1, 0
	s_branch .LBB104_483
.LBB104_481:                            ;   in Loop: Header=BB104_483 Depth=1
	s_or_b32 exec_lo, exec_lo, s20
	s_delay_alu instid0(SALU_CYCLE_1)
	s_or_not1_b32 s20, s18, exec_lo
	s_or_not1_b32 s19, s19, exec_lo
.LBB104_482:                            ;   in Loop: Header=BB104_483 Depth=1
	s_or_b32 exec_lo, exec_lo, s0
	s_xor_b32 s0, s20, -1
	s_and_b32 s18, exec_lo, s19
	v_dual_mov_b32 v0, v5 :: v_dual_mov_b32 v8, v6
	s_or_b32 s10, s18, s10
	s_and_not1_b32 s11, s11, exec_lo
	s_and_b32 s0, s0, exec_lo
	s_delay_alu instid0(SALU_CYCLE_1)
	s_or_b32 s11, s11, s0
	s_and_not1_b32 exec_lo, exec_lo, s10
	s_cbranch_execz .LBB104_497
.LBB104_483:                            ; =>This Inner Loop Header: Depth=1
	v_dual_mov_b32 v6, 0 :: v_dual_add_nc_u32 v5, s40, v0
	s_mov_b32 s0, exec_lo
	s_delay_alu instid0(VALU_DEP_1)
	v_cmpx_gt_u32_e64 s36, v5
	s_cbranch_execz .LBB104_485
; %bb.484:                              ;   in Loop: Header=BB104_483 Depth=1
	v_readfirstlane_b32 s18, v10
	v_readfirstlane_b32 s19, v11
	global_load_u16 v6, v2, s[18:19] scale_offset
.LBB104_485:                            ;   in Loop: Header=BB104_483 Depth=1
	s_wait_xcnt 0x0
	s_or_b32 exec_lo, exec_lo, s0
	s_wait_loadcnt 0x0
	v_cmp_lt_i16_e32 vcc_lo, -1, v8
	v_and_b32_e32 v9, 0xffff, v8
	v_cndmask_b32_e32 v13, 0xffff, v3, vcc_lo
	v_cmp_o_f16_e32 vcc_lo, v8, v8
	s_delay_alu instid0(VALU_DEP_2) | instskip(NEXT) | instid1(VALU_DEP_1)
	v_xor_b32_e32 v9, v13, v9
	v_cndmask_b32_e32 v9, 0xffff, v9, vcc_lo
	v_cmp_gt_u32_e32 vcc_lo, s36, v0
	s_delay_alu instid0(VALU_DEP_2) | instskip(SKIP_1) | instid1(SALU_CYCLE_1)
	v_cmp_eq_u32_e64 s0, v9, v4
	s_and_b32 s18, vcc_lo, s0
	v_cndmask_b32_e64 v9, 0, 1, s18
	s_delay_alu instid0(VALU_DEP_1) | instskip(SKIP_2) | instid1(SALU_CYCLE_1)
	v_cmp_ne_u32_e32 vcc_lo, 0, v9
	s_cmp_lg_u32 vcc_lo, 0
	s_cselect_b32 s0, -1, 0
	s_and_b32 s0, s2, s0
	s_delay_alu instid0(SALU_CYCLE_1)
	s_and_saveexec_b32 s19, s0
	s_cbranch_execz .LBB104_489
; %bb.486:                              ;   in Loop: Header=BB104_483 Depth=1
	s_mov_b32 s22, exec_lo
	s_bcnt1_i32_b32 s20, vcc_lo
	v_mbcnt_lo_u32_b32 v7, s22, 0
	s_mov_b32 s21, exec_lo
                                        ; implicit-def: $vgpr9
	s_delay_alu instid0(VALU_DEP_1)
	v_cmpx_eq_u32_e32 0, v7
; %bb.487:                              ;   in Loop: Header=BB104_483 Depth=1
	s_bcnt1_i32_b32 s0, s22
	s_delay_alu instid0(SALU_CYCLE_1) | instskip(NEXT) | instid1(SALU_CYCLE_1)
	s_mul_i32 s0, s20, s0
	v_mov_b32_e32 v9, s0
	ds_add_rtn_u32 v9, v1, v9 offset:4108
; %bb.488:                              ;   in Loop: Header=BB104_483 Depth=1
	s_or_b32 exec_lo, exec_lo, s21
	s_wait_dscnt 0x0
	v_readfirstlane_b32 s0, v9
	s_delay_alu instid0(VALU_DEP_1)
	v_mad_u32_u24 v7, s20, v7, s0
.LBB104_489:                            ;   in Loop: Header=BB104_483 Depth=1
	s_or_b32 exec_lo, exec_lo, s19
	ds_bpermute_b32 v7, v1, v7
	s_cmp_eq_u32 vcc_lo, 0
	s_mov_b32 s19, -1
	s_cselect_b32 s20, -1, 0
	s_wait_dscnt 0x0
	v_cmp_gt_u32_e64 s0, s37, v7
	s_or_b32 s21, s20, s0
	s_mov_b32 s20, -1
	s_and_saveexec_b32 s0, s21
	s_cbranch_execz .LBB104_482
; %bb.490:                              ;   in Loop: Header=BB104_483 Depth=1
	v_dual_sub_nc_u32 v13, s37, v7 :: v_dual_bitop2_b32 v9, vcc_lo, v12 bitop3:0x40
	s_mov_b32 s21, -1
	s_delay_alu instid0(VALU_DEP_1) | instskip(NEXT) | instid1(VALU_DEP_1)
	v_bcnt_u32_b32 v9, v9, 0
	v_bcnt_u32_b32 v9, 0, v9
	s_delay_alu instid0(VALU_DEP_1)
	v_cmp_gt_u32_e32 vcc_lo, v13, v9
	s_and_b32 s22, s18, vcc_lo
	s_mov_b32 s18, -1
	s_and_saveexec_b32 s20, s22
	s_cbranch_execz .LBB104_494
; %bb.491:                              ;   in Loop: Header=BB104_483 Depth=1
	v_add_nc_u32_e32 v9, v7, v9
	s_mov_b32 s21, 0
	s_mov_b32 s18, exec_lo
	s_delay_alu instid0(VALU_DEP_1)
	v_cmpx_gt_u32_e64 s37, v9
	s_cbranch_execz .LBB104_493
; %bb.492:                              ;   in Loop: Header=BB104_483 Depth=1
	s_wait_kmcnt 0x0
	v_mul_lo_u32 v13, v9, s5
	v_mul_lo_u32 v9, v9, s16
	s_mov_b32 s21, exec_lo
	global_store_b16 v13, v8, s[6:7] scale_offset
	global_store_b64 v9, v[0:1], s[8:9] scale_offset
.LBB104_493:                            ;   in Loop: Header=BB104_483 Depth=1
	s_wait_xcnt 0x0
	s_or_b32 exec_lo, exec_lo, s18
	s_delay_alu instid0(SALU_CYCLE_1)
	s_xor_b32 s18, exec_lo, -1
	s_or_not1_b32 s21, s21, exec_lo
.LBB104_494:                            ;   in Loop: Header=BB104_483 Depth=1
	s_or_b32 exec_lo, exec_lo, s20
	s_and_saveexec_b32 s20, s21
	s_cbranch_execz .LBB104_481
; %bb.495:                              ;   in Loop: Header=BB104_483 Depth=1
	v_cmp_le_u32_e32 vcc_lo, s17, v5
	v_add_nc_u32_e32 v2, s58, v2
	s_or_b32 s18, s18, exec_lo
	s_or_not1_b32 s19, vcc_lo, exec_lo
	s_branch .LBB104_481
.LBB104_496:
	s_or_b32 s8, s8, exec_lo
	s_trap 2
	s_branch .LBB104_458
.LBB104_497:
	s_or_b32 exec_lo, exec_lo, s10
	s_mov_b32 s0, 0
	s_and_saveexec_b32 s2, s11
	s_delay_alu instid0(SALU_CYCLE_1)
	s_xor_b32 s2, exec_lo, s2
	s_cbranch_execnz .LBB104_503
.LBB104_498:
	s_or_b32 exec_lo, exec_lo, s2
	s_delay_alu instid0(SALU_CYCLE_1)
	s_and_b32 s0, s0, exec_lo
.LBB104_499:
	s_or_b32 exec_lo, exec_lo, s3
	s_delay_alu instid0(SALU_CYCLE_1) | instskip(SKIP_3) | instid1(SALU_CYCLE_1)
	s_and_b32 s11, s0, exec_lo
	s_and_not1_b32 s1, s1, exec_lo
	s_or_b32 exec_lo, exec_lo, s4
	s_and_saveexec_b32 s0, s1
	s_xor_b32 s0, exec_lo, s0
	s_cbranch_execz .LBB104_452
.LBB104_500:
	s_or_b32 s11, s11, exec_lo
	s_trap 2
	s_branch .LBB104_452
.LBB104_501:
	s_or_b32 s8, s8, exec_lo
	s_trap 2
	s_branch .LBB104_456
.LBB104_502:
	s_or_b32 s8, s8, exec_lo
	s_trap 2
	s_branch .LBB104_454
.LBB104_503:
	s_mov_b32 s0, exec_lo
	s_trap 2
	s_branch .LBB104_498
	.section	.rodata,"a",@progbits
	.p2align	6, 0x0
	.amdhsa_kernel _ZN2at6native6sbtopk10gatherTopKIN3c104HalfEjLin1ELb0EEEvNS_4cuda6detail10TensorInfoIKT_T0_EESA_SA_bSA_SA_NS7_IS8_SA_EESA_NS7_IlSA_EESA_PS8_
		.amdhsa_group_segment_fixed_size 4112
		.amdhsa_private_segment_fixed_size 0
		.amdhsa_kernarg_size 952
		.amdhsa_user_sgpr_count 2
		.amdhsa_user_sgpr_dispatch_ptr 0
		.amdhsa_user_sgpr_queue_ptr 0
		.amdhsa_user_sgpr_kernarg_segment_ptr 1
		.amdhsa_user_sgpr_dispatch_id 0
		.amdhsa_user_sgpr_kernarg_preload_length 0
		.amdhsa_user_sgpr_kernarg_preload_offset 0
		.amdhsa_user_sgpr_private_segment_size 0
		.amdhsa_wavefront_size32 1
		.amdhsa_uses_dynamic_stack 0
		.amdhsa_enable_private_segment 0
		.amdhsa_system_sgpr_workgroup_id_x 1
		.amdhsa_system_sgpr_workgroup_id_y 1
		.amdhsa_system_sgpr_workgroup_id_z 1
		.amdhsa_system_sgpr_workgroup_info 0
		.amdhsa_system_vgpr_workitem_id 0
		.amdhsa_next_free_vgpr 71
		.amdhsa_next_free_sgpr 105
		.amdhsa_named_barrier_count 0
		.amdhsa_reserve_vcc 1
		.amdhsa_float_round_mode_32 0
		.amdhsa_float_round_mode_16_64 0
		.amdhsa_float_denorm_mode_32 3
		.amdhsa_float_denorm_mode_16_64 3
		.amdhsa_fp16_overflow 0
		.amdhsa_memory_ordered 1
		.amdhsa_forward_progress 1
		.amdhsa_inst_pref_size 142
		.amdhsa_round_robin_scheduling 0
		.amdhsa_exception_fp_ieee_invalid_op 0
		.amdhsa_exception_fp_denorm_src 0
		.amdhsa_exception_fp_ieee_div_zero 0
		.amdhsa_exception_fp_ieee_overflow 0
		.amdhsa_exception_fp_ieee_underflow 0
		.amdhsa_exception_fp_ieee_inexact 0
		.amdhsa_exception_int_div_zero 0
	.end_amdhsa_kernel
	.section	.text._ZN2at6native6sbtopk10gatherTopKIN3c104HalfEjLin1ELb0EEEvNS_4cuda6detail10TensorInfoIKT_T0_EESA_SA_bSA_SA_NS7_IS8_SA_EESA_NS7_IlSA_EESA_PS8_,"axG",@progbits,_ZN2at6native6sbtopk10gatherTopKIN3c104HalfEjLin1ELb0EEEvNS_4cuda6detail10TensorInfoIKT_T0_EESA_SA_bSA_SA_NS7_IS8_SA_EESA_NS7_IlSA_EESA_PS8_,comdat
.Lfunc_end104:
	.size	_ZN2at6native6sbtopk10gatherTopKIN3c104HalfEjLin1ELb0EEEvNS_4cuda6detail10TensorInfoIKT_T0_EESA_SA_bSA_SA_NS7_IS8_SA_EESA_NS7_IlSA_EESA_PS8_, .Lfunc_end104-_ZN2at6native6sbtopk10gatherTopKIN3c104HalfEjLin1ELb0EEEvNS_4cuda6detail10TensorInfoIKT_T0_EESA_SA_bSA_SA_NS7_IS8_SA_EESA_NS7_IlSA_EESA_PS8_
                                        ; -- End function
	.set _ZN2at6native6sbtopk10gatherTopKIN3c104HalfEjLin1ELb0EEEvNS_4cuda6detail10TensorInfoIKT_T0_EESA_SA_bSA_SA_NS7_IS8_SA_EESA_NS7_IlSA_EESA_PS8_.num_vgpr, 71
	.set _ZN2at6native6sbtopk10gatherTopKIN3c104HalfEjLin1ELb0EEEvNS_4cuda6detail10TensorInfoIKT_T0_EESA_SA_bSA_SA_NS7_IS8_SA_EESA_NS7_IlSA_EESA_PS8_.num_agpr, 0
	.set _ZN2at6native6sbtopk10gatherTopKIN3c104HalfEjLin1ELb0EEEvNS_4cuda6detail10TensorInfoIKT_T0_EESA_SA_bSA_SA_NS7_IS8_SA_EESA_NS7_IlSA_EESA_PS8_.numbered_sgpr, 105
	.set _ZN2at6native6sbtopk10gatherTopKIN3c104HalfEjLin1ELb0EEEvNS_4cuda6detail10TensorInfoIKT_T0_EESA_SA_bSA_SA_NS7_IS8_SA_EESA_NS7_IlSA_EESA_PS8_.num_named_barrier, 0
	.set _ZN2at6native6sbtopk10gatherTopKIN3c104HalfEjLin1ELb0EEEvNS_4cuda6detail10TensorInfoIKT_T0_EESA_SA_bSA_SA_NS7_IS8_SA_EESA_NS7_IlSA_EESA_PS8_.private_seg_size, 0
	.set _ZN2at6native6sbtopk10gatherTopKIN3c104HalfEjLin1ELb0EEEvNS_4cuda6detail10TensorInfoIKT_T0_EESA_SA_bSA_SA_NS7_IS8_SA_EESA_NS7_IlSA_EESA_PS8_.uses_vcc, 1
	.set _ZN2at6native6sbtopk10gatherTopKIN3c104HalfEjLin1ELb0EEEvNS_4cuda6detail10TensorInfoIKT_T0_EESA_SA_bSA_SA_NS7_IS8_SA_EESA_NS7_IlSA_EESA_PS8_.uses_flat_scratch, 0
	.set _ZN2at6native6sbtopk10gatherTopKIN3c104HalfEjLin1ELb0EEEvNS_4cuda6detail10TensorInfoIKT_T0_EESA_SA_bSA_SA_NS7_IS8_SA_EESA_NS7_IlSA_EESA_PS8_.has_dyn_sized_stack, 0
	.set _ZN2at6native6sbtopk10gatherTopKIN3c104HalfEjLin1ELb0EEEvNS_4cuda6detail10TensorInfoIKT_T0_EESA_SA_bSA_SA_NS7_IS8_SA_EESA_NS7_IlSA_EESA_PS8_.has_recursion, 0
	.set _ZN2at6native6sbtopk10gatherTopKIN3c104HalfEjLin1ELb0EEEvNS_4cuda6detail10TensorInfoIKT_T0_EESA_SA_bSA_SA_NS7_IS8_SA_EESA_NS7_IlSA_EESA_PS8_.has_indirect_call, 0
	.section	.AMDGPU.csdata,"",@progbits
; Kernel info:
; codeLenInByte = 18176
; TotalNumSgprs: 107
; NumVgprs: 71
; ScratchSize: 0
; MemoryBound: 0
; FloatMode: 240
; IeeeMode: 1
; LDSByteSize: 4112 bytes/workgroup (compile time only)
; SGPRBlocks: 0
; VGPRBlocks: 4
; NumSGPRsForWavesPerEU: 107
; NumVGPRsForWavesPerEU: 71
; NamedBarCnt: 0
; Occupancy: 12
; WaveLimiterHint : 1
; COMPUTE_PGM_RSRC2:SCRATCH_EN: 0
; COMPUTE_PGM_RSRC2:USER_SGPR: 2
; COMPUTE_PGM_RSRC2:TRAP_HANDLER: 0
; COMPUTE_PGM_RSRC2:TGID_X_EN: 1
; COMPUTE_PGM_RSRC2:TGID_Y_EN: 1
; COMPUTE_PGM_RSRC2:TGID_Z_EN: 1
; COMPUTE_PGM_RSRC2:TIDIG_COMP_CNT: 0
	.section	.text._ZN2at6native6mbtopk23computeBlockDigitCountsIN3c108BFloat16EjjLi1EEEvNS_4cuda6detail10TensorInfoIKT_T0_EEjPjjSA_iijT1_PSD_Ps,"axG",@progbits,_ZN2at6native6mbtopk23computeBlockDigitCountsIN3c108BFloat16EjjLi1EEEvNS_4cuda6detail10TensorInfoIKT_T0_EEjPjjSA_iijT1_PSD_Ps,comdat
	.protected	_ZN2at6native6mbtopk23computeBlockDigitCountsIN3c108BFloat16EjjLi1EEEvNS_4cuda6detail10TensorInfoIKT_T0_EEjPjjSA_iijT1_PSD_Ps ; -- Begin function _ZN2at6native6mbtopk23computeBlockDigitCountsIN3c108BFloat16EjjLi1EEEvNS_4cuda6detail10TensorInfoIKT_T0_EEjPjjSA_iijT1_PSD_Ps
	.globl	_ZN2at6native6mbtopk23computeBlockDigitCountsIN3c108BFloat16EjjLi1EEEvNS_4cuda6detail10TensorInfoIKT_T0_EEjPjjSA_iijT1_PSD_Ps
	.p2align	8
	.type	_ZN2at6native6mbtopk23computeBlockDigitCountsIN3c108BFloat16EjjLi1EEEvNS_4cuda6detail10TensorInfoIKT_T0_EEjPjjSA_iijT1_PSD_Ps,@function
_ZN2at6native6mbtopk23computeBlockDigitCountsIN3c108BFloat16EjjLi1EEEvNS_4cuda6detail10TensorInfoIKT_T0_EEjPjjSA_iijT1_PSD_Ps: ; @_ZN2at6native6mbtopk23computeBlockDigitCountsIN3c108BFloat16EjjLi1EEEvNS_4cuda6detail10TensorInfoIKT_T0_EEjPjjSA_iijT1_PSD_Ps
; %bb.0:
	s_load_b64 s[2:3], s[0:1], 0xf8
	s_bfe_u32 s4, ttmp6, 0x40010
	s_and_b32 s6, ttmp7, 0xffff
	s_add_co_i32 s7, s4, 1
	s_bfe_u32 s8, ttmp6, 0x40004
	s_mul_i32 s7, s6, s7
	s_load_b64 s[4:5], s[0:1], 0x110
	s_add_co_i32 s7, s8, s7
	s_bfe_u32 s9, ttmp6, 0x4000c
	s_bfe_u32 s11, ttmp6, 0x40014
	s_add_co_i32 s9, s9, 1
	s_and_b32 s10, ttmp6, 15
	s_mul_i32 s9, ttmp9, s9
	s_add_co_i32 s11, s11, 1
	s_add_co_i32 s12, s10, s9
	s_bfe_u32 s10, ttmp6, 0x40008
	s_wait_kmcnt 0x0
	s_cvt_f32_u32 s8, s2
	s_delay_alu instid0(SALU_CYCLE_3) | instskip(SKIP_1) | instid1(SALU_CYCLE_1)
	v_rcp_iflag_f32_e32 v1, s8
	s_lshr_b32 s8, ttmp7, 16
	s_mul_i32 s9, s8, s11
	s_getreg_b32 s11, hwreg(HW_REG_IB_STS2, 6, 4)
	s_add_co_i32 s10, s10, s9
	s_cmp_eq_u32 s11, 0
	v_nop
	v_readfirstlane_b32 s13, v1
	s_cselect_b32 s14, s8, s10
	s_load_b128 s[8:11], s[0:1], 0xe8
	s_mul_i32 s5, s5, s14
	s_cselect_b32 s12, ttmp9, s12
	s_mul_f32 s13, s13, 0x4f7ffffe
	s_cselect_b32 s6, s6, s7
	s_sub_co_i32 s7, 0, s2
	s_add_co_i32 s5, s5, s6
	s_cvt_u32_f32 s13, s13
	s_mul_i32 s14, s5, s4
	s_delay_alu instid0(SALU_CYCLE_1) | instskip(NEXT) | instid1(SALU_CYCLE_1)
	s_add_co_i32 s14, s14, s12
	s_mul_i32 s7, s7, s13
	s_delay_alu instid0(SALU_CYCLE_1) | instskip(NEXT) | instid1(SALU_CYCLE_1)
	s_mul_hi_u32 s4, s13, s7
	s_add_co_i32 s13, s13, s4
	s_delay_alu instid0(SALU_CYCLE_1) | instskip(NEXT) | instid1(SALU_CYCLE_1)
	s_mul_hi_u32 s4, s14, s13
	s_mul_i32 s5, s4, s2
	s_add_co_i32 s6, s4, 1
	s_sub_co_i32 s5, s14, s5
	s_delay_alu instid0(SALU_CYCLE_1)
	s_sub_co_i32 s7, s5, s2
	s_cmp_ge_u32 s5, s2
	s_cselect_b32 s4, s6, s4
	s_cselect_b32 s5, s7, s5
	s_add_co_i32 s6, s4, 1
	s_cmp_ge_u32 s5, s2
	s_cselect_b32 s16, s6, s4
	s_wait_kmcnt 0x0
	s_cmp_ge_u32 s16, s8
	s_cbranch_scc1 .LBB105_27
; %bb.1:
	v_cmp_gt_u32_e32 vcc_lo, 0x100, v0
	v_lshlrev_b32_e32 v1, 2, v0
	s_and_saveexec_b32 s4, vcc_lo
; %bb.2:
	v_mov_b32_e32 v2, 0
	ds_store_b32 v1, v2
; %bb.3:
	s_or_b32 exec_lo, exec_lo, s4
	s_clause 0x1
	s_load_b32 s8, s[0:1], 0xd8
	s_load_b128 s[4:7], s[0:1], 0x100
	s_mul_i32 s12, s16, s2
	s_mov_b32 s13, 0
	s_sub_co_i32 s17, s14, s12
	s_wait_dscnt 0x0
	s_mul_i32 s12, s11, s17
	s_add_co_i32 s17, s17, 1
	s_lshl_b32 s15, s12, 8
	s_barrier_signal -1
	s_barrier_wait -1
	s_wait_kmcnt 0x0
	s_sub_co_i32 s12, s8, s15
	s_delay_alu instid0(SALU_CYCLE_1) | instskip(NEXT) | instid1(SALU_CYCLE_1)
	s_add_nc_u64 s[18:19], s[12:13], 0xff
	s_lshr_b64 s[18:19], s[18:19], 8
	s_cmp_lt_u32 s17, s2
	s_cselect_b32 s11, s11, s18
	s_delay_alu instid0(SALU_CYCLE_1)
	s_cmp_lt_i32 s11, 1
	s_cbranch_scc1 .LBB105_25
; %bb.4:
	s_clause 0x1
	s_load_b32 s12, s[0:1], 0x6c
	s_load_b64 s[18:19], s[0:1], 0x0
	s_load_b32 s2, s[4:5], s16 offset:0x0 scale_offset
	s_wait_xcnt 0x0
	s_and_b32 s1, s10, 0xff
	s_wait_kmcnt 0x0
	s_mul_i32 s12, s12, s16
	s_delay_alu instid0(SALU_CYCLE_1)
	s_lshl_b64 s[4:5], s[12:13], 1
	s_cmp_lt_u32 s11, 4
	s_add_nc_u64 s[4:5], s[18:19], s[4:5]
	s_cbranch_scc1 .LBB105_19
; %bb.5:
	v_dual_mov_b32 v7, 1 :: v_dual_add_nc_u32 v6, s15, v0
	v_mov_b32_e32 v8, 0x8000
	s_and_b32 s13, s11, 0x7ffffffc
	s_lshl_b32 s10, s9, 10
	s_delay_alu instid0(VALU_DEP_2)
	v_add_nc_u32_e32 v2, 0x300, v6
	v_add_nc_u32_e32 v4, 0x200, v6
	;; [unrolled: 1-line block ×3, first 2 shown]
	v_mul_lo_u32 v6, s9, v6
	s_mov_b32 s12, 0
	v_mul_lo_u32 v3, s9, v2
	v_mul_lo_u32 v4, s9, v4
	v_mul_lo_u32 v5, s9, v5
	s_mov_b32 s16, 0
	s_branch .LBB105_7
.LBB105_6:                              ;   in Loop: Header=BB105_7 Depth=1
	s_or_b32 exec_lo, exec_lo, s17
	v_add_nc_u32_e32 v2, 0x400, v2
	s_add_co_i32 s16, s16, 4
	s_add_co_i32 s12, s12, s10
	s_cmp_eq_u32 s13, s16
	s_cbranch_scc1 .LBB105_19
.LBB105_7:                              ; =>This Inner Loop Header: Depth=1
	v_add_nc_u32_e32 v9, 0xfffffd00, v2
	s_mov_b32 s17, exec_lo
	s_delay_alu instid0(VALU_DEP_1)
	v_cmpx_gt_u32_e64 s8, v9
	s_cbranch_execz .LBB105_10
; %bb.8:                                ;   in Loop: Header=BB105_7 Depth=1
	v_add_nc_u32_e32 v9, s12, v6
	global_load_u16 v9, v9, s[4:5] scale_offset
	s_wait_loadcnt 0x0
	v_cmp_lt_i16_e64 s0, -1, v9
	v_and_b32_e32 v10, 0xffff, v9
	s_delay_alu instid0(VALU_DEP_2) | instskip(SKIP_1) | instid1(VALU_DEP_1)
	v_cndmask_b32_e64 v11, 0xffff, v8, s0
	s_wait_xcnt 0x0
	v_dual_lshlrev_b32 v9, 16, v9 :: v_dual_bitop2_b32 v10, v11, v10 bitop3:0x14
	s_delay_alu instid0(VALU_DEP_1) | instskip(NEXT) | instid1(VALU_DEP_1)
	v_cmp_o_f32_e64 s0, v9, v9
	v_cndmask_b32_e64 v9, 0xffff, v10, s0
	s_delay_alu instid0(VALU_DEP_1) | instskip(NEXT) | instid1(VALU_DEP_1)
	v_bitop3_b32 v10, v9, s3, s2 bitop3:0x48
	v_cmp_eq_u32_e64 s0, 0, v10
	s_and_b32 exec_lo, exec_lo, s0
; %bb.9:                                ;   in Loop: Header=BB105_7 Depth=1
	v_bfe_u32 v9, v9, s1, 8
	s_delay_alu instid0(VALU_DEP_1)
	v_lshlrev_b32_e32 v9, 2, v9
	ds_add_u32 v9, v7
.LBB105_10:                             ;   in Loop: Header=BB105_7 Depth=1
	s_or_b32 exec_lo, exec_lo, s17
	v_add_nc_u32_e32 v9, 0xfffffe00, v2
	s_mov_b32 s17, exec_lo
	s_delay_alu instid0(VALU_DEP_1)
	v_cmpx_gt_u32_e64 s8, v9
	s_cbranch_execz .LBB105_13
; %bb.11:                               ;   in Loop: Header=BB105_7 Depth=1
	v_add_nc_u32_e32 v9, s12, v5
	global_load_u16 v9, v9, s[4:5] scale_offset
	s_wait_loadcnt 0x0
	v_cmp_lt_i16_e64 s0, -1, v9
	v_and_b32_e32 v10, 0xffff, v9
	v_lshlrev_b32_e32 v9, 16, v9
	s_delay_alu instid0(VALU_DEP_3) | instskip(NEXT) | instid1(VALU_DEP_2)
	v_cndmask_b32_e64 v11, 0xffff, v8, s0
	v_cmp_o_f32_e64 s0, v9, v9
	s_delay_alu instid0(VALU_DEP_2) | instskip(NEXT) | instid1(VALU_DEP_1)
	v_xor_b32_e32 v10, v11, v10
	v_cndmask_b32_e64 v9, 0xffff, v10, s0
	s_delay_alu instid0(VALU_DEP_1) | instskip(NEXT) | instid1(VALU_DEP_1)
	v_bitop3_b32 v10, v9, s3, s2 bitop3:0x48
	v_cmp_eq_u32_e64 s0, 0, v10
	s_and_b32 exec_lo, exec_lo, s0
; %bb.12:                               ;   in Loop: Header=BB105_7 Depth=1
	v_bfe_u32 v9, v9, s1, 8
	s_delay_alu instid0(VALU_DEP_1)
	v_lshlrev_b32_e32 v9, 2, v9
	ds_add_u32 v9, v7
.LBB105_13:                             ;   in Loop: Header=BB105_7 Depth=1
	s_or_b32 exec_lo, exec_lo, s17
	v_add_nc_u32_e32 v9, 0xffffff00, v2
	s_mov_b32 s17, exec_lo
	s_delay_alu instid0(VALU_DEP_1)
	v_cmpx_gt_u32_e64 s8, v9
	s_cbranch_execz .LBB105_16
; %bb.14:                               ;   in Loop: Header=BB105_7 Depth=1
	v_add_nc_u32_e32 v9, s12, v4
	global_load_u16 v9, v9, s[4:5] scale_offset
	s_wait_loadcnt 0x0
	v_cmp_lt_i16_e64 s0, -1, v9
	v_and_b32_e32 v10, 0xffff, v9
	v_lshlrev_b32_e32 v9, 16, v9
	s_delay_alu instid0(VALU_DEP_3) | instskip(NEXT) | instid1(VALU_DEP_2)
	v_cndmask_b32_e64 v11, 0xffff, v8, s0
	v_cmp_o_f32_e64 s0, v9, v9
	s_delay_alu instid0(VALU_DEP_2) | instskip(NEXT) | instid1(VALU_DEP_1)
	v_xor_b32_e32 v10, v11, v10
	v_cndmask_b32_e64 v9, 0xffff, v10, s0
	s_delay_alu instid0(VALU_DEP_1) | instskip(NEXT) | instid1(VALU_DEP_1)
	v_bitop3_b32 v10, v9, s3, s2 bitop3:0x48
	v_cmp_eq_u32_e64 s0, 0, v10
	s_and_b32 exec_lo, exec_lo, s0
; %bb.15:                               ;   in Loop: Header=BB105_7 Depth=1
	v_bfe_u32 v9, v9, s1, 8
	s_delay_alu instid0(VALU_DEP_1)
	v_lshlrev_b32_e32 v9, 2, v9
	ds_add_u32 v9, v7
.LBB105_16:                             ;   in Loop: Header=BB105_7 Depth=1
	s_or_b32 exec_lo, exec_lo, s17
	s_delay_alu instid0(SALU_CYCLE_1)
	s_mov_b32 s17, exec_lo
	v_cmpx_gt_u32_e64 s8, v2
	s_cbranch_execz .LBB105_6
; %bb.17:                               ;   in Loop: Header=BB105_7 Depth=1
	v_add_nc_u32_e32 v9, s12, v3
	global_load_u16 v9, v9, s[4:5] scale_offset
	s_wait_loadcnt 0x0
	v_cmp_lt_i16_e64 s0, -1, v9
	v_and_b32_e32 v10, 0xffff, v9
	v_lshlrev_b32_e32 v9, 16, v9
	s_delay_alu instid0(VALU_DEP_3) | instskip(NEXT) | instid1(VALU_DEP_2)
	v_cndmask_b32_e64 v11, 0xffff, v8, s0
	v_cmp_o_f32_e64 s0, v9, v9
	s_delay_alu instid0(VALU_DEP_2) | instskip(NEXT) | instid1(VALU_DEP_1)
	v_xor_b32_e32 v10, v11, v10
	v_cndmask_b32_e64 v9, 0xffff, v10, s0
	s_delay_alu instid0(VALU_DEP_1) | instskip(NEXT) | instid1(VALU_DEP_1)
	v_bitop3_b32 v10, v9, s3, s2 bitop3:0x48
	v_cmp_eq_u32_e64 s0, 0, v10
	s_and_b32 exec_lo, exec_lo, s0
	s_cbranch_execz .LBB105_6
; %bb.18:                               ;   in Loop: Header=BB105_7 Depth=1
	v_bfe_u32 v9, v9, s1, 8
	s_delay_alu instid0(VALU_DEP_1)
	v_lshlrev_b32_e32 v9, 2, v9
	ds_add_u32 v9, v7
	s_branch .LBB105_6
.LBB105_19:
	s_and_b32 s10, s11, 3
	s_delay_alu instid0(SALU_CYCLE_1)
	s_cmp_eq_u32 s10, 0
	s_cbranch_scc1 .LBB105_25
; %bb.20:
	s_lshl_b32 s0, s13, 8
	v_dual_mov_b32 v4, 1 :: v_dual_mov_b32 v5, 0x8000
	v_add3_u32 v2, s0, s15, v0
	s_delay_alu instid0(VALU_DEP_1)
	v_mul_lo_u32 v3, s9, v2
	s_lshl_b32 s9, s9, 8
	s_branch .LBB105_22
.LBB105_21:                             ;   in Loop: Header=BB105_22 Depth=1
	s_or_b32 exec_lo, exec_lo, s11
	s_delay_alu instid0(VALU_DEP_2) | instskip(SKIP_2) | instid1(SALU_CYCLE_1)
	v_add_nc_u32_e32 v3, s9, v3
	v_add_nc_u32_e32 v2, 0x100, v2
	s_add_co_i32 s10, s10, -1
	s_cmp_lg_u32 s10, 0
	s_cbranch_scc0 .LBB105_25
.LBB105_22:                             ; =>This Inner Loop Header: Depth=1
	s_mov_b32 s11, exec_lo
	v_cmpx_gt_u32_e64 s8, v2
	s_cbranch_execz .LBB105_21
; %bb.23:                               ;   in Loop: Header=BB105_22 Depth=1
	global_load_u16 v6, v3, s[4:5] scale_offset
	s_wait_loadcnt 0x0
	v_cmp_lt_i16_e64 s0, -1, v6
	v_and_b32_e32 v7, 0xffff, v6
	s_delay_alu instid0(VALU_DEP_2) | instskip(NEXT) | instid1(VALU_DEP_1)
	v_cndmask_b32_e64 v8, 0xffff, v5, s0
	v_dual_lshlrev_b32 v6, 16, v6 :: v_dual_bitop2_b32 v7, v8, v7 bitop3:0x14
	s_delay_alu instid0(VALU_DEP_1) | instskip(NEXT) | instid1(VALU_DEP_1)
	v_cmp_o_f32_e64 s0, v6, v6
	v_cndmask_b32_e64 v6, 0xffff, v7, s0
	s_delay_alu instid0(VALU_DEP_1) | instskip(NEXT) | instid1(VALU_DEP_1)
	v_bitop3_b32 v7, v6, s3, s2 bitop3:0x48
	v_cmp_eq_u32_e64 s0, 0, v7
	s_and_b32 exec_lo, exec_lo, s0
	s_cbranch_execz .LBB105_21
; %bb.24:                               ;   in Loop: Header=BB105_22 Depth=1
	v_bfe_u32 v6, v6, s1, 8
	s_delay_alu instid0(VALU_DEP_1)
	v_lshlrev_b32_e32 v6, 2, v6
	ds_add_u32 v6, v4
	s_branch .LBB105_21
.LBB105_25:
	s_wait_dscnt 0x0
	s_barrier_signal -1
	s_barrier_wait -1
	s_and_saveexec_b32 s0, vcc_lo
	s_cbranch_execz .LBB105_27
; %bb.26:
	ds_load_b32 v1, v1
	v_lshl_or_b32 v0, s14, 8, v0
	s_wait_dscnt 0x0
	global_store_b16 v0, v1, s[6:7] scale_offset
.LBB105_27:
	s_endpgm
	.section	.rodata,"a",@progbits
	.p2align	6, 0x0
	.amdhsa_kernel _ZN2at6native6mbtopk23computeBlockDigitCountsIN3c108BFloat16EjjLi1EEEvNS_4cuda6detail10TensorInfoIKT_T0_EEjPjjSA_iijT1_PSD_Ps
		.amdhsa_group_segment_fixed_size 1024
		.amdhsa_private_segment_fixed_size 0
		.amdhsa_kernarg_size 528
		.amdhsa_user_sgpr_count 2
		.amdhsa_user_sgpr_dispatch_ptr 0
		.amdhsa_user_sgpr_queue_ptr 0
		.amdhsa_user_sgpr_kernarg_segment_ptr 1
		.amdhsa_user_sgpr_dispatch_id 0
		.amdhsa_user_sgpr_kernarg_preload_length 0
		.amdhsa_user_sgpr_kernarg_preload_offset 0
		.amdhsa_user_sgpr_private_segment_size 0
		.amdhsa_wavefront_size32 1
		.amdhsa_uses_dynamic_stack 0
		.amdhsa_enable_private_segment 0
		.amdhsa_system_sgpr_workgroup_id_x 1
		.amdhsa_system_sgpr_workgroup_id_y 1
		.amdhsa_system_sgpr_workgroup_id_z 1
		.amdhsa_system_sgpr_workgroup_info 0
		.amdhsa_system_vgpr_workitem_id 0
		.amdhsa_next_free_vgpr 12
		.amdhsa_next_free_sgpr 20
		.amdhsa_named_barrier_count 0
		.amdhsa_reserve_vcc 1
		.amdhsa_float_round_mode_32 0
		.amdhsa_float_round_mode_16_64 0
		.amdhsa_float_denorm_mode_32 3
		.amdhsa_float_denorm_mode_16_64 3
		.amdhsa_fp16_overflow 0
		.amdhsa_memory_ordered 1
		.amdhsa_forward_progress 1
		.amdhsa_inst_pref_size 13
		.amdhsa_round_robin_scheduling 0
		.amdhsa_exception_fp_ieee_invalid_op 0
		.amdhsa_exception_fp_denorm_src 0
		.amdhsa_exception_fp_ieee_div_zero 0
		.amdhsa_exception_fp_ieee_overflow 0
		.amdhsa_exception_fp_ieee_underflow 0
		.amdhsa_exception_fp_ieee_inexact 0
		.amdhsa_exception_int_div_zero 0
	.end_amdhsa_kernel
	.section	.text._ZN2at6native6mbtopk23computeBlockDigitCountsIN3c108BFloat16EjjLi1EEEvNS_4cuda6detail10TensorInfoIKT_T0_EEjPjjSA_iijT1_PSD_Ps,"axG",@progbits,_ZN2at6native6mbtopk23computeBlockDigitCountsIN3c108BFloat16EjjLi1EEEvNS_4cuda6detail10TensorInfoIKT_T0_EEjPjjSA_iijT1_PSD_Ps,comdat
.Lfunc_end105:
	.size	_ZN2at6native6mbtopk23computeBlockDigitCountsIN3c108BFloat16EjjLi1EEEvNS_4cuda6detail10TensorInfoIKT_T0_EEjPjjSA_iijT1_PSD_Ps, .Lfunc_end105-_ZN2at6native6mbtopk23computeBlockDigitCountsIN3c108BFloat16EjjLi1EEEvNS_4cuda6detail10TensorInfoIKT_T0_EEjPjjSA_iijT1_PSD_Ps
                                        ; -- End function
	.set _ZN2at6native6mbtopk23computeBlockDigitCountsIN3c108BFloat16EjjLi1EEEvNS_4cuda6detail10TensorInfoIKT_T0_EEjPjjSA_iijT1_PSD_Ps.num_vgpr, 12
	.set _ZN2at6native6mbtopk23computeBlockDigitCountsIN3c108BFloat16EjjLi1EEEvNS_4cuda6detail10TensorInfoIKT_T0_EEjPjjSA_iijT1_PSD_Ps.num_agpr, 0
	.set _ZN2at6native6mbtopk23computeBlockDigitCountsIN3c108BFloat16EjjLi1EEEvNS_4cuda6detail10TensorInfoIKT_T0_EEjPjjSA_iijT1_PSD_Ps.numbered_sgpr, 20
	.set _ZN2at6native6mbtopk23computeBlockDigitCountsIN3c108BFloat16EjjLi1EEEvNS_4cuda6detail10TensorInfoIKT_T0_EEjPjjSA_iijT1_PSD_Ps.num_named_barrier, 0
	.set _ZN2at6native6mbtopk23computeBlockDigitCountsIN3c108BFloat16EjjLi1EEEvNS_4cuda6detail10TensorInfoIKT_T0_EEjPjjSA_iijT1_PSD_Ps.private_seg_size, 0
	.set _ZN2at6native6mbtopk23computeBlockDigitCountsIN3c108BFloat16EjjLi1EEEvNS_4cuda6detail10TensorInfoIKT_T0_EEjPjjSA_iijT1_PSD_Ps.uses_vcc, 1
	.set _ZN2at6native6mbtopk23computeBlockDigitCountsIN3c108BFloat16EjjLi1EEEvNS_4cuda6detail10TensorInfoIKT_T0_EEjPjjSA_iijT1_PSD_Ps.uses_flat_scratch, 0
	.set _ZN2at6native6mbtopk23computeBlockDigitCountsIN3c108BFloat16EjjLi1EEEvNS_4cuda6detail10TensorInfoIKT_T0_EEjPjjSA_iijT1_PSD_Ps.has_dyn_sized_stack, 0
	.set _ZN2at6native6mbtopk23computeBlockDigitCountsIN3c108BFloat16EjjLi1EEEvNS_4cuda6detail10TensorInfoIKT_T0_EEjPjjSA_iijT1_PSD_Ps.has_recursion, 0
	.set _ZN2at6native6mbtopk23computeBlockDigitCountsIN3c108BFloat16EjjLi1EEEvNS_4cuda6detail10TensorInfoIKT_T0_EEjPjjSA_iijT1_PSD_Ps.has_indirect_call, 0
	.section	.AMDGPU.csdata,"",@progbits
; Kernel info:
; codeLenInByte = 1568
; TotalNumSgprs: 22
; NumVgprs: 12
; ScratchSize: 0
; MemoryBound: 0
; FloatMode: 240
; IeeeMode: 1
; LDSByteSize: 1024 bytes/workgroup (compile time only)
; SGPRBlocks: 0
; VGPRBlocks: 0
; NumSGPRsForWavesPerEU: 22
; NumVGPRsForWavesPerEU: 12
; NamedBarCnt: 0
; Occupancy: 16
; WaveLimiterHint : 1
; COMPUTE_PGM_RSRC2:SCRATCH_EN: 0
; COMPUTE_PGM_RSRC2:USER_SGPR: 2
; COMPUTE_PGM_RSRC2:TRAP_HANDLER: 0
; COMPUTE_PGM_RSRC2:TGID_X_EN: 1
; COMPUTE_PGM_RSRC2:TGID_Y_EN: 1
; COMPUTE_PGM_RSRC2:TGID_Z_EN: 1
; COMPUTE_PGM_RSRC2:TIDIG_COMP_CNT: 0
	.section	.text._ZN2at6native6mbtopk29computeBlockwiseWithinKCountsIjN3c108BFloat16EEEvPT_PsPjjibS8_PT0_S8_S6_S8_j,"axG",@progbits,_ZN2at6native6mbtopk29computeBlockwiseWithinKCountsIjN3c108BFloat16EEEvPT_PsPjjibS8_PT0_S8_S6_S8_j,comdat
	.protected	_ZN2at6native6mbtopk29computeBlockwiseWithinKCountsIjN3c108BFloat16EEEvPT_PsPjjibS8_PT0_S8_S6_S8_j ; -- Begin function _ZN2at6native6mbtopk29computeBlockwiseWithinKCountsIjN3c108BFloat16EEEvPT_PsPjjibS8_PT0_S8_S6_S8_j
	.globl	_ZN2at6native6mbtopk29computeBlockwiseWithinKCountsIjN3c108BFloat16EEEvPT_PsPjjibS8_PT0_S8_S6_S8_j
	.p2align	8
	.type	_ZN2at6native6mbtopk29computeBlockwiseWithinKCountsIjN3c108BFloat16EEEvPT_PsPjjibS8_PT0_S8_S6_S8_j,@function
_ZN2at6native6mbtopk29computeBlockwiseWithinKCountsIjN3c108BFloat16EEEvPT_PsPjjibS8_PT0_S8_S6_S8_j: ; @_ZN2at6native6mbtopk29computeBlockwiseWithinKCountsIjN3c108BFloat16EEEvPT_PsPjjibS8_PT0_S8_S6_S8_j
; %bb.0:
	s_bfe_u32 s2, ttmp6, 0x40010
	s_and_b32 s4, ttmp7, 0xffff
	s_add_co_i32 s5, s2, 1
	s_clause 0x2
	s_load_b96 s[16:18], s[0:1], 0x18
	s_load_b32 s6, s[0:1], 0x50
	s_load_b64 s[2:3], s[0:1], 0x58
	s_bfe_u32 s8, ttmp6, 0x4000c
	s_mul_i32 s5, s4, s5
	s_bfe_u32 s7, ttmp6, 0x40004
	s_add_co_i32 s8, s8, 1
	s_bfe_u32 s9, ttmp6, 0x40014
	s_add_co_i32 s7, s7, s5
	s_and_b32 s5, ttmp6, 15
	s_mul_i32 s8, ttmp9, s8
	s_lshr_b32 s10, ttmp7, 16
	s_add_co_i32 s9, s9, 1
	s_add_co_i32 s5, s5, s8
	s_mul_i32 s8, s10, s9
	s_bfe_u32 s9, ttmp6, 0x40008
	s_getreg_b32 s11, hwreg(HW_REG_IB_STS2, 6, 4)
	s_add_co_i32 s9, s9, s8
	s_cmp_eq_u32 s11, 0
	s_mov_b32 s21, 0
	s_cselect_b32 s8, s10, s9
	s_wait_kmcnt 0x0
	s_cvt_f32_u32 s9, s16
	s_mul_i32 s3, s3, s8
	s_cselect_b32 s4, s4, s7
	s_cselect_b32 s5, ttmp9, s5
	v_rcp_iflag_f32_e32 v1, s9
	s_add_co_i32 s3, s3, s4
	s_delay_alu instid0(SALU_CYCLE_1) | instskip(NEXT) | instid1(SALU_CYCLE_1)
	s_mul_i32 s2, s3, s2
	s_add_co_i32 s20, s2, s5
	v_nop
	s_delay_alu instid0(TRANS32_DEP_1)
	v_readfirstlane_b32 s2, v1
	s_cmp_ge_u32 s20, s6
	s_cbranch_scc1 .LBB106_49
; %bb.1:
	s_mul_f32 s2, s2, 0x4f7ffffe
	s_delay_alu instid0(SALU_CYCLE_3) | instskip(SKIP_1) | instid1(SALU_CYCLE_2)
	s_cvt_u32_f32 s4, s2
	s_sub_co_i32 s2, 0, s16
	s_mul_i32 s2, s2, s4
	s_delay_alu instid0(SALU_CYCLE_1) | instskip(SKIP_3) | instid1(SALU_CYCLE_1)
	s_mul_hi_u32 s5, s4, s2
	s_load_b64 s[2:3], s[0:1], 0x10
	s_add_co_i32 s4, s4, s5
	s_mov_b32 s5, s21
	s_mul_u64 s[4:5], s[20:21], s[4:5]
	s_delay_alu instid0(SALU_CYCLE_1) | instskip(SKIP_2) | instid1(SALU_CYCLE_1)
	s_mul_i32 s4, s5, s16
	s_add_co_i32 s6, s5, 1
	s_sub_co_i32 s4, s20, s4
	s_sub_co_i32 s7, s4, s16
	s_cmp_ge_u32 s4, s16
	s_cselect_b32 s5, s6, s5
	s_cselect_b32 s4, s7, s4
	s_add_co_i32 s6, s5, 1
	s_cmp_ge_u32 s4, s16
	s_cselect_b32 s22, s6, s5
	s_load_b128 s[12:15], s[0:1], 0x0
	s_wait_kmcnt 0x0
	s_load_b32 s19, s[2:3], s22 offset:0x0 scale_offset
	s_wait_xcnt 0x0
	v_cmp_gt_u32_e64 s2, 0x100, v0
	s_and_saveexec_b32 s3, s2
	s_cbranch_execz .LBB106_17
; %bb.2:
	s_mul_i32 s4, s22, s16
	s_mov_b32 s5, 0
	s_lshl_b32 s4, s4, 8
	v_dual_mov_b32 v3, 0 :: v_dual_lshlrev_b32 v2, 1, v0
	s_lshl_b64 s[6:7], s[4:5], 1
	s_cmp_lt_u32 s16, 4
	s_add_nc_u64 s[6:7], s[14:15], s[6:7]
	s_delay_alu instid0(VALU_DEP_1) | instid1(SALU_CYCLE_1)
	v_add_nc_u64_e32 v[4:5], s[6:7], v[2:3]
	s_cbranch_scc1 .LBB106_10
; %bb.3:
	v_readfirstlane_b32 s5, v0
	v_mov_b32_e32 v3, 0
	s_add_co_i32 s4, s16, -4
	s_delay_alu instid0(SALU_CYCLE_1)
	s_cmp_lt_u32 s4, 4
	s_cbranch_scc1 .LBB106_7
; %bb.4:
	s_delay_alu instid0(VALU_DEP_1)
	v_add_nc_u64_e32 v[6:7], s[6:7], v[2:3]
	s_lshr_b32 s4, s4, 2
	s_mov_b32 s7, 0
	s_add_co_i32 s6, s4, 1
	v_mov_b32_e32 v1, v3
	s_and_b64 s[8:9], s[6:7], 0x7ffffffe
	s_delay_alu instid0(SALU_CYCLE_1)
	s_mov_b64 s[4:5], s[8:9]
	v_add_nc_u64_e32 v[6:7], 0x800, v[6:7]
.LBB106_5:                              ; =>This Inner Loop Header: Depth=1
	s_clause 0x7
	global_load_i16 v2, v[6:7], off offset:-2048
	global_load_i16 v8, v[6:7], off
	global_load_i16 v9, v[6:7], off offset:512
	global_load_i16 v10, v[6:7], off offset:-1536
	global_load_i16 v11, v[6:7], off offset:-1024
	global_load_i16 v12, v[6:7], off offset:1024
	global_load_i16 v13, v[6:7], off offset:1536
	global_load_i16 v14, v[6:7], off offset:-512
	s_wait_xcnt 0x0
	v_add_nc_u64_e32 v[6:7], 0x1000, v[6:7]
	s_add_nc_u64 s[4:5], s[4:5], -2
	s_delay_alu instid0(SALU_CYCLE_1)
	s_cmp_lg_u64 s[4:5], 0
	s_wait_loadcnt 0x5
	v_add3_u32 v1, v1, v8, v9
	s_wait_loadcnt 0x4
	v_add3_u32 v2, v3, v2, v10
	s_wait_loadcnt 0x1
	s_delay_alu instid0(VALU_DEP_2) | instskip(SKIP_1) | instid1(VALU_DEP_2)
	v_add3_u32 v1, v1, v12, v13
	s_wait_loadcnt 0x0
	v_add3_u32 v3, v2, v11, v14
	s_cbranch_scc1 .LBB106_5
; %bb.6:
	s_lshl_b64 s[4:5], s[8:9], 11
	s_delay_alu instid0(VALU_DEP_1)
	v_add_nc_u32_e32 v3, v3, v1
	v_add_nc_u64_e32 v[4:5], s[4:5], v[4:5]
	s_lshl_b32 s5, s8, 2
	s_cmp_lg_u64 s[8:9], s[6:7]
	s_mov_b32 s4, s5
	s_cselect_b32 s6, -1, 0
	s_delay_alu instid0(SALU_CYCLE_1)
	s_and_b32 vcc_lo, exec_lo, s6
	s_cbranch_vccnz .LBB106_8
	s_branch .LBB106_10
.LBB106_7:
	s_mov_b32 s4, 0
	s_cbranch_execz .LBB106_10
.LBB106_8:                              ; =>This Inner Loop Header: Depth=1
	s_clause 0x3
	global_load_i16 v1, v[4:5], off
	global_load_i16 v2, v[4:5], off offset:512
	global_load_i16 v6, v[4:5], off offset:1024
	;; [unrolled: 1-line block ×3, first 2 shown]
	s_wait_xcnt 0x0
	v_add_nc_u64_e32 v[4:5], 0x800, v[4:5]
	s_add_co_i32 s5, s4, 7
	s_add_co_i32 s4, s4, 4
	s_cmp_ge_u32 s5, s16
	s_wait_loadcnt 0x2
	v_add3_u32 v1, v3, v1, v2
	s_wait_loadcnt 0x0
	s_delay_alu instid0(VALU_DEP_1)
	v_add3_u32 v3, v1, v6, v7
	s_cbranch_scc0 .LBB106_8
; %bb.9:
	s_mov_b32 s5, s4
.LBB106_10:
	s_delay_alu instid0(SALU_CYCLE_1)
	s_cmp_ge_u32 s5, s16
	s_cbranch_scc1 .LBB106_16
; %bb.11:
	s_not_b32 s4, s5
	s_mov_b32 s7, 0
	s_add_co_i32 s6, s16, s4
	s_delay_alu instid0(SALU_CYCLE_1)
	s_cmp_eq_u32 s6, 0
	s_cbranch_scc1 .LBB106_50
; %bb.12:
	v_add_nc_u64_e32 v[6:7], 0x200, v[4:5]
	s_add_nc_u64 s[6:7], s[6:7], 1
	v_mov_b32_e32 v1, 0
	s_and_b64 s[8:9], s[6:7], 0x1fffffffe
	s_delay_alu instid0(SALU_CYCLE_1)
	s_mov_b64 s[10:11], s[8:9]
.LBB106_13:                             ; =>This Inner Loop Header: Depth=1
	s_clause 0x1
	global_load_i16 v2, v[6:7], off
	global_load_i16 v8, v[6:7], off offset:-512
	s_wait_xcnt 0x0
	v_add_nc_u64_e32 v[6:7], 0x400, v[6:7]
	s_add_nc_u64 s[10:11], s[10:11], -2
	s_delay_alu instid0(SALU_CYCLE_1)
	s_cmp_lg_u64 s[10:11], 0
	s_wait_loadcnt 0x0
	v_dual_add_nc_u32 v1, v1, v2 :: v_dual_add_nc_u32 v3, v3, v8
	s_cbranch_scc1 .LBB106_13
; %bb.14:
	s_lshl_b64 s[10:11], s[8:9], 9
	s_add_co_i32 s5, s5, s8
	v_add_nc_u64_e32 v[4:5], s[10:11], v[4:5]
	v_add_nc_u32_e32 v3, v3, v1
	s_cmp_lg_u64 s[6:7], s[8:9]
	s_cselect_b32 s4, -1, 0
	s_delay_alu instid0(SALU_CYCLE_1)
	s_and_b32 vcc_lo, exec_lo, s4
	s_cbranch_vccz .LBB106_16
.LBB106_15:                             ; =>This Inner Loop Header: Depth=1
	global_load_i16 v1, v[4:5], off
	s_wait_xcnt 0x0
	v_add_nc_u64_e32 v[4:5], 0x200, v[4:5]
	s_add_co_i32 s5, s5, 1
	s_delay_alu instid0(SALU_CYCLE_1)
	s_cmp_lt_u32 s5, s16
	s_wait_loadcnt 0x0
	v_add_nc_u32_e32 v3, v3, v1
	s_cbranch_scc1 .LBB106_15
.LBB106_16:
	v_lshlrev_b32_e32 v1, 2, v0
	ds_store_b32 v1, v3 offset:1056
.LBB106_17:
	s_or_b32 exec_lo, exec_lo, s3
	v_dual_mov_b32 v5, 0 :: v_dual_lshlrev_b32 v1, 2, v0
	s_mov_b32 s23, s21
	s_wait_dscnt 0x0
	s_barrier_signal -1
	s_barrier_wait -1
	s_and_saveexec_b32 s3, s2
; %bb.18:
	ds_load_b32 v5, v1 offset:1056
; %bb.19:
	s_or_b32 exec_lo, exec_lo, s3
	v_lshrrev_b32_e32 v3, 5, v0
	v_cmp_gt_u32_e64 s3, 32, v0
	v_mbcnt_lo_u32_b32 v2, -1, 0
	s_delay_alu instid0(VALU_DEP_3)
	v_lshl_add_u32 v4, v3, 2, v1
	s_wait_dscnt 0x0
	ds_store_b32 v4, v5
	s_wait_dscnt 0x0
	s_barrier_signal -1
	s_barrier_wait -1
	s_and_saveexec_b32 s4, s3
	s_cbranch_execz .LBB106_21
; %bb.20:
	v_and_b32_e32 v6, 0xfc, v0
	s_delay_alu instid0(VALU_DEP_1)
	v_lshl_add_u32 v14, v0, 5, v6
	ds_load_2addr_b32 v[6:7], v14 offset1:1
	ds_load_2addr_b32 v[8:9], v14 offset0:2 offset1:3
	ds_load_2addr_b32 v[10:11], v14 offset0:4 offset1:5
	;; [unrolled: 1-line block ×3, first 2 shown]
	; wave barrier
	s_wait_dscnt 0x3
	v_add_nc_u32_e32 v7, v7, v6
	s_wait_dscnt 0x2
	s_delay_alu instid0(VALU_DEP_1) | instskip(SKIP_1) | instid1(VALU_DEP_1)
	v_add3_u32 v7, v7, v8, v9
	s_wait_dscnt 0x1
	v_add3_u32 v7, v7, v10, v11
	v_bfe_i32 v10, v2, 4, 1
	s_wait_dscnt 0x0
	s_delay_alu instid0(VALU_DEP_2) | instskip(SKIP_1) | instid1(VALU_DEP_2)
	v_add3_u32 v7, v7, v12, v13
	v_and_b32_e32 v8, 15, v2
	v_mov_b32_dpp v9, v7 row_shr:1 row_mask:0xf bank_mask:0xf
	s_delay_alu instid0(VALU_DEP_2) | instskip(NEXT) | instid1(VALU_DEP_2)
	v_cmp_ne_u32_e32 vcc_lo, 0, v8
	v_cndmask_b32_e32 v9, 0, v9, vcc_lo
	s_delay_alu instid0(VALU_DEP_1) | instskip(SKIP_1) | instid1(VALU_DEP_2)
	v_add_nc_u32_e32 v7, v9, v7
	v_cmp_lt_u32_e32 vcc_lo, 1, v8
	v_mov_b32_dpp v9, v7 row_shr:2 row_mask:0xf bank_mask:0xf
	s_delay_alu instid0(VALU_DEP_1) | instskip(SKIP_1) | instid1(VALU_DEP_2)
	v_cndmask_b32_e32 v9, 0, v9, vcc_lo
	v_cmp_lt_u32_e32 vcc_lo, 3, v8
	v_add_nc_u32_e32 v7, v7, v9
	s_delay_alu instid0(VALU_DEP_1) | instskip(NEXT) | instid1(VALU_DEP_1)
	v_mov_b32_dpp v9, v7 row_shr:4 row_mask:0xf bank_mask:0xf
	v_cndmask_b32_e32 v9, 0, v9, vcc_lo
	v_cmp_lt_u32_e32 vcc_lo, 7, v8
	s_delay_alu instid0(VALU_DEP_2) | instskip(NEXT) | instid1(VALU_DEP_1)
	v_add_nc_u32_e32 v7, v7, v9
	v_mov_b32_dpp v9, v7 row_shr:8 row_mask:0xf bank_mask:0xf
	s_delay_alu instid0(VALU_DEP_1) | instskip(NEXT) | instid1(VALU_DEP_1)
	v_cndmask_b32_e32 v8, 0, v9, vcc_lo
	v_add_nc_u32_e32 v7, v7, v8
	ds_swizzle_b32 v8, v7 offset:swizzle(BROADCAST,32,15)
	s_wait_dscnt 0x0
	v_dual_add_nc_u32 v9, -1, v2 :: v_dual_bitop2_b32 v8, v10, v8 bitop3:0x40
	s_delay_alu instid0(VALU_DEP_1) | instskip(NEXT) | instid1(VALU_DEP_2)
	v_cmp_gt_i32_e32 vcc_lo, 0, v9
	v_dual_add_nc_u32 v7, v7, v8 :: v_dual_cndmask_b32 v9, v9, v2, vcc_lo
	v_cmp_eq_u32_e32 vcc_lo, 0, v0
	s_delay_alu instid0(VALU_DEP_2) | instskip(SKIP_3) | instid1(VALU_DEP_1)
	v_lshlrev_b32_e32 v9, 2, v9
	ds_bpermute_b32 v7, v9, v7
	s_wait_dscnt 0x0
	v_add_nc_u32_e32 v6, v7, v6
	v_cndmask_b32_e32 v5, v6, v5, vcc_lo
	ds_store_b32 v14, v5
	; wave barrier
	ds_load_2addr_b32 v[6:7], v14 offset0:1 offset1:2
	ds_load_2addr_b32 v[8:9], v14 offset0:3 offset1:4
	;; [unrolled: 1-line block ×3, first 2 shown]
	ds_load_b32 v12, v14 offset:28
	s_wait_dscnt 0x3
	v_add_nc_u32_e32 v5, v6, v5
	s_delay_alu instid0(VALU_DEP_1) | instskip(SKIP_1) | instid1(VALU_DEP_1)
	v_add_nc_u32_e32 v6, v7, v5
	s_wait_dscnt 0x2
	v_add_nc_u32_e32 v7, v8, v6
	s_delay_alu instid0(VALU_DEP_1) | instskip(SKIP_1) | instid1(VALU_DEP_1)
	v_add_nc_u32_e32 v8, v9, v7
	s_wait_dscnt 0x1
	v_add_nc_u32_e32 v9, v10, v8
	s_delay_alu instid0(VALU_DEP_1) | instskip(SKIP_1) | instid1(VALU_DEP_1)
	v_add_nc_u32_e32 v10, v11, v9
	s_wait_dscnt 0x0
	v_add_nc_u32_e32 v11, v12, v10
	ds_store_2addr_b32 v14, v5, v6 offset0:1 offset1:2
	ds_store_2addr_b32 v14, v7, v8 offset0:3 offset1:4
	;; [unrolled: 1-line block ×3, first 2 shown]
	ds_store_b32 v14, v11 offset:28
.LBB106_21:
	s_or_b32 exec_lo, exec_lo, s4
	s_wait_dscnt 0x0
	s_barrier_signal -1
	s_barrier_wait -1
	ds_load_b32 v5, v4
	s_wait_dscnt 0x0
	s_barrier_signal -1
	s_barrier_wait -1
	s_and_saveexec_b32 s4, s2
; %bb.22:
	ds_store_b32 v1, v5 offset:1056
; %bb.23:
	s_or_b32 exec_lo, exec_lo, s4
	s_clause 0x1
	s_load_b256 s[4:11], s[0:1], 0x28
	s_load_b64 s[24:25], s[0:1], 0x48
	s_wait_dscnt 0x0
	s_barrier_signal -1
	s_barrier_wait -1
	s_and_saveexec_b32 s26, s2
	s_cbranch_execz .LBB106_32
; %bb.24:
	v_mov_b32_e32 v4, 0
	s_wait_xcnt 0x0
	s_mov_b32 s0, exec_lo
	v_cmpx_ne_u32_e32 0, v0
; %bb.25:
	ds_load_b32 v4, v1 offset:1052
; %bb.26:
	s_or_b32 exec_lo, exec_lo, s0
	s_wait_dscnt 0x0
	s_wait_kmcnt 0x0
	v_cmp_gt_u32_e32 vcc_lo, s19, v4
	v_cmp_le_u32_e64 s0, s19, v5
	s_and_b32 s0, vcc_lo, s0
	s_delay_alu instid0(SALU_CYCLE_1)
	s_and_b32 exec_lo, exec_lo, s0
	s_cbranch_execz .LBB106_32
; %bb.27:
	v_dual_mov_b32 v6, 0 :: v_dual_lshlrev_b32 v7, s17, v0
	s_lshl_b64 s[0:1], s[22:23], 2
	s_lshl_b32 s2, 0xff, s17
	s_add_nc_u64 s[12:13], s[12:13], s[0:1]
	global_load_b32 v5, v6, s[12:13]
	s_wait_loadcnt 0x0
	v_bitop3_b32 v5, v5, v7, s2 bitop3:0xdc
	s_mul_i32 s2, s22, s16
	s_delay_alu instid0(SALU_CYCLE_1)
	s_cmp_lg_u32 s20, s2
	ds_store_b32 v6, v5 offset:2112
	s_cbranch_scc1 .LBB106_32
; %bb.28:
	s_add_nc_u64 s[10:11], s[10:11], s[0:1]
	s_cmp_lt_i32 s17, 1
	s_mov_b32 s2, -1
	global_store_b32 v6, v5, s[10:11]
	s_cbranch_scc0 .LBB106_30
; %bb.29:
	s_wait_xcnt 0x0
	v_and_b32_e32 v6, 0x8000, v5
	v_mov_b32_e32 v7, 0xffff
	s_lshl_b64 s[10:11], s[22:23], 1
	s_mov_b32 s2, 0
	s_add_nc_u64 s[6:7], s[6:7], s[10:11]
	v_cmp_eq_u32_e32 vcc_lo, 0, v6
	v_cndmask_b32_e32 v6, 0x8000, v7, vcc_lo
	s_delay_alu instid0(VALU_DEP_1)
	v_dual_mov_b32 v6, 0 :: v_dual_bitop2_b32 v5, v6, v5 bitop3:0x14
	global_store_b16 v6, v5, s[6:7]
.LBB106_30:
	s_and_not1_b32 vcc_lo, exec_lo, s2
	s_cbranch_vccnz .LBB106_32
; %bb.31:
	s_wait_xcnt 0x0
	v_dual_mov_b32 v5, 0 :: v_dual_sub_nc_u32 v4, s19, v4
	s_add_nc_u64 s[0:1], s[8:9], s[0:1]
	global_store_b32 v5, v4, s[0:1]
.LBB106_32:
	s_wait_xcnt 0x0
	s_or_b32 exec_lo, exec_lo, s26
	v_mov_b32_e32 v4, 0
	s_wait_storecnt_dscnt 0x0
	s_barrier_signal -1
	s_barrier_wait -1
	ds_load_b32 v4, v4 offset:2112
	s_bitcmp0_b32 s18, 0
	s_mov_b32 s0, 0
	s_wait_dscnt 0x0
	v_lshrrev_b32_e32 v4, s17, v4
	s_delay_alu instid0(VALU_DEP_1)
	v_and_b32_e32 v4, 0xff, v4
	s_cbranch_scc0 .LBB106_34
; %bb.33:
	v_and_b32_e32 v5, 0xe0, v0
	s_delay_alu instid0(VALU_DEP_2) | instskip(NEXT) | instid1(VALU_DEP_2)
	v_cmp_lt_u32_e64 s1, v0, v4
	v_cmp_lt_u32_e64 s2, v5, v4
	s_and_not1_b32 vcc_lo, exec_lo, s0
	s_cbranch_vccz .LBB106_35
	s_branch .LBB106_36
.LBB106_34:
                                        ; implicit-def: $sgpr1
                                        ; implicit-def: $sgpr2
.LBB106_35:
	v_or_b32_e32 v5, 31, v0
	s_delay_alu instid0(VALU_DEP_2) | instskip(SKIP_2) | instid1(VALU_DEP_2)
	v_cmp_gt_u32_e32 vcc_lo, v0, v4
	s_and_not1_b32 s1, s1, exec_lo
	s_and_not1_b32 s2, s2, exec_lo
	v_cmp_gt_u32_e64 s0, v5, v4
	s_wait_kmcnt 0x0
	s_and_b32 s6, vcc_lo, exec_lo
	s_delay_alu instid0(SALU_CYCLE_1) | instskip(SKIP_1) | instid1(SALU_CYCLE_1)
	s_or_b32 s1, s1, s6
	s_and_b32 s0, s0, exec_lo
	s_or_b32 s2, s2, s0
.LBB106_36:
	v_mov_b32_e32 v4, 0
	s_and_saveexec_b32 s0, s2
	s_cbranch_execz .LBB106_40
; %bb.37:
	v_mov_b32_e32 v4, 0
	s_and_saveexec_b32 s2, s1
	s_cbranch_execz .LBB106_39
; %bb.38:
	s_wait_kmcnt 0x0
	s_lshl_b32 s6, s20, 8
	s_mov_b32 s7, 0
	s_delay_alu instid0(SALU_CYCLE_1) | instskip(NEXT) | instid1(SALU_CYCLE_1)
	s_lshl_b64 s[6:7], s[6:7], 1
	s_add_nc_u64 s[6:7], s[14:15], s[6:7]
	global_load_i16 v4, v0, s[6:7] scale_offset
.LBB106_39:
	s_wait_xcnt 0x0
	s_or_b32 exec_lo, exec_lo, s2
	v_lshl_or_b32 v5, v2, 2, 64
	v_cmp_gt_u32_e32 vcc_lo, 24, v2
	s_wait_loadcnt 0x0
	ds_bpermute_b32 v5, v5, v4
	v_cndmask_b32_e64 v6, 0, 8, vcc_lo
	v_cmp_gt_u32_e32 vcc_lo, 28, v2
	s_delay_alu instid0(VALU_DEP_2)
	v_add_lshl_u32 v6, v6, v2, 2
	s_wait_dscnt 0x0
	v_add_nc_u32_e32 v4, v5, v4
	ds_bpermute_b32 v5, v6, v4
	v_cndmask_b32_e64 v6, 0, 4, vcc_lo
	v_cmp_gt_u32_e32 vcc_lo, 30, v2
	s_delay_alu instid0(VALU_DEP_2)
	v_add_lshl_u32 v6, v6, v2, 2
	s_wait_dscnt 0x0
	v_add_nc_u32_e32 v4, v5, v4
	ds_bpermute_b32 v5, v6, v4
	v_cndmask_b32_e64 v6, 0, 2, vcc_lo
	v_cmp_ne_u32_e32 vcc_lo, 31, v2
	s_delay_alu instid0(VALU_DEP_2)
	v_add_lshl_u32 v6, v6, v2, 2
	s_wait_dscnt 0x0
	v_add_nc_u32_e32 v4, v5, v4
	ds_bpermute_b32 v5, v6, v4
	v_add_co_ci_u32_e64 v6, null, 0, v2, vcc_lo
	s_wait_dscnt 0x0
	s_delay_alu instid0(VALU_DEP_1)
	v_dual_add_nc_u32 v4, v5, v4 :: v_dual_lshlrev_b32 v5, 2, v6
	ds_bpermute_b32 v5, v5, v4
	s_wait_dscnt 0x0
	v_add_nc_u32_e32 v4, v5, v4
.LBB106_40:
	s_or_b32 exec_lo, exec_lo, s0
	v_and_b32_e32 v5, 31, v0
	s_mov_b32 s0, exec_lo
	s_delay_alu instid0(VALU_DEP_1)
	v_cmpx_eq_u32_e32 0, v5
; %bb.41:
	v_lshlrev_b32_e32 v3, 2, v3
	ds_store_b32 v3, v4 offset:2080
; %bb.42:
	s_or_b32 exec_lo, exec_lo, s0
	s_wait_dscnt 0x0
	s_barrier_signal -1
	s_barrier_wait -1
	s_and_saveexec_b32 s0, s3
	s_cbranch_execz .LBB106_49
; %bb.43:
	v_mov_b32_e32 v3, 0
	s_mov_b32 s0, exec_lo
	v_cmpx_gt_u32_e32 8, v0
; %bb.44:
	ds_load_b32 v3, v1 offset:2080
; %bb.45:
	s_or_b32 exec_lo, exec_lo, s0
	v_cmp_gt_u32_e32 vcc_lo, 28, v2
	s_mov_b32 s0, exec_lo
	v_cndmask_b32_e64 v1, 0, 4, vcc_lo
	v_cmp_gt_u32_e32 vcc_lo, 30, v2
	s_delay_alu instid0(VALU_DEP_2)
	v_add_lshl_u32 v1, v1, v2, 2
	v_cndmask_b32_e64 v4, 0, 2, vcc_lo
	v_cmp_ne_u32_e32 vcc_lo, 31, v2
	s_wait_dscnt 0x0
	ds_bpermute_b32 v1, v1, v3
	v_add_lshl_u32 v4, v4, v2, 2
	v_add_co_ci_u32_e64 v2, null, 0, v2, vcc_lo
	s_wait_dscnt 0x0
	s_delay_alu instid0(VALU_DEP_1)
	v_dual_lshlrev_b32 v2, 2, v2 :: v_dual_add_nc_u32 v1, v1, v3
	ds_bpermute_b32 v3, v4, v1
	s_wait_dscnt 0x0
	v_add_nc_u32_e32 v1, v3, v1
	ds_bpermute_b32 v2, v2, v1
	v_cmpx_eq_u32_e32 0, v0
	s_cbranch_execz .LBB106_47
; %bb.46:
	v_mov_b32_e32 v3, 0
	s_lshl_b64 s[2:3], s[20:21], 2
	s_wait_kmcnt 0x0
	s_add_nc_u64 s[2:3], s[4:5], s[2:3]
	global_load_b32 v4, v3, s[2:3]
	s_wait_loadcnt_dscnt 0x0
	v_add3_u32 v1, v2, v1, v4
	global_store_b32 v3, v1, s[2:3]
.LBB106_47:
	s_wait_xcnt 0x0
	s_or_b32 exec_lo, exec_lo, s0
	v_or_b32_e32 v0, s17, v0
	s_delay_alu instid0(VALU_DEP_1)
	v_cmp_eq_u32_e32 vcc_lo, 0, v0
	s_and_b32 exec_lo, exec_lo, vcc_lo
	s_cbranch_execz .LBB106_49
; %bb.48:
	v_mov_b32_e32 v0, 0
	s_lshl_b32 s0, s20, 8
	s_mov_b32 s1, 0
	s_delay_alu instid0(SALU_CYCLE_1)
	s_lshl_b64 s[0:1], s[0:1], 1
	ds_load_b32 v1, v0 offset:2112
	s_add_nc_u64 s[0:1], s[14:15], s[0:1]
	s_wait_dscnt 0x0
	v_and_b32_e32 v1, 0xff, v1
	global_load_i16 v1, v1, s[0:1] scale_offset
	s_wait_xcnt 0x0
	s_lshl_b64 s[0:1], s[20:21], 2
	s_wait_kmcnt 0x0
	s_add_nc_u64 s[0:1], s[24:25], s[0:1]
	s_wait_loadcnt 0x0
	global_store_b32 v0, v1, s[0:1]
.LBB106_49:
	s_endpgm
.LBB106_50:
	s_cbranch_execnz .LBB106_15
	s_branch .LBB106_16
	.section	.rodata,"a",@progbits
	.p2align	6, 0x0
	.amdhsa_kernel _ZN2at6native6mbtopk29computeBlockwiseWithinKCountsIjN3c108BFloat16EEEvPT_PsPjjibS8_PT0_S8_S6_S8_j
		.amdhsa_group_segment_fixed_size 2116
		.amdhsa_private_segment_fixed_size 0
		.amdhsa_kernarg_size 344
		.amdhsa_user_sgpr_count 2
		.amdhsa_user_sgpr_dispatch_ptr 0
		.amdhsa_user_sgpr_queue_ptr 0
		.amdhsa_user_sgpr_kernarg_segment_ptr 1
		.amdhsa_user_sgpr_dispatch_id 0
		.amdhsa_user_sgpr_kernarg_preload_length 0
		.amdhsa_user_sgpr_kernarg_preload_offset 0
		.amdhsa_user_sgpr_private_segment_size 0
		.amdhsa_wavefront_size32 1
		.amdhsa_uses_dynamic_stack 0
		.amdhsa_enable_private_segment 0
		.amdhsa_system_sgpr_workgroup_id_x 1
		.amdhsa_system_sgpr_workgroup_id_y 1
		.amdhsa_system_sgpr_workgroup_id_z 1
		.amdhsa_system_sgpr_workgroup_info 0
		.amdhsa_system_vgpr_workitem_id 0
		.amdhsa_next_free_vgpr 15
		.amdhsa_next_free_sgpr 27
		.amdhsa_named_barrier_count 0
		.amdhsa_reserve_vcc 1
		.amdhsa_float_round_mode_32 0
		.amdhsa_float_round_mode_16_64 0
		.amdhsa_float_denorm_mode_32 3
		.amdhsa_float_denorm_mode_16_64 3
		.amdhsa_fp16_overflow 0
		.amdhsa_memory_ordered 1
		.amdhsa_forward_progress 1
		.amdhsa_inst_pref_size 22
		.amdhsa_round_robin_scheduling 0
		.amdhsa_exception_fp_ieee_invalid_op 0
		.amdhsa_exception_fp_denorm_src 0
		.amdhsa_exception_fp_ieee_div_zero 0
		.amdhsa_exception_fp_ieee_overflow 0
		.amdhsa_exception_fp_ieee_underflow 0
		.amdhsa_exception_fp_ieee_inexact 0
		.amdhsa_exception_int_div_zero 0
	.end_amdhsa_kernel
	.section	.text._ZN2at6native6mbtopk29computeBlockwiseWithinKCountsIjN3c108BFloat16EEEvPT_PsPjjibS8_PT0_S8_S6_S8_j,"axG",@progbits,_ZN2at6native6mbtopk29computeBlockwiseWithinKCountsIjN3c108BFloat16EEEvPT_PsPjjibS8_PT0_S8_S6_S8_j,comdat
.Lfunc_end106:
	.size	_ZN2at6native6mbtopk29computeBlockwiseWithinKCountsIjN3c108BFloat16EEEvPT_PsPjjibS8_PT0_S8_S6_S8_j, .Lfunc_end106-_ZN2at6native6mbtopk29computeBlockwiseWithinKCountsIjN3c108BFloat16EEEvPT_PsPjjibS8_PT0_S8_S6_S8_j
                                        ; -- End function
	.set _ZN2at6native6mbtopk29computeBlockwiseWithinKCountsIjN3c108BFloat16EEEvPT_PsPjjibS8_PT0_S8_S6_S8_j.num_vgpr, 15
	.set _ZN2at6native6mbtopk29computeBlockwiseWithinKCountsIjN3c108BFloat16EEEvPT_PsPjjibS8_PT0_S8_S6_S8_j.num_agpr, 0
	.set _ZN2at6native6mbtopk29computeBlockwiseWithinKCountsIjN3c108BFloat16EEEvPT_PsPjjibS8_PT0_S8_S6_S8_j.numbered_sgpr, 27
	.set _ZN2at6native6mbtopk29computeBlockwiseWithinKCountsIjN3c108BFloat16EEEvPT_PsPjjibS8_PT0_S8_S6_S8_j.num_named_barrier, 0
	.set _ZN2at6native6mbtopk29computeBlockwiseWithinKCountsIjN3c108BFloat16EEEvPT_PsPjjibS8_PT0_S8_S6_S8_j.private_seg_size, 0
	.set _ZN2at6native6mbtopk29computeBlockwiseWithinKCountsIjN3c108BFloat16EEEvPT_PsPjjibS8_PT0_S8_S6_S8_j.uses_vcc, 1
	.set _ZN2at6native6mbtopk29computeBlockwiseWithinKCountsIjN3c108BFloat16EEEvPT_PsPjjibS8_PT0_S8_S6_S8_j.uses_flat_scratch, 0
	.set _ZN2at6native6mbtopk29computeBlockwiseWithinKCountsIjN3c108BFloat16EEEvPT_PsPjjibS8_PT0_S8_S6_S8_j.has_dyn_sized_stack, 0
	.set _ZN2at6native6mbtopk29computeBlockwiseWithinKCountsIjN3c108BFloat16EEEvPT_PsPjjibS8_PT0_S8_S6_S8_j.has_recursion, 0
	.set _ZN2at6native6mbtopk29computeBlockwiseWithinKCountsIjN3c108BFloat16EEEvPT_PsPjjibS8_PT0_S8_S6_S8_j.has_indirect_call, 0
	.section	.AMDGPU.csdata,"",@progbits
; Kernel info:
; codeLenInByte = 2736
; TotalNumSgprs: 29
; NumVgprs: 15
; ScratchSize: 0
; MemoryBound: 0
; FloatMode: 240
; IeeeMode: 1
; LDSByteSize: 2116 bytes/workgroup (compile time only)
; SGPRBlocks: 0
; VGPRBlocks: 0
; NumSGPRsForWavesPerEU: 29
; NumVGPRsForWavesPerEU: 15
; NamedBarCnt: 0
; Occupancy: 16
; WaveLimiterHint : 1
; COMPUTE_PGM_RSRC2:SCRATCH_EN: 0
; COMPUTE_PGM_RSRC2:USER_SGPR: 2
; COMPUTE_PGM_RSRC2:TRAP_HANDLER: 0
; COMPUTE_PGM_RSRC2:TGID_X_EN: 1
; COMPUTE_PGM_RSRC2:TGID_Y_EN: 1
; COMPUTE_PGM_RSRC2:TGID_Z_EN: 1
; COMPUTE_PGM_RSRC2:TIDIG_COMP_CNT: 0
	.section	.text._ZN2at6native6mbtopk10gatherTopKIN3c108BFloat16EjLi1EEEvNS_4cuda6detail10TensorInfoIKT_T0_EESA_SA_bjSA_NS7_IS8_SA_EESA_NS7_IlSA_EESA_jjPS8_PjSF_j,"axG",@progbits,_ZN2at6native6mbtopk10gatherTopKIN3c108BFloat16EjLi1EEEvNS_4cuda6detail10TensorInfoIKT_T0_EESA_SA_bjSA_NS7_IS8_SA_EESA_NS7_IlSA_EESA_jjPS8_PjSF_j,comdat
	.protected	_ZN2at6native6mbtopk10gatherTopKIN3c108BFloat16EjLi1EEEvNS_4cuda6detail10TensorInfoIKT_T0_EESA_SA_bjSA_NS7_IS8_SA_EESA_NS7_IlSA_EESA_jjPS8_PjSF_j ; -- Begin function _ZN2at6native6mbtopk10gatherTopKIN3c108BFloat16EjLi1EEEvNS_4cuda6detail10TensorInfoIKT_T0_EESA_SA_bjSA_NS7_IS8_SA_EESA_NS7_IlSA_EESA_jjPS8_PjSF_j
	.globl	_ZN2at6native6mbtopk10gatherTopKIN3c108BFloat16EjLi1EEEvNS_4cuda6detail10TensorInfoIKT_T0_EESA_SA_bjSA_NS7_IS8_SA_EESA_NS7_IlSA_EESA_jjPS8_PjSF_j
	.p2align	8
	.type	_ZN2at6native6mbtopk10gatherTopKIN3c108BFloat16EjLi1EEEvNS_4cuda6detail10TensorInfoIKT_T0_EESA_SA_bjSA_NS7_IS8_SA_EESA_NS7_IlSA_EESA_jjPS8_PjSF_j,@function
_ZN2at6native6mbtopk10gatherTopKIN3c108BFloat16EjLi1EEEvNS_4cuda6detail10TensorInfoIKT_T0_EESA_SA_bjSA_NS7_IS8_SA_EESA_NS7_IlSA_EESA_jjPS8_PjSF_j: ; @_ZN2at6native6mbtopk10gatherTopKIN3c108BFloat16EjLi1EEEvNS_4cuda6detail10TensorInfoIKT_T0_EESA_SA_bjSA_NS7_IS8_SA_EESA_NS7_IlSA_EESA_jjPS8_PjSF_j
; %bb.0:
	s_bfe_u32 s2, ttmp6, 0x40010
	s_and_b32 s4, ttmp7, 0xffff
	s_add_co_i32 s5, s2, 1
	s_clause 0x1
	s_load_b32 s6, s[0:1], 0x2d0
	s_load_b64 s[2:3], s[0:1], 0x2d8
	s_bfe_u32 s8, ttmp6, 0x4000c
	s_mul_i32 s5, s4, s5
	s_bfe_u32 s7, ttmp6, 0x40004
	s_add_co_i32 s8, s8, 1
	s_bfe_u32 s9, ttmp6, 0x40014
	s_add_co_i32 s7, s7, s5
	s_and_b32 s5, ttmp6, 15
	s_mul_i32 s8, ttmp9, s8
	s_lshr_b32 s10, ttmp7, 16
	s_add_co_i32 s9, s9, 1
	s_add_co_i32 s5, s5, s8
	s_mul_i32 s8, s10, s9
	s_bfe_u32 s9, ttmp6, 0x40008
	s_getreg_b32 s11, hwreg(HW_REG_IB_STS2, 6, 4)
	s_add_co_i32 s9, s9, s8
	s_cmp_eq_u32 s11, 0
	s_cselect_b32 s8, s10, s9
	s_cselect_b32 s4, s4, s7
	s_wait_kmcnt 0x0
	s_mul_i32 s3, s3, s8
	s_cselect_b32 s5, ttmp9, s5
	s_add_co_i32 s3, s3, s4
	s_delay_alu instid0(SALU_CYCLE_1) | instskip(NEXT) | instid1(SALU_CYCLE_1)
	s_mul_i32 s8, s3, s2
	s_add_co_i32 s8, s8, s5
	s_delay_alu instid0(SALU_CYCLE_1)
	s_cmp_ge_u32 s8, s6
	s_cbranch_scc1 .LBB107_40
; %bb.1:
	s_clause 0x1
	s_load_b96 s[12:14], s[0:1], 0x2a8
	s_load_b128 s[4:7], s[0:1], 0x2b8
	s_wait_kmcnt 0x0
	s_cvt_f32_u32 s2, s14
	s_sub_co_i32 s3, 0, s14
	s_delay_alu instid0(SALU_CYCLE_2) | instskip(SKIP_1) | instid1(TRANS32_DEP_1)
	v_rcp_iflag_f32_e32 v1, s2
	v_nop
	v_readfirstlane_b32 s2, v1
	s_mul_f32 s2, s2, 0x4f7ffffe
	s_delay_alu instid0(SALU_CYCLE_3) | instskip(NEXT) | instid1(SALU_CYCLE_3)
	s_cvt_u32_f32 s2, s2
	s_mul_i32 s3, s3, s2
	s_delay_alu instid0(SALU_CYCLE_1) | instskip(NEXT) | instid1(SALU_CYCLE_1)
	s_mul_hi_u32 s3, s2, s3
	s_add_co_i32 s2, s2, s3
	s_delay_alu instid0(SALU_CYCLE_1) | instskip(NEXT) | instid1(SALU_CYCLE_1)
	s_mul_hi_u32 s2, s8, s2
	s_mul_i32 s3, s2, s14
	s_add_co_i32 s9, s2, 1
	s_sub_co_i32 s3, s8, s3
	s_delay_alu instid0(SALU_CYCLE_1)
	s_sub_co_i32 s10, s3, s14
	s_cmp_ge_u32 s3, s14
	s_cselect_b32 s2, s9, s2
	s_cselect_b32 s3, s10, s3
	s_add_co_i32 s9, s2, 1
	s_cmp_ge_u32 s3, s14
	v_cmp_eq_u32_e64 s3, 0, v0
	s_cselect_b32 s24, s9, s2
	v_cmp_ne_u32_e64 s2, 0, v0
	v_mov_b32_e32 v1, s24
	global_load_u16 v1, v1, s[4:5] scale_offset
	s_wait_xcnt 0x0
	s_mul_i32 s4, s24, s14
	s_delay_alu instid0(SALU_CYCLE_1)
	s_sub_co_i32 s25, s8, s4
	s_wait_loadcnt 0x0
	v_readfirstlane_b32 s15, v1
	s_and_saveexec_b32 s26, s3
	s_cbranch_execz .LBB107_17
; %bb.2:
	s_load_b64 s[18:19], s[0:1], 0x2c8
	s_mov_b32 s5, 0
	s_delay_alu instid0(SALU_CYCLE_1)
	s_lshl_b64 s[20:21], s[4:5], 2
	s_cmp_lt_u32 s14, 4
	s_cbranch_scc1 .LBB107_14
; %bb.3:
	s_mov_b64 s[16:17], 0
	s_mov_b32 s4, 0
.LBB107_4:                              ; =>This Inner Loop Header: Depth=1
	s_add_nc_u64 s[22:23], s[6:7], s[20:21]
	s_cmp_ge_u32 s4, s25
	s_load_b128 s[8:11], s[22:23], 0x0
	s_wait_kmcnt 0x0
	s_add_nc_u64 s[22:23], s[18:19], s[20:21]
	s_cbranch_scc0 .LBB107_11
; %bb.5:                                ;   in Loop: Header=BB107_4 Depth=1
	s_add_co_i32 s27, s4, 1
	s_delay_alu instid0(SALU_CYCLE_1)
	s_cmp_ge_u32 s27, s25
	s_cbranch_scc0 .LBB107_12
.LBB107_6:                              ;   in Loop: Header=BB107_4 Depth=1
	s_add_co_i32 s27, s27, 1
	s_delay_alu instid0(SALU_CYCLE_1)
	s_cmp_ge_u32 s27, s25
	s_cbranch_scc0 .LBB107_13
.LBB107_7:                              ;   in Loop: Header=BB107_4 Depth=1
	s_add_co_i32 s27, s27, 1
	s_delay_alu instid0(SALU_CYCLE_1)
	s_cmp_ge_u32 s27, s25
	s_cbranch_scc1 .LBB107_9
.LBB107_8:                              ;   in Loop: Header=BB107_4 Depth=1
	s_load_b32 s22, s[22:23], 0xc
	s_add_co_i32 s17, s11, s17
	s_wait_kmcnt 0x0
	s_add_co_i32 s16, s22, s16
.LBB107_9:                              ;   in Loop: Header=BB107_4 Depth=1
	s_add_co_i32 s5, s8, s5
	s_add_co_i32 s8, s27, 1
	;; [unrolled: 1-line block ×5, first 2 shown]
	s_add_nc_u64 s[6:7], s[6:7], 16
	s_add_co_i32 s5, s5, s11
	s_cmp_ge_u32 s9, s14
	s_add_nc_u64 s[18:19], s[18:19], 16
	s_cbranch_scc1 .LBB107_15
; %bb.10:                               ;   in Loop: Header=BB107_4 Depth=1
	s_mov_b32 s4, s8
	s_branch .LBB107_4
.LBB107_11:                             ;   in Loop: Header=BB107_4 Depth=1
	s_load_b32 s27, s[22:23], 0x0
	s_add_co_i32 s17, s8, s17
	s_wait_kmcnt 0x0
	s_add_co_i32 s16, s27, s16
	s_add_co_i32 s27, s4, 1
	s_delay_alu instid0(SALU_CYCLE_1)
	s_cmp_ge_u32 s27, s25
	s_cbranch_scc1 .LBB107_6
.LBB107_12:                             ;   in Loop: Header=BB107_4 Depth=1
	s_load_b32 s28, s[22:23], 0x4
	s_add_co_i32 s17, s9, s17
	s_wait_kmcnt 0x0
	s_add_co_i32 s16, s28, s16
	s_add_co_i32 s27, s27, 1
	s_delay_alu instid0(SALU_CYCLE_1)
	s_cmp_ge_u32 s27, s25
	s_cbranch_scc1 .LBB107_7
.LBB107_13:                             ;   in Loop: Header=BB107_4 Depth=1
	s_load_b32 s28, s[22:23], 0x8
	s_add_co_i32 s17, s10, s17
	s_wait_kmcnt 0x0
	s_add_co_i32 s16, s28, s16
	s_add_co_i32 s27, s27, 1
	s_delay_alu instid0(SALU_CYCLE_1)
	s_cmp_ge_u32 s27, s25
	s_cbranch_scc0 .LBB107_8
	s_branch .LBB107_9
.LBB107_14:
	s_mov_b64 s[16:17], 0
	s_add_nc_u64 s[6:7], s[6:7], s[20:21]
	s_wait_kmcnt 0x0
	s_add_nc_u64 s[8:9], s[18:19], s[20:21]
	s_mov_b32 s4, 0
	s_delay_alu instid0(SALU_CYCLE_1)
	s_cmp_ge_u32 s4, s14
	s_cbranch_scc0 .LBB107_38
	s_branch .LBB107_16
.LBB107_15:
	s_add_co_i32 s4, s4, 4
	s_add_nc_u64 s[8:9], s[18:19], s[20:21]
	s_add_nc_u64 s[6:7], s[6:7], s[20:21]
	s_cmp_ge_u32 s4, s14
	s_cbranch_scc0 .LBB107_38
.LBB107_16:
	v_dual_mov_b32 v2, s16 :: v_dual_mov_b32 v3, s5
	v_dual_mov_b32 v4, s17 :: v_dual_mov_b32 v1, 0
	ds_store_b96 v1, v[2:4] offset:1056
.LBB107_17:
	s_or_b32 exec_lo, exec_lo, s26
	s_clause 0x6
	s_load_b32 s20, s[0:1], 0x23c
	s_load_b64 s[16:17], s[0:1], 0x1d0
	s_load_b32 s21, s[0:1], 0x15c
	s_load_b64 s[10:11], s[0:1], 0xf0
	;; [unrolled: 2-line block ×3, first 2 shown]
	s_load_b96 s[4:6], s[0:1], 0xd8
	s_mul_i32 s7, s13, s25
	s_mov_b32 s19, 0
	s_lshl_b32 s7, s7, 8
	s_add_co_i32 s25, s25, 1
	s_wait_dscnt 0x0
	s_barrier_signal -1
	s_barrier_wait -1
	s_wait_kmcnt 0x0
	s_sub_co_i32 s18, s4, s7
	s_delay_alu instid0(SALU_CYCLE_1) | instskip(NEXT) | instid1(SALU_CYCLE_1)
	s_add_nc_u64 s[26:27], s[18:19], 0xff
	s_lshr_b64 s[26:27], s[26:27], 8
	s_cmp_lt_u32 s25, s14
	s_cselect_b32 s13, s13, s26
	s_delay_alu instid0(SALU_CYCLE_1)
	s_cmp_eq_u32 s13, 0
	s_cbranch_scc1 .LBB107_40
; %bb.18:
	v_dual_mov_b32 v7, 0 :: v_dual_lshrrev_b32 v1, 3, v0
	s_mul_i32 s18, s24, s22
	s_mul_i32 s22, s24, s21
	s_mov_b32 s23, s19
	ds_load_b96 v[2:4], v7 offset:1056
	s_mul_i32 s20, s24, s20
	s_lshl_b64 s[24:25], s[18:19], 1
	s_mov_b32 s21, s19
	s_lshl_b64 s[18:19], s[22:23], 1
	s_load_b32 s23, s[0:1], 0xe8
	s_sext_i32_i16 s14, s15
	s_lshl_b64 s[20:21], s[20:21], 3
	s_and_b32 s22, 0xffff, s15
	s_cmp_gt_i32 s14, -1
	s_mov_b32 s14, 0x8000
	v_dual_add_nc_u32 v5, -1, v0 :: v_dual_bitop2_b32 v6, 28, v1 bitop3:0x40
	s_cselect_b32 s14, s14, 0xffff
	s_lshl_b32 s15, s15, 16
	s_xor_b32 s14, s14, s22
	s_cmp_o_f32 s15, s15
	s_load_b32 s15, s[0:1], 0x1c8
	v_lshrrev_b32_e32 v8, 3, v5
	v_and_b32_e32 v9, 0xfc, v0
	s_wait_dscnt 0x0
	v_add_nc_u32_e32 v1, v2, v3
	v_lshl_add_u32 v2, v0, 2, v6
	v_dual_add_nc_u32 v6, s7, v0 :: v_dual_lshlrev_b32 v10, 5, v0
	s_wait_xcnt 0x0
	v_cmp_gt_u32_e64 s0, 32, v0
	v_and_b32_e32 v8, 0x1ffffffc, v8
	v_mbcnt_lo_u32_b32 v3, -1, 0
	s_wait_kmcnt 0x0
	v_mul_lo_u32 v0, s23, v6
	v_mov_b32_e32 v12, 0x8000
	s_cselect_b32 s14, s14, 0xffff
	v_lshl_add_u32 v5, v5, 2, v8
	v_dual_add_nc_u32 v8, v9, v10 :: v_dual_bitop2_b32 v9, 15, v3 bitop3:0x40
	v_bfe_i32 v10, v3, 4, 1
	v_add_nc_u32_e32 v11, -1, v3
	s_bitcmp1_b32 s6, 0
	s_add_nc_u64 s[8:9], s[8:9], s[24:25]
	s_add_nc_u64 s[10:11], s[10:11], s[18:19]
	;; [unrolled: 1-line block ×3, first 2 shown]
	s_cselect_b32 s1, -1, 0
	s_lshl_b32 s16, s23, 8
                                        ; implicit-def: $vgpr13
	s_branch .LBB107_21
.LBB107_19:                             ;   in Loop: Header=BB107_21 Depth=1
	s_wait_xcnt 0x0
	s_or_b32 exec_lo, exec_lo, s17
	v_add_nc_u32_e32 v1, v16, v1
.LBB107_20:                             ;   in Loop: Header=BB107_21 Depth=1
	v_add_nc_u32_e32 v4, v15, v4
	v_add_nc_u32_e32 v0, s16, v0
	v_add_nc_u32_e32 v6, 0x100, v6
	s_add_co_i32 s13, s13, -1
	s_delay_alu instid0(SALU_CYCLE_1)
	s_cmp_lg_u32 s13, 0
	s_cbranch_scc0 .LBB107_40
.LBB107_21:                             ; =>This Inner Loop Header: Depth=1
	v_dual_mov_b32 v16, 0 :: v_dual_mov_b32 v14, 0
	s_mov_b32 s17, exec_lo
	v_cmpx_gt_u32_e64 s4, v6
	s_cbranch_execz .LBB107_23
; %bb.22:                               ;   in Loop: Header=BB107_21 Depth=1
	global_load_u16 v13, v0, s[8:9] scale_offset
	s_wait_loadcnt 0x0
	v_cmp_lt_i16_e32 vcc_lo, -1, v13
	v_and_b32_e32 v14, 0xffff, v13
	v_dual_cndmask_b32 v15, 0xffff, v12 :: v_dual_lshlrev_b32 v16, 16, v13
	s_delay_alu instid0(VALU_DEP_1) | instskip(NEXT) | instid1(VALU_DEP_2)
	v_cmp_o_f32_e32 vcc_lo, v16, v16
	v_xor_b32_e32 v14, v15, v14
	s_delay_alu instid0(VALU_DEP_1) | instskip(NEXT) | instid1(VALU_DEP_1)
	v_cndmask_b32_e32 v14, 0xffff, v14, vcc_lo
	v_cmp_lt_u32_e32 vcc_lo, s14, v14
	v_cndmask_b32_e64 v15, 0, 1, vcc_lo
	v_cmp_gt_u32_e32 vcc_lo, s14, v14
	v_cndmask_b32_e64 v16, 0, 1, vcc_lo
	v_cmp_eq_u32_e32 vcc_lo, s14, v14
	s_delay_alu instid0(VALU_DEP_2) | instskip(SKIP_1) | instid1(VALU_DEP_2)
	v_cndmask_b32_e64 v15, v16, v15, s1
	v_cndmask_b32_e64 v14, 0, 1, vcc_lo
	v_and_b32_e32 v16, 1, v15
.LBB107_23:                             ;   in Loop: Header=BB107_21 Depth=1
	s_wait_xcnt 0x0
	s_or_b32 exec_lo, exec_lo, s17
	ds_store_b32 v2, v16
	s_wait_dscnt 0x0
	s_barrier_signal -1
	s_barrier_wait -1
	s_and_saveexec_b32 s17, s0
	s_cbranch_execz .LBB107_25
; %bb.24:                               ;   in Loop: Header=BB107_21 Depth=1
	ds_load_2addr_b32 v[18:19], v8 offset1:1
	ds_load_2addr_b32 v[20:21], v8 offset0:2 offset1:3
	ds_load_2addr_b32 v[22:23], v8 offset0:4 offset1:5
	;; [unrolled: 1-line block ×3, first 2 shown]
	v_cmp_ne_u32_e32 vcc_lo, 0, v9
	; wave barrier
	s_wait_dscnt 0x3
	v_add_nc_u32_e32 v15, v19, v18
	s_wait_dscnt 0x2
	s_delay_alu instid0(VALU_DEP_1) | instskip(SKIP_1) | instid1(VALU_DEP_1)
	v_add3_u32 v15, v15, v20, v21
	s_wait_dscnt 0x1
	v_add3_u32 v15, v15, v22, v23
	s_wait_dscnt 0x0
	s_delay_alu instid0(VALU_DEP_1) | instskip(NEXT) | instid1(VALU_DEP_1)
	v_add3_u32 v15, v15, v24, v25
	v_mov_b32_dpp v17, v15 row_shr:1 row_mask:0xf bank_mask:0xf
	s_delay_alu instid0(VALU_DEP_1) | instskip(SKIP_1) | instid1(VALU_DEP_2)
	v_cndmask_b32_e32 v17, 0, v17, vcc_lo
	v_cmp_lt_u32_e32 vcc_lo, 1, v9
	v_add_nc_u32_e32 v15, v17, v15
	s_delay_alu instid0(VALU_DEP_1) | instskip(NEXT) | instid1(VALU_DEP_1)
	v_mov_b32_dpp v17, v15 row_shr:2 row_mask:0xf bank_mask:0xf
	v_cndmask_b32_e32 v17, 0, v17, vcc_lo
	v_cmp_lt_u32_e32 vcc_lo, 3, v9
	s_delay_alu instid0(VALU_DEP_2) | instskip(NEXT) | instid1(VALU_DEP_1)
	v_add_nc_u32_e32 v15, v15, v17
	v_mov_b32_dpp v17, v15 row_shr:4 row_mask:0xf bank_mask:0xf
	s_delay_alu instid0(VALU_DEP_1) | instskip(SKIP_1) | instid1(VALU_DEP_2)
	v_cndmask_b32_e32 v17, 0, v17, vcc_lo
	v_cmp_lt_u32_e32 vcc_lo, 7, v9
	v_add_nc_u32_e32 v15, v15, v17
	s_delay_alu instid0(VALU_DEP_1) | instskip(NEXT) | instid1(VALU_DEP_1)
	v_mov_b32_dpp v17, v15 row_shr:8 row_mask:0xf bank_mask:0xf
	v_cndmask_b32_e32 v17, 0, v17, vcc_lo
	v_cmp_gt_i32_e32 vcc_lo, 0, v11
	s_delay_alu instid0(VALU_DEP_2) | instskip(SKIP_4) | instid1(VALU_DEP_1)
	v_add_nc_u32_e32 v15, v15, v17
	v_cndmask_b32_e32 v19, v11, v3, vcc_lo
	ds_swizzle_b32 v17, v15 offset:swizzle(BROADCAST,32,15)
	s_wait_dscnt 0x0
	v_dual_lshlrev_b32 v19, 2, v19 :: v_dual_bitop2_b32 v17, v10, v17 bitop3:0x40
	v_add_nc_u32_e32 v15, v15, v17
	ds_bpermute_b32 v15, v19, v15
	s_wait_dscnt 0x0
	v_add_nc_u32_e32 v15, v15, v18
	s_delay_alu instid0(VALU_DEP_1)
	v_cndmask_b32_e64 v15, v15, v16, s3
	ds_store_b32 v8, v15
	; wave barrier
	ds_load_2addr_b32 v[18:19], v8 offset0:1 offset1:2
	ds_load_2addr_b32 v[20:21], v8 offset0:3 offset1:4
	ds_load_2addr_b32 v[22:23], v8 offset0:5 offset1:6
	ds_load_b32 v17, v8 offset:28
	s_wait_dscnt 0x3
	v_add_nc_u32_e32 v15, v18, v15
	s_delay_alu instid0(VALU_DEP_1) | instskip(SKIP_1) | instid1(VALU_DEP_1)
	v_add_nc_u32_e32 v18, v19, v15
	s_wait_dscnt 0x2
	v_add_nc_u32_e32 v19, v20, v18
	s_delay_alu instid0(VALU_DEP_1) | instskip(SKIP_1) | instid1(VALU_DEP_1)
	v_add_nc_u32_e32 v20, v21, v19
	;; [unrolled: 4-line block ×3, first 2 shown]
	s_wait_dscnt 0x0
	v_add_nc_u32_e32 v17, v17, v22
	ds_store_2addr_b32 v8, v15, v18 offset0:1 offset1:2
	ds_store_2addr_b32 v8, v19, v20 offset0:3 offset1:4
	ds_store_2addr_b32 v8, v21, v22 offset0:5 offset1:6
	ds_store_b32 v8, v17 offset:28
.LBB107_25:                             ;   in Loop: Header=BB107_21 Depth=1
	s_or_b32 exec_lo, exec_lo, s17
	v_mov_b32_e32 v17, 0
	s_wait_dscnt 0x0
	s_barrier_signal -1
	s_barrier_wait -1
	s_and_saveexec_b32 s17, s2
; %bb.26:                               ;   in Loop: Header=BB107_21 Depth=1
	ds_load_b32 v17, v5
; %bb.27:                               ;   in Loop: Header=BB107_21 Depth=1
	s_or_b32 exec_lo, exec_lo, s17
	ds_load_b32 v15, v7 offset:1048
	s_mov_b32 s17, exec_lo
	s_wait_dscnt 0x0
	s_barrier_signal -1
	s_barrier_wait -1
	v_cmpx_ne_u32_e32 0, v16
	s_cbranch_execz .LBB107_29
; %bb.28:                               ;   in Loop: Header=BB107_21 Depth=1
	v_add_nc_u32_e32 v16, v17, v4
	s_delay_alu instid0(VALU_DEP_1)
	v_mul_lo_u32 v17, v16, s15
	v_mul_lo_u32 v16, v16, s12
	global_store_b16 v17, v13, s[10:11] scale_offset
	global_store_b64 v16, v[6:7], s[6:7] scale_offset
.LBB107_29:                             ;   in Loop: Header=BB107_21 Depth=1
	s_wait_xcnt 0x0
	s_or_b32 exec_lo, exec_lo, s17
	v_cmp_le_u32_e32 vcc_lo, s5, v1
	s_cbranch_vccnz .LBB107_20
; %bb.30:                               ;   in Loop: Header=BB107_21 Depth=1
	ds_store_b32 v2, v14
	s_wait_storecnt_dscnt 0x0
	s_barrier_signal -1
	s_barrier_wait -1
	s_and_saveexec_b32 s17, s0
	s_cbranch_execz .LBB107_32
; %bb.31:                               ;   in Loop: Header=BB107_21 Depth=1
	ds_load_2addr_b32 v[16:17], v8 offset1:1
	ds_load_2addr_b32 v[18:19], v8 offset0:2 offset1:3
	ds_load_2addr_b32 v[20:21], v8 offset0:4 offset1:5
	;; [unrolled: 1-line block ×3, first 2 shown]
	v_cmp_ne_u32_e32 vcc_lo, 0, v9
	; wave barrier
	s_wait_dscnt 0x3
	v_add_nc_u32_e32 v17, v17, v16
	s_wait_dscnt 0x2
	s_delay_alu instid0(VALU_DEP_1) | instskip(SKIP_1) | instid1(VALU_DEP_1)
	v_add3_u32 v17, v17, v18, v19
	s_wait_dscnt 0x1
	v_add3_u32 v17, v17, v20, v21
	s_wait_dscnt 0x0
	s_delay_alu instid0(VALU_DEP_1) | instskip(NEXT) | instid1(VALU_DEP_1)
	v_add3_u32 v17, v17, v22, v23
	v_mov_b32_dpp v18, v17 row_shr:1 row_mask:0xf bank_mask:0xf
	s_delay_alu instid0(VALU_DEP_1) | instskip(SKIP_1) | instid1(VALU_DEP_2)
	v_cndmask_b32_e32 v18, 0, v18, vcc_lo
	v_cmp_lt_u32_e32 vcc_lo, 1, v9
	v_add_nc_u32_e32 v17, v18, v17
	s_delay_alu instid0(VALU_DEP_1) | instskip(NEXT) | instid1(VALU_DEP_1)
	v_mov_b32_dpp v18, v17 row_shr:2 row_mask:0xf bank_mask:0xf
	v_cndmask_b32_e32 v18, 0, v18, vcc_lo
	v_cmp_lt_u32_e32 vcc_lo, 3, v9
	s_delay_alu instid0(VALU_DEP_2) | instskip(NEXT) | instid1(VALU_DEP_1)
	v_add_nc_u32_e32 v17, v17, v18
	v_mov_b32_dpp v18, v17 row_shr:4 row_mask:0xf bank_mask:0xf
	s_delay_alu instid0(VALU_DEP_1) | instskip(SKIP_1) | instid1(VALU_DEP_2)
	v_cndmask_b32_e32 v18, 0, v18, vcc_lo
	v_cmp_lt_u32_e32 vcc_lo, 7, v9
	v_add_nc_u32_e32 v17, v17, v18
	s_delay_alu instid0(VALU_DEP_1) | instskip(NEXT) | instid1(VALU_DEP_1)
	v_mov_b32_dpp v18, v17 row_shr:8 row_mask:0xf bank_mask:0xf
	v_cndmask_b32_e32 v18, 0, v18, vcc_lo
	v_cmp_gt_i32_e32 vcc_lo, 0, v11
	s_delay_alu instid0(VALU_DEP_2) | instskip(SKIP_3) | instid1(VALU_DEP_1)
	v_dual_add_nc_u32 v17, v17, v18 :: v_dual_cndmask_b32 v19, v11, v3, vcc_lo
	ds_swizzle_b32 v18, v17 offset:swizzle(BROADCAST,32,15)
	s_wait_dscnt 0x0
	v_dual_lshlrev_b32 v19, 2, v19 :: v_dual_bitop2_b32 v18, v10, v18 bitop3:0x40
	v_add_nc_u32_e32 v17, v17, v18
	ds_bpermute_b32 v17, v19, v17
	s_wait_dscnt 0x0
	v_add_nc_u32_e32 v16, v17, v16
	s_delay_alu instid0(VALU_DEP_1)
	v_cndmask_b32_e64 v22, v16, v14, s3
	ds_store_b32 v8, v22
	; wave barrier
	ds_load_2addr_b32 v[16:17], v8 offset0:1 offset1:2
	ds_load_2addr_b32 v[18:19], v8 offset0:3 offset1:4
	;; [unrolled: 1-line block ×3, first 2 shown]
	ds_load_b32 v23, v8 offset:28
	s_wait_dscnt 0x3
	v_add_nc_u32_e32 v16, v16, v22
	s_delay_alu instid0(VALU_DEP_1) | instskip(SKIP_1) | instid1(VALU_DEP_1)
	v_add_nc_u32_e32 v17, v17, v16
	s_wait_dscnt 0x2
	v_add_nc_u32_e32 v18, v18, v17
	s_delay_alu instid0(VALU_DEP_1) | instskip(SKIP_1) | instid1(VALU_DEP_1)
	v_add_nc_u32_e32 v19, v19, v18
	s_wait_dscnt 0x1
	v_add_nc_u32_e32 v20, v20, v19
	s_delay_alu instid0(VALU_DEP_1) | instskip(SKIP_1) | instid1(VALU_DEP_1)
	v_add_nc_u32_e32 v21, v21, v20
	s_wait_dscnt 0x0
	v_add_nc_u32_e32 v22, v23, v21
	ds_store_2addr_b32 v8, v16, v17 offset0:1 offset1:2
	ds_store_2addr_b32 v8, v18, v19 offset0:3 offset1:4
	;; [unrolled: 1-line block ×3, first 2 shown]
	ds_store_b32 v8, v22 offset:28
.LBB107_32:                             ;   in Loop: Header=BB107_21 Depth=1
	s_or_b32 exec_lo, exec_lo, s17
	v_mov_b32_e32 v17, 0
	s_wait_dscnt 0x0
	s_barrier_signal -1
	s_barrier_wait -1
	s_and_saveexec_b32 s17, s2
; %bb.33:                               ;   in Loop: Header=BB107_21 Depth=1
	ds_load_b32 v17, v5
; %bb.34:                               ;   in Loop: Header=BB107_21 Depth=1
	s_or_b32 exec_lo, exec_lo, s17
	ds_load_b32 v16, v7 offset:1048
	s_mov_b32 s17, exec_lo
	s_wait_dscnt 0x0
	s_barrier_signal -1
	s_barrier_wait -1
	v_cmpx_ne_u32_e32 0, v14
	s_cbranch_execz .LBB107_19
; %bb.35:                               ;   in Loop: Header=BB107_21 Depth=1
	v_add_nc_u32_e32 v14, v17, v1
	s_delay_alu instid0(VALU_DEP_1)
	v_cmp_gt_u32_e32 vcc_lo, s5, v14
	s_and_b32 exec_lo, exec_lo, vcc_lo
	s_cbranch_execz .LBB107_19
; %bb.36:                               ;   in Loop: Header=BB107_21 Depth=1
	v_mul_lo_u32 v17, v14, s15
	v_mul_lo_u32 v14, v14, s12
	global_store_b16 v17, v13, s[10:11] scale_offset
	global_store_b64 v14, v[6:7], s[6:7] scale_offset
	s_branch .LBB107_19
.LBB107_37:                             ;   in Loop: Header=BB107_38 Depth=1
	s_add_co_i32 s4, s4, 1
	s_wait_kmcnt 0x0
	s_add_co_i32 s5, s10, s5
	s_add_nc_u64 s[6:7], s[6:7], 4
	s_cmp_lt_u32 s4, s14
	s_add_nc_u64 s[8:9], s[8:9], 4
	s_cbranch_scc0 .LBB107_16
.LBB107_38:                             ; =>This Inner Loop Header: Depth=1
	s_load_b32 s10, s[6:7], 0x0
	s_cmp_ge_u32 s4, s25
	s_cbranch_scc1 .LBB107_37
; %bb.39:                               ;   in Loop: Header=BB107_38 Depth=1
	s_load_b32 s11, s[8:9], 0x0
	s_wait_kmcnt 0x0
	s_add_co_i32 s17, s10, s17
	s_add_co_i32 s16, s11, s16
	s_branch .LBB107_37
.LBB107_40:
	s_endpgm
	.section	.rodata,"a",@progbits
	.p2align	6, 0x0
	.amdhsa_kernel _ZN2at6native6mbtopk10gatherTopKIN3c108BFloat16EjLi1EEEvNS_4cuda6detail10TensorInfoIKT_T0_EESA_SA_bjSA_NS7_IS8_SA_EESA_NS7_IlSA_EESA_jjPS8_PjSF_j
		.amdhsa_group_segment_fixed_size 1068
		.amdhsa_private_segment_fixed_size 0
		.amdhsa_kernarg_size 984
		.amdhsa_user_sgpr_count 2
		.amdhsa_user_sgpr_dispatch_ptr 0
		.amdhsa_user_sgpr_queue_ptr 0
		.amdhsa_user_sgpr_kernarg_segment_ptr 1
		.amdhsa_user_sgpr_dispatch_id 0
		.amdhsa_user_sgpr_kernarg_preload_length 0
		.amdhsa_user_sgpr_kernarg_preload_offset 0
		.amdhsa_user_sgpr_private_segment_size 0
		.amdhsa_wavefront_size32 1
		.amdhsa_uses_dynamic_stack 0
		.amdhsa_enable_private_segment 0
		.amdhsa_system_sgpr_workgroup_id_x 1
		.amdhsa_system_sgpr_workgroup_id_y 1
		.amdhsa_system_sgpr_workgroup_id_z 1
		.amdhsa_system_sgpr_workgroup_info 0
		.amdhsa_system_vgpr_workitem_id 0
		.amdhsa_next_free_vgpr 26
		.amdhsa_next_free_sgpr 29
		.amdhsa_named_barrier_count 0
		.amdhsa_reserve_vcc 1
		.amdhsa_float_round_mode_32 0
		.amdhsa_float_round_mode_16_64 0
		.amdhsa_float_denorm_mode_32 3
		.amdhsa_float_denorm_mode_16_64 3
		.amdhsa_fp16_overflow 0
		.amdhsa_memory_ordered 1
		.amdhsa_forward_progress 1
		.amdhsa_inst_pref_size 20
		.amdhsa_round_robin_scheduling 0
		.amdhsa_exception_fp_ieee_invalid_op 0
		.amdhsa_exception_fp_denorm_src 0
		.amdhsa_exception_fp_ieee_div_zero 0
		.amdhsa_exception_fp_ieee_overflow 0
		.amdhsa_exception_fp_ieee_underflow 0
		.amdhsa_exception_fp_ieee_inexact 0
		.amdhsa_exception_int_div_zero 0
	.end_amdhsa_kernel
	.section	.text._ZN2at6native6mbtopk10gatherTopKIN3c108BFloat16EjLi1EEEvNS_4cuda6detail10TensorInfoIKT_T0_EESA_SA_bjSA_NS7_IS8_SA_EESA_NS7_IlSA_EESA_jjPS8_PjSF_j,"axG",@progbits,_ZN2at6native6mbtopk10gatherTopKIN3c108BFloat16EjLi1EEEvNS_4cuda6detail10TensorInfoIKT_T0_EESA_SA_bjSA_NS7_IS8_SA_EESA_NS7_IlSA_EESA_jjPS8_PjSF_j,comdat
.Lfunc_end107:
	.size	_ZN2at6native6mbtopk10gatherTopKIN3c108BFloat16EjLi1EEEvNS_4cuda6detail10TensorInfoIKT_T0_EESA_SA_bjSA_NS7_IS8_SA_EESA_NS7_IlSA_EESA_jjPS8_PjSF_j, .Lfunc_end107-_ZN2at6native6mbtopk10gatherTopKIN3c108BFloat16EjLi1EEEvNS_4cuda6detail10TensorInfoIKT_T0_EESA_SA_bjSA_NS7_IS8_SA_EESA_NS7_IlSA_EESA_jjPS8_PjSF_j
                                        ; -- End function
	.set _ZN2at6native6mbtopk10gatherTopKIN3c108BFloat16EjLi1EEEvNS_4cuda6detail10TensorInfoIKT_T0_EESA_SA_bjSA_NS7_IS8_SA_EESA_NS7_IlSA_EESA_jjPS8_PjSF_j.num_vgpr, 26
	.set _ZN2at6native6mbtopk10gatherTopKIN3c108BFloat16EjLi1EEEvNS_4cuda6detail10TensorInfoIKT_T0_EESA_SA_bjSA_NS7_IS8_SA_EESA_NS7_IlSA_EESA_jjPS8_PjSF_j.num_agpr, 0
	.set _ZN2at6native6mbtopk10gatherTopKIN3c108BFloat16EjLi1EEEvNS_4cuda6detail10TensorInfoIKT_T0_EESA_SA_bjSA_NS7_IS8_SA_EESA_NS7_IlSA_EESA_jjPS8_PjSF_j.numbered_sgpr, 29
	.set _ZN2at6native6mbtopk10gatherTopKIN3c108BFloat16EjLi1EEEvNS_4cuda6detail10TensorInfoIKT_T0_EESA_SA_bjSA_NS7_IS8_SA_EESA_NS7_IlSA_EESA_jjPS8_PjSF_j.num_named_barrier, 0
	.set _ZN2at6native6mbtopk10gatherTopKIN3c108BFloat16EjLi1EEEvNS_4cuda6detail10TensorInfoIKT_T0_EESA_SA_bjSA_NS7_IS8_SA_EESA_NS7_IlSA_EESA_jjPS8_PjSF_j.private_seg_size, 0
	.set _ZN2at6native6mbtopk10gatherTopKIN3c108BFloat16EjLi1EEEvNS_4cuda6detail10TensorInfoIKT_T0_EESA_SA_bjSA_NS7_IS8_SA_EESA_NS7_IlSA_EESA_jjPS8_PjSF_j.uses_vcc, 1
	.set _ZN2at6native6mbtopk10gatherTopKIN3c108BFloat16EjLi1EEEvNS_4cuda6detail10TensorInfoIKT_T0_EESA_SA_bjSA_NS7_IS8_SA_EESA_NS7_IlSA_EESA_jjPS8_PjSF_j.uses_flat_scratch, 0
	.set _ZN2at6native6mbtopk10gatherTopKIN3c108BFloat16EjLi1EEEvNS_4cuda6detail10TensorInfoIKT_T0_EESA_SA_bjSA_NS7_IS8_SA_EESA_NS7_IlSA_EESA_jjPS8_PjSF_j.has_dyn_sized_stack, 0
	.set _ZN2at6native6mbtopk10gatherTopKIN3c108BFloat16EjLi1EEEvNS_4cuda6detail10TensorInfoIKT_T0_EESA_SA_bjSA_NS7_IS8_SA_EESA_NS7_IlSA_EESA_jjPS8_PjSF_j.has_recursion, 0
	.set _ZN2at6native6mbtopk10gatherTopKIN3c108BFloat16EjLi1EEEvNS_4cuda6detail10TensorInfoIKT_T0_EESA_SA_bjSA_NS7_IS8_SA_EESA_NS7_IlSA_EESA_jjPS8_PjSF_j.has_indirect_call, 0
	.section	.AMDGPU.csdata,"",@progbits
; Kernel info:
; codeLenInByte = 2504
; TotalNumSgprs: 31
; NumVgprs: 26
; ScratchSize: 0
; MemoryBound: 0
; FloatMode: 240
; IeeeMode: 1
; LDSByteSize: 1068 bytes/workgroup (compile time only)
; SGPRBlocks: 0
; VGPRBlocks: 1
; NumSGPRsForWavesPerEU: 31
; NumVGPRsForWavesPerEU: 26
; NamedBarCnt: 0
; Occupancy: 16
; WaveLimiterHint : 1
; COMPUTE_PGM_RSRC2:SCRATCH_EN: 0
; COMPUTE_PGM_RSRC2:USER_SGPR: 2
; COMPUTE_PGM_RSRC2:TRAP_HANDLER: 0
; COMPUTE_PGM_RSRC2:TGID_X_EN: 1
; COMPUTE_PGM_RSRC2:TGID_Y_EN: 1
; COMPUTE_PGM_RSRC2:TGID_Z_EN: 1
; COMPUTE_PGM_RSRC2:TIDIG_COMP_CNT: 0
	.section	.text._ZN2at6native6sbtopk10gatherTopKIN3c108BFloat16EjLi1ELb0EEEvNS_4cuda6detail10TensorInfoIKT_T0_EESA_SA_bSA_SA_NS7_IS8_SA_EESA_NS7_IlSA_EESA_PS8_,"axG",@progbits,_ZN2at6native6sbtopk10gatherTopKIN3c108BFloat16EjLi1ELb0EEEvNS_4cuda6detail10TensorInfoIKT_T0_EESA_SA_bSA_SA_NS7_IS8_SA_EESA_NS7_IlSA_EESA_PS8_,comdat
	.protected	_ZN2at6native6sbtopk10gatherTopKIN3c108BFloat16EjLi1ELb0EEEvNS_4cuda6detail10TensorInfoIKT_T0_EESA_SA_bSA_SA_NS7_IS8_SA_EESA_NS7_IlSA_EESA_PS8_ ; -- Begin function _ZN2at6native6sbtopk10gatherTopKIN3c108BFloat16EjLi1ELb0EEEvNS_4cuda6detail10TensorInfoIKT_T0_EESA_SA_bSA_SA_NS7_IS8_SA_EESA_NS7_IlSA_EESA_PS8_
	.globl	_ZN2at6native6sbtopk10gatherTopKIN3c108BFloat16EjLi1ELb0EEEvNS_4cuda6detail10TensorInfoIKT_T0_EESA_SA_bSA_SA_NS7_IS8_SA_EESA_NS7_IlSA_EESA_PS8_
	.p2align	8
	.type	_ZN2at6native6sbtopk10gatherTopKIN3c108BFloat16EjLi1ELb0EEEvNS_4cuda6detail10TensorInfoIKT_T0_EESA_SA_bSA_SA_NS7_IS8_SA_EESA_NS7_IlSA_EESA_PS8_,@function
_ZN2at6native6sbtopk10gatherTopKIN3c108BFloat16EjLi1ELb0EEEvNS_4cuda6detail10TensorInfoIKT_T0_EESA_SA_bSA_SA_NS7_IS8_SA_EESA_NS7_IlSA_EESA_PS8_: ; @_ZN2at6native6sbtopk10gatherTopKIN3c108BFloat16EjLi1ELb0EEEvNS_4cuda6detail10TensorInfoIKT_T0_EESA_SA_bSA_SA_NS7_IS8_SA_EESA_NS7_IlSA_EESA_PS8_
; %bb.0:
	s_clause 0x1
	s_load_b128 s[36:39], s[0:1], 0xd8
	s_load_b64 s[8:9], s[0:1], 0x2b8
	s_bfe_u32 s2, ttmp6, 0x40010
	s_and_b32 s3, ttmp7, 0xffff
	s_add_co_i32 s2, s2, 1
	s_bfe_u32 s5, ttmp6, 0x4000c
	s_mul_i32 s2, s3, s2
	s_bfe_u32 s4, ttmp6, 0x40004
	s_add_co_i32 s5, s5, 1
	s_bfe_u32 s6, ttmp6, 0x40014
	s_add_co_i32 s4, s4, s2
	s_and_b32 s2, ttmp6, 15
	s_mul_i32 s5, ttmp9, s5
	s_lshr_b32 s7, ttmp7, 16
	s_add_co_i32 s6, s6, 1
	s_add_co_i32 s2, s2, s5
	s_mul_i32 s5, s7, s6
	s_bfe_u32 s6, ttmp6, 0x40008
	s_getreg_b32 s10, hwreg(HW_REG_IB_STS2, 6, 4)
	s_add_co_i32 s6, s6, s5
	s_cmp_eq_u32 s10, 0
	s_cselect_b32 s5, s7, s6
	s_cselect_b32 s3, s3, s4
	s_wait_kmcnt 0x0
	s_mul_i32 s5, s9, s5
	s_cselect_b32 s7, ttmp9, s2
	s_add_co_i32 s2, s5, s3
	s_delay_alu instid0(SALU_CYCLE_1) | instskip(NEXT) | instid1(SALU_CYCLE_1)
	s_mul_i32 s57, s2, s8
	s_add_co_i32 s57, s57, s7
	s_delay_alu instid0(SALU_CYCLE_1)
	s_cmp_ge_u32 s57, s39
	s_cbranch_scc1 .LBB108_414
; %bb.1:
	s_clause 0x2
	s_load_b32 s55, s[0:1], 0xe8
	s_load_b32 s4, s[0:1], 0x6c
	s_load_b64 s[2:3], s[0:1], 0x0
	v_cmp_eq_u32_e64 s5, 0, v0
	s_add_nc_u64 s[14:15], s[0:1], 0x2b8
	s_and_saveexec_b32 s6, s5
; %bb.2:
	v_dual_mov_b32 v2, 0 :: v_dual_mov_b32 v3, s36
	s_delay_alu instid0(VALU_DEP_1)
	v_mov_b32_e32 v4, v2
	ds_store_b96 v2, v[2:4] offset:4096
; %bb.3:
	s_or_b32 exec_lo, exec_lo, s6
	s_wait_dscnt 0x0
	s_barrier_signal -1
	s_barrier_wait -1
	s_load_b32 s9, s[14:15], 0xc
	s_clause 0x3
	s_load_b32 s58, s[0:1], 0x23c
	s_load_b64 s[40:41], s[0:1], 0x1d0
	s_load_b32 s59, s[0:1], 0x15c
	s_load_b64 s[42:43], s[0:1], 0xf0
	v_mbcnt_lo_u32_b32 v1, -1, 0
	s_wait_kmcnt 0x0
	s_mul_i32 s44, s4, s57
	s_mov_b32 s45, 0
	v_cmp_gt_u32_e32 vcc_lo, 32, v0
	s_lshl_b64 s[10:11], s[44:45], 1
	s_bitcmp1_b32 s38, 0
	s_add_nc_u64 s[34:35], s[2:3], s[10:11]
	v_cmp_gt_i32_e64 s2, 4, v1
	s_cselect_b32 s4, -1, 0
	v_lshlrev_b64_e64 v[2:3], v1, -1
	s_xor_b32 s60, s4, -1
	v_dual_mov_b32 v17, 0 :: v_dual_lshlrev_b32 v11, 2, v0
	s_and_b32 s62, vcc_lo, s2
	v_mul_lo_u32 v14, s55, v0
	s_and_b32 s54, s9, 0xffff
	s_delay_alu instid0(VALU_DEP_2)
	v_mov_b32_e32 v15, v17
	s_lshl_b32 s61, s54, 2
	s_cmp_gt_u32 s36, 0x600
	v_not_b32_e32 v10, v2
	s_cselect_b32 s63, -1, 0
	s_cmp_gt_u32 s54, 31
	v_lshrrev_b32_e32 v2, 1, v0
	s_cselect_b32 s64, -1, 0
	s_add_co_i32 s65, s54, -1
	v_add_max_u32_e64 v3, v0, 2, s36
	s_add_co_i32 s13, s65, s36
	s_cmp_lt_u32 s7, s8
	s_movk_i32 s7, 0x1f0
	s_cselect_b32 s44, 12, 18
	s_bfe_u32 s66, s9, 0xb0005
	s_cvt_f32_u32 s9, s61
	s_add_co_i32 s8, s66, -2
	v_and_or_b32 v21, v2, s7, 0xc00
	s_lshr_b32 s10, s8, 1
	v_rcp_iflag_f32_e32 v4, s9
	s_add_co_i32 s10, s10, 1
	s_cmp_gt_u32 s54, 63
	s_cvt_f32_u32 s9, s54
	s_cselect_b32 s67, -1, 0
	s_and_b32 s68, s66, 0x7fe
	s_and_b32 s69, s10, 7
	v_nop
	v_readfirstlane_b32 s7, v4
	s_cmp_gt_u32 s8, 13
	v_rcp_iflag_f32_e32 v5, s9
	s_cselect_b32 s70, -1, 0
	s_and_b32 s71, s10, -8
	s_mul_f32 s7, s7, 0x4f7ffffe
	s_cmp_lg_u32 s69, 0
	v_xad_u32 v3, v0, -1, v3
	s_cselect_b32 s72, -1, 0
	s_cmp_lg_u32 s68, s66
	s_cvt_u32_f32 s7, s7
	s_cselect_b32 s73, -1, 0
	s_sub_co_i32 s8, 0, s61
	v_readfirstlane_b32 s9, v5
	s_mul_i32 s8, s8, s7
	v_lshl_add_u64 v[12:13], v[14:15], 1, s[34:35]
	s_mul_hi_u32 s8, s7, s8
	v_dual_lshlrev_b32 v15, 1, v0 :: v_dual_add_nc_u32 v2, -4, v3
	s_add_co_i32 s38, s7, s8
	s_mul_f32 s9, s9, 0x4f7ffffe
	s_mul_hi_u32 s8, s36, s38
	s_delay_alu instid0(VALU_DEP_1)
	v_dual_lshrrev_b32 v4, 2, v2 :: v_dual_bitop2_b32 v22, -4, v3 bitop3:0x40
	s_mul_i32 s8, s8, s61
	s_cvt_u32_f32 s9, s9
	s_sub_co_i32 s8, s36, s8
	v_cmp_lt_u32_e64 s7, 31, v3
	s_sub_co_i32 s10, s8, s61
	s_cmp_ge_u32 s8, s61
	v_add_nc_u32_e32 v4, 1, v4
	s_cselect_b32 s8, s10, s8
	v_cmp_eq_u32_e64 s2, 0, v1
	s_sub_co_i32 s10, s8, s61
	s_cmp_ge_u32 s8, s61
	v_cmp_gt_u32_e64 s3, s36, v0
	s_cselect_b32 s16, s10, s8
	s_sub_co_i32 s10, 0, s54
	s_sub_co_i32 s77, s36, s16
	s_mul_i32 s10, s10, s9
	v_cmp_lt_u32_e64 s8, 11, v2
	s_mul_hi_u32 s10, s9, s10
	v_add_nc_u32_e32 v23, s77, v0
	s_add_co_i32 s46, s9, s10
	v_add3_u32 v2, s54, s36, v0
	s_mul_hi_u32 s10, s13, s46
	v_cmp_gt_u32_e64 s6, 2, v0
	s_mul_i32 s10, s10, s54
	v_dual_mov_b32 v33, s37 :: v_dual_add_nc_u32 v20, 0xc00, v15
	s_sub_co_i32 s11, s13, s10
	v_cmp_ne_u32_e64 s10, v3, v22
	s_sub_co_i32 s12, s11, s54
	s_cmp_ge_u32 s11, s54
	v_or_b32_e32 v3, 2, v11
	v_dual_mov_b32 v32, 0 :: v_dual_bitop2_b32 v5, 3, v4 bitop3:0x40
	v_and_b32_e32 v24, 0x7ffffffc, v4
	v_or_b32_e32 v4, 3, v11
	v_mul_lo_u32 v16, v23, s55
	v_subrev_nc_u32_e32 v2, s16, v2
	s_cselect_b32 s17, s12, s11
	v_mul_lo_u32 v27, s55, v3
	s_sub_co_i32 s18, s17, s54
	s_cmp_ge_u32 s17, s54
	v_mul_lo_u32 v28, s55, v4
	v_mul_lo_u32 v29, s55, v2
	s_cselect_b32 s17, s18, s17
	v_cmp_ne_u32_e64 s9, 0, v5
	s_sub_co_i32 s78, s13, s17
	v_cmp_gt_u32_e64 s11, s77, v11
	v_cmp_gt_u32_e64 s12, s36, v23
	v_lshl_add_u64 v[18:19], v[16:17], 1, s[34:35]
	v_cmp_gt_u32_e64 s13, s78, v0
	v_dual_mov_b32 v25, 0 :: v_dual_lshlrev_b32 v26, 3, v5
	v_dual_mov_b32 v30, 0x8000 :: v_dual_mov_b32 v31, 0
	s_mul_i32 s56, s55, s54
	s_mov_b32 s74, s55
	s_mov_b32 s75, s55
	s_mov_b32 s76, s55
	s_mov_b32 s39, s45
	s_mov_b32 s47, s45
	s_lshl_b32 s79, s56, 2
	s_lshl_b32 s80, s54, 3
	;; [unrolled: 1-line block ×3, first 2 shown]
	s_mov_b32 s82, 14
	s_add_nc_u64 s[48:49], s[14:15], s[44:45]
	s_movk_i32 s84, 0x3f80
	s_mov_b32 s83, 0
	s_mov_b32 s86, 0
                                        ; implicit-def: $sgpr85
                                        ; implicit-def: $sgpr89
                                        ; implicit-def: $sgpr88
                                        ; implicit-def: $sgpr90
                                        ; implicit-def: $sgpr87
                                        ; implicit-def: $sgpr94
                                        ; implicit-def: $sgpr95
                                        ; implicit-def: $sgpr91
                                        ; implicit-def: $sgpr93
                                        ; implicit-def: $sgpr92
	s_branch .LBB108_6
.LBB108_4:                              ;   in Loop: Header=BB108_6 Depth=1
	s_or_b32 exec_lo, exec_lo, s17
	v_mov_b32_e32 v33, v5
	s_and_not1_b32 s17, s92, exec_lo
	s_and_b32 s16, s16, exec_lo
	s_and_not1_b32 s93, s93, exec_lo
	s_or_b32 s92, s17, s16
	s_and_not1_b32 s91, s91, exec_lo
	s_and_not1_b32 s95, s95, exec_lo
	;; [unrolled: 1-line block ×3, first 2 shown]
	s_or_not1_b32 s17, s15, exec_lo
.LBB108_5:                              ;   in Loop: Header=BB108_6 Depth=1
	s_or_b32 exec_lo, exec_lo, s14
	s_delay_alu instid0(SALU_CYCLE_1) | instskip(NEXT) | instid1(SALU_CYCLE_1)
	s_and_b32 s14, exec_lo, s17
	s_or_b32 s83, s14, s83
	s_and_not1_b32 s14, s87, exec_lo
	s_and_b32 s15, s92, exec_lo
	s_and_not1_b32 s16, s90, exec_lo
	s_or_b32 s87, s14, s15
	s_and_b32 s14, s93, exec_lo
	s_and_not1_b32 s15, s88, exec_lo
	s_and_b32 s17, s91, exec_lo
	s_or_b32 s90, s16, s14
	s_or_b32 s88, s15, s17
	s_and_not1_b32 s14, s89, exec_lo
	s_and_b32 s15, s95, exec_lo
	s_and_not1_b32 s16, s85, exec_lo
	s_and_b32 s17, s94, exec_lo
	s_or_b32 s89, s14, s15
	s_or_b32 s85, s16, s17
	s_and_not1_b32 exec_lo, exec_lo, s83
	s_cbranch_execz .LBB108_410
.LBB108_6:                              ; =>This Loop Header: Depth=1
                                        ;     Child Loop BB108_11 Depth 2
                                        ;     Child Loop BB108_32 Depth 2
                                        ;     Child Loop BB108_36 Depth 2
                                        ;     Child Loop BB108_42 Depth 2
                                        ;     Child Loop BB108_77 Depth 2
                                        ;     Child Loop BB108_81 Depth 2
                                        ;     Child Loop BB108_66 Depth 2
                                        ;     Child Loop BB108_71 Depth 2
                                        ;     Child Loop BB108_60 Depth 2
                                        ;     Child Loop BB108_62 Depth 2
                                        ;     Child Loop BB108_86 Depth 2
                                        ;     Child Loop BB108_97 Depth 2
                                        ;     Child Loop BB108_108 Depth 2
                                        ;     Child Loop BB108_135 Depth 2
                                        ;     Child Loop BB108_146 Depth 2
                                        ;     Child Loop BB108_172 Depth 2
                                        ;     Child Loop BB108_183 Depth 2
                                        ;     Child Loop BB108_209 Depth 2
                                        ;     Child Loop BB108_220 Depth 2
                                        ;     Child Loop BB108_256 Depth 2
                                        ;     Child Loop BB108_268 Depth 2
                                        ;     Child Loop BB108_294 Depth 2
                                        ;     Child Loop BB108_305 Depth 2
                                        ;     Child Loop BB108_331 Depth 2
                                        ;     Child Loop BB108_342 Depth 2
                                        ;     Child Loop BB108_368 Depth 2
                                        ;     Child Loop BB108_379 Depth 2
	ds_load_b64 v[2:3], v17 offset:4096
	s_wait_dscnt 0x0
	v_readfirstlane_b32 s44, v2
	s_cmp_lg_u32 s44, 0
	s_cbranch_scc1 .LBB108_51
; %bb.7:                                ;   in Loop: Header=BB108_6 Depth=1
	s_and_b32 vcc_lo, exec_lo, s63
	s_cbranch_vccz .LBB108_19
; %bb.8:                                ;   in Loop: Header=BB108_6 Depth=1
	v_cmp_gt_u32_e32 vcc_lo, 0x601, v3
	s_mov_b32 s16, 0
	s_mov_b32 s14, 0
	s_cbranch_vccz .LBB108_20
; %bb.9:                                ;   in Loop: Header=BB108_6 Depth=1
	global_load_u16 v3, v[12:13], off
	s_load_u16 s17, s[48:49], 0x0
	s_mov_b32 s18, 0
	s_wait_kmcnt 0x0
	v_dual_mov_b32 v4, v0 :: v_dual_add_nc_u32 v2, s17, v0
	s_mul_i32 s19, s55, s17
	s_delay_alu instid0(VALU_DEP_1)
	v_mul_lo_u32 v2, s55, v2
	s_branch .LBB108_11
.LBB108_10:                             ;   in Loop: Header=BB108_11 Depth=2
	s_or_b32 exec_lo, exec_lo, s15
	v_dual_mov_b32 v3, v5 :: v_dual_add_nc_u32 v2, s19, v2
	s_and_not1_b32 exec_lo, exec_lo, s18
	s_cbranch_execz .LBB108_26
.LBB108_11:                             ;   Parent Loop BB108_6 Depth=1
                                        ; =>  This Inner Loop Header: Depth=2
	s_wait_dscnt 0x0
	v_dual_add_nc_u32 v4, s17, v4 :: v_dual_mov_b32 v6, 0
	v_mov_b32_e32 v5, 0
	s_mov_b32 s15, exec_lo
	s_delay_alu instid0(VALU_DEP_2)
	v_cmp_le_u32_e32 vcc_lo, s36, v4
	v_cmpx_gt_u32_e64 s36, v4
	s_cbranch_execz .LBB108_13
; %bb.12:                               ;   in Loop: Header=BB108_11 Depth=2
	global_load_u16 v5, v2, s[34:35] scale_offset
.LBB108_13:                             ;   in Loop: Header=BB108_11 Depth=2
	s_wait_xcnt 0x0
	s_or_b32 exec_lo, exec_lo, s15
	s_wait_loadcnt 0x0
	v_cmp_lt_i16_e64 s14, -1, v3
	v_and_b32_e32 v7, 0xffff, v3
	v_lshlrev_b32_e32 v9, 16, v3
	s_delay_alu instid0(VALU_DEP_3) | instskip(NEXT) | instid1(VALU_DEP_2)
	v_cndmask_b32_e64 v8, 0xffff, v30, s14
	v_cmp_o_f32_e64 s14, v9, v9
	s_delay_alu instid0(VALU_DEP_2) | instskip(NEXT) | instid1(VALU_DEP_1)
	v_xor_b32_e32 v7, v8, v7
	v_cndmask_b32_e64 v7, 0xffff, v7, s14
	s_delay_alu instid0(VALU_DEP_1) | instskip(NEXT) | instid1(VALU_DEP_1)
	v_and_b32_e32 v7, v7, v31
	v_cmp_eq_u32_e64 s14, v7, v25
	s_cmp_lg_u32 s14, 0
	s_cselect_b32 s15, -1, 0
	s_delay_alu instid0(SALU_CYCLE_1) | instskip(NEXT) | instid1(SALU_CYCLE_1)
	s_and_b32 s15, s2, s15
	s_and_saveexec_b32 s20, s15
	s_cbranch_execz .LBB108_17
; %bb.14:                               ;   in Loop: Header=BB108_11 Depth=2
	s_mov_b32 s23, exec_lo
	s_bcnt1_i32_b32 s21, s14
	v_mbcnt_lo_u32_b32 v6, s23, 0
	s_mov_b32 s22, exec_lo
                                        ; implicit-def: $vgpr7
	s_delay_alu instid0(VALU_DEP_1)
	v_cmpx_eq_u32_e32 0, v6
; %bb.15:                               ;   in Loop: Header=BB108_11 Depth=2
	s_bcnt1_i32_b32 s15, s23
	s_delay_alu instid0(SALU_CYCLE_1) | instskip(NEXT) | instid1(SALU_CYCLE_1)
	s_mul_i32 s15, s21, s15
	v_mov_b32_e32 v7, s15
	ds_add_rtn_u32 v7, v17, v7 offset:4104
; %bb.16:                               ;   in Loop: Header=BB108_11 Depth=2
	s_or_b32 exec_lo, exec_lo, s22
	s_wait_dscnt 0x0
	v_readfirstlane_b32 s15, v7
	s_delay_alu instid0(VALU_DEP_1)
	v_mad_u32_u24 v6, s21, v6, s15
.LBB108_17:                             ;   in Loop: Header=BB108_11 Depth=2
	s_or_b32 exec_lo, exec_lo, s20
	ds_bpermute_b32 v6, v17, v6
	s_and_b32 s15, exec_lo, vcc_lo
	s_delay_alu instid0(SALU_CYCLE_1)
	s_or_b32 s18, s15, s18
	s_and_saveexec_b32 s15, s14
	s_cbranch_execz .LBB108_10
; %bb.18:                               ;   in Loop: Header=BB108_11 Depth=2
	v_and_b32_e32 v7, s14, v10
	s_delay_alu instid0(VALU_DEP_1) | instskip(NEXT) | instid1(VALU_DEP_1)
	v_bcnt_u32_b32 v7, v7, 0
	v_lshlrev_b32_e32 v7, 1, v7
	s_wait_dscnt 0x0
	s_delay_alu instid0(VALU_DEP_1)
	v_lshl_add_u32 v6, v6, 1, v7
	ds_store_b16 v6, v3
	s_branch .LBB108_10
.LBB108_19:                             ;   in Loop: Header=BB108_6 Depth=1
	s_mov_b32 s16, -1
	s_mov_b32 s14, 0
.LBB108_20:                             ;   in Loop: Header=BB108_6 Depth=1
	s_and_b32 vcc_lo, exec_lo, s16
	s_cbranch_vccz .LBB108_49
.LBB108_21:                             ;   in Loop: Header=BB108_6 Depth=1
	s_and_saveexec_b32 s15, s3
	s_cbranch_execz .LBB108_46
; %bb.22:                               ;   in Loop: Header=BB108_6 Depth=1
	global_load_u16 v16, v[12:13], off
	s_load_u16 s17, s[48:49], 0x0
	s_mov_b32 s16, exec_lo
	s_wait_kmcnt 0x0
	v_dual_mov_b32 v4, v0 :: v_dual_add_nc_u32 v2, s17, v0
	s_delay_alu instid0(VALU_DEP_1)
	v_cmpx_gt_u32_e64 s36, v2
	s_cbranch_execz .LBB108_45
; %bb.23:                               ;   in Loop: Header=BB108_6 Depth=1
	s_mov_b32 s14, 0
	s_mul_i32 s18, s55, s17
                                        ; implicit-def: $vgpr4
                                        ; implicit-def: $vgpr3
                                        ; implicit-def: $vgpr5
	s_and_saveexec_b32 s19, s7
	s_delay_alu instid0(SALU_CYCLE_1)
	s_xor_b32 s19, exec_lo, s19
	s_cbranch_execnz .LBB108_29
; %bb.24:                               ;   in Loop: Header=BB108_6 Depth=1
	s_and_not1_saveexec_b32 s19, s19
	s_cbranch_execnz .LBB108_40
.LBB108_25:                             ;   in Loop: Header=BB108_6 Depth=1
	s_or_b32 exec_lo, exec_lo, s19
	s_and_saveexec_b32 s18, s14
	s_cbranch_execnz .LBB108_41
	s_branch .LBB108_44
.LBB108_26:                             ;   in Loop: Header=BB108_6 Depth=1
	s_or_b32 exec_lo, exec_lo, s18
	s_wait_dscnt 0x0
	s_barrier_signal -1
	s_barrier_wait -1
	s_and_saveexec_b32 s14, s5
	s_cbranch_execz .LBB108_28
; %bb.27:                               ;   in Loop: Header=BB108_6 Depth=1
	ds_load_b32 v2, v17 offset:4104
	s_wait_dscnt 0x0
	ds_store_b32 v17, v2 offset:4096
.LBB108_28:                             ;   in Loop: Header=BB108_6 Depth=1
	s_or_b32 exec_lo, exec_lo, s14
	s_wait_dscnt 0x0
	s_barrier_signal -1
	s_mov_b32 s14, -1
	s_barrier_wait -1
	s_and_b32 vcc_lo, exec_lo, s16
	s_cbranch_vccnz .LBB108_21
	s_branch .LBB108_49
.LBB108_29:                             ;   in Loop: Header=BB108_6 Depth=1
	s_cvt_f32_u32 s14, s17
	v_add_max_u32_e64 v3, v2, s17, s36
	s_delay_alu instid0(SALU_CYCLE_2) | instskip(SKIP_1) | instid1(VALU_DEP_1)
	v_rcp_iflag_f32_e32 v4, s14
	s_lshl_b32 s14, s17, 1
	v_sub_nc_u32_e32 v3, v3, v0
	s_delay_alu instid0(VALU_DEP_1) | instskip(NEXT) | instid1(TRANS32_DEP_1)
	v_cmp_ne_u32_e32 vcc_lo, s14, v3
	v_readfirstlane_b32 s20, v4
	v_cndmask_b32_e64 v4, 0, 1, vcc_lo
	s_mul_f32 s20, s20, 0x4f7ffffe
	s_delay_alu instid0(VALU_DEP_1) | instskip(NEXT) | instid1(SALU_CYCLE_2)
	v_or_b32_e32 v4, s14, v4
	s_cvt_u32_f32 s14, s20
	s_sub_co_i32 s20, 0, s17
	s_delay_alu instid0(SALU_CYCLE_2) | instskip(NEXT) | instid1(VALU_DEP_1)
	s_mul_i32 s20, s20, s14
	v_sub_nc_u32_e32 v3, v3, v4
	s_mul_hi_u32 s20, s14, s20
	s_delay_alu instid0(SALU_CYCLE_1)
	s_add_co_i32 s14, s14, s20
	s_delay_alu instid0(VALU_DEP_1) | instid1(SALU_CYCLE_1)
	v_mul_hi_u32 v4, v3, s14
	s_delay_alu instid0(VALU_DEP_1) | instskip(NEXT) | instid1(VALU_DEP_1)
	v_mul_lo_u32 v5, v4, s17
	v_dual_sub_nc_u32 v3, v3, v5 :: v_dual_add_nc_u32 v5, 1, v4
	s_delay_alu instid0(VALU_DEP_1) | instskip(SKIP_1) | instid1(VALU_DEP_1)
	v_subrev_nc_u32_e32 v6, s17, v3
	v_cmp_le_u32_e64 s14, s17, v3
	v_dual_cndmask_b32 v4, v4, v5, s14 :: v_dual_cndmask_b32 v3, v3, v6, s14
	s_delay_alu instid0(VALU_DEP_1) | instskip(NEXT) | instid1(VALU_DEP_2)
	v_add_nc_u32_e32 v5, 1, v4
	v_cmp_le_u32_e64 s14, s17, v3
	s_delay_alu instid0(VALU_DEP_1) | instskip(SKIP_2) | instid1(VALU_DEP_2)
	v_cndmask_b32_e64 v3, v4, v5, s14
	v_mul_lo_u32 v4, s55, v2
	s_abs_i32 s14, s18
	v_add_co_ci_u32_e64 v3, null, 0, v3, vcc_lo
	s_delay_alu instid0(VALU_DEP_1) | instskip(SKIP_2) | instid1(SALU_CYCLE_1)
	v_mul_hi_u32 v5, s14, v3
	v_mul_lo_u32 v3, s14, v3
	s_not_b32 s14, s18
	s_ashr_i32 s14, s14, 31
	s_cmp_eq_u32 s17, 1
	s_delay_alu instid0(VALU_DEP_4) | instskip(SKIP_1) | instid1(VALU_DEP_3)
	v_xor_b32_e32 v4, s14, v4
	s_cselect_b32 s20, -1, 0
	v_cmp_eq_u32_e32 vcc_lo, 0, v5
	s_delay_alu instid0(VALU_DEP_2) | instskip(SKIP_2) | instid1(SALU_CYCLE_1)
	v_cmp_le_u32_e64 s14, v3, v4
	v_mov_b32_e32 v3, v0
                                        ; implicit-def: $vgpr4
	s_and_b32 s20, vcc_lo, s20
	s_and_b32 s21, s20, s14
	s_mov_b32 s20, -1
	s_and_saveexec_b32 s14, s21
	s_cbranch_execz .LBB108_39
; %bb.30:                               ;   in Loop: Header=BB108_6 Depth=1
	v_dual_add_nc_u32 v5, 3, v2 :: v_dual_add_nc_u32 v4, 2, v2
	s_wait_loadcnt 0x0
	v_dual_add_nc_u32 v3, 1, v2 :: v_dual_lshlrev_b32 v34, 16, v16
	v_mov_b32_e32 v37, 0
                                        ; implicit-def: $vgpr16
	s_delay_alu instid0(VALU_DEP_3) | instskip(NEXT) | instid1(VALU_DEP_3)
	v_mov_b64_e32 v[8:9], v[4:5]
	v_mov_b64_e32 v[6:7], v[2:3]
	s_and_saveexec_b32 s20, s8
	s_cbranch_execz .LBB108_34
; %bb.31:                               ;   in Loop: Header=BB108_6 Depth=1
	v_mov_b64_e32 v[8:9], v[4:5]
	v_mov_b64_e32 v[6:7], v[2:3]
	v_dual_mov_b32 v35, v24 :: v_dual_mov_b32 v36, v15
	s_mov_b32 s21, 0
	s_mov_b32 s22, 0
.LBB108_32:                             ;   Parent Loop BB108_6 Depth=1
                                        ; =>  This Inner Loop Header: Depth=2
	s_delay_alu instid0(VALU_DEP_2) | instskip(SKIP_1) | instid1(VALU_DEP_4)
	v_mul_lo_u32 v16, v6, s55
	v_dual_mov_b32 v5, v17 :: v_dual_add_nc_u32 v3, 4, v6
	v_dual_add_nc_u32 v37, 4, v7 :: v_dual_add_nc_u32 v42, 4, v8
	v_dual_mov_b32 v43, v17 :: v_dual_add_nc_u32 v44, 4, v9
	v_mul_lo_u32 v40, v7, s74
	v_dual_mov_b32 v41, v17 :: v_dual_mov_b32 v39, v17
	s_delay_alu instid0(VALU_DEP_3)
	v_mul_lo_u32 v46, v44, s76
	v_mul_lo_u32 v44, v42, s75
	;; [unrolled: 1-line block ×3, first 2 shown]
	v_lshl_add_u64 v[60:61], v[16:17], 1, s[34:35]
	v_mul_lo_u32 v16, v3, s55
	v_dual_add_nc_u32 v62, 8, v6 :: v_dual_add_nc_u32 v48, 8, v7
	v_dual_add_nc_u32 v50, 8, v8 :: v_dual_add_nc_u32 v52, 8, v9
	v_lshl_add_u64 v[40:41], v[40:41], 1, s[34:35]
	s_clause 0x1
	global_load_u16 v3, v[60:61], off
	global_load_u16 v64, v[40:41], off
	s_wait_xcnt 0x0
	v_lshl_add_u64 v[40:41], v[42:43], 1, s[34:35]
	v_lshl_add_u64 v[42:43], v[16:17], 1, s[34:35]
	v_mul_lo_u32 v16, v62, s55
	v_dual_add_nc_u32 v54, 12, v7 :: v_dual_add_nc_u32 v56, 12, v8
	v_mul_lo_u32 v38, v8, s75
	v_dual_mov_b32 v53, v17 :: v_dual_add_nc_u32 v63, 12, v6
	v_mul_lo_u32 v4, v9, s76
	v_dual_mov_b32 v55, v17 :: v_dual_add_nc_u32 v58, 12, v9
	v_mul_lo_u32 v52, v52, s76
	v_mul_lo_u32 v54, v54, s74
	;; [unrolled: 1-line block ×5, first 2 shown]
	v_lshl_add_u64 v[60:61], v[16:17], 1, s[34:35]
	v_mul_lo_u32 v16, v63, s55
	v_mul_lo_u32 v58, v58, s76
	v_dual_mov_b32 v45, v17 :: v_dual_mov_b32 v47, v17
	v_dual_mov_b32 v57, v17 :: v_dual_mov_b32 v59, v17
	;; [unrolled: 1-line block ×3, first 2 shown]
	v_lshl_add_u64 v[38:39], v[38:39], 1, s[34:35]
	v_lshl_add_u64 v[4:5], v[4:5], 1, s[34:35]
	;; [unrolled: 1-line block ×9, first 2 shown]
	s_clause 0x8
	global_load_u16 v38, v[38:39], off
	global_load_u16 v62, v[4:5], off
	;; [unrolled: 1-line block ×9, first 2 shown]
	v_lshl_add_u64 v[4:5], v[16:17], 1, s[34:35]
	v_lshl_add_u64 v[58:59], v[58:59], 1, s[34:35]
	s_clause 0x4
	global_load_u16 v47, v[52:53], off
	global_load_u16 v48, v[54:55], off
	;; [unrolled: 1-line block ×5, first 2 shown]
	s_add_co_i32 s22, s22, 16
	s_delay_alu instid0(SALU_CYCLE_1) | instskip(SKIP_2) | instid1(VALU_DEP_3)
	v_dual_add_nc_u32 v35, -4, v35 :: v_dual_mov_b32 v37, s22
	v_dual_add_nc_u32 v9, 16, v9 :: v_dual_add_nc_u32 v8, 16, v8
	v_dual_add_nc_u32 v7, 16, v7 :: v_dual_add_nc_u32 v6, 16, v6
	v_cmp_eq_u32_e32 vcc_lo, 0, v35
	s_or_b32 s21, vcc_lo, s21
	s_wait_loadcnt 0xd
	v_perm_b32 v39, v38, v64, 0x5040100
	v_alignbit_b32 v38, v3, v34, 16
	s_wait_loadcnt 0x9
	v_perm_b32 v41, v41, v40, 0x5040100
	v_perm_b32 v40, v42, v62, 0x5040100
	s_wait_loadcnt 0x7
	v_perm_b32 v42, v45, v44, 0x5040100
	s_wait_loadcnt 0x5
	;; [unrolled: 2-line block ×5, first 2 shown]
	v_perm_b32 v34, v16, v49, 0x5040100
	ds_store_b128 v36, v[38:41]
	ds_store_b128 v36, v[42:45] offset:16
	v_add_nc_u32_e32 v36, 32, v36
	s_wait_xcnt 0x0
	s_and_not1_b32 exec_lo, exec_lo, s21
	s_cbranch_execnz .LBB108_32
; %bb.33:                               ;   in Loop: Header=BB108_6 Depth=1
	s_or_b32 exec_lo, exec_lo, s21
.LBB108_34:                             ;   in Loop: Header=BB108_6 Depth=1
	s_delay_alu instid0(SALU_CYCLE_1)
	s_or_b32 exec_lo, exec_lo, s20
	s_and_saveexec_b32 s20, s9
	s_cbranch_execz .LBB108_38
; %bb.35:                               ;   in Loop: Header=BB108_6 Depth=1
	v_lshl_add_u32 v3, v37, 1, v15
	v_mov_b32_e32 v4, v26
	s_mov_b32 s21, 0
.LBB108_36:                             ;   Parent Loop BB108_6 Depth=1
                                        ; =>  This Inner Loop Header: Depth=2
	v_mul_lo_u32 v36, v7, s74
	v_mul_lo_u32 v38, v8, s75
	;; [unrolled: 1-line block ×4, first 2 shown]
	v_dual_mov_b32 v37, v17 :: v_dual_mov_b32 v39, v17
	v_dual_mov_b32 v41, v17 :: v_dual_add_nc_u32 v9, 4, v9
	v_dual_add_nc_u32 v4, -8, v4 :: v_dual_add_nc_u32 v6, 4, v6
	v_dual_add_nc_u32 v8, 4, v8 :: v_dual_add_nc_u32 v7, 4, v7
	s_delay_alu instid0(VALU_DEP_4)
	v_lshl_add_u64 v[36:37], v[36:37], 1, s[34:35]
	v_lshl_add_u64 v[38:39], v[38:39], 1, s[34:35]
	;; [unrolled: 1-line block ×4, first 2 shown]
	s_clause 0x3
	global_load_u16 v5, v[36:37], off
	global_load_u16 v36, v[38:39], off
	;; [unrolled: 1-line block ×4, first 2 shown]
	v_cmp_eq_u32_e32 vcc_lo, 0, v4
	s_or_b32 s21, vcc_lo, s21
	s_wait_loadcnt 0x2
	v_perm_b32 v35, v36, v5, 0x5040100
	s_wait_loadcnt 0x1
	v_perm_b32 v5, v16, v36, 0x5040100
	s_wait_loadcnt 0x0
	v_alignbit_b32 v34, v37, v34, 16
	ds_store_b64 v3, v[34:35]
	v_dual_mov_b32 v34, v5 :: v_dual_add_nc_u32 v3, 8, v3
	s_and_not1_b32 exec_lo, exec_lo, s21
	s_cbranch_execnz .LBB108_36
; %bb.37:                               ;   in Loop: Header=BB108_6 Depth=1
	s_or_b32 exec_lo, exec_lo, s21
.LBB108_38:                             ;   in Loop: Header=BB108_6 Depth=1
	s_delay_alu instid0(SALU_CYCLE_1) | instskip(SKIP_2) | instid1(VALU_DEP_1)
	s_or_b32 exec_lo, exec_lo, s20
	v_dual_add_nc_u32 v2, v2, v22 :: v_dual_add_nc_u32 v3, v0, v22
	s_or_not1_b32 s20, s10, exec_lo
	v_add_nc_u32_e32 v4, -1, v2
.LBB108_39:                             ;   in Loop: Header=BB108_6 Depth=1
	s_or_b32 exec_lo, exec_lo, s14
	v_mov_b32_e32 v5, s18
	s_and_b32 s14, s20, exec_lo
	s_and_not1_saveexec_b32 s19, s19
	s_cbranch_execz .LBB108_25
.LBB108_40:                             ;   in Loop: Header=BB108_6 Depth=1
	v_dual_mov_b32 v5, s18 :: v_dual_mov_b32 v3, v0
	s_or_b32 s14, s14, exec_lo
	s_or_b32 exec_lo, exec_lo, s19
	s_and_saveexec_b32 s18, s14
	s_cbranch_execz .LBB108_44
.LBB108_41:                             ;   in Loop: Header=BB108_6 Depth=1
	v_mul_lo_u32 v4, s55, v2
	s_mov_b32 s19, 0
	s_sub_co_i32 s14, 0, s17
.LBB108_42:                             ;   Parent Loop BB108_6 Depth=1
                                        ; =>  This Inner Loop Header: Depth=2
	s_wait_loadcnt 0x0
	v_dual_mov_b32 v6, v16 :: v_dual_mov_b32 v7, v2
	global_load_u16 v16, v4, s[34:35] scale_offset
	s_wait_xcnt 0x0
	v_dual_lshlrev_b32 v8, 1, v3 :: v_dual_add_nc_u32 v4, v4, v5
	v_dual_mov_b32 v3, v7 :: v_dual_add_nc_u32 v2, s17, v7
	ds_store_b16 v8, v6
	v_cmp_le_u32_e32 vcc_lo, s36, v2
	s_or_b32 s19, vcc_lo, s19
	s_delay_alu instid0(SALU_CYCLE_1)
	s_and_not1_b32 exec_lo, exec_lo, s19
	s_cbranch_execnz .LBB108_42
; %bb.43:                               ;   in Loop: Header=BB108_6 Depth=1
	s_or_b32 exec_lo, exec_lo, s19
	v_add_nc_u32_e32 v4, s14, v2
.LBB108_44:                             ;   in Loop: Header=BB108_6 Depth=1
	s_or_b32 exec_lo, exec_lo, s18
.LBB108_45:                             ;   in Loop: Header=BB108_6 Depth=1
	s_delay_alu instid0(SALU_CYCLE_1) | instskip(NEXT) | instid1(VALU_DEP_1)
	s_or_b32 exec_lo, exec_lo, s16
	v_lshlrev_b32_e32 v2, 1, v4
	s_wait_loadcnt 0x0
	ds_store_b16 v2, v16
.LBB108_46:                             ;   in Loop: Header=BB108_6 Depth=1
	s_or_b32 exec_lo, exec_lo, s15
	s_wait_dscnt 0x0
	s_barrier_signal -1
	s_barrier_wait -1
	s_and_saveexec_b32 s14, s5
; %bb.47:                               ;   in Loop: Header=BB108_6 Depth=1
	v_mov_b32_e32 v2, s36
	ds_store_b32 v17, v2 offset:4096
; %bb.48:                               ;   in Loop: Header=BB108_6 Depth=1
	s_or_b32 exec_lo, exec_lo, s14
	s_mov_b32 s14, -1
	s_wait_dscnt 0x0
	s_barrier_signal -1
	s_barrier_wait -1
.LBB108_49:                             ;   in Loop: Header=BB108_6 Depth=1
	s_and_b32 vcc_lo, exec_lo, s14
	s_mov_b32 s44, 0
	s_cbranch_vccz .LBB108_51
; %bb.50:                               ;   in Loop: Header=BB108_6 Depth=1
	ds_load_b32 v2, v17 offset:4096
	s_wait_dscnt 0x0
	v_readfirstlane_b32 s44, v2
.LBB108_51:                             ;   in Loop: Header=BB108_6 Depth=1
	s_delay_alu instid0(VALU_DEP_1)
	s_cmp_lt_i32 s44, 1
	s_mov_b32 s14, -1
                                        ; implicit-def: $vgpr4_vgpr5
	s_cbranch_scc1 .LBB108_64
; %bb.52:                               ;   in Loop: Header=BB108_6 Depth=1
	s_and_b32 vcc_lo, exec_lo, s14
	s_cbranch_vccnz .LBB108_75
.LBB108_53:                             ;   in Loop: Header=BB108_6 Depth=1
	s_lshl_b32 s16, s86, 7
	s_and_saveexec_b32 s14, s2
.LBB108_54:                             ;   in Loop: Header=BB108_6 Depth=1
	v_lshl_add_u32 v6, s16, 2, v21
	ds_store_b128 v6, v[2:5]
.LBB108_55:                             ;   in Loop: Header=BB108_6 Depth=1
	s_or_b32 exec_lo, exec_lo, s14
	s_wait_dscnt 0x0
	s_barrier_signal -1
	s_barrier_wait -1
	s_and_saveexec_b32 s17, s62
	s_cbranch_execz .LBB108_88
; %bb.56:                               ;   in Loop: Header=BB108_6 Depth=1
	v_dual_add_nc_u32 v4, s16, v1 :: v_dual_mov_b32 v2, 0
	s_and_not1_b32 vcc_lo, exec_lo, s64
	s_cbranch_vccnz .LBB108_87
; %bb.57:                               ;   in Loop: Header=BB108_6 Depth=1
	s_and_not1_b32 vcc_lo, exec_lo, s67
	s_cbranch_vccnz .LBB108_84
; %bb.58:                               ;   in Loop: Header=BB108_6 Depth=1
	v_lshl_add_u32 v5, v4, 2, 0xc00
	s_and_not1_b32 vcc_lo, exec_lo, s70
	s_cbranch_vccnz .LBB108_112
; %bb.59:                               ;   in Loop: Header=BB108_6 Depth=1
	v_dual_mov_b32 v2, 0 :: v_dual_mov_b32 v3, 0
	s_mov_b32 s15, 1
	s_mov_b32 s14, 0
	;; [unrolled: 1-line block ×3, first 2 shown]
.LBB108_60:                             ;   Parent Loop BB108_6 Depth=1
                                        ; =>  This Inner Loop Header: Depth=2
	v_lshl_add_u32 v16, s15, 4, v5
	v_lshl_add_u32 v44, s14, 4, v5
	s_add_co_i32 s18, s18, -8
	s_add_co_i32 s15, s15, 16
	s_add_co_i32 s14, s14, 16
	ds_load_2addr_b32 v[6:7], v16 offset1:8
	ds_load_2addr_b32 v[8:9], v44 offset1:8
	ds_load_2addr_b32 v[34:35], v16 offset0:16 offset1:24
	ds_load_2addr_b32 v[36:37], v44 offset0:16 offset1:24
	;; [unrolled: 1-line block ×6, first 2 shown]
	s_cmp_lg_u32 s18, 0
	s_wait_dscnt 0x7
	v_add3_u32 v3, v6, v3, v7
	s_wait_dscnt 0x6
	v_add3_u32 v2, v8, v2, v9
	s_wait_dscnt 0x5
	s_delay_alu instid0(VALU_DEP_2) | instskip(SKIP_1) | instid1(VALU_DEP_2)
	v_add3_u32 v3, v34, v3, v35
	s_wait_dscnt 0x4
	v_add3_u32 v2, v36, v2, v37
	s_wait_dscnt 0x3
	s_delay_alu instid0(VALU_DEP_2) | instskip(SKIP_1) | instid1(VALU_DEP_2)
	;; [unrolled: 5-line block ×3, first 2 shown]
	v_add3_u32 v3, v42, v3, v43
	s_wait_dscnt 0x0
	v_add3_u32 v2, v44, v2, v45
	s_cbranch_scc1 .LBB108_60
; %bb.61:                               ;   in Loop: Header=BB108_6 Depth=1
	s_and_not1_b32 vcc_lo, exec_lo, s72
	s_mov_b32 s18, s69
	s_cbranch_vccnz .LBB108_63
.LBB108_62:                             ;   Parent Loop BB108_6 Depth=1
                                        ; =>  This Inner Loop Header: Depth=2
	v_lshl_add_u32 v6, s15, 4, v5
	v_lshl_add_u32 v7, s14, 4, v5
	s_add_co_i32 s18, s18, -1
	s_add_co_i32 s15, s15, 2
	s_add_co_i32 s14, s14, 2
	ds_load_b32 v6, v6
	ds_load_b32 v7, v7
	s_cmp_lg_u32 s18, 0
	s_wait_dscnt 0x0
	v_dual_add_nc_u32 v3, v6, v3 :: v_dual_add_nc_u32 v2, v7, v2
	s_cbranch_scc1 .LBB108_62
.LBB108_63:                             ;   in Loop: Header=BB108_6 Depth=1
	s_delay_alu instid0(VALU_DEP_1) | instskip(SKIP_2) | instid1(SALU_CYCLE_1)
	v_add_nc_u32_e32 v2, v2, v3
	s_mov_b32 s14, s68
	s_mov_b32 s15, s73
	s_and_b32 vcc_lo, exec_lo, s15
	s_cbranch_vccnz .LBB108_85
	s_branch .LBB108_87
.LBB108_64:                             ;   in Loop: Header=BB108_6 Depth=1
	v_mov_b64_e32 v[4:5], 0
	v_mov_b64_e32 v[2:3], 0
	s_and_saveexec_b32 s96, s11
	s_cbranch_execz .LBB108_68
; %bb.65:                               ;   in Loop: Header=BB108_6 Depth=1
	v_mov_b32_e32 v6, v11
	s_mov_b32 s97, 0
	s_mov_b32 s98, 0
	s_mov_b32 s50, 0
	s_mov_b32 s51, s97
	s_mov_b32 s52, 0
	s_mov_b32 s53, s97
.LBB108_66:                             ;   Parent Loop BB108_6 Depth=1
                                        ; =>  This Inner Loop Header: Depth=2
	v_dual_lshlrev_b32 v2, 2, v14 :: v_dual_add_nc_u32 v4, s98, v27
	v_mad_u32 v3, s55, v11, s55
	v_dual_add_nc_u32 v5, s98, v28 :: v_dual_add_nc_u32 v6, s61, v6
	s_delay_alu instid0(VALU_DEP_3) | instskip(NEXT) | instid1(VALU_DEP_2)
	v_add_nc_u32_e32 v2, s98, v2
	v_cmp_le_u32_e32 vcc_lo, s77, v6
	global_load_u16 v2, v2, s[34:35] scale_offset
	v_add_nc_u32_e32 v3, s98, v3
	s_clause 0x2
	global_load_u16 v3, v3, s[34:35] scale_offset
	global_load_u16 v4, v4, s[34:35] scale_offset
	;; [unrolled: 1-line block ×3, first 2 shown]
	s_add_co_i32 s98, s98, s79
	s_wait_loadcnt 0x3
	v_cmp_lt_i16_e64 s14, -1, v2
	v_and_b32_e32 v7, 0xffff, v2
	s_delay_alu instid0(VALU_DEP_2)
	v_cndmask_b32_e64 v8, 0xffff, v30, s14
	s_wait_loadcnt 0x2
	v_cmp_lt_i16_e64 s15, -1, v3
	v_lshlrev_b32_e32 v2, 16, v2
	s_wait_loadcnt 0x1
	v_and_b32_e32 v9, 0xffff, v4
	s_wait_loadcnt 0x0
	v_and_b32_e32 v34, 0xffff, v5
	v_xor_b32_e32 v7, v8, v7
	v_cndmask_b32_e64 v8, 0xffff, v30, s15
	v_cmp_lt_i16_e64 s15, -1, v4
	v_cmp_o_f32_e64 s14, v2, v2
	v_and_b32_e32 v2, 0xffff, v3
	v_dual_lshlrev_b32 v3, 16, v3 :: v_dual_lshlrev_b32 v4, 16, v4
	s_delay_alu instid0(VALU_DEP_4) | instskip(SKIP_1) | instid1(VALU_DEP_4)
	v_cndmask_b32_e64 v16, 0xffff, v30, s15
	v_cmp_lt_i16_e64 s15, -1, v5
	v_dual_lshlrev_b32 v5, 16, v5 :: v_dual_bitop2_b32 v2, v8, v2 bitop3:0x14
	v_cndmask_b32_e64 v7, 0xffff, v7, s14
	v_cmp_o_f32_e64 s14, v3, v3
	s_delay_alu instid0(VALU_DEP_4)
	v_cndmask_b32_e64 v35, 0xffff, v30, s15
	v_xor_b32_e32 v3, v16, v9
	v_cmp_o_f32_e64 s15, v4, v4
	v_cmp_o_f32_e64 s16, v5, v5
	v_and_b32_e32 v5, v7, v31
	v_bfe_u32 v7, v7, s82, 2
	v_xor_b32_e32 v4, v35, v34
	v_cndmask_b32_e64 v2, 0xffff, v2, s14
	v_cndmask_b32_e64 v3, 0xffff, v3, s15
	v_cmp_eq_u32_e64 s14, v5, v25
	v_cmp_eq_u32_e64 s15, 0, v7
	v_cndmask_b32_e64 v4, 0xffff, v4, s16
	v_cmp_eq_u32_e64 s16, 1, v7
	v_cmp_eq_u32_e64 s17, 2, v7
	;; [unrolled: 1-line block ×3, first 2 shown]
	s_and_b32 s15, s14, s15
	v_and_b32_e32 v5, v2, v31
	v_bfe_u32 v2, v2, s82, 2
	v_cndmask_b32_e64 v9, 0, 1, s15
	s_and_b32 s15, s14, s16
	v_and_b32_e32 v7, v3, v31
	v_bfe_u32 v3, v3, s82, 2
	v_cndmask_b32_e64 v16, 0, 1, s15
	s_and_b32 s15, s14, s17
	s_and_b32 s14, s14, s18
	v_and_b32_e32 v8, v4, v31
	v_bfe_u32 v4, v4, s82, 2
	v_cndmask_b32_e64 v35, 0, 1, s14
	v_cmp_eq_u32_e64 s14, v5, v25
	v_cmp_eq_u32_e64 s17, 0, v2
	v_cndmask_b32_e64 v34, 0, 1, s15
	v_cmp_eq_u32_e64 s15, v7, v25
	v_cmp_eq_u32_e64 s18, 0, v3
	;; [unrolled: 1-line block ×4, first 2 shown]
	s_and_b32 s17, s14, s17
	v_cmp_eq_u32_e64 s20, 1, v2
	v_cmp_eq_u32_e64 s23, 2, v2
	v_cmp_eq_u32_e64 s26, 3, v2
	v_cndmask_b32_e64 v2, 0, 1, s17
	s_and_b32 s17, s15, s18
	v_cmp_eq_u32_e64 s21, 1, v3
	v_cmp_eq_u32_e64 s24, 2, v3
	v_cmp_eq_u32_e64 s27, 3, v3
	v_cndmask_b32_e64 v3, 0, 1, s17
	;; [unrolled: 5-line block ×3, first 2 shown]
	s_and_b32 s17, s14, s20
	v_cmp_ne_u32_e64 s29, 0, v9
	v_cndmask_b32_e64 v5, 0, 1, s17
	s_and_b32 s17, s15, s21
	v_cmp_ne_u32_e64 s33, 0, v35
	v_cndmask_b32_e64 v7, 0, 1, s17
	;; [unrolled: 3-line block ×3, first 2 shown]
	s_and_b32 s17, s14, s23
	s_and_b32 s14, s14, s26
	v_cndmask_b32_e64 v9, 0, 1, s17
	s_and_b32 s17, s15, s24
	v_cndmask_b32_e64 v35, 0, 1, s14
	;; [unrolled: 2-line block ×4, first 2 shown]
	s_and_b32 s14, s16, s28
	v_cmp_ne_u32_e64 s31, 0, v34
	v_cndmask_b32_e64 v34, 0, 1, s17
	v_cndmask_b32_e64 v37, 0, 1, s14
	v_cmp_ne_u32_e64 s14, 0, v2
	v_cmp_ne_u32_e64 s17, 0, v5
	;; [unrolled: 1-line block ×8, first 2 shown]
	s_bcnt1_i32_b32 s26, s29
	s_bcnt1_i32_b32 s27, s30
	;; [unrolled: 1-line block ×4, first 2 shown]
	v_cmp_ne_u32_e64 s16, 0, v4
	v_cmp_ne_u32_e64 s19, 0, v8
	;; [unrolled: 1-line block ×4, first 2 shown]
	s_add_co_i32 s26, s26, s50
	s_add_co_i32 s27, s27, s51
	;; [unrolled: 1-line block ×4, first 2 shown]
	s_bcnt1_i32_b32 s14, s14
	s_bcnt1_i32_b32 s17, s17
	;; [unrolled: 1-line block ×8, first 2 shown]
	s_add_co_i32 s17, s27, s17
	s_add_co_i32 s14, s26, s14
	;; [unrolled: 1-line block ×4, first 2 shown]
	s_bcnt1_i32_b32 s16, s16
	s_bcnt1_i32_b32 s19, s19
	;; [unrolled: 1-line block ×4, first 2 shown]
	s_add_co_i32 s14, s14, s15
	s_add_co_i32 s15, s17, s18
	;; [unrolled: 1-line block ×8, first 2 shown]
	v_mov_b64_e32 v[2:3], s[50:51]
	v_mov_b64_e32 v[4:5], s[52:53]
	s_or_b32 s97, vcc_lo, s97
	s_delay_alu instid0(SALU_CYCLE_1)
	s_and_not1_b32 exec_lo, exec_lo, s97
	s_cbranch_execnz .LBB108_66
; %bb.67:                               ;   in Loop: Header=BB108_6 Depth=1
	s_or_b32 exec_lo, exec_lo, s97
.LBB108_68:                             ;   in Loop: Header=BB108_6 Depth=1
	s_delay_alu instid0(SALU_CYCLE_1)
	s_or_b32 exec_lo, exec_lo, s96
	s_and_saveexec_b32 s18, s12
	s_cbranch_execz .LBB108_74
; %bb.69:                               ;   in Loop: Header=BB108_6 Depth=1
	global_load_u16 v9, v[18:19], off
	v_dual_mov_b32 v6, v29 :: v_dual_mov_b32 v7, v23
	s_mov_b32 s19, 0
	s_branch .LBB108_71
.LBB108_70:                             ;   in Loop: Header=BB108_71 Depth=2
	s_wait_xcnt 0x0
	s_or_b32 exec_lo, exec_lo, s15
	s_wait_loadcnt 0x0
	v_cmp_lt_i16_e64 s14, -1, v9
	v_and_b32_e32 v16, 0xffff, v9
	s_and_b32 s15, exec_lo, vcc_lo
	v_add_nc_u32_e32 v6, s56, v6
	s_or_b32 s19, s15, s19
	v_cndmask_b32_e64 v34, 0xffff, v30, s14
	s_delay_alu instid0(VALU_DEP_1) | instskip(NEXT) | instid1(VALU_DEP_1)
	v_dual_lshlrev_b32 v9, 16, v9 :: v_dual_bitop2_b32 v16, v34, v16 bitop3:0x14
	v_cmp_o_f32_e64 s14, v9, v9
	s_delay_alu instid0(VALU_DEP_1) | instskip(NEXT) | instid1(VALU_DEP_1)
	v_cndmask_b32_e64 v9, 0xffff, v16, s14
	v_and_b32_e32 v16, v9, v31
	v_bfe_u32 v9, v9, s82, 2
	s_delay_alu instid0(VALU_DEP_2) | instskip(NEXT) | instid1(VALU_DEP_2)
	v_cmp_eq_u32_e32 vcc_lo, v16, v25
	v_cmp_eq_u32_e64 s14, 0, v9
	v_cmp_eq_u32_e64 s15, 1, v9
	;; [unrolled: 1-line block ×4, first 2 shown]
	s_and_b32 s14, vcc_lo, s14
	s_delay_alu instid0(SALU_CYCLE_1) | instskip(SKIP_1) | instid1(SALU_CYCLE_1)
	v_cndmask_b32_e64 v9, 0, 1, s14
	s_and_b32 s14, vcc_lo, s15
	v_cndmask_b32_e64 v16, 0, 1, s14
	s_and_b32 s14, vcc_lo, s16
	s_delay_alu instid0(SALU_CYCLE_1)
	v_cndmask_b32_e64 v34, 0, 1, s14
	s_and_b32 s14, vcc_lo, s17
	v_cmp_ne_u32_e32 vcc_lo, 0, v9
	v_cndmask_b32_e64 v35, 0, 1, s14
	v_cmp_ne_u32_e64 s14, 0, v16
	v_cmp_ne_u32_e64 s15, 0, v34
	v_mov_b32_e32 v9, v8
	s_bcnt1_i32_b32 s17, vcc_lo
	v_cmp_ne_u32_e64 s16, 0, v35
	s_bcnt1_i32_b32 s14, s14
	s_bcnt1_i32_b32 s15, s15
	v_dual_add_nc_u32 v3, s14, v3 :: v_dual_add_nc_u32 v2, s17, v2
	s_bcnt1_i32_b32 s16, s16
	s_delay_alu instid0(SALU_CYCLE_1)
	v_dual_add_nc_u32 v4, s15, v4 :: v_dual_add_nc_u32 v5, s16, v5
	s_and_not1_b32 exec_lo, exec_lo, s19
	s_cbranch_execz .LBB108_73
.LBB108_71:                             ;   Parent Loop BB108_6 Depth=1
                                        ; =>  This Inner Loop Header: Depth=2
	s_delay_alu instid0(VALU_DEP_1) | instskip(SKIP_1) | instid1(VALU_DEP_1)
	v_dual_mov_b32 v8, 0 :: v_dual_add_nc_u32 v7, s54, v7
	s_mov_b32 s15, exec_lo
	v_cmp_le_u32_e32 vcc_lo, s36, v7
	s_wait_xcnt 0x0
	v_cmpx_gt_u32_e64 s36, v7
	s_cbranch_execz .LBB108_70
; %bb.72:                               ;   in Loop: Header=BB108_71 Depth=2
	global_load_u16 v8, v6, s[34:35] scale_offset
	s_branch .LBB108_70
.LBB108_73:                             ;   in Loop: Header=BB108_6 Depth=1
	s_or_b32 exec_lo, exec_lo, s19
.LBB108_74:                             ;   in Loop: Header=BB108_6 Depth=1
	s_delay_alu instid0(SALU_CYCLE_1)
	s_or_b32 exec_lo, exec_lo, s18
	s_branch .LBB108_53
.LBB108_75:                             ;   in Loop: Header=BB108_6 Depth=1
	s_mul_u64 s[14:15], s[44:45], s[38:39]
	v_mov_b64_e32 v[4:5], 0
	s_mul_i32 s14, s15, s61
	v_mov_b64_e32 v[2:3], 0
	s_sub_co_i32 s14, s44, s14
	s_mov_b32 s50, exec_lo
	s_sub_co_i32 s15, s14, s61
	s_cmp_ge_u32 s14, s61
	s_cselect_b32 s14, s15, s14
	s_delay_alu instid0(SALU_CYCLE_1) | instskip(SKIP_2) | instid1(SALU_CYCLE_1)
	s_sub_co_i32 s15, s14, s61
	s_cmp_ge_u32 s14, s61
	s_cselect_b32 s14, s15, s14
	s_sub_co_i32 s33, s44, s14
	s_delay_alu instid0(SALU_CYCLE_1)
	v_cmpx_gt_u32_e64 s33, v11
	s_cbranch_execz .LBB108_79
; %bb.76:                               ;   in Loop: Header=BB108_6 Depth=1
	v_dual_mov_b32 v6, v11 :: v_dual_lshlrev_b32 v7, 3, v0
	s_mov_b32 s51, 0
	s_mov_b32 s28, 0
	;; [unrolled: 1-line block ×5, first 2 shown]
.LBB108_77:                             ;   Parent Loop BB108_6 Depth=1
                                        ; =>  This Inner Loop Header: Depth=2
	ds_load_b64 v[2:3], v7
	v_dual_add_nc_u32 v6, s61, v6 :: v_dual_add_nc_u32 v7, s80, v7
	s_delay_alu instid0(VALU_DEP_1) | instskip(SKIP_4) | instid1(VALU_DEP_3)
	v_cmp_le_u32_e32 vcc_lo, s33, v6
	s_wait_dscnt 0x0
	v_cmp_lt_i16_e64 s14, -1, v2
	v_dual_lshrrev_b32 v4, 16, v2 :: v_dual_lshrrev_b32 v5, 16, v3
	v_dual_lshlrev_b32 v9, 16, v2 :: v_dual_lshlrev_b32 v35, 16, v3
	v_cndmask_b32_e64 v8, 0xffff, v30, s14
	v_cmp_lt_i16_e64 s14, -1, v3
	s_delay_alu instid0(VALU_DEP_4)
	v_cmp_lt_i16_e64 s15, -1, v5
	v_and_b32_e32 v16, 0xffff0000, v2
	v_and_b32_e32 v36, 0xffff0000, v3
	v_bitop3_b32 v2, v8, v2, 0xffff bitop3:0x78
	v_cndmask_b32_e64 v34, 0xffff, v30, s14
	v_cmp_lt_i16_e64 s14, -1, v4
	s_delay_alu instid0(VALU_DEP_2) | instskip(SKIP_2) | instid1(VALU_DEP_4)
	v_bitop3_b32 v3, v34, v3, 0xffff bitop3:0x78
	v_cndmask_b32_e64 v34, 0xffff, v30, s15
	v_cmp_o_f32_e64 s15, v9, v9
	v_cndmask_b32_e64 v8, 0xffff, v30, s14
	v_cmp_o_f32_e64 s14, v35, v35
	s_delay_alu instid0(VALU_DEP_4) | instskip(NEXT) | instid1(VALU_DEP_4)
	v_xor_b32_e32 v5, v34, v5
	v_cndmask_b32_e64 v2, 0xffff, v2, s15
	s_delay_alu instid0(VALU_DEP_4) | instskip(NEXT) | instid1(VALU_DEP_4)
	v_xor_b32_e32 v4, v8, v4
	v_cndmask_b32_e64 v3, 0xffff, v3, s14
	v_cmp_o_f32_e64 s15, v16, v16
	v_cmp_o_f32_e64 s14, v36, v36
	v_and_b32_e32 v8, v2, v31
	v_bfe_u32 v2, v2, s82, 2
	v_and_b32_e32 v9, v3, v31
	v_cndmask_b32_e64 v4, 0xffff, v4, s15
	v_bfe_u32 v3, v3, s82, 2
	v_cndmask_b32_e64 v5, 0xffff, v5, s14
	v_cmp_eq_u32_e64 s14, v8, v25
	v_cmp_eq_u32_e64 s16, 0, v2
	;; [unrolled: 1-line block ×4, first 2 shown]
	v_and_b32_e32 v8, v4, v31
	v_cmp_eq_u32_e64 s15, v9, v25
	v_cmp_eq_u32_e64 s17, 0, v3
	;; [unrolled: 1-line block ×4, first 2 shown]
	v_and_b32_e32 v9, v5, v31
	v_bfe_u32 v4, v4, s82, 2
	v_bfe_u32 v5, v5, s82, 2
	v_cmp_eq_u32_e64 s22, 3, v2
	s_and_b32 s16, s14, s16
	s_and_b32 s18, s14, s18
	;; [unrolled: 1-line block ×3, first 2 shown]
	v_cmp_eq_u32_e64 s24, v8, v25
	v_cndmask_b32_e64 v2, 0, 1, s16
	s_and_b32 s16, s15, s17
	v_cndmask_b32_e64 v8, 0, 1, s18
	s_and_b32 s18, s15, s19
	;; [unrolled: 2-line block ×3, first 2 shown]
	v_cmp_eq_u32_e64 s23, 3, v3
	v_cmp_eq_u32_e64 s25, v9, v25
	v_cmp_eq_u32_e64 s26, 0, v4
	v_cmp_eq_u32_e64 s27, 0, v5
	v_cndmask_b32_e64 v3, 0, 1, s16
	v_cmp_eq_u32_e64 s16, 1, v4
	v_cmp_eq_u32_e64 s17, 1, v5
	v_cndmask_b32_e64 v9, 0, 1, s18
	v_cmp_eq_u32_e64 s18, 2, v4
	v_cmp_eq_u32_e64 s19, 2, v5
	v_cndmask_b32_e64 v34, 0, 1, s20
	v_cmp_eq_u32_e64 s20, 3, v4
	s_and_b32 s14, s14, s22
	v_cmp_eq_u32_e64 s21, 3, v5
	v_cndmask_b32_e64 v4, 0, 1, s14
	s_and_b32 s14, s15, s23
	s_and_b32 s15, s24, s26
	;; [unrolled: 1-line block ×8, first 2 shown]
	v_cndmask_b32_e64 v5, 0, 1, s14
	v_cmp_ne_u32_e64 s14, 0, v2
	v_cndmask_b32_e64 v2, 0, 1, s15
	v_cmp_ne_u32_e64 s15, 0, v3
	;; [unrolled: 2-line block ×7, first 2 shown]
	v_cndmask_b32_e64 v4, 0, 1, s20
	s_and_b32 s21, s25, s21
	v_cmp_ne_u32_e64 s20, 0, v5
	v_cndmask_b32_e64 v5, 0, 1, s21
	s_bcnt1_i32_b32 s23, s14
	v_cmp_ne_u32_e64 s14, 0, v2
	v_cmp_ne_u32_e64 s21, 0, v8
	s_bcnt1_i32_b32 s26, s17
	v_cmp_ne_u32_e64 s17, 0, v16
	s_bcnt1_i32_b32 s52, s19
	;; [unrolled: 2-line block ×3, first 2 shown]
	s_bcnt1_i32_b32 s24, s15
	v_cmp_ne_u32_e64 s15, 0, v3
	s_bcnt1_i32_b32 s25, s16
	v_cmp_ne_u32_e64 s16, 0, v9
	;; [unrolled: 2-line block ×4, first 2 shown]
	s_add_co_i32 s23, s23, s28
	s_add_co_i32 s22, s22, s29
	;; [unrolled: 1-line block ×4, first 2 shown]
	s_bcnt1_i32_b32 s14, s14
	s_bcnt1_i32_b32 s21, s21
	;; [unrolled: 1-line block ×4, first 2 shown]
	s_add_co_i32 s21, s22, s21
	s_add_co_i32 s14, s23, s14
	;; [unrolled: 1-line block ×4, first 2 shown]
	s_bcnt1_i32_b32 s15, s15
	s_bcnt1_i32_b32 s16, s16
	;; [unrolled: 1-line block ×4, first 2 shown]
	s_add_co_i32 s14, s14, s24
	s_add_co_i32 s21, s21, s25
	;; [unrolled: 1-line block ×8, first 2 shown]
	v_mov_b64_e32 v[2:3], s[28:29]
	v_mov_b64_e32 v[4:5], s[30:31]
	s_or_b32 s51, vcc_lo, s51
	s_delay_alu instid0(SALU_CYCLE_1)
	s_and_not1_b32 exec_lo, exec_lo, s51
	s_cbranch_execnz .LBB108_77
; %bb.78:                               ;   in Loop: Header=BB108_6 Depth=1
	s_or_b32 exec_lo, exec_lo, s51
.LBB108_79:                             ;   in Loop: Header=BB108_6 Depth=1
	s_delay_alu instid0(SALU_CYCLE_1) | instskip(SKIP_2) | instid1(VALU_DEP_1)
	s_or_b32 exec_lo, exec_lo, s50
	v_add_nc_u32_e32 v6, s33, v0
	s_mov_b32 s19, exec_lo
	v_cmpx_gt_u32_e64 s44, v6
	s_cbranch_execz .LBB108_83
; %bb.80:                               ;   in Loop: Header=BB108_6 Depth=1
	v_lshlrev_b32_e32 v7, 1, v6
	s_mov_b32 s20, 0
.LBB108_81:                             ;   Parent Loop BB108_6 Depth=1
                                        ; =>  This Inner Loop Header: Depth=2
	ds_load_u16 v8, v7
	v_dual_add_nc_u32 v6, s54, v6 :: v_dual_add_nc_u32 v7, s81, v7
	s_delay_alu instid0(VALU_DEP_1) | instskip(SKIP_3) | instid1(VALU_DEP_2)
	v_cmp_le_u32_e32 vcc_lo, s44, v6
	s_wait_dscnt 0x0
	v_cmp_lt_i16_e64 s14, -1, v8
	v_and_b32_e32 v9, 0xffff, v8
	v_cndmask_b32_e64 v16, 0xffff, v30, s14
	s_delay_alu instid0(VALU_DEP_1) | instskip(NEXT) | instid1(VALU_DEP_1)
	v_dual_lshlrev_b32 v8, 16, v8 :: v_dual_bitop2_b32 v9, v16, v9 bitop3:0x14
	v_cmp_o_f32_e64 s14, v8, v8
	s_delay_alu instid0(VALU_DEP_1) | instskip(NEXT) | instid1(VALU_DEP_1)
	v_cndmask_b32_e64 v8, 0xffff, v9, s14
	v_and_b32_e32 v9, v8, v31
	v_bfe_u32 v8, v8, s82, 2
	s_delay_alu instid0(VALU_DEP_2) | instskip(NEXT) | instid1(VALU_DEP_2)
	v_cmp_eq_u32_e64 s14, v9, v25
	v_cmp_eq_u32_e64 s15, 0, v8
	;; [unrolled: 1-line block ×5, first 2 shown]
	s_and_b32 s15, s14, s15
	s_delay_alu instid0(SALU_CYCLE_1) | instskip(SKIP_1) | instid1(SALU_CYCLE_1)
	v_cndmask_b32_e64 v8, 0, 1, s15
	s_and_b32 s15, s14, s16
	v_cndmask_b32_e64 v9, 0, 1, s15
	s_and_b32 s15, s14, s17
	s_and_b32 s14, s14, s18
	v_cndmask_b32_e64 v16, 0, 1, s15
	v_cndmask_b32_e64 v34, 0, 1, s14
	v_cmp_ne_u32_e64 s14, 0, v8
	v_cmp_ne_u32_e64 s15, 0, v9
	s_delay_alu instid0(VALU_DEP_4) | instskip(NEXT) | instid1(VALU_DEP_4)
	v_cmp_ne_u32_e64 s16, 0, v16
	v_cmp_ne_u32_e64 s17, 0, v34
	s_bcnt1_i32_b32 s14, s14
	s_bcnt1_i32_b32 s15, s15
	v_add_nc_u32_e32 v2, s14, v2
	s_bcnt1_i32_b32 s16, s16
	s_bcnt1_i32_b32 s17, s17
	s_delay_alu instid0(SALU_CYCLE_1) | instskip(SKIP_2) | instid1(SALU_CYCLE_1)
	v_dual_add_nc_u32 v3, s15, v3 :: v_dual_add_nc_u32 v5, s17, v5
	v_add_nc_u32_e32 v4, s16, v4
	s_or_b32 s20, vcc_lo, s20
	s_and_not1_b32 exec_lo, exec_lo, s20
	s_cbranch_execnz .LBB108_81
; %bb.82:                               ;   in Loop: Header=BB108_6 Depth=1
	s_or_b32 exec_lo, exec_lo, s20
.LBB108_83:                             ;   in Loop: Header=BB108_6 Depth=1
	s_delay_alu instid0(SALU_CYCLE_1)
	s_or_b32 exec_lo, exec_lo, s19
	s_lshl_b32 s16, s86, 7
	s_and_saveexec_b32 s14, s2
	s_cbranch_execnz .LBB108_54
	s_branch .LBB108_55
.LBB108_84:                             ;   in Loop: Header=BB108_6 Depth=1
	v_mov_b32_e32 v2, 0
	s_mov_b32 s14, 0
	s_cbranch_execz .LBB108_87
.LBB108_85:                             ;   in Loop: Header=BB108_6 Depth=1
	v_lshl_or_b32 v3, v1, 2, 0xc00
	s_lshl_b32 s15, s86, 9
	s_lshl_b32 s18, s14, 4
	s_sub_co_i32 s14, s66, s14
	s_delay_alu instid0(VALU_DEP_1)
	v_add3_u32 v3, s15, s18, v3
.LBB108_86:                             ;   Parent Loop BB108_6 Depth=1
                                        ; =>  This Inner Loop Header: Depth=2
	ds_load_b32 v5, v3
	v_add_nc_u32_e32 v3, 16, v3
	s_add_co_i32 s14, s14, -1
	s_delay_alu instid0(SALU_CYCLE_1)
	s_cmp_eq_u32 s14, 0
	s_wait_dscnt 0x0
	v_add_nc_u32_e32 v2, v5, v2
	s_cbranch_scc0 .LBB108_86
.LBB108_87:                             ;   in Loop: Header=BB108_6 Depth=1
	s_delay_alu instid0(VALU_DEP_1)
	v_lshlrev_b32_e32 v3, 2, v4
	ds_store_b32 v3, v2 offset:3072
.LBB108_88:                             ;   in Loop: Header=BB108_6 Depth=1
	s_or_b32 exec_lo, exec_lo, s17
	s_lshl_b32 s14, s16, 2
	s_wait_dscnt 0x0
	v_mov_b32_e32 v2, s14
	s_barrier_signal -1
	s_barrier_wait -1
	v_cmp_eq_u32_e64 s14, 1, v33
	ds_load_b128 v[2:5], v2 offset:3072
	s_lshl_b32 s18, 3, s82
	s_mov_b32 s26, -1
	s_not_b32 s19, s18
	s_mov_b32 s16, 0
	s_and_not1_b32 vcc_lo, exec_lo, s60
	s_mov_b32 s23, 0
	s_mov_b32 s15, 0
                                        ; implicit-def: $sgpr24
                                        ; implicit-def: $sgpr25
                                        ; implicit-def: $vgpr6
	s_wait_dscnt 0x0
	v_readfirstlane_b32 s17, v2
	v_readfirstlane_b32 s20, v3
	;; [unrolled: 1-line block ×4, first 2 shown]
                                        ; implicit-def: $vgpr5
                                        ; implicit-def: $vgpr2
                                        ; implicit-def: $vgpr3
                                        ; implicit-def: $vgpr4
	s_cbranch_vccnz .LBB108_247
; %bb.89:                               ;   in Loop: Header=BB108_6 Depth=1
	s_cmp_eq_u32 s17, 1
	v_dual_mov_b32 v3, v25 :: v_dual_mov_b32 v4, v31
	v_mov_b32_e32 v6, v32
	s_cselect_b32 s15, -1, 0
	s_mov_b32 s29, -1
	s_and_b32 s28, s15, s14
                                        ; implicit-def: $sgpr25
                                        ; implicit-def: $sgpr24
	s_delay_alu instid0(SALU_CYCLE_1)
	s_and_saveexec_b32 s15, s28
	s_cbranch_execz .LBB108_116
; %bb.90:                               ;   in Loop: Header=BB108_6 Depth=1
	ds_load_b32 v2, v17 offset:4096
	s_wait_dscnt 0x0
	s_barrier_signal -1
	s_barrier_wait -1
	v_readfirstlane_b32 s26, v2
	s_and_saveexec_b32 s23, s6
; %bb.91:                               ;   in Loop: Header=BB108_6 Depth=1
	ds_store_b16 v20, v17
; %bb.92:                               ;   in Loop: Header=BB108_6 Depth=1
	s_or_b32 exec_lo, exec_lo, s23
	v_and_b32_e32 v3, s19, v25
	v_or_b32_e32 v4, s18, v31
	s_mov_b32 s24, -1
	s_mov_b32 s25, 0
	s_cmp_eq_u32 s26, 0
	s_mov_b32 s23, 0
	s_mov_b32 s27, -1
	s_wait_dscnt 0x0
	s_barrier_signal -1
	s_barrier_wait -1
                                        ; implicit-def: $vgpr6
	s_cbranch_scc1 .LBB108_103
; %bb.93:                               ;   in Loop: Header=BB108_6 Depth=1
	s_add_co_i32 s44, s26, s65
	s_mov_b32 s29, exec_lo
	s_mul_u64 s[30:31], s[44:45], s[46:47]
                                        ; implicit-def: $vgpr6
	s_delay_alu instid0(SALU_CYCLE_1) | instskip(NEXT) | instid1(SALU_CYCLE_1)
	s_mul_i32 s23, s31, s54
	s_sub_co_i32 s23, s44, s23
	s_delay_alu instid0(SALU_CYCLE_1) | instskip(SKIP_2) | instid1(SALU_CYCLE_1)
	s_sub_co_i32 s27, s23, s54
	s_cmp_ge_u32 s23, s54
	s_cselect_b32 s23, s27, s23
	s_sub_co_i32 s27, s23, s54
	s_cmp_ge_u32 s23, s54
	s_cselect_b32 s23, s27, s23
	s_mov_b32 s27, 0
	s_sub_co_i32 s30, s44, s23
	s_mov_b32 s23, 0
	v_cmpx_gt_u32_e64 s30, v0
	s_cbranch_execz .LBB108_102
; %bb.94:                               ;   in Loop: Header=BB108_6 Depth=1
	v_dual_mov_b32 v2, v15 :: v_dual_mov_b32 v5, v0
                                        ; implicit-def: $sgpr31
	s_branch .LBB108_97
.LBB108_95:                             ;   in Loop: Header=BB108_97 Depth=2
	s_or_b32 exec_lo, exec_lo, s33
	s_wait_dscnt 0x0
	s_barrier_signal -1
	s_barrier_wait -1
	ds_load_b32 v6, v17 offset:3072
	s_mov_b32 s33, -1
	s_mov_b32 s44, -1
	s_wait_dscnt 0x0
	s_barrier_signal -1
	s_barrier_wait -1
	v_and_b32_e32 v7, 0x7fff, v6
	s_delay_alu instid0(VALU_DEP_1)
	v_cmp_ne_u32_e32 vcc_lo, 0, v7
	s_cbranch_vccz .LBB108_100
.LBB108_96:                             ;   in Loop: Header=BB108_97 Depth=2
	s_and_b32 s33, exec_lo, s33
	s_delay_alu instid0(SALU_CYCLE_1) | instskip(SKIP_2) | instid1(SALU_CYCLE_1)
	s_or_b32 s23, s33, s23
	s_and_not1_b32 s31, s31, exec_lo
	s_and_b32 s33, s44, exec_lo
	s_or_b32 s31, s31, s33
	s_and_not1_b32 exec_lo, exec_lo, s23
	s_cbranch_execz .LBB108_101
.LBB108_97:                             ;   Parent Loop BB108_6 Depth=1
                                        ; =>  This Inner Loop Header: Depth=2
	s_mov_b32 s33, exec_lo
	s_delay_alu instid0(VALU_DEP_1)
	v_cmpx_gt_u32_e64 s26, v5
	s_cbranch_execz .LBB108_95
; %bb.98:                               ;   in Loop: Header=BB108_97 Depth=2
	ds_load_u16 v6, v2
	s_wait_dscnt 0x0
	v_cmp_lt_i16_e32 vcc_lo, -1, v6
	v_and_b32_e32 v7, 0xffff, v6
	v_cndmask_b32_e32 v8, 0xffff, v30, vcc_lo
	s_delay_alu instid0(VALU_DEP_1) | instskip(NEXT) | instid1(VALU_DEP_1)
	v_dual_lshlrev_b32 v9, 16, v6 :: v_dual_bitop2_b32 v7, v8, v7 bitop3:0x14
	v_cmp_o_f32_e32 vcc_lo, v9, v9
	s_delay_alu instid0(VALU_DEP_2) | instskip(NEXT) | instid1(VALU_DEP_1)
	v_cndmask_b32_e32 v7, 0xffff, v7, vcc_lo
	v_and_b32_e32 v7, v7, v4
	s_delay_alu instid0(VALU_DEP_1)
	v_cmp_eq_u32_e32 vcc_lo, v7, v3
	s_and_b32 exec_lo, exec_lo, vcc_lo
	s_cbranch_execz .LBB108_95
; %bb.99:                               ;   in Loop: Header=BB108_97 Depth=2
	v_perm_b32 v6, v6, s84, 0x5040100
	ds_store_b32 v17, v6 offset:3072
	s_branch .LBB108_95
.LBB108_100:                            ;   in Loop: Header=BB108_97 Depth=2
	v_dual_add_nc_u32 v5, s54, v5 :: v_dual_add_nc_u32 v2, s81, v2
	s_mov_b32 s44, 0
	s_delay_alu instid0(VALU_DEP_1)
	v_cmp_le_u32_e32 vcc_lo, s30, v5
	s_or_not1_b32 s33, vcc_lo, exec_lo
	s_branch .LBB108_96
.LBB108_101:                            ;   in Loop: Header=BB108_6 Depth=1
	s_or_b32 exec_lo, exec_lo, s23
	v_lshrrev_b32_e32 v6, 16, v6
	s_and_b32 s23, s31, exec_lo
.LBB108_102:                            ;   in Loop: Header=BB108_6 Depth=1
	s_or_b32 exec_lo, exec_lo, s29
.LBB108_103:                            ;   in Loop: Header=BB108_6 Depth=1
	s_delay_alu instid0(SALU_CYCLE_1)
	s_and_b32 vcc_lo, exec_lo, s27
	s_cbranch_vccz .LBB108_115
; %bb.104:                              ;   in Loop: Header=BB108_6 Depth=1
                                        ; implicit-def: $vgpr6
	s_and_saveexec_b32 s24, s13
	s_cbranch_execz .LBB108_114
; %bb.105:                              ;   in Loop: Header=BB108_6 Depth=1
	v_dual_mov_b32 v2, v14 :: v_dual_mov_b32 v5, v0
	s_mov_b32 s25, 0
                                        ; implicit-def: $sgpr26
	s_branch .LBB108_108
.LBB108_106:                            ;   in Loop: Header=BB108_108 Depth=2
	s_or_b32 exec_lo, exec_lo, s27
	s_wait_dscnt 0x0
	s_barrier_signal -1
	s_barrier_wait -1
	ds_load_b32 v6, v17 offset:3072
	s_mov_b32 s27, -1
	s_mov_b32 s29, -1
	s_wait_dscnt 0x0
	s_barrier_signal -1
	s_barrier_wait -1
	v_and_b32_e32 v7, 0x7fff, v6
	s_delay_alu instid0(VALU_DEP_1)
	v_cmp_ne_u32_e32 vcc_lo, 0, v7
	s_cbranch_vccz .LBB108_111
.LBB108_107:                            ;   in Loop: Header=BB108_108 Depth=2
	s_and_b32 s27, exec_lo, s27
	s_delay_alu instid0(SALU_CYCLE_1) | instskip(SKIP_2) | instid1(SALU_CYCLE_1)
	s_or_b32 s25, s27, s25
	s_and_not1_b32 s26, s26, exec_lo
	s_and_b32 s27, s29, exec_lo
	s_or_b32 s26, s26, s27
	s_and_not1_b32 exec_lo, exec_lo, s25
	s_cbranch_execz .LBB108_113
.LBB108_108:                            ;   Parent Loop BB108_6 Depth=1
                                        ; =>  This Inner Loop Header: Depth=2
	s_mov_b32 s27, exec_lo
	s_delay_alu instid0(VALU_DEP_1)
	v_cmpx_gt_u32_e64 s36, v5
	s_cbranch_execz .LBB108_106
; %bb.109:                              ;   in Loop: Header=BB108_108 Depth=2
	global_load_u16 v6, v2, s[34:35] scale_offset
	s_wait_loadcnt 0x0
	v_cmp_lt_i16_e32 vcc_lo, -1, v6
	v_and_b32_e32 v7, 0xffff, v6
	v_cndmask_b32_e32 v8, 0xffff, v30, vcc_lo
	s_delay_alu instid0(VALU_DEP_1) | instskip(NEXT) | instid1(VALU_DEP_1)
	v_dual_lshlrev_b32 v9, 16, v6 :: v_dual_bitop2_b32 v7, v8, v7 bitop3:0x14
	v_cmp_o_f32_e32 vcc_lo, v9, v9
	s_delay_alu instid0(VALU_DEP_2) | instskip(NEXT) | instid1(VALU_DEP_1)
	v_cndmask_b32_e32 v7, 0xffff, v7, vcc_lo
	v_and_b32_e32 v7, v7, v4
	s_delay_alu instid0(VALU_DEP_1)
	v_cmp_eq_u32_e32 vcc_lo, v7, v3
	s_and_b32 exec_lo, exec_lo, vcc_lo
	s_cbranch_execz .LBB108_106
; %bb.110:                              ;   in Loop: Header=BB108_108 Depth=2
	v_perm_b32 v6, v6, s84, 0x5040100
	ds_store_b32 v17, v6 offset:3072
	s_branch .LBB108_106
.LBB108_111:                            ;   in Loop: Header=BB108_108 Depth=2
	v_dual_add_nc_u32 v5, s54, v5 :: v_dual_add_nc_u32 v2, s56, v2
	s_mov_b32 s29, 0
	s_delay_alu instid0(VALU_DEP_1)
	v_cmp_le_u32_e32 vcc_lo, s78, v5
	s_or_not1_b32 s27, vcc_lo, exec_lo
	s_branch .LBB108_107
.LBB108_112:                            ;   in Loop: Header=BB108_6 Depth=1
	s_mov_b64 s[14:15], 0x100000000
	v_mov_b64_e32 v[2:3], 0
	s_and_not1_b32 vcc_lo, exec_lo, s72
	s_mov_b32 s18, s69
	s_cbranch_vccz .LBB108_62
	s_branch .LBB108_63
.LBB108_113:                            ;   in Loop: Header=BB108_6 Depth=1
	s_or_b32 exec_lo, exec_lo, s25
	v_lshrrev_b32_e32 v6, 16, v6
	s_and_not1_b32 s23, s23, exec_lo
	s_and_b32 s25, s26, exec_lo
	s_delay_alu instid0(SALU_CYCLE_1)
	s_or_b32 s23, s23, s25
.LBB108_114:                            ;   in Loop: Header=BB108_6 Depth=1
	s_or_b32 exec_lo, exec_lo, s24
	s_mov_b32 s24, 0
	s_mov_b32 s25, -1
.LBB108_115:                            ;   in Loop: Header=BB108_6 Depth=1
	s_or_not1_b32 s29, s23, exec_lo
.LBB108_116:                            ;   in Loop: Header=BB108_6 Depth=1
	s_or_b32 exec_lo, exec_lo, s15
	s_mov_b32 s26, 0
	s_mov_b32 s23, 0
	;; [unrolled: 1-line block ×3, first 2 shown]
                                        ; implicit-def: $vgpr5
                                        ; implicit-def: $vgpr2
	s_and_saveexec_b32 s27, s29
	s_cbranch_execz .LBB108_246
; %bb.117:                              ;   in Loop: Header=BB108_6 Depth=1
	v_dual_mov_b32 v5, 1 :: v_dual_mov_b32 v2, 1
	s_xor_b32 s23, s28, -1
	s_mov_b32 s30, 0
	s_and_saveexec_b32 s15, s23
	s_cbranch_execz .LBB108_126
; %bb.118:                              ;   in Loop: Header=BB108_6 Depth=1
	s_mov_b32 s23, exec_lo
	v_cmpx_ge_u32_e64 s17, v33
	s_xor_b32 s23, exec_lo, s23
	s_cbranch_execz .LBB108_123
; %bb.119:                              ;   in Loop: Header=BB108_6 Depth=1
	ds_load_b32 v2, v17 offset:4096
	v_and_b32_e32 v3, s19, v3
	v_or_b32_e32 v4, s18, v4
	s_wait_dscnt 0x0
	v_cmp_ne_u32_e32 vcc_lo, 0, v2
	s_cbranch_vccnz .LBB108_123
; %bb.120:                              ;   in Loop: Header=BB108_6 Depth=1
	s_and_saveexec_b32 s28, s5
; %bb.121:                              ;   in Loop: Header=BB108_6 Depth=1
	v_mov_b32_e32 v2, s17
	ds_store_b32 v17, v2 offset:4100
; %bb.122:                              ;   in Loop: Header=BB108_6 Depth=1
	s_or_b32 exec_lo, exec_lo, s28
	s_wait_dscnt 0x0
	s_barrier_signal -1
	s_barrier_wait -1
.LBB108_123:                            ;   in Loop: Header=BB108_6 Depth=1
	s_or_saveexec_b32 s23, s23
	v_dual_mov_b32 v2, 8 :: v_dual_mov_b32 v5, v33
	s_mov_b32 s28, 0
	s_xor_b32 exec_lo, exec_lo, s23
; %bb.124:                              ;   in Loop: Header=BB108_6 Depth=1
	v_subrev_nc_u32_e32 v5, s17, v33
	v_mov_b32_e32 v2, 0
	s_mov_b32 s28, exec_lo
; %bb.125:                              ;   in Loop: Header=BB108_6 Depth=1
	s_or_b32 exec_lo, exec_lo, s23
	s_delay_alu instid0(SALU_CYCLE_1)
	s_and_b32 s30, s28, exec_lo
.LBB108_126:                            ;   in Loop: Header=BB108_6 Depth=1
	s_or_b32 exec_lo, exec_lo, s15
	s_mov_b32 s29, -1
                                        ; implicit-def: $sgpr23
                                        ; implicit-def: $sgpr28
	s_and_saveexec_b32 s15, s30
	s_delay_alu instid0(SALU_CYCLE_1)
	s_xor_b32 s15, exec_lo, s15
	s_cbranch_execz .LBB108_243
; %bb.127:                              ;   in Loop: Header=BB108_6 Depth=1
	v_cmp_eq_u32_e32 vcc_lo, 1, v5
	s_cmp_eq_u32 s20, 1
	s_mov_b32 s31, -1
	s_cselect_b32 s23, -1, 0
                                        ; implicit-def: $sgpr28
	s_delay_alu instid0(SALU_CYCLE_1) | instskip(NEXT) | instid1(SALU_CYCLE_1)
	s_and_b32 s30, s23, vcc_lo
                                        ; implicit-def: $sgpr23
	s_and_saveexec_b32 s29, s30
	s_cbranch_execz .LBB108_153
; %bb.128:                              ;   in Loop: Header=BB108_6 Depth=1
	ds_load_b32 v6, v17 offset:4096
	s_wait_dscnt 0x0
	s_barrier_signal -1
	s_barrier_wait -1
	v_readfirstlane_b32 s33, v6
	s_and_saveexec_b32 s23, s6
; %bb.129:                              ;   in Loop: Header=BB108_6 Depth=1
	ds_store_b16 v20, v17
; %bb.130:                              ;   in Loop: Header=BB108_6 Depth=1
	s_or_b32 exec_lo, exec_lo, s23
	s_lshl_b32 s23, 1, s82
	v_or_b32_e32 v4, s18, v4
	v_and_or_b32 v3, v3, s19, s23
	s_mov_b32 s23, -1
	s_mov_b32 s28, 0
	s_cmp_eq_u32 s33, 0
	s_mov_b32 s31, 0
	s_mov_b32 s44, -1
	s_wait_dscnt 0x0
	s_barrier_signal -1
	s_barrier_wait -1
                                        ; implicit-def: $vgpr6
	s_cbranch_scc1 .LBB108_141
; %bb.131:                              ;   in Loop: Header=BB108_6 Depth=1
	s_add_co_i32 s44, s33, s65
                                        ; implicit-def: $vgpr6
	s_delay_alu instid0(SALU_CYCLE_1) | instskip(NEXT) | instid1(SALU_CYCLE_1)
	s_mul_u64 s[50:51], s[44:45], s[46:47]
	s_mul_i32 s31, s51, s54
	s_delay_alu instid0(SALU_CYCLE_1) | instskip(NEXT) | instid1(SALU_CYCLE_1)
	s_sub_co_i32 s31, s44, s31
	s_sub_co_i32 s50, s31, s54
	s_cmp_ge_u32 s31, s54
	s_cselect_b32 s31, s50, s31
	s_delay_alu instid0(SALU_CYCLE_1)
	s_sub_co_i32 s50, s31, s54
	s_cmp_ge_u32 s31, s54
	s_cselect_b32 s31, s50, s31
	s_mov_b32 s50, exec_lo
	s_sub_co_i32 s51, s44, s31
	s_mov_b32 s44, 0
	s_mov_b32 s31, 0
	v_cmpx_gt_u32_e64 s51, v0
	s_cbranch_execz .LBB108_140
; %bb.132:                              ;   in Loop: Header=BB108_6 Depth=1
	v_dual_mov_b32 v6, v15 :: v_dual_mov_b32 v7, v0
                                        ; implicit-def: $sgpr52
	s_branch .LBB108_135
.LBB108_133:                            ;   in Loop: Header=BB108_135 Depth=2
	s_or_b32 exec_lo, exec_lo, s53
	s_wait_dscnt 0x0
	s_barrier_signal -1
	s_barrier_wait -1
	ds_load_b32 v8, v17 offset:3072
	s_mov_b32 s53, -1
	s_mov_b32 s96, -1
	s_wait_dscnt 0x0
	s_barrier_signal -1
	s_barrier_wait -1
	v_and_b32_e32 v9, 0x7fff, v8
	s_delay_alu instid0(VALU_DEP_1)
	v_cmp_ne_u32_e32 vcc_lo, 0, v9
	s_cbranch_vccz .LBB108_138
.LBB108_134:                            ;   in Loop: Header=BB108_135 Depth=2
	s_and_b32 s53, exec_lo, s53
	s_delay_alu instid0(SALU_CYCLE_1) | instskip(SKIP_2) | instid1(SALU_CYCLE_1)
	s_or_b32 s31, s53, s31
	s_and_not1_b32 s52, s52, exec_lo
	s_and_b32 s53, s96, exec_lo
	s_or_b32 s52, s52, s53
	s_and_not1_b32 exec_lo, exec_lo, s31
	s_cbranch_execz .LBB108_139
.LBB108_135:                            ;   Parent Loop BB108_6 Depth=1
                                        ; =>  This Inner Loop Header: Depth=2
	s_mov_b32 s53, exec_lo
	s_delay_alu instid0(VALU_DEP_1)
	v_cmpx_gt_u32_e64 s33, v7
	s_cbranch_execz .LBB108_133
; %bb.136:                              ;   in Loop: Header=BB108_135 Depth=2
	ds_load_u16 v8, v6
	s_wait_dscnt 0x0
	v_cmp_lt_i16_e32 vcc_lo, -1, v8
	v_and_b32_e32 v9, 0xffff, v8
	v_cndmask_b32_e32 v16, 0xffff, v30, vcc_lo
	s_delay_alu instid0(VALU_DEP_1) | instskip(NEXT) | instid1(VALU_DEP_1)
	v_dual_lshlrev_b32 v34, 16, v8 :: v_dual_bitop2_b32 v9, v16, v9 bitop3:0x14
	v_cmp_o_f32_e32 vcc_lo, v34, v34
	s_delay_alu instid0(VALU_DEP_2) | instskip(NEXT) | instid1(VALU_DEP_1)
	v_cndmask_b32_e32 v9, 0xffff, v9, vcc_lo
	v_and_b32_e32 v9, v9, v4
	s_delay_alu instid0(VALU_DEP_1)
	v_cmp_eq_u32_e32 vcc_lo, v9, v3
	s_and_b32 exec_lo, exec_lo, vcc_lo
	s_cbranch_execz .LBB108_133
; %bb.137:                              ;   in Loop: Header=BB108_135 Depth=2
	v_perm_b32 v8, v8, s84, 0x5040100
	ds_store_b32 v17, v8 offset:3072
	s_branch .LBB108_133
.LBB108_138:                            ;   in Loop: Header=BB108_135 Depth=2
	v_dual_add_nc_u32 v7, s54, v7 :: v_dual_add_nc_u32 v6, s81, v6
	s_mov_b32 s96, 0
	s_delay_alu instid0(VALU_DEP_1)
	v_cmp_le_u32_e32 vcc_lo, s51, v7
	s_or_not1_b32 s53, vcc_lo, exec_lo
	s_branch .LBB108_134
.LBB108_139:                            ;   in Loop: Header=BB108_6 Depth=1
	s_or_b32 exec_lo, exec_lo, s31
	v_lshrrev_b32_e32 v6, 16, v8
	s_and_b32 s31, s52, exec_lo
.LBB108_140:                            ;   in Loop: Header=BB108_6 Depth=1
	s_or_b32 exec_lo, exec_lo, s50
.LBB108_141:                            ;   in Loop: Header=BB108_6 Depth=1
	s_delay_alu instid0(SALU_CYCLE_1)
	s_and_b32 vcc_lo, exec_lo, s44
	s_cbranch_vccz .LBB108_152
; %bb.142:                              ;   in Loop: Header=BB108_6 Depth=1
                                        ; implicit-def: $vgpr6
	s_and_saveexec_b32 s23, s13
	s_cbranch_execz .LBB108_151
; %bb.143:                              ;   in Loop: Header=BB108_6 Depth=1
	v_dual_mov_b32 v6, v14 :: v_dual_mov_b32 v7, v0
	s_mov_b32 s28, 0
                                        ; implicit-def: $sgpr33
	s_branch .LBB108_146
.LBB108_144:                            ;   in Loop: Header=BB108_146 Depth=2
	s_or_b32 exec_lo, exec_lo, s44
	s_wait_dscnt 0x0
	s_barrier_signal -1
	s_barrier_wait -1
	ds_load_b32 v8, v17 offset:3072
	s_mov_b32 s44, -1
	s_mov_b32 s50, -1
	s_wait_dscnt 0x0
	s_barrier_signal -1
	s_barrier_wait -1
	v_and_b32_e32 v9, 0x7fff, v8
	s_delay_alu instid0(VALU_DEP_1)
	v_cmp_eq_u32_e32 vcc_lo, 0, v9
	s_cbranch_vccnz .LBB108_149
.LBB108_145:                            ;   in Loop: Header=BB108_146 Depth=2
	s_and_b32 s44, exec_lo, s44
	s_delay_alu instid0(SALU_CYCLE_1) | instskip(SKIP_2) | instid1(SALU_CYCLE_1)
	s_or_b32 s28, s44, s28
	s_and_not1_b32 s33, s33, exec_lo
	s_and_b32 s44, s50, exec_lo
	s_or_b32 s33, s33, s44
	s_and_not1_b32 exec_lo, exec_lo, s28
	s_cbranch_execz .LBB108_150
.LBB108_146:                            ;   Parent Loop BB108_6 Depth=1
                                        ; =>  This Inner Loop Header: Depth=2
	s_mov_b32 s44, exec_lo
	s_delay_alu instid0(VALU_DEP_1)
	v_cmpx_gt_u32_e64 s36, v7
	s_cbranch_execz .LBB108_144
; %bb.147:                              ;   in Loop: Header=BB108_146 Depth=2
	global_load_u16 v8, v6, s[34:35] scale_offset
	s_wait_loadcnt 0x0
	v_cmp_lt_i16_e32 vcc_lo, -1, v8
	v_and_b32_e32 v9, 0xffff, v8
	v_cndmask_b32_e32 v16, 0xffff, v30, vcc_lo
	s_delay_alu instid0(VALU_DEP_1) | instskip(NEXT) | instid1(VALU_DEP_1)
	v_dual_lshlrev_b32 v34, 16, v8 :: v_dual_bitop2_b32 v9, v16, v9 bitop3:0x14
	v_cmp_o_f32_e32 vcc_lo, v34, v34
	s_delay_alu instid0(VALU_DEP_2) | instskip(NEXT) | instid1(VALU_DEP_1)
	v_cndmask_b32_e32 v9, 0xffff, v9, vcc_lo
	v_and_b32_e32 v9, v9, v4
	s_delay_alu instid0(VALU_DEP_1)
	v_cmp_eq_u32_e32 vcc_lo, v9, v3
	s_and_b32 exec_lo, exec_lo, vcc_lo
	s_cbranch_execz .LBB108_144
; %bb.148:                              ;   in Loop: Header=BB108_146 Depth=2
	v_perm_b32 v8, v8, s84, 0x5040100
	ds_store_b32 v17, v8 offset:3072
	s_branch .LBB108_144
.LBB108_149:                            ;   in Loop: Header=BB108_146 Depth=2
	v_dual_add_nc_u32 v7, s54, v7 :: v_dual_add_nc_u32 v6, s56, v6
	s_mov_b32 s50, 0
	s_delay_alu instid0(VALU_DEP_1)
	v_cmp_le_u32_e32 vcc_lo, s78, v7
	s_or_not1_b32 s44, vcc_lo, exec_lo
	s_branch .LBB108_145
.LBB108_150:                            ;   in Loop: Header=BB108_6 Depth=1
	s_or_b32 exec_lo, exec_lo, s28
	v_lshrrev_b32_e32 v6, 16, v8
	s_and_not1_b32 s28, s31, exec_lo
	s_and_b32 s31, s33, exec_lo
	s_delay_alu instid0(SALU_CYCLE_1)
	s_or_b32 s31, s28, s31
.LBB108_151:                            ;   in Loop: Header=BB108_6 Depth=1
	s_or_b32 exec_lo, exec_lo, s23
	s_mov_b32 s23, 0
	s_mov_b32 s28, -1
.LBB108_152:                            ;   in Loop: Header=BB108_6 Depth=1
	s_or_not1_b32 s31, s31, exec_lo
.LBB108_153:                            ;   in Loop: Header=BB108_6 Depth=1
	s_or_b32 exec_lo, exec_lo, s29
	s_mov_b32 s33, 0
	s_and_saveexec_b32 s29, s31
	s_cbranch_execz .LBB108_242
; %bb.154:                              ;   in Loop: Header=BB108_6 Depth=1
	v_dual_mov_b32 v7, 1 :: v_dual_mov_b32 v2, 1
	s_xor_b32 s31, s30, -1
	s_mov_b32 s50, 0
	s_and_saveexec_b32 s30, s31
	s_cbranch_execz .LBB108_163
; %bb.155:                              ;   in Loop: Header=BB108_6 Depth=1
	s_mov_b32 s31, exec_lo
	v_cmpx_ge_u32_e64 s20, v5
	s_xor_b32 s31, exec_lo, s31
	s_cbranch_execz .LBB108_160
; %bb.156:                              ;   in Loop: Header=BB108_6 Depth=1
	ds_load_b32 v2, v17 offset:4096
	s_lshl_b32 s33, 1, s82
	v_or_b32_e32 v4, s18, v4
	v_and_or_b32 v3, v3, s19, s33
	s_wait_dscnt 0x0
	v_cmp_ne_u32_e32 vcc_lo, 0, v2
	s_cbranch_vccnz .LBB108_160
; %bb.157:                              ;   in Loop: Header=BB108_6 Depth=1
	s_and_saveexec_b32 s33, s5
; %bb.158:                              ;   in Loop: Header=BB108_6 Depth=1
	v_mov_b32_e32 v2, s20
	ds_store_b32 v17, v2 offset:4100
; %bb.159:                              ;   in Loop: Header=BB108_6 Depth=1
	s_or_b32 exec_lo, exec_lo, s33
	s_wait_dscnt 0x0
	s_barrier_signal -1
	s_barrier_wait -1
.LBB108_160:                            ;   in Loop: Header=BB108_6 Depth=1
	s_or_saveexec_b32 s31, s31
	v_mov_b32_e32 v2, 8
	s_mov_b32 s33, 0
	s_xor_b32 exec_lo, exec_lo, s31
; %bb.161:                              ;   in Loop: Header=BB108_6 Depth=1
	v_subrev_nc_u32_e32 v5, s20, v5
	v_mov_b32_e32 v2, 0
	s_mov_b32 s33, exec_lo
; %bb.162:                              ;   in Loop: Header=BB108_6 Depth=1
	s_or_b32 exec_lo, exec_lo, s31
	s_delay_alu instid0(VALU_DEP_2)
	v_mov_b32_e32 v7, v5
	s_and_b32 s50, s33, exec_lo
.LBB108_163:                            ;   in Loop: Header=BB108_6 Depth=1
	s_or_b32 exec_lo, exec_lo, s30
	s_mov_b32 s44, -1
                                        ; implicit-def: $sgpr31
                                        ; implicit-def: $sgpr33
	s_and_saveexec_b32 s30, s50
	s_cbranch_execz .LBB108_241
; %bb.164:                              ;   in Loop: Header=BB108_6 Depth=1
	v_cmp_eq_u32_e32 vcc_lo, 1, v7
	s_cmp_eq_u32 s21, 1
                                        ; implicit-def: $sgpr33
	s_cselect_b32 s31, -1, 0
	s_delay_alu instid0(SALU_CYCLE_1) | instskip(NEXT) | instid1(SALU_CYCLE_1)
	s_and_b32 s51, s31, vcc_lo
                                        ; implicit-def: $sgpr31
	s_and_saveexec_b32 s50, s51
	s_cbranch_execz .LBB108_190
; %bb.165:                              ;   in Loop: Header=BB108_6 Depth=1
	ds_load_b32 v5, v17 offset:4096
	s_wait_dscnt 0x0
	s_barrier_signal -1
	s_barrier_wait -1
	v_readfirstlane_b32 s52, v5
	s_and_saveexec_b32 s31, s6
; %bb.166:                              ;   in Loop: Header=BB108_6 Depth=1
	ds_store_b16 v20, v17
; %bb.167:                              ;   in Loop: Header=BB108_6 Depth=1
	s_or_b32 exec_lo, exec_lo, s31
	s_lshl_b32 s31, 2, s82
	v_or_b32_e32 v4, s18, v4
	v_and_or_b32 v3, v3, s19, s31
	s_mov_b32 s31, -1
	s_mov_b32 s33, 0
	s_cmp_eq_u32 s52, 0
	s_mov_b32 s44, 0
	s_mov_b32 s53, -1
	s_wait_dscnt 0x0
	s_barrier_signal -1
	s_barrier_wait -1
                                        ; implicit-def: $vgpr6
	s_cbranch_scc1 .LBB108_178
; %bb.168:                              ;   in Loop: Header=BB108_6 Depth=1
	s_add_co_i32 s44, s52, s65
                                        ; implicit-def: $vgpr6
	s_delay_alu instid0(SALU_CYCLE_1) | instskip(NEXT) | instid1(SALU_CYCLE_1)
	s_mul_u64 s[96:97], s[44:45], s[46:47]
	s_mul_i32 s53, s97, s54
	s_delay_alu instid0(SALU_CYCLE_1) | instskip(NEXT) | instid1(SALU_CYCLE_1)
	s_sub_co_i32 s53, s44, s53
	s_sub_co_i32 s96, s53, s54
	s_cmp_ge_u32 s53, s54
	s_cselect_b32 s53, s96, s53
	s_delay_alu instid0(SALU_CYCLE_1)
	s_sub_co_i32 s96, s53, s54
	s_cmp_ge_u32 s53, s54
	s_cselect_b32 s53, s96, s53
	s_mov_b32 s96, exec_lo
	s_sub_co_i32 s97, s44, s53
	s_mov_b32 s53, 0
	s_mov_b32 s44, 0
	v_cmpx_gt_u32_e64 s97, v0
	s_cbranch_execz .LBB108_177
; %bb.169:                              ;   in Loop: Header=BB108_6 Depth=1
	v_dual_mov_b32 v5, v15 :: v_dual_mov_b32 v6, v0
                                        ; implicit-def: $sgpr98
	s_branch .LBB108_172
.LBB108_170:                            ;   in Loop: Header=BB108_172 Depth=2
	s_or_b32 exec_lo, exec_lo, s99
	s_wait_dscnt 0x0
	s_barrier_signal -1
	s_barrier_wait -1
	ds_load_b32 v8, v17 offset:3072
	s_mov_b32 s99, -1
	s_mov_b32 s100, -1
	s_wait_dscnt 0x0
	s_barrier_signal -1
	s_barrier_wait -1
	v_and_b32_e32 v9, 0x7fff, v8
	s_delay_alu instid0(VALU_DEP_1)
	v_cmp_ne_u32_e32 vcc_lo, 0, v9
	s_cbranch_vccz .LBB108_175
.LBB108_171:                            ;   in Loop: Header=BB108_172 Depth=2
	s_and_b32 s99, exec_lo, s99
	s_delay_alu instid0(SALU_CYCLE_1) | instskip(SKIP_2) | instid1(SALU_CYCLE_1)
	s_or_b32 s44, s99, s44
	s_and_not1_b32 s98, s98, exec_lo
	s_and_b32 s99, s100, exec_lo
	s_or_b32 s98, s98, s99
	s_and_not1_b32 exec_lo, exec_lo, s44
	s_cbranch_execz .LBB108_176
.LBB108_172:                            ;   Parent Loop BB108_6 Depth=1
                                        ; =>  This Inner Loop Header: Depth=2
	s_mov_b32 s99, exec_lo
	s_delay_alu instid0(VALU_DEP_1)
	v_cmpx_gt_u32_e64 s52, v6
	s_cbranch_execz .LBB108_170
; %bb.173:                              ;   in Loop: Header=BB108_172 Depth=2
	ds_load_u16 v8, v5
	s_wait_dscnt 0x0
	v_cmp_lt_i16_e32 vcc_lo, -1, v8
	v_and_b32_e32 v9, 0xffff, v8
	v_cndmask_b32_e32 v16, 0xffff, v30, vcc_lo
	s_delay_alu instid0(VALU_DEP_1) | instskip(NEXT) | instid1(VALU_DEP_1)
	v_dual_lshlrev_b32 v34, 16, v8 :: v_dual_bitop2_b32 v9, v16, v9 bitop3:0x14
	v_cmp_o_f32_e32 vcc_lo, v34, v34
	s_delay_alu instid0(VALU_DEP_2) | instskip(NEXT) | instid1(VALU_DEP_1)
	v_cndmask_b32_e32 v9, 0xffff, v9, vcc_lo
	v_and_b32_e32 v9, v9, v4
	s_delay_alu instid0(VALU_DEP_1)
	v_cmp_eq_u32_e32 vcc_lo, v9, v3
	s_and_b32 exec_lo, exec_lo, vcc_lo
	s_cbranch_execz .LBB108_170
; %bb.174:                              ;   in Loop: Header=BB108_172 Depth=2
	v_perm_b32 v8, v8, s84, 0x5040100
	ds_store_b32 v17, v8 offset:3072
	s_branch .LBB108_170
.LBB108_175:                            ;   in Loop: Header=BB108_172 Depth=2
	v_dual_add_nc_u32 v6, s54, v6 :: v_dual_add_nc_u32 v5, s81, v5
	s_mov_b32 s100, 0
	s_delay_alu instid0(VALU_DEP_1)
	v_cmp_le_u32_e32 vcc_lo, s97, v6
	s_or_not1_b32 s99, vcc_lo, exec_lo
	s_branch .LBB108_171
.LBB108_176:                            ;   in Loop: Header=BB108_6 Depth=1
	s_or_b32 exec_lo, exec_lo, s44
	v_lshrrev_b32_e32 v6, 16, v8
	s_and_b32 s44, s98, exec_lo
.LBB108_177:                            ;   in Loop: Header=BB108_6 Depth=1
	s_or_b32 exec_lo, exec_lo, s96
.LBB108_178:                            ;   in Loop: Header=BB108_6 Depth=1
	s_delay_alu instid0(SALU_CYCLE_1)
	s_and_b32 vcc_lo, exec_lo, s53
	s_cbranch_vccz .LBB108_189
; %bb.179:                              ;   in Loop: Header=BB108_6 Depth=1
                                        ; implicit-def: $vgpr6
	s_and_saveexec_b32 s31, s13
	s_cbranch_execz .LBB108_188
; %bb.180:                              ;   in Loop: Header=BB108_6 Depth=1
	v_dual_mov_b32 v5, v14 :: v_dual_mov_b32 v6, v0
	s_mov_b32 s33, 0
                                        ; implicit-def: $sgpr52
	s_branch .LBB108_183
.LBB108_181:                            ;   in Loop: Header=BB108_183 Depth=2
	s_or_b32 exec_lo, exec_lo, s53
	s_wait_dscnt 0x0
	s_barrier_signal -1
	s_barrier_wait -1
	ds_load_b32 v8, v17 offset:3072
	s_mov_b32 s53, -1
	s_mov_b32 s96, -1
	s_wait_dscnt 0x0
	s_barrier_signal -1
	s_barrier_wait -1
	v_and_b32_e32 v9, 0x7fff, v8
	s_delay_alu instid0(VALU_DEP_1)
	v_cmp_eq_u32_e32 vcc_lo, 0, v9
	s_cbranch_vccnz .LBB108_186
.LBB108_182:                            ;   in Loop: Header=BB108_183 Depth=2
	s_and_b32 s53, exec_lo, s53
	s_delay_alu instid0(SALU_CYCLE_1) | instskip(SKIP_2) | instid1(SALU_CYCLE_1)
	s_or_b32 s33, s53, s33
	s_and_not1_b32 s52, s52, exec_lo
	s_and_b32 s53, s96, exec_lo
	s_or_b32 s52, s52, s53
	s_and_not1_b32 exec_lo, exec_lo, s33
	s_cbranch_execz .LBB108_187
.LBB108_183:                            ;   Parent Loop BB108_6 Depth=1
                                        ; =>  This Inner Loop Header: Depth=2
	s_mov_b32 s53, exec_lo
	s_delay_alu instid0(VALU_DEP_1)
	v_cmpx_gt_u32_e64 s36, v6
	s_cbranch_execz .LBB108_181
; %bb.184:                              ;   in Loop: Header=BB108_183 Depth=2
	global_load_u16 v8, v5, s[34:35] scale_offset
	s_wait_loadcnt 0x0
	v_cmp_lt_i16_e32 vcc_lo, -1, v8
	v_and_b32_e32 v9, 0xffff, v8
	v_cndmask_b32_e32 v16, 0xffff, v30, vcc_lo
	s_delay_alu instid0(VALU_DEP_1) | instskip(NEXT) | instid1(VALU_DEP_1)
	v_dual_lshlrev_b32 v34, 16, v8 :: v_dual_bitop2_b32 v9, v16, v9 bitop3:0x14
	v_cmp_o_f32_e32 vcc_lo, v34, v34
	s_delay_alu instid0(VALU_DEP_2) | instskip(NEXT) | instid1(VALU_DEP_1)
	v_cndmask_b32_e32 v9, 0xffff, v9, vcc_lo
	v_and_b32_e32 v9, v9, v4
	s_delay_alu instid0(VALU_DEP_1)
	v_cmp_eq_u32_e32 vcc_lo, v9, v3
	s_and_b32 exec_lo, exec_lo, vcc_lo
	s_cbranch_execz .LBB108_181
; %bb.185:                              ;   in Loop: Header=BB108_183 Depth=2
	v_perm_b32 v8, v8, s84, 0x5040100
	ds_store_b32 v17, v8 offset:3072
	s_branch .LBB108_181
.LBB108_186:                            ;   in Loop: Header=BB108_183 Depth=2
	v_dual_add_nc_u32 v6, s54, v6 :: v_dual_add_nc_u32 v5, s56, v5
	s_mov_b32 s96, 0
	s_delay_alu instid0(VALU_DEP_1)
	v_cmp_le_u32_e32 vcc_lo, s78, v6
	s_or_not1_b32 s53, vcc_lo, exec_lo
	s_branch .LBB108_182
.LBB108_187:                            ;   in Loop: Header=BB108_6 Depth=1
	s_or_b32 exec_lo, exec_lo, s33
	v_lshrrev_b32_e32 v6, 16, v8
	s_and_not1_b32 s33, s44, exec_lo
	s_and_b32 s44, s52, exec_lo
	s_delay_alu instid0(SALU_CYCLE_1)
	s_or_b32 s44, s33, s44
.LBB108_188:                            ;   in Loop: Header=BB108_6 Depth=1
	s_or_b32 exec_lo, exec_lo, s31
	s_mov_b32 s31, 0
	s_mov_b32 s33, -1
.LBB108_189:                            ;   in Loop: Header=BB108_6 Depth=1
	s_or_not1_b32 s44, s44, exec_lo
.LBB108_190:                            ;   in Loop: Header=BB108_6 Depth=1
	s_or_b32 exec_lo, exec_lo, s50
	s_mov_b32 s52, 0
	s_and_saveexec_b32 s50, s44
	s_cbranch_execz .LBB108_240
; %bb.191:                              ;   in Loop: Header=BB108_6 Depth=1
	v_dual_mov_b32 v5, 1 :: v_dual_mov_b32 v2, 1
	s_xor_b32 s51, s51, -1
	s_delay_alu instid0(SALU_CYCLE_1)
	s_and_saveexec_b32 s44, s51
	s_cbranch_execz .LBB108_200
; %bb.192:                              ;   in Loop: Header=BB108_6 Depth=1
	s_mov_b32 s51, exec_lo
	v_cmpx_ge_u32_e64 s21, v7
	s_xor_b32 s51, exec_lo, s51
	s_cbranch_execz .LBB108_197
; %bb.193:                              ;   in Loop: Header=BB108_6 Depth=1
	ds_load_b32 v2, v17 offset:4096
	s_lshl_b32 s52, 2, s82
	v_or_b32_e32 v4, s18, v4
	v_and_or_b32 v3, v3, s19, s52
	s_wait_dscnt 0x0
	v_cmp_ne_u32_e32 vcc_lo, 0, v2
	s_cbranch_vccnz .LBB108_197
; %bb.194:                              ;   in Loop: Header=BB108_6 Depth=1
	s_and_saveexec_b32 s52, s5
; %bb.195:                              ;   in Loop: Header=BB108_6 Depth=1
	v_mov_b32_e32 v2, s21
	ds_store_b32 v17, v2 offset:4100
; %bb.196:                              ;   in Loop: Header=BB108_6 Depth=1
	s_or_b32 exec_lo, exec_lo, s52
	s_wait_dscnt 0x0
	s_barrier_signal -1
	s_barrier_wait -1
.LBB108_197:                            ;   in Loop: Header=BB108_6 Depth=1
	s_or_saveexec_b32 s51, s51
	v_mov_b32_e32 v2, 8
	s_mov_b32 s52, 0
	s_xor_b32 exec_lo, exec_lo, s51
; %bb.198:                              ;   in Loop: Header=BB108_6 Depth=1
	v_subrev_nc_u32_e32 v7, s21, v7
	v_mov_b32_e32 v2, 0
	s_mov_b32 s52, exec_lo
; %bb.199:                              ;   in Loop: Header=BB108_6 Depth=1
	s_or_b32 exec_lo, exec_lo, s51
	s_delay_alu instid0(VALU_DEP_2)
	v_mov_b32_e32 v5, v7
	s_and_b32 s52, s52, exec_lo
.LBB108_200:                            ;   in Loop: Header=BB108_6 Depth=1
	s_or_b32 exec_lo, exec_lo, s44
	s_mov_b32 s44, -1
                                        ; implicit-def: $sgpr96
                                        ; implicit-def: $sgpr53
	s_and_saveexec_b32 s51, s52
	s_cbranch_execz .LBB108_239
; %bb.201:                              ;   in Loop: Header=BB108_6 Depth=1
	v_cmp_eq_u32_e32 vcc_lo, 1, v5
	s_cmp_eq_u32 s22, 1
	s_mov_b32 s98, -1
	s_cselect_b32 s44, -1, 0
                                        ; implicit-def: $sgpr96
                                        ; implicit-def: $sgpr53
	s_delay_alu instid0(SALU_CYCLE_1) | instskip(NEXT) | instid1(SALU_CYCLE_1)
	s_and_b32 s52, s44, vcc_lo
	s_and_saveexec_b32 s97, s52
	s_cbranch_execz .LBB108_227
; %bb.202:                              ;   in Loop: Header=BB108_6 Depth=1
	ds_load_b32 v6, v17 offset:4096
	s_wait_dscnt 0x0
	s_barrier_signal -1
	s_barrier_wait -1
	v_readfirstlane_b32 s98, v6
	s_and_saveexec_b32 s44, s6
; %bb.203:                              ;   in Loop: Header=BB108_6 Depth=1
	ds_store_b16 v20, v17
; %bb.204:                              ;   in Loop: Header=BB108_6 Depth=1
	s_or_b32 exec_lo, exec_lo, s44
	v_or_b32_e32 v3, s18, v3
	v_or_b32_e32 v4, s18, v4
	s_mov_b32 s53, -1
	s_mov_b32 s96, 0
	s_cmp_eq_u32 s98, 0
	s_mov_b32 s44, 0
	s_mov_b32 s99, -1
	s_wait_dscnt 0x0
	s_barrier_signal -1
	s_barrier_wait -1
                                        ; implicit-def: $vgpr6
	s_cbranch_scc1 .LBB108_215
; %bb.205:                              ;   in Loop: Header=BB108_6 Depth=1
	s_add_co_i32 s44, s98, s65
                                        ; implicit-def: $vgpr6
	s_delay_alu instid0(SALU_CYCLE_1) | instskip(NEXT) | instid1(SALU_CYCLE_1)
	s_mul_u64 s[100:101], s[44:45], s[46:47]
	s_mul_i32 s99, s101, s54
	s_delay_alu instid0(SALU_CYCLE_1) | instskip(NEXT) | instid1(SALU_CYCLE_1)
	s_sub_co_i32 s99, s44, s99
	s_sub_co_i32 s100, s99, s54
	s_cmp_ge_u32 s99, s54
	s_cselect_b32 s99, s100, s99
	s_delay_alu instid0(SALU_CYCLE_1)
	s_sub_co_i32 s100, s99, s54
	s_cmp_ge_u32 s99, s54
	s_cselect_b32 s99, s100, s99
	s_mov_b32 s100, exec_lo
	s_sub_co_i32 s101, s44, s99
	s_mov_b32 s99, 0
	s_mov_b32 s44, 0
	v_cmpx_gt_u32_e64 s101, v0
	s_cbranch_execz .LBB108_214
; %bb.206:                              ;   in Loop: Header=BB108_6 Depth=1
	v_dual_mov_b32 v6, v15 :: v_dual_mov_b32 v7, v0
                                        ; implicit-def: $sgpr102
	s_branch .LBB108_209
.LBB108_207:                            ;   in Loop: Header=BB108_209 Depth=2
	s_or_b32 exec_lo, exec_lo, s103
	s_wait_dscnt 0x0
	s_barrier_signal -1
	s_barrier_wait -1
	ds_load_b32 v8, v17 offset:3072
	s_mov_b32 s103, -1
	s_mov_b32 s104, -1
	s_wait_dscnt 0x0
	s_barrier_signal -1
	s_barrier_wait -1
	v_and_b32_e32 v9, 0x7fff, v8
	s_delay_alu instid0(VALU_DEP_1)
	v_cmp_ne_u32_e32 vcc_lo, 0, v9
	s_cbranch_vccz .LBB108_212
.LBB108_208:                            ;   in Loop: Header=BB108_209 Depth=2
	s_and_b32 s103, exec_lo, s103
	s_delay_alu instid0(SALU_CYCLE_1) | instskip(SKIP_2) | instid1(SALU_CYCLE_1)
	s_or_b32 s44, s103, s44
	s_and_not1_b32 s102, s102, exec_lo
	s_and_b32 s103, s104, exec_lo
	s_or_b32 s102, s102, s103
	s_and_not1_b32 exec_lo, exec_lo, s44
	s_cbranch_execz .LBB108_213
.LBB108_209:                            ;   Parent Loop BB108_6 Depth=1
                                        ; =>  This Inner Loop Header: Depth=2
	s_mov_b32 s103, exec_lo
	s_delay_alu instid0(VALU_DEP_1)
	v_cmpx_gt_u32_e64 s98, v7
	s_cbranch_execz .LBB108_207
; %bb.210:                              ;   in Loop: Header=BB108_209 Depth=2
	ds_load_u16 v8, v6
	s_wait_dscnt 0x0
	v_cmp_lt_i16_e32 vcc_lo, -1, v8
	v_and_b32_e32 v9, 0xffff, v8
	v_cndmask_b32_e32 v16, 0xffff, v30, vcc_lo
	s_delay_alu instid0(VALU_DEP_1) | instskip(NEXT) | instid1(VALU_DEP_1)
	v_dual_lshlrev_b32 v34, 16, v8 :: v_dual_bitop2_b32 v9, v16, v9 bitop3:0x14
	v_cmp_o_f32_e32 vcc_lo, v34, v34
	s_delay_alu instid0(VALU_DEP_2) | instskip(NEXT) | instid1(VALU_DEP_1)
	v_cndmask_b32_e32 v9, 0xffff, v9, vcc_lo
	v_and_b32_e32 v9, v9, v4
	s_delay_alu instid0(VALU_DEP_1)
	v_cmp_eq_u32_e32 vcc_lo, v9, v3
	s_and_b32 exec_lo, exec_lo, vcc_lo
	s_cbranch_execz .LBB108_207
; %bb.211:                              ;   in Loop: Header=BB108_209 Depth=2
	v_perm_b32 v8, v8, s84, 0x5040100
	ds_store_b32 v17, v8 offset:3072
	s_branch .LBB108_207
.LBB108_212:                            ;   in Loop: Header=BB108_209 Depth=2
	v_dual_add_nc_u32 v7, s54, v7 :: v_dual_add_nc_u32 v6, s81, v6
	s_mov_b32 s104, 0
	s_delay_alu instid0(VALU_DEP_1)
	v_cmp_le_u32_e32 vcc_lo, s101, v7
	s_or_not1_b32 s103, vcc_lo, exec_lo
	s_branch .LBB108_208
.LBB108_213:                            ;   in Loop: Header=BB108_6 Depth=1
	s_or_b32 exec_lo, exec_lo, s44
	v_lshrrev_b32_e32 v6, 16, v8
	s_and_b32 s44, s102, exec_lo
.LBB108_214:                            ;   in Loop: Header=BB108_6 Depth=1
	s_or_b32 exec_lo, exec_lo, s100
.LBB108_215:                            ;   in Loop: Header=BB108_6 Depth=1
	s_delay_alu instid0(SALU_CYCLE_1)
	s_and_b32 vcc_lo, exec_lo, s99
	s_cbranch_vccz .LBB108_226
; %bb.216:                              ;   in Loop: Header=BB108_6 Depth=1
                                        ; implicit-def: $vgpr6
	s_and_saveexec_b32 s53, s13
	s_cbranch_execz .LBB108_225
; %bb.217:                              ;   in Loop: Header=BB108_6 Depth=1
	v_dual_mov_b32 v6, v14 :: v_dual_mov_b32 v7, v0
	s_mov_b32 s96, 0
                                        ; implicit-def: $sgpr98
	s_branch .LBB108_220
.LBB108_218:                            ;   in Loop: Header=BB108_220 Depth=2
	s_or_b32 exec_lo, exec_lo, s99
	s_wait_dscnt 0x0
	s_barrier_signal -1
	s_barrier_wait -1
	ds_load_b32 v8, v17 offset:3072
	s_mov_b32 s99, -1
	s_mov_b32 s100, -1
	s_wait_dscnt 0x0
	s_barrier_signal -1
	s_barrier_wait -1
	v_and_b32_e32 v9, 0x7fff, v8
	s_delay_alu instid0(VALU_DEP_1)
	v_cmp_eq_u32_e32 vcc_lo, 0, v9
	s_cbranch_vccnz .LBB108_223
.LBB108_219:                            ;   in Loop: Header=BB108_220 Depth=2
	s_and_b32 s99, exec_lo, s99
	s_delay_alu instid0(SALU_CYCLE_1) | instskip(SKIP_2) | instid1(SALU_CYCLE_1)
	s_or_b32 s96, s99, s96
	s_and_not1_b32 s98, s98, exec_lo
	s_and_b32 s99, s100, exec_lo
	s_or_b32 s98, s98, s99
	s_and_not1_b32 exec_lo, exec_lo, s96
	s_cbranch_execz .LBB108_224
.LBB108_220:                            ;   Parent Loop BB108_6 Depth=1
                                        ; =>  This Inner Loop Header: Depth=2
	s_mov_b32 s99, exec_lo
	s_delay_alu instid0(VALU_DEP_1)
	v_cmpx_gt_u32_e64 s36, v7
	s_cbranch_execz .LBB108_218
; %bb.221:                              ;   in Loop: Header=BB108_220 Depth=2
	global_load_u16 v8, v6, s[34:35] scale_offset
	s_wait_loadcnt 0x0
	v_cmp_lt_i16_e32 vcc_lo, -1, v8
	v_and_b32_e32 v9, 0xffff, v8
	v_cndmask_b32_e32 v16, 0xffff, v30, vcc_lo
	s_delay_alu instid0(VALU_DEP_1) | instskip(NEXT) | instid1(VALU_DEP_1)
	v_dual_lshlrev_b32 v34, 16, v8 :: v_dual_bitop2_b32 v9, v16, v9 bitop3:0x14
	v_cmp_o_f32_e32 vcc_lo, v34, v34
	s_delay_alu instid0(VALU_DEP_2) | instskip(NEXT) | instid1(VALU_DEP_1)
	v_cndmask_b32_e32 v9, 0xffff, v9, vcc_lo
	v_and_b32_e32 v9, v9, v4
	s_delay_alu instid0(VALU_DEP_1)
	v_cmp_eq_u32_e32 vcc_lo, v9, v3
	s_and_b32 exec_lo, exec_lo, vcc_lo
	s_cbranch_execz .LBB108_218
; %bb.222:                              ;   in Loop: Header=BB108_220 Depth=2
	v_perm_b32 v8, v8, s84, 0x5040100
	ds_store_b32 v17, v8 offset:3072
	s_branch .LBB108_218
.LBB108_223:                            ;   in Loop: Header=BB108_220 Depth=2
	v_dual_add_nc_u32 v7, s54, v7 :: v_dual_add_nc_u32 v6, s56, v6
	s_mov_b32 s100, 0
	s_delay_alu instid0(VALU_DEP_1)
	v_cmp_le_u32_e32 vcc_lo, s78, v7
	s_or_not1_b32 s99, vcc_lo, exec_lo
	s_branch .LBB108_219
.LBB108_224:                            ;   in Loop: Header=BB108_6 Depth=1
	s_or_b32 exec_lo, exec_lo, s96
	v_lshrrev_b32_e32 v6, 16, v8
	s_and_not1_b32 s44, s44, exec_lo
	s_and_b32 s96, s98, exec_lo
	s_delay_alu instid0(SALU_CYCLE_1)
	s_or_b32 s44, s44, s96
.LBB108_225:                            ;   in Loop: Header=BB108_6 Depth=1
	s_or_b32 exec_lo, exec_lo, s53
	s_mov_b32 s53, 0
	s_mov_b32 s96, -1
.LBB108_226:                            ;   in Loop: Header=BB108_6 Depth=1
	s_or_not1_b32 s98, s44, exec_lo
.LBB108_227:                            ;   in Loop: Header=BB108_6 Depth=1
	s_or_b32 exec_lo, exec_lo, s97
	s_mov_b32 s97, 0
	s_and_saveexec_b32 s44, s98
	s_cbranch_execz .LBB108_238
; %bb.228:                              ;   in Loop: Header=BB108_6 Depth=1
	v_dual_mov_b32 v2, 1 :: v_dual_mov_b32 v7, 1
	s_xor_b32 s97, s52, -1
	s_delay_alu instid0(SALU_CYCLE_1)
	s_and_saveexec_b32 s52, s97
	s_cbranch_execz .LBB108_237
; %bb.229:                              ;   in Loop: Header=BB108_6 Depth=1
	s_mov_b32 s97, exec_lo
	v_cmpx_ge_u32_e64 s22, v5
	s_xor_b32 s97, exec_lo, s97
	s_cbranch_execz .LBB108_234
; %bb.230:                              ;   in Loop: Header=BB108_6 Depth=1
	ds_load_b32 v2, v17 offset:4096
	v_or_b32_e32 v3, s18, v3
	v_or_b32_e32 v4, s18, v4
	s_wait_dscnt 0x0
	v_cmp_ne_u32_e32 vcc_lo, 0, v2
	s_cbranch_vccnz .LBB108_234
; %bb.231:                              ;   in Loop: Header=BB108_6 Depth=1
	s_and_saveexec_b32 s98, s5
; %bb.232:                              ;   in Loop: Header=BB108_6 Depth=1
	v_mov_b32_e32 v2, s22
	ds_store_b32 v17, v2 offset:4100
; %bb.233:                              ;   in Loop: Header=BB108_6 Depth=1
	s_or_b32 exec_lo, exec_lo, s98
	s_wait_dscnt 0x0
	s_barrier_signal -1
	s_barrier_wait -1
.LBB108_234:                            ;   in Loop: Header=BB108_6 Depth=1
	s_and_not1_saveexec_b32 s97, s97
; %bb.235:                              ;   in Loop: Header=BB108_6 Depth=1
	v_subrev_nc_u32_e32 v5, s22, v5
; %bb.236:                              ;   in Loop: Header=BB108_6 Depth=1
	s_or_b32 exec_lo, exec_lo, s97
	s_delay_alu instid0(VALU_DEP_1)
	v_dual_mov_b32 v2, 8 :: v_dual_mov_b32 v7, v5
.LBB108_237:                            ;   in Loop: Header=BB108_6 Depth=1
	s_or_b32 exec_lo, exec_lo, s52
	s_delay_alu instid0(VALU_DEP_1)
	v_mov_b32_e32 v5, v7
	s_mov_b32 s97, exec_lo
.LBB108_238:                            ;   in Loop: Header=BB108_6 Depth=1
	s_or_b32 exec_lo, exec_lo, s44
	s_delay_alu instid0(SALU_CYCLE_1)
	s_or_not1_b32 s44, s97, exec_lo
.LBB108_239:                            ;   in Loop: Header=BB108_6 Depth=1
	s_or_b32 exec_lo, exec_lo, s51
	v_mov_b32_e32 v7, v5
	s_and_not1_b32 s33, s33, exec_lo
	s_and_b32 s51, s96, exec_lo
	s_and_not1_b32 s31, s31, exec_lo
	s_and_b32 s52, s53, exec_lo
	s_or_b32 s33, s33, s51
	s_or_b32 s31, s31, s52
	s_and_b32 s52, s44, exec_lo
.LBB108_240:                            ;   in Loop: Header=BB108_6 Depth=1
	s_or_b32 exec_lo, exec_lo, s50
	s_delay_alu instid0(SALU_CYCLE_1)
	s_or_not1_b32 s44, s52, exec_lo
.LBB108_241:                            ;   in Loop: Header=BB108_6 Depth=1
	s_or_b32 exec_lo, exec_lo, s30
	v_mov_b32_e32 v5, v7
	s_and_not1_b32 s28, s28, exec_lo
	s_and_b32 s30, s33, exec_lo
	s_and_not1_b32 s23, s23, exec_lo
	s_and_b32 s31, s31, exec_lo
	s_or_b32 s28, s28, s30
	s_or_b32 s23, s23, s31
	s_and_b32 s33, s44, exec_lo
.LBB108_242:                            ;   in Loop: Header=BB108_6 Depth=1
	s_or_b32 exec_lo, exec_lo, s29
	s_delay_alu instid0(SALU_CYCLE_1)
	s_or_not1_b32 s29, s33, exec_lo
.LBB108_243:                            ;   in Loop: Header=BB108_6 Depth=1
	s_or_b32 exec_lo, exec_lo, s15
	s_mov_b32 s30, 0
	s_mov_b32 s31, 0
	s_and_saveexec_b32 s15, s29
	s_delay_alu instid0(SALU_CYCLE_1)
	s_xor_b32 s29, exec_lo, s15
; %bb.244:                              ;   in Loop: Header=BB108_6 Depth=1
	v_cmp_ne_u32_e32 vcc_lo, 8, v2
	v_cmp_eq_u32_e64 s15, 8, v2
	s_and_b32 s31, vcc_lo, exec_lo
	s_and_b32 s30, s15, exec_lo
; %bb.245:                              ;   in Loop: Header=BB108_6 Depth=1
	s_or_b32 exec_lo, exec_lo, s29
	s_delay_alu instid0(SALU_CYCLE_1)
	s_and_not1_b32 s15, s25, exec_lo
	s_and_b32 s25, s28, exec_lo
	s_and_not1_b32 s24, s24, exec_lo
	s_and_b32 s23, s23, exec_lo
	s_or_b32 s25, s15, s25
	s_or_b32 s24, s24, s23
	s_and_b32 s15, s31, exec_lo
	s_and_b32 s23, s30, exec_lo
.LBB108_246:                            ;   in Loop: Header=BB108_6 Depth=1
	s_or_b32 exec_lo, exec_lo, s27
.LBB108_247:                            ;   in Loop: Header=BB108_6 Depth=1
	s_delay_alu instid0(SALU_CYCLE_1)
	s_and_b32 vcc_lo, exec_lo, s26
	s_cbranch_vccz .LBB108_260
; %bb.248:                              ;   in Loop: Header=BB108_6 Depth=1
	s_cmp_eq_u32 s22, 1
	s_mov_b32 s25, -1
	s_cselect_b32 s16, -1, 0
                                        ; implicit-def: $sgpr26
	s_delay_alu instid0(SALU_CYCLE_1) | instskip(NEXT) | instid1(SALU_CYCLE_1)
	s_and_b32 s14, s16, s14
                                        ; implicit-def: $sgpr16
	s_and_saveexec_b32 s24, s14
	s_cbranch_execz .LBB108_275
; %bb.249:                              ;   in Loop: Header=BB108_6 Depth=1
	ds_load_b32 v2, v17 offset:4096
	s_wait_dscnt 0x0
	s_barrier_signal -1
	s_barrier_wait -1
	v_readfirstlane_b32 s27, v2
	s_and_saveexec_b32 s16, s6
; %bb.250:                              ;   in Loop: Header=BB108_6 Depth=1
	ds_store_b16 v20, v17
; %bb.251:                              ;   in Loop: Header=BB108_6 Depth=1
	s_or_b32 exec_lo, exec_lo, s16
	v_or_b32_e32 v25, s18, v25
	v_or_b32_e32 v31, s18, v31
	s_mov_b32 s16, -1
	s_mov_b32 s26, 0
	s_cmp_eq_u32 s27, 0
	s_mov_b32 s25, 0
	s_mov_b32 s28, -1
	s_wait_dscnt 0x0
	s_barrier_signal -1
	s_barrier_wait -1
                                        ; implicit-def: $vgpr32
	s_cbranch_scc1 .LBB108_263
; %bb.252:                              ;   in Loop: Header=BB108_6 Depth=1
	s_add_co_i32 s44, s27, s65
                                        ; implicit-def: $vgpr32
	s_delay_alu instid0(SALU_CYCLE_1) | instskip(NEXT) | instid1(SALU_CYCLE_1)
	s_mul_u64 s[28:29], s[44:45], s[46:47]
	s_mul_i32 s25, s29, s54
	s_mov_b32 s29, exec_lo
	s_sub_co_i32 s25, s44, s25
	s_delay_alu instid0(SALU_CYCLE_1) | instskip(SKIP_2) | instid1(SALU_CYCLE_1)
	s_sub_co_i32 s28, s25, s54
	s_cmp_ge_u32 s25, s54
	s_cselect_b32 s25, s28, s25
	s_sub_co_i32 s28, s25, s54
	s_cmp_ge_u32 s25, s54
	s_cselect_b32 s25, s28, s25
	s_mov_b32 s28, 0
	s_sub_co_i32 s30, s44, s25
	s_mov_b32 s25, 0
	v_cmpx_gt_u32_e64 s30, v0
	s_cbranch_execz .LBB108_262
; %bb.253:                              ;   in Loop: Header=BB108_6 Depth=1
	v_dual_mov_b32 v2, v15 :: v_dual_mov_b32 v3, v0
                                        ; implicit-def: $sgpr31
	s_branch .LBB108_256
.LBB108_254:                            ;   in Loop: Header=BB108_256 Depth=2
	s_or_b32 exec_lo, exec_lo, s33
	s_wait_dscnt 0x0
	s_barrier_signal -1
	s_barrier_wait -1
	ds_load_b32 v4, v17 offset:3072
	s_mov_b32 s33, -1
	s_mov_b32 s44, -1
	s_wait_dscnt 0x0
	s_barrier_signal -1
	s_barrier_wait -1
	v_and_b32_e32 v5, 0x7fff, v4
	s_delay_alu instid0(VALU_DEP_1)
	v_cmp_ne_u32_e32 vcc_lo, 0, v5
	s_cbranch_vccz .LBB108_259
.LBB108_255:                            ;   in Loop: Header=BB108_256 Depth=2
	s_and_b32 s33, exec_lo, s33
	s_delay_alu instid0(SALU_CYCLE_1) | instskip(SKIP_2) | instid1(SALU_CYCLE_1)
	s_or_b32 s25, s33, s25
	s_and_not1_b32 s31, s31, exec_lo
	s_and_b32 s33, s44, exec_lo
	s_or_b32 s31, s31, s33
	s_and_not1_b32 exec_lo, exec_lo, s25
	s_cbranch_execz .LBB108_261
.LBB108_256:                            ;   Parent Loop BB108_6 Depth=1
                                        ; =>  This Inner Loop Header: Depth=2
	s_mov_b32 s33, exec_lo
	s_delay_alu instid0(VALU_DEP_1)
	v_cmpx_gt_u32_e64 s27, v3
	s_cbranch_execz .LBB108_254
; %bb.257:                              ;   in Loop: Header=BB108_256 Depth=2
	ds_load_u16 v4, v2
	s_wait_dscnt 0x0
	v_cmp_lt_i16_e32 vcc_lo, -1, v4
	v_and_b32_e32 v5, 0xffff, v4
	v_dual_cndmask_b32 v6, 0xffff, v30 :: v_dual_lshlrev_b32 v7, 16, v4
	s_delay_alu instid0(VALU_DEP_1) | instskip(NEXT) | instid1(VALU_DEP_2)
	v_cmp_o_f32_e32 vcc_lo, v7, v7
	v_xor_b32_e32 v5, v6, v5
	s_delay_alu instid0(VALU_DEP_1) | instskip(NEXT) | instid1(VALU_DEP_1)
	v_cndmask_b32_e32 v5, 0xffff, v5, vcc_lo
	v_and_b32_e32 v5, v5, v31
	s_delay_alu instid0(VALU_DEP_1)
	v_cmp_eq_u32_e32 vcc_lo, v5, v25
	s_and_b32 exec_lo, exec_lo, vcc_lo
	s_cbranch_execz .LBB108_254
; %bb.258:                              ;   in Loop: Header=BB108_256 Depth=2
	v_perm_b32 v4, v4, s84, 0x5040100
	ds_store_b32 v17, v4 offset:3072
	s_branch .LBB108_254
.LBB108_259:                            ;   in Loop: Header=BB108_256 Depth=2
	v_dual_add_nc_u32 v3, s54, v3 :: v_dual_add_nc_u32 v2, s81, v2
	s_mov_b32 s44, 0
	s_delay_alu instid0(VALU_DEP_1)
	v_cmp_le_u32_e32 vcc_lo, s30, v3
	s_or_not1_b32 s33, vcc_lo, exec_lo
	s_branch .LBB108_255
.LBB108_260:                            ;   in Loop: Header=BB108_6 Depth=1
	v_dual_mov_b32 v25, v3 :: v_dual_mov_b32 v31, v4
	v_mov_b32_e32 v32, v6
	s_mov_b32 s26, 0
	s_and_saveexec_b32 s14, s23
	s_cbranch_execnz .LBB108_406
	s_branch .LBB108_407
.LBB108_261:                            ;   in Loop: Header=BB108_6 Depth=1
	s_or_b32 exec_lo, exec_lo, s25
	v_lshrrev_b32_e32 v32, 16, v4
	s_and_b32 s25, s31, exec_lo
.LBB108_262:                            ;   in Loop: Header=BB108_6 Depth=1
	s_or_b32 exec_lo, exec_lo, s29
.LBB108_263:                            ;   in Loop: Header=BB108_6 Depth=1
	s_delay_alu instid0(SALU_CYCLE_1)
	s_and_b32 vcc_lo, exec_lo, s28
	s_cbranch_vccz .LBB108_274
; %bb.264:                              ;   in Loop: Header=BB108_6 Depth=1
                                        ; implicit-def: $vgpr32
	s_and_saveexec_b32 s16, s13
	s_cbranch_execz .LBB108_273
; %bb.265:                              ;   in Loop: Header=BB108_6 Depth=1
	v_dual_mov_b32 v2, v14 :: v_dual_mov_b32 v3, v0
	s_mov_b32 s26, 0
                                        ; implicit-def: $sgpr27
	s_branch .LBB108_268
.LBB108_266:                            ;   in Loop: Header=BB108_268 Depth=2
	s_or_b32 exec_lo, exec_lo, s28
	s_wait_dscnt 0x0
	s_barrier_signal -1
	s_barrier_wait -1
	ds_load_b32 v4, v17 offset:3072
	s_mov_b32 s28, -1
	s_mov_b32 s29, -1
	s_wait_dscnt 0x0
	s_barrier_signal -1
	s_barrier_wait -1
	v_and_b32_e32 v5, 0x7fff, v4
	s_delay_alu instid0(VALU_DEP_1)
	v_cmp_ne_u32_e32 vcc_lo, 0, v5
	s_cbranch_vccz .LBB108_271
.LBB108_267:                            ;   in Loop: Header=BB108_268 Depth=2
	s_and_b32 s28, exec_lo, s28
	s_delay_alu instid0(SALU_CYCLE_1) | instskip(SKIP_2) | instid1(SALU_CYCLE_1)
	s_or_b32 s26, s28, s26
	s_and_not1_b32 s27, s27, exec_lo
	s_and_b32 s28, s29, exec_lo
	s_or_b32 s27, s27, s28
	s_and_not1_b32 exec_lo, exec_lo, s26
	s_cbranch_execz .LBB108_272
.LBB108_268:                            ;   Parent Loop BB108_6 Depth=1
                                        ; =>  This Inner Loop Header: Depth=2
	s_mov_b32 s28, exec_lo
	s_delay_alu instid0(VALU_DEP_1)
	v_cmpx_gt_u32_e64 s36, v3
	s_cbranch_execz .LBB108_266
; %bb.269:                              ;   in Loop: Header=BB108_268 Depth=2
	global_load_u16 v4, v2, s[34:35] scale_offset
	s_wait_loadcnt 0x0
	v_cmp_lt_i16_e32 vcc_lo, -1, v4
	v_and_b32_e32 v5, 0xffff, v4
	v_dual_cndmask_b32 v6, 0xffff, v30 :: v_dual_lshlrev_b32 v7, 16, v4
	s_delay_alu instid0(VALU_DEP_1) | instskip(NEXT) | instid1(VALU_DEP_2)
	v_cmp_o_f32_e32 vcc_lo, v7, v7
	v_xor_b32_e32 v5, v6, v5
	s_delay_alu instid0(VALU_DEP_1) | instskip(NEXT) | instid1(VALU_DEP_1)
	v_cndmask_b32_e32 v5, 0xffff, v5, vcc_lo
	v_and_b32_e32 v5, v5, v31
	s_delay_alu instid0(VALU_DEP_1)
	v_cmp_eq_u32_e32 vcc_lo, v5, v25
	s_and_b32 exec_lo, exec_lo, vcc_lo
	s_cbranch_execz .LBB108_266
; %bb.270:                              ;   in Loop: Header=BB108_268 Depth=2
	v_perm_b32 v4, v4, s84, 0x5040100
	ds_store_b32 v17, v4 offset:3072
	s_branch .LBB108_266
.LBB108_271:                            ;   in Loop: Header=BB108_268 Depth=2
	v_dual_add_nc_u32 v3, s54, v3 :: v_dual_add_nc_u32 v2, s56, v2
	s_mov_b32 s29, 0
	s_delay_alu instid0(VALU_DEP_1)
	v_cmp_le_u32_e32 vcc_lo, s78, v3
	s_or_not1_b32 s28, vcc_lo, exec_lo
	s_branch .LBB108_267
.LBB108_272:                            ;   in Loop: Header=BB108_6 Depth=1
	s_or_b32 exec_lo, exec_lo, s26
	v_lshrrev_b32_e32 v32, 16, v4
	s_and_not1_b32 s25, s25, exec_lo
	s_and_b32 s26, s27, exec_lo
	s_delay_alu instid0(SALU_CYCLE_1)
	s_or_b32 s25, s25, s26
.LBB108_273:                            ;   in Loop: Header=BB108_6 Depth=1
	s_or_b32 exec_lo, exec_lo, s16
	s_mov_b32 s16, 0
	s_mov_b32 s26, -1
.LBB108_274:                            ;   in Loop: Header=BB108_6 Depth=1
	s_or_not1_b32 s25, s25, exec_lo
.LBB108_275:                            ;   in Loop: Header=BB108_6 Depth=1
	s_or_b32 exec_lo, exec_lo, s24
                                        ; implicit-def: $vgpr5
                                        ; implicit-def: $vgpr2
	s_and_saveexec_b32 s24, s25
	s_cbranch_execz .LBB108_405
; %bb.276:                              ;   in Loop: Header=BB108_6 Depth=1
	v_dual_mov_b32 v5, 1 :: v_dual_mov_b32 v2, 1
	s_xor_b32 s25, s14, -1
	s_mov_b32 s28, 0
	s_and_saveexec_b32 s14, s25
	s_cbranch_execz .LBB108_285
; %bb.277:                              ;   in Loop: Header=BB108_6 Depth=1
	s_mov_b32 s25, exec_lo
	v_cmpx_ge_u32_e64 s22, v33
	s_xor_b32 s25, exec_lo, s25
	s_cbranch_execz .LBB108_282
; %bb.278:                              ;   in Loop: Header=BB108_6 Depth=1
	ds_load_b32 v2, v17 offset:4096
	v_or_b32_e32 v25, s18, v25
	v_or_b32_e32 v31, s18, v31
	s_wait_dscnt 0x0
	v_cmp_ne_u32_e32 vcc_lo, 0, v2
	s_cbranch_vccnz .LBB108_282
; %bb.279:                              ;   in Loop: Header=BB108_6 Depth=1
	s_and_saveexec_b32 s27, s5
; %bb.280:                              ;   in Loop: Header=BB108_6 Depth=1
	v_mov_b32_e32 v2, s22
	ds_store_b32 v17, v2 offset:4100
; %bb.281:                              ;   in Loop: Header=BB108_6 Depth=1
	s_or_b32 exec_lo, exec_lo, s27
	s_wait_dscnt 0x0
	s_barrier_signal -1
	s_barrier_wait -1
.LBB108_282:                            ;   in Loop: Header=BB108_6 Depth=1
	s_or_saveexec_b32 s25, s25
	v_mov_b32_e32 v2, 5
	s_mov_b32 s27, 0
	s_xor_b32 exec_lo, exec_lo, s25
; %bb.283:                              ;   in Loop: Header=BB108_6 Depth=1
	v_subrev_nc_u32_e32 v33, s22, v33
	v_mov_b32_e32 v2, 0
	s_mov_b32 s27, exec_lo
; %bb.284:                              ;   in Loop: Header=BB108_6 Depth=1
	s_or_b32 exec_lo, exec_lo, s25
	s_delay_alu instid0(VALU_DEP_2)
	v_mov_b32_e32 v5, v33
	s_and_b32 s28, s27, exec_lo
.LBB108_285:                            ;   in Loop: Header=BB108_6 Depth=1
	s_or_b32 exec_lo, exec_lo, s14
	s_mov_b32 s27, -1
                                        ; implicit-def: $sgpr22
                                        ; implicit-def: $sgpr25
	s_and_saveexec_b32 s14, s28
	s_delay_alu instid0(SALU_CYCLE_1)
	s_xor_b32 s14, exec_lo, s14
	s_cbranch_execz .LBB108_402
; %bb.286:                              ;   in Loop: Header=BB108_6 Depth=1
	v_cmp_eq_u32_e32 vcc_lo, 1, v5
	s_cmp_eq_u32 s21, 1
	s_mov_b32 s29, -1
	s_cselect_b32 s22, -1, 0
                                        ; implicit-def: $sgpr25
	s_delay_alu instid0(SALU_CYCLE_1) | instskip(NEXT) | instid1(SALU_CYCLE_1)
	s_and_b32 s28, s22, vcc_lo
                                        ; implicit-def: $sgpr22
	s_and_saveexec_b32 s27, s28
	s_cbranch_execz .LBB108_312
; %bb.287:                              ;   in Loop: Header=BB108_6 Depth=1
	ds_load_b32 v3, v17 offset:4096
	s_wait_dscnt 0x0
	s_barrier_signal -1
	s_barrier_wait -1
	v_readfirstlane_b32 s30, v3
	s_and_saveexec_b32 s22, s6
; %bb.288:                              ;   in Loop: Header=BB108_6 Depth=1
	ds_store_b16 v20, v17
; %bb.289:                              ;   in Loop: Header=BB108_6 Depth=1
	s_or_b32 exec_lo, exec_lo, s22
	s_lshl_b32 s22, 2, s82
	v_or_b32_e32 v31, s18, v31
	v_and_or_b32 v25, v25, s19, s22
	s_mov_b32 s22, -1
	s_mov_b32 s25, 0
	s_cmp_eq_u32 s30, 0
	s_mov_b32 s29, 0
	s_mov_b32 s31, -1
	s_wait_dscnt 0x0
	s_barrier_signal -1
	s_barrier_wait -1
                                        ; implicit-def: $vgpr32
	s_cbranch_scc1 .LBB108_300
; %bb.290:                              ;   in Loop: Header=BB108_6 Depth=1
	s_add_co_i32 s44, s30, s65
	s_mov_b32 s33, exec_lo
	s_mul_u64 s[50:51], s[44:45], s[46:47]
                                        ; implicit-def: $vgpr32
	s_delay_alu instid0(SALU_CYCLE_1) | instskip(NEXT) | instid1(SALU_CYCLE_1)
	s_mul_i32 s29, s51, s54
	s_sub_co_i32 s29, s44, s29
	s_delay_alu instid0(SALU_CYCLE_1) | instskip(SKIP_2) | instid1(SALU_CYCLE_1)
	s_sub_co_i32 s31, s29, s54
	s_cmp_ge_u32 s29, s54
	s_cselect_b32 s29, s31, s29
	s_sub_co_i32 s31, s29, s54
	s_cmp_ge_u32 s29, s54
	s_cselect_b32 s29, s31, s29
	s_mov_b32 s31, 0
	s_sub_co_i32 s44, s44, s29
	s_mov_b32 s29, 0
	v_cmpx_gt_u32_e64 s44, v0
	s_cbranch_execz .LBB108_299
; %bb.291:                              ;   in Loop: Header=BB108_6 Depth=1
	v_dual_mov_b32 v3, v15 :: v_dual_mov_b32 v4, v0
                                        ; implicit-def: $sgpr50
	s_branch .LBB108_294
.LBB108_292:                            ;   in Loop: Header=BB108_294 Depth=2
	s_or_b32 exec_lo, exec_lo, s51
	s_wait_dscnt 0x0
	s_barrier_signal -1
	s_barrier_wait -1
	ds_load_b32 v6, v17 offset:3072
	s_mov_b32 s51, -1
	s_mov_b32 s52, -1
	s_wait_dscnt 0x0
	s_barrier_signal -1
	s_barrier_wait -1
	v_and_b32_e32 v7, 0x7fff, v6
	s_delay_alu instid0(VALU_DEP_1)
	v_cmp_ne_u32_e32 vcc_lo, 0, v7
	s_cbranch_vccz .LBB108_297
.LBB108_293:                            ;   in Loop: Header=BB108_294 Depth=2
	s_and_b32 s51, exec_lo, s51
	s_delay_alu instid0(SALU_CYCLE_1) | instskip(SKIP_2) | instid1(SALU_CYCLE_1)
	s_or_b32 s29, s51, s29
	s_and_not1_b32 s50, s50, exec_lo
	s_and_b32 s51, s52, exec_lo
	s_or_b32 s50, s50, s51
	s_and_not1_b32 exec_lo, exec_lo, s29
	s_cbranch_execz .LBB108_298
.LBB108_294:                            ;   Parent Loop BB108_6 Depth=1
                                        ; =>  This Inner Loop Header: Depth=2
	s_mov_b32 s51, exec_lo
	s_delay_alu instid0(VALU_DEP_1)
	v_cmpx_gt_u32_e64 s30, v4
	s_cbranch_execz .LBB108_292
; %bb.295:                              ;   in Loop: Header=BB108_294 Depth=2
	ds_load_u16 v6, v3
	s_wait_dscnt 0x0
	v_cmp_lt_i16_e32 vcc_lo, -1, v6
	v_and_b32_e32 v7, 0xffff, v6
	v_cndmask_b32_e32 v8, 0xffff, v30, vcc_lo
	s_delay_alu instid0(VALU_DEP_1) | instskip(NEXT) | instid1(VALU_DEP_1)
	v_dual_lshlrev_b32 v9, 16, v6 :: v_dual_bitop2_b32 v7, v8, v7 bitop3:0x14
	v_cmp_o_f32_e32 vcc_lo, v9, v9
	s_delay_alu instid0(VALU_DEP_2) | instskip(NEXT) | instid1(VALU_DEP_1)
	v_cndmask_b32_e32 v7, 0xffff, v7, vcc_lo
	v_and_b32_e32 v7, v7, v31
	s_delay_alu instid0(VALU_DEP_1)
	v_cmp_eq_u32_e32 vcc_lo, v7, v25
	s_and_b32 exec_lo, exec_lo, vcc_lo
	s_cbranch_execz .LBB108_292
; %bb.296:                              ;   in Loop: Header=BB108_294 Depth=2
	v_perm_b32 v6, v6, s84, 0x5040100
	ds_store_b32 v17, v6 offset:3072
	s_branch .LBB108_292
.LBB108_297:                            ;   in Loop: Header=BB108_294 Depth=2
	v_dual_add_nc_u32 v4, s54, v4 :: v_dual_add_nc_u32 v3, s81, v3
	s_mov_b32 s52, 0
	s_delay_alu instid0(VALU_DEP_1)
	v_cmp_le_u32_e32 vcc_lo, s44, v4
	s_or_not1_b32 s51, vcc_lo, exec_lo
	s_branch .LBB108_293
.LBB108_298:                            ;   in Loop: Header=BB108_6 Depth=1
	s_or_b32 exec_lo, exec_lo, s29
	v_lshrrev_b32_e32 v32, 16, v6
	s_and_b32 s29, s50, exec_lo
.LBB108_299:                            ;   in Loop: Header=BB108_6 Depth=1
	s_or_b32 exec_lo, exec_lo, s33
.LBB108_300:                            ;   in Loop: Header=BB108_6 Depth=1
	s_delay_alu instid0(SALU_CYCLE_1)
	s_and_b32 vcc_lo, exec_lo, s31
	s_cbranch_vccz .LBB108_311
; %bb.301:                              ;   in Loop: Header=BB108_6 Depth=1
                                        ; implicit-def: $vgpr32
	s_and_saveexec_b32 s22, s13
	s_cbranch_execz .LBB108_310
; %bb.302:                              ;   in Loop: Header=BB108_6 Depth=1
	v_dual_mov_b32 v3, v14 :: v_dual_mov_b32 v4, v0
	s_mov_b32 s25, 0
                                        ; implicit-def: $sgpr30
	s_branch .LBB108_305
.LBB108_303:                            ;   in Loop: Header=BB108_305 Depth=2
	s_or_b32 exec_lo, exec_lo, s31
	s_wait_dscnt 0x0
	s_barrier_signal -1
	s_barrier_wait -1
	ds_load_b32 v6, v17 offset:3072
	s_mov_b32 s31, -1
	s_mov_b32 s33, -1
	s_wait_dscnt 0x0
	s_barrier_signal -1
	s_barrier_wait -1
	v_and_b32_e32 v7, 0x7fff, v6
	s_delay_alu instid0(VALU_DEP_1)
	v_cmp_eq_u32_e32 vcc_lo, 0, v7
	s_cbranch_vccnz .LBB108_308
.LBB108_304:                            ;   in Loop: Header=BB108_305 Depth=2
	s_and_b32 s31, exec_lo, s31
	s_delay_alu instid0(SALU_CYCLE_1) | instskip(SKIP_2) | instid1(SALU_CYCLE_1)
	s_or_b32 s25, s31, s25
	s_and_not1_b32 s30, s30, exec_lo
	s_and_b32 s31, s33, exec_lo
	s_or_b32 s30, s30, s31
	s_and_not1_b32 exec_lo, exec_lo, s25
	s_cbranch_execz .LBB108_309
.LBB108_305:                            ;   Parent Loop BB108_6 Depth=1
                                        ; =>  This Inner Loop Header: Depth=2
	s_mov_b32 s31, exec_lo
	s_delay_alu instid0(VALU_DEP_1)
	v_cmpx_gt_u32_e64 s36, v4
	s_cbranch_execz .LBB108_303
; %bb.306:                              ;   in Loop: Header=BB108_305 Depth=2
	global_load_u16 v6, v3, s[34:35] scale_offset
	s_wait_loadcnt 0x0
	v_cmp_lt_i16_e32 vcc_lo, -1, v6
	v_and_b32_e32 v7, 0xffff, v6
	v_cndmask_b32_e32 v8, 0xffff, v30, vcc_lo
	s_delay_alu instid0(VALU_DEP_1) | instskip(NEXT) | instid1(VALU_DEP_1)
	v_dual_lshlrev_b32 v9, 16, v6 :: v_dual_bitop2_b32 v7, v8, v7 bitop3:0x14
	v_cmp_o_f32_e32 vcc_lo, v9, v9
	s_delay_alu instid0(VALU_DEP_2) | instskip(NEXT) | instid1(VALU_DEP_1)
	v_cndmask_b32_e32 v7, 0xffff, v7, vcc_lo
	v_and_b32_e32 v7, v7, v31
	s_delay_alu instid0(VALU_DEP_1)
	v_cmp_eq_u32_e32 vcc_lo, v7, v25
	s_and_b32 exec_lo, exec_lo, vcc_lo
	s_cbranch_execz .LBB108_303
; %bb.307:                              ;   in Loop: Header=BB108_305 Depth=2
	v_perm_b32 v6, v6, s84, 0x5040100
	ds_store_b32 v17, v6 offset:3072
	s_branch .LBB108_303
.LBB108_308:                            ;   in Loop: Header=BB108_305 Depth=2
	v_dual_add_nc_u32 v4, s54, v4 :: v_dual_add_nc_u32 v3, s56, v3
	s_mov_b32 s33, 0
	s_delay_alu instid0(VALU_DEP_1)
	v_cmp_le_u32_e32 vcc_lo, s78, v4
	s_or_not1_b32 s31, vcc_lo, exec_lo
	s_branch .LBB108_304
.LBB108_309:                            ;   in Loop: Header=BB108_6 Depth=1
	s_or_b32 exec_lo, exec_lo, s25
	v_lshrrev_b32_e32 v32, 16, v6
	s_and_not1_b32 s25, s29, exec_lo
	s_and_b32 s29, s30, exec_lo
	s_delay_alu instid0(SALU_CYCLE_1)
	s_or_b32 s29, s25, s29
.LBB108_310:                            ;   in Loop: Header=BB108_6 Depth=1
	s_or_b32 exec_lo, exec_lo, s22
	s_mov_b32 s22, 0
	s_mov_b32 s25, -1
.LBB108_311:                            ;   in Loop: Header=BB108_6 Depth=1
	s_or_not1_b32 s29, s29, exec_lo
.LBB108_312:                            ;   in Loop: Header=BB108_6 Depth=1
	s_or_b32 exec_lo, exec_lo, s27
	s_mov_b32 s30, 0
	s_and_saveexec_b32 s27, s29
	s_cbranch_execz .LBB108_401
; %bb.313:                              ;   in Loop: Header=BB108_6 Depth=1
	v_dual_mov_b32 v3, 1 :: v_dual_mov_b32 v2, 1
	s_xor_b32 s29, s28, -1
	s_mov_b32 s31, 0
	s_and_saveexec_b32 s28, s29
	s_cbranch_execz .LBB108_322
; %bb.314:                              ;   in Loop: Header=BB108_6 Depth=1
	s_mov_b32 s29, exec_lo
	v_cmpx_ge_u32_e64 s21, v5
	s_xor_b32 s29, exec_lo, s29
	s_cbranch_execz .LBB108_319
; %bb.315:                              ;   in Loop: Header=BB108_6 Depth=1
	ds_load_b32 v2, v17 offset:4096
	s_lshl_b32 s30, 2, s82
	v_or_b32_e32 v31, s18, v31
	v_and_or_b32 v25, v25, s19, s30
	s_wait_dscnt 0x0
	v_cmp_ne_u32_e32 vcc_lo, 0, v2
	s_cbranch_vccnz .LBB108_319
; %bb.316:                              ;   in Loop: Header=BB108_6 Depth=1
	s_and_saveexec_b32 s30, s5
; %bb.317:                              ;   in Loop: Header=BB108_6 Depth=1
	v_mov_b32_e32 v2, s21
	ds_store_b32 v17, v2 offset:4100
; %bb.318:                              ;   in Loop: Header=BB108_6 Depth=1
	s_or_b32 exec_lo, exec_lo, s30
	s_wait_dscnt 0x0
	s_barrier_signal -1
	s_barrier_wait -1
.LBB108_319:                            ;   in Loop: Header=BB108_6 Depth=1
	s_or_saveexec_b32 s29, s29
	v_mov_b32_e32 v2, 5
	s_mov_b32 s30, 0
	s_xor_b32 exec_lo, exec_lo, s29
; %bb.320:                              ;   in Loop: Header=BB108_6 Depth=1
	v_subrev_nc_u32_e32 v5, s21, v5
	v_mov_b32_e32 v2, 0
	s_mov_b32 s30, exec_lo
; %bb.321:                              ;   in Loop: Header=BB108_6 Depth=1
	s_or_b32 exec_lo, exec_lo, s29
	s_delay_alu instid0(VALU_DEP_2)
	v_mov_b32_e32 v3, v5
	s_and_b32 s31, s30, exec_lo
.LBB108_322:                            ;   in Loop: Header=BB108_6 Depth=1
	s_or_b32 exec_lo, exec_lo, s28
	s_mov_b32 s30, -1
                                        ; implicit-def: $sgpr28
                                        ; implicit-def: $sgpr29
	s_and_saveexec_b32 s21, s31
	s_cbranch_execz .LBB108_400
; %bb.323:                              ;   in Loop: Header=BB108_6 Depth=1
	v_cmp_eq_u32_e32 vcc_lo, 1, v3
	s_cmp_eq_u32 s20, 1
	s_mov_b32 s33, -1
	s_cselect_b32 s28, -1, 0
                                        ; implicit-def: $sgpr29
	s_delay_alu instid0(SALU_CYCLE_1) | instskip(NEXT) | instid1(SALU_CYCLE_1)
	s_and_b32 s31, s28, vcc_lo
                                        ; implicit-def: $sgpr28
	s_and_saveexec_b32 s30, s31
	s_cbranch_execz .LBB108_349
; %bb.324:                              ;   in Loop: Header=BB108_6 Depth=1
	ds_load_b32 v4, v17 offset:4096
	s_wait_dscnt 0x0
	s_barrier_signal -1
	s_barrier_wait -1
	v_readfirstlane_b32 s50, v4
	s_and_saveexec_b32 s28, s6
; %bb.325:                              ;   in Loop: Header=BB108_6 Depth=1
	ds_store_b16 v20, v17
; %bb.326:                              ;   in Loop: Header=BB108_6 Depth=1
	s_or_b32 exec_lo, exec_lo, s28
	s_lshl_b32 s28, 1, s82
	v_or_b32_e32 v31, s18, v31
	v_and_or_b32 v25, v25, s19, s28
	s_mov_b32 s28, -1
	s_mov_b32 s29, 0
	s_cmp_eq_u32 s50, 0
	s_mov_b32 s33, 0
	s_mov_b32 s44, -1
	s_wait_dscnt 0x0
	s_barrier_signal -1
	s_barrier_wait -1
                                        ; implicit-def: $vgpr32
	s_cbranch_scc1 .LBB108_337
; %bb.327:                              ;   in Loop: Header=BB108_6 Depth=1
	s_add_co_i32 s44, s50, s65
                                        ; implicit-def: $vgpr32
	s_delay_alu instid0(SALU_CYCLE_1) | instskip(NEXT) | instid1(SALU_CYCLE_1)
	s_mul_u64 s[52:53], s[44:45], s[46:47]
	s_mul_i32 s33, s53, s54
	s_delay_alu instid0(SALU_CYCLE_1) | instskip(NEXT) | instid1(SALU_CYCLE_1)
	s_sub_co_i32 s33, s44, s33
	s_sub_co_i32 s51, s33, s54
	s_cmp_ge_u32 s33, s54
	s_cselect_b32 s33, s51, s33
	s_delay_alu instid0(SALU_CYCLE_1)
	s_sub_co_i32 s51, s33, s54
	s_cmp_ge_u32 s33, s54
	s_cselect_b32 s33, s51, s33
	s_mov_b32 s51, exec_lo
	s_sub_co_i32 s52, s44, s33
	s_mov_b32 s44, 0
	s_mov_b32 s33, 0
	v_cmpx_gt_u32_e64 s52, v0
	s_cbranch_execz .LBB108_336
; %bb.328:                              ;   in Loop: Header=BB108_6 Depth=1
	v_dual_mov_b32 v4, v15 :: v_dual_mov_b32 v5, v0
                                        ; implicit-def: $sgpr53
	s_branch .LBB108_331
.LBB108_329:                            ;   in Loop: Header=BB108_331 Depth=2
	s_or_b32 exec_lo, exec_lo, s96
	s_wait_dscnt 0x0
	s_barrier_signal -1
	s_barrier_wait -1
	ds_load_b32 v6, v17 offset:3072
	s_mov_b32 s96, -1
	s_mov_b32 s97, -1
	s_wait_dscnt 0x0
	s_barrier_signal -1
	s_barrier_wait -1
	v_and_b32_e32 v7, 0x7fff, v6
	s_delay_alu instid0(VALU_DEP_1)
	v_cmp_ne_u32_e32 vcc_lo, 0, v7
	s_cbranch_vccz .LBB108_334
.LBB108_330:                            ;   in Loop: Header=BB108_331 Depth=2
	s_and_b32 s96, exec_lo, s96
	s_delay_alu instid0(SALU_CYCLE_1) | instskip(SKIP_2) | instid1(SALU_CYCLE_1)
	s_or_b32 s33, s96, s33
	s_and_not1_b32 s53, s53, exec_lo
	s_and_b32 s96, s97, exec_lo
	s_or_b32 s53, s53, s96
	s_and_not1_b32 exec_lo, exec_lo, s33
	s_cbranch_execz .LBB108_335
.LBB108_331:                            ;   Parent Loop BB108_6 Depth=1
                                        ; =>  This Inner Loop Header: Depth=2
	s_mov_b32 s96, exec_lo
	s_delay_alu instid0(VALU_DEP_1)
	v_cmpx_gt_u32_e64 s50, v5
	s_cbranch_execz .LBB108_329
; %bb.332:                              ;   in Loop: Header=BB108_331 Depth=2
	ds_load_u16 v6, v4
	s_wait_dscnt 0x0
	v_cmp_lt_i16_e32 vcc_lo, -1, v6
	v_and_b32_e32 v7, 0xffff, v6
	v_cndmask_b32_e32 v8, 0xffff, v30, vcc_lo
	s_delay_alu instid0(VALU_DEP_1) | instskip(NEXT) | instid1(VALU_DEP_1)
	v_dual_lshlrev_b32 v9, 16, v6 :: v_dual_bitop2_b32 v7, v8, v7 bitop3:0x14
	v_cmp_o_f32_e32 vcc_lo, v9, v9
	s_delay_alu instid0(VALU_DEP_2) | instskip(NEXT) | instid1(VALU_DEP_1)
	v_cndmask_b32_e32 v7, 0xffff, v7, vcc_lo
	v_and_b32_e32 v7, v7, v31
	s_delay_alu instid0(VALU_DEP_1)
	v_cmp_eq_u32_e32 vcc_lo, v7, v25
	s_and_b32 exec_lo, exec_lo, vcc_lo
	s_cbranch_execz .LBB108_329
; %bb.333:                              ;   in Loop: Header=BB108_331 Depth=2
	v_perm_b32 v6, v6, s84, 0x5040100
	ds_store_b32 v17, v6 offset:3072
	s_branch .LBB108_329
.LBB108_334:                            ;   in Loop: Header=BB108_331 Depth=2
	v_dual_add_nc_u32 v5, s54, v5 :: v_dual_add_nc_u32 v4, s81, v4
	s_mov_b32 s97, 0
	s_delay_alu instid0(VALU_DEP_1)
	v_cmp_le_u32_e32 vcc_lo, s52, v5
	s_or_not1_b32 s96, vcc_lo, exec_lo
	s_branch .LBB108_330
.LBB108_335:                            ;   in Loop: Header=BB108_6 Depth=1
	s_or_b32 exec_lo, exec_lo, s33
	v_lshrrev_b32_e32 v32, 16, v6
	s_and_b32 s33, s53, exec_lo
.LBB108_336:                            ;   in Loop: Header=BB108_6 Depth=1
	s_or_b32 exec_lo, exec_lo, s51
.LBB108_337:                            ;   in Loop: Header=BB108_6 Depth=1
	s_delay_alu instid0(SALU_CYCLE_1)
	s_and_b32 vcc_lo, exec_lo, s44
	s_cbranch_vccz .LBB108_348
; %bb.338:                              ;   in Loop: Header=BB108_6 Depth=1
                                        ; implicit-def: $vgpr32
	s_and_saveexec_b32 s28, s13
	s_cbranch_execz .LBB108_347
; %bb.339:                              ;   in Loop: Header=BB108_6 Depth=1
	v_dual_mov_b32 v4, v14 :: v_dual_mov_b32 v5, v0
	s_mov_b32 s29, 0
                                        ; implicit-def: $sgpr44
	s_branch .LBB108_342
.LBB108_340:                            ;   in Loop: Header=BB108_342 Depth=2
	s_or_b32 exec_lo, exec_lo, s50
	s_wait_dscnt 0x0
	s_barrier_signal -1
	s_barrier_wait -1
	ds_load_b32 v6, v17 offset:3072
	s_mov_b32 s50, -1
	s_mov_b32 s51, -1
	s_wait_dscnt 0x0
	s_barrier_signal -1
	s_barrier_wait -1
	v_and_b32_e32 v7, 0x7fff, v6
	s_delay_alu instid0(VALU_DEP_1)
	v_cmp_eq_u32_e32 vcc_lo, 0, v7
	s_cbranch_vccnz .LBB108_345
.LBB108_341:                            ;   in Loop: Header=BB108_342 Depth=2
	s_and_b32 s50, exec_lo, s50
	s_delay_alu instid0(SALU_CYCLE_1) | instskip(SKIP_2) | instid1(SALU_CYCLE_1)
	s_or_b32 s29, s50, s29
	s_and_not1_b32 s44, s44, exec_lo
	s_and_b32 s50, s51, exec_lo
	s_or_b32 s44, s44, s50
	s_and_not1_b32 exec_lo, exec_lo, s29
	s_cbranch_execz .LBB108_346
.LBB108_342:                            ;   Parent Loop BB108_6 Depth=1
                                        ; =>  This Inner Loop Header: Depth=2
	s_mov_b32 s50, exec_lo
	s_delay_alu instid0(VALU_DEP_1)
	v_cmpx_gt_u32_e64 s36, v5
	s_cbranch_execz .LBB108_340
; %bb.343:                              ;   in Loop: Header=BB108_342 Depth=2
	global_load_u16 v6, v4, s[34:35] scale_offset
	s_wait_loadcnt 0x0
	v_cmp_lt_i16_e32 vcc_lo, -1, v6
	v_and_b32_e32 v7, 0xffff, v6
	v_cndmask_b32_e32 v8, 0xffff, v30, vcc_lo
	s_delay_alu instid0(VALU_DEP_1) | instskip(NEXT) | instid1(VALU_DEP_1)
	v_dual_lshlrev_b32 v9, 16, v6 :: v_dual_bitop2_b32 v7, v8, v7 bitop3:0x14
	v_cmp_o_f32_e32 vcc_lo, v9, v9
	s_delay_alu instid0(VALU_DEP_2) | instskip(NEXT) | instid1(VALU_DEP_1)
	v_cndmask_b32_e32 v7, 0xffff, v7, vcc_lo
	v_and_b32_e32 v7, v7, v31
	s_delay_alu instid0(VALU_DEP_1)
	v_cmp_eq_u32_e32 vcc_lo, v7, v25
	s_and_b32 exec_lo, exec_lo, vcc_lo
	s_cbranch_execz .LBB108_340
; %bb.344:                              ;   in Loop: Header=BB108_342 Depth=2
	v_perm_b32 v6, v6, s84, 0x5040100
	ds_store_b32 v17, v6 offset:3072
	s_branch .LBB108_340
.LBB108_345:                            ;   in Loop: Header=BB108_342 Depth=2
	v_dual_add_nc_u32 v5, s54, v5 :: v_dual_add_nc_u32 v4, s56, v4
	s_mov_b32 s51, 0
	s_delay_alu instid0(VALU_DEP_1)
	v_cmp_le_u32_e32 vcc_lo, s78, v5
	s_or_not1_b32 s50, vcc_lo, exec_lo
	s_branch .LBB108_341
.LBB108_346:                            ;   in Loop: Header=BB108_6 Depth=1
	s_or_b32 exec_lo, exec_lo, s29
	v_lshrrev_b32_e32 v32, 16, v6
	s_and_not1_b32 s29, s33, exec_lo
	s_and_b32 s33, s44, exec_lo
	s_delay_alu instid0(SALU_CYCLE_1)
	s_or_b32 s33, s29, s33
.LBB108_347:                            ;   in Loop: Header=BB108_6 Depth=1
	s_or_b32 exec_lo, exec_lo, s28
	s_mov_b32 s28, 0
	s_mov_b32 s29, -1
.LBB108_348:                            ;   in Loop: Header=BB108_6 Depth=1
	s_or_not1_b32 s33, s33, exec_lo
.LBB108_349:                            ;   in Loop: Header=BB108_6 Depth=1
	s_or_b32 exec_lo, exec_lo, s30
	s_mov_b32 s44, 0
	s_and_saveexec_b32 s30, s33
	s_cbranch_execz .LBB108_399
; %bb.350:                              ;   in Loop: Header=BB108_6 Depth=1
	v_dual_mov_b32 v4, 1 :: v_dual_mov_b32 v2, 1
	s_xor_b32 s33, s31, -1
	s_delay_alu instid0(SALU_CYCLE_1)
	s_and_saveexec_b32 s31, s33
	s_cbranch_execz .LBB108_359
; %bb.351:                              ;   in Loop: Header=BB108_6 Depth=1
	s_mov_b32 s33, exec_lo
	v_cmpx_ge_u32_e64 s20, v3
	s_xor_b32 s33, exec_lo, s33
	s_cbranch_execz .LBB108_356
; %bb.352:                              ;   in Loop: Header=BB108_6 Depth=1
	ds_load_b32 v2, v17 offset:4096
	s_lshl_b32 s44, 1, s82
	v_or_b32_e32 v31, s18, v31
	v_and_or_b32 v25, v25, s19, s44
	s_wait_dscnt 0x0
	v_cmp_ne_u32_e32 vcc_lo, 0, v2
	s_cbranch_vccnz .LBB108_356
; %bb.353:                              ;   in Loop: Header=BB108_6 Depth=1
	s_and_saveexec_b32 s44, s5
; %bb.354:                              ;   in Loop: Header=BB108_6 Depth=1
	v_mov_b32_e32 v2, s20
	ds_store_b32 v17, v2 offset:4100
; %bb.355:                              ;   in Loop: Header=BB108_6 Depth=1
	s_or_b32 exec_lo, exec_lo, s44
	s_wait_dscnt 0x0
	s_barrier_signal -1
	s_barrier_wait -1
.LBB108_356:                            ;   in Loop: Header=BB108_6 Depth=1
	s_or_saveexec_b32 s33, s33
	v_mov_b32_e32 v2, 5
	s_mov_b32 s44, 0
	s_xor_b32 exec_lo, exec_lo, s33
; %bb.357:                              ;   in Loop: Header=BB108_6 Depth=1
	v_subrev_nc_u32_e32 v3, s20, v3
	v_mov_b32_e32 v2, 0
	s_mov_b32 s44, exec_lo
; %bb.358:                              ;   in Loop: Header=BB108_6 Depth=1
	s_or_b32 exec_lo, exec_lo, s33
	s_delay_alu instid0(VALU_DEP_2)
	v_mov_b32_e32 v4, v3
	s_and_b32 s44, s44, exec_lo
.LBB108_359:                            ;   in Loop: Header=BB108_6 Depth=1
	s_or_b32 exec_lo, exec_lo, s31
	s_mov_b32 s31, -1
                                        ; implicit-def: $sgpr50
                                        ; implicit-def: $sgpr33
	s_and_saveexec_b32 s20, s44
	s_cbranch_execz .LBB108_398
; %bb.360:                              ;   in Loop: Header=BB108_6 Depth=1
	v_cmp_eq_u32_e32 vcc_lo, 1, v4
	s_cmp_eq_u32 s17, 1
	s_mov_b32 s52, -1
	s_cselect_b32 s31, -1, 0
                                        ; implicit-def: $sgpr50
                                        ; implicit-def: $sgpr33
	s_delay_alu instid0(SALU_CYCLE_1) | instskip(NEXT) | instid1(SALU_CYCLE_1)
	s_and_b32 s31, s31, vcc_lo
	s_and_saveexec_b32 s51, s31
	s_cbranch_execz .LBB108_386
; %bb.361:                              ;   in Loop: Header=BB108_6 Depth=1
	ds_load_b32 v3, v17 offset:4096
	s_wait_dscnt 0x0
	s_barrier_signal -1
	s_barrier_wait -1
	v_readfirstlane_b32 s52, v3
	s_and_saveexec_b32 s33, s6
; %bb.362:                              ;   in Loop: Header=BB108_6 Depth=1
	ds_store_b16 v20, v17
; %bb.363:                              ;   in Loop: Header=BB108_6 Depth=1
	s_or_b32 exec_lo, exec_lo, s33
	v_and_b32_e32 v25, s19, v25
	v_or_b32_e32 v31, s18, v31
	s_mov_b32 s33, -1
	s_mov_b32 s50, 0
	s_cmp_eq_u32 s52, 0
	s_mov_b32 s44, 0
	s_mov_b32 s53, -1
	s_wait_dscnt 0x0
	s_barrier_signal -1
	s_barrier_wait -1
                                        ; implicit-def: $vgpr32
	s_cbranch_scc1 .LBB108_374
; %bb.364:                              ;   in Loop: Header=BB108_6 Depth=1
	s_add_co_i32 s44, s52, s65
                                        ; implicit-def: $vgpr32
	s_delay_alu instid0(SALU_CYCLE_1) | instskip(NEXT) | instid1(SALU_CYCLE_1)
	s_mul_u64 s[96:97], s[44:45], s[46:47]
	s_mul_i32 s53, s97, s54
	s_delay_alu instid0(SALU_CYCLE_1) | instskip(NEXT) | instid1(SALU_CYCLE_1)
	s_sub_co_i32 s53, s44, s53
	s_sub_co_i32 s96, s53, s54
	s_cmp_ge_u32 s53, s54
	s_cselect_b32 s53, s96, s53
	s_delay_alu instid0(SALU_CYCLE_1)
	s_sub_co_i32 s96, s53, s54
	s_cmp_ge_u32 s53, s54
	s_cselect_b32 s53, s96, s53
	s_mov_b32 s96, exec_lo
	s_sub_co_i32 s97, s44, s53
	s_mov_b32 s53, 0
	s_mov_b32 s44, 0
	v_cmpx_gt_u32_e64 s97, v0
	s_cbranch_execz .LBB108_373
; %bb.365:                              ;   in Loop: Header=BB108_6 Depth=1
	v_dual_mov_b32 v3, v15 :: v_dual_mov_b32 v5, v0
                                        ; implicit-def: $sgpr98
	s_branch .LBB108_368
.LBB108_366:                            ;   in Loop: Header=BB108_368 Depth=2
	s_or_b32 exec_lo, exec_lo, s99
	s_wait_dscnt 0x0
	s_barrier_signal -1
	s_barrier_wait -1
	ds_load_b32 v6, v17 offset:3072
	s_mov_b32 s99, -1
	s_mov_b32 s100, -1
	s_wait_dscnt 0x0
	s_barrier_signal -1
	s_barrier_wait -1
	v_and_b32_e32 v7, 0x7fff, v6
	s_delay_alu instid0(VALU_DEP_1)
	v_cmp_ne_u32_e32 vcc_lo, 0, v7
	s_cbranch_vccz .LBB108_371
.LBB108_367:                            ;   in Loop: Header=BB108_368 Depth=2
	s_and_b32 s99, exec_lo, s99
	s_delay_alu instid0(SALU_CYCLE_1) | instskip(SKIP_2) | instid1(SALU_CYCLE_1)
	s_or_b32 s44, s99, s44
	s_and_not1_b32 s98, s98, exec_lo
	s_and_b32 s99, s100, exec_lo
	s_or_b32 s98, s98, s99
	s_and_not1_b32 exec_lo, exec_lo, s44
	s_cbranch_execz .LBB108_372
.LBB108_368:                            ;   Parent Loop BB108_6 Depth=1
                                        ; =>  This Inner Loop Header: Depth=2
	s_mov_b32 s99, exec_lo
	s_delay_alu instid0(VALU_DEP_1)
	v_cmpx_gt_u32_e64 s52, v5
	s_cbranch_execz .LBB108_366
; %bb.369:                              ;   in Loop: Header=BB108_368 Depth=2
	ds_load_u16 v6, v3
	s_wait_dscnt 0x0
	v_cmp_lt_i16_e32 vcc_lo, -1, v6
	v_and_b32_e32 v7, 0xffff, v6
	v_cndmask_b32_e32 v8, 0xffff, v30, vcc_lo
	s_delay_alu instid0(VALU_DEP_1) | instskip(NEXT) | instid1(VALU_DEP_1)
	v_dual_lshlrev_b32 v9, 16, v6 :: v_dual_bitop2_b32 v7, v8, v7 bitop3:0x14
	v_cmp_o_f32_e32 vcc_lo, v9, v9
	s_delay_alu instid0(VALU_DEP_2) | instskip(NEXT) | instid1(VALU_DEP_1)
	v_cndmask_b32_e32 v7, 0xffff, v7, vcc_lo
	v_and_b32_e32 v7, v7, v31
	s_delay_alu instid0(VALU_DEP_1)
	v_cmp_eq_u32_e32 vcc_lo, v7, v25
	s_and_b32 exec_lo, exec_lo, vcc_lo
	s_cbranch_execz .LBB108_366
; %bb.370:                              ;   in Loop: Header=BB108_368 Depth=2
	v_perm_b32 v6, v6, s84, 0x5040100
	ds_store_b32 v17, v6 offset:3072
	s_branch .LBB108_366
.LBB108_371:                            ;   in Loop: Header=BB108_368 Depth=2
	v_dual_add_nc_u32 v5, s54, v5 :: v_dual_add_nc_u32 v3, s81, v3
	s_mov_b32 s100, 0
	s_delay_alu instid0(VALU_DEP_1)
	v_cmp_le_u32_e32 vcc_lo, s97, v5
	s_or_not1_b32 s99, vcc_lo, exec_lo
	s_branch .LBB108_367
.LBB108_372:                            ;   in Loop: Header=BB108_6 Depth=1
	s_or_b32 exec_lo, exec_lo, s44
	v_lshrrev_b32_e32 v32, 16, v6
	s_and_b32 s44, s98, exec_lo
.LBB108_373:                            ;   in Loop: Header=BB108_6 Depth=1
	s_or_b32 exec_lo, exec_lo, s96
.LBB108_374:                            ;   in Loop: Header=BB108_6 Depth=1
	s_delay_alu instid0(SALU_CYCLE_1)
	s_and_b32 vcc_lo, exec_lo, s53
	s_cbranch_vccz .LBB108_385
; %bb.375:                              ;   in Loop: Header=BB108_6 Depth=1
                                        ; implicit-def: $vgpr32
	s_and_saveexec_b32 s33, s13
	s_cbranch_execz .LBB108_384
; %bb.376:                              ;   in Loop: Header=BB108_6 Depth=1
	v_dual_mov_b32 v3, v14 :: v_dual_mov_b32 v5, v0
	s_mov_b32 s50, 0
                                        ; implicit-def: $sgpr52
	s_branch .LBB108_379
.LBB108_377:                            ;   in Loop: Header=BB108_379 Depth=2
	s_or_b32 exec_lo, exec_lo, s53
	s_wait_dscnt 0x0
	s_barrier_signal -1
	s_barrier_wait -1
	ds_load_b32 v6, v17 offset:3072
	s_mov_b32 s53, -1
	s_mov_b32 s96, -1
	s_wait_dscnt 0x0
	s_barrier_signal -1
	s_barrier_wait -1
	v_and_b32_e32 v7, 0x7fff, v6
	s_delay_alu instid0(VALU_DEP_1)
	v_cmp_eq_u32_e32 vcc_lo, 0, v7
	s_cbranch_vccnz .LBB108_382
.LBB108_378:                            ;   in Loop: Header=BB108_379 Depth=2
	s_and_b32 s53, exec_lo, s53
	s_delay_alu instid0(SALU_CYCLE_1) | instskip(SKIP_2) | instid1(SALU_CYCLE_1)
	s_or_b32 s50, s53, s50
	s_and_not1_b32 s52, s52, exec_lo
	s_and_b32 s53, s96, exec_lo
	s_or_b32 s52, s52, s53
	s_and_not1_b32 exec_lo, exec_lo, s50
	s_cbranch_execz .LBB108_383
.LBB108_379:                            ;   Parent Loop BB108_6 Depth=1
                                        ; =>  This Inner Loop Header: Depth=2
	s_mov_b32 s53, exec_lo
	s_delay_alu instid0(VALU_DEP_1)
	v_cmpx_gt_u32_e64 s36, v5
	s_cbranch_execz .LBB108_377
; %bb.380:                              ;   in Loop: Header=BB108_379 Depth=2
	global_load_u16 v6, v3, s[34:35] scale_offset
	s_wait_loadcnt 0x0
	v_cmp_lt_i16_e32 vcc_lo, -1, v6
	v_and_b32_e32 v7, 0xffff, v6
	v_cndmask_b32_e32 v8, 0xffff, v30, vcc_lo
	s_delay_alu instid0(VALU_DEP_1) | instskip(NEXT) | instid1(VALU_DEP_1)
	v_dual_lshlrev_b32 v9, 16, v6 :: v_dual_bitop2_b32 v7, v8, v7 bitop3:0x14
	v_cmp_o_f32_e32 vcc_lo, v9, v9
	s_delay_alu instid0(VALU_DEP_2) | instskip(NEXT) | instid1(VALU_DEP_1)
	v_cndmask_b32_e32 v7, 0xffff, v7, vcc_lo
	v_and_b32_e32 v7, v7, v31
	s_delay_alu instid0(VALU_DEP_1)
	v_cmp_eq_u32_e32 vcc_lo, v7, v25
	s_and_b32 exec_lo, exec_lo, vcc_lo
	s_cbranch_execz .LBB108_377
; %bb.381:                              ;   in Loop: Header=BB108_379 Depth=2
	v_perm_b32 v6, v6, s84, 0x5040100
	ds_store_b32 v17, v6 offset:3072
	s_branch .LBB108_377
.LBB108_382:                            ;   in Loop: Header=BB108_379 Depth=2
	v_dual_add_nc_u32 v5, s54, v5 :: v_dual_add_nc_u32 v3, s56, v3
	s_mov_b32 s96, 0
	s_delay_alu instid0(VALU_DEP_1)
	v_cmp_le_u32_e32 vcc_lo, s78, v5
	s_or_not1_b32 s53, vcc_lo, exec_lo
	s_branch .LBB108_378
.LBB108_383:                            ;   in Loop: Header=BB108_6 Depth=1
	s_or_b32 exec_lo, exec_lo, s50
	v_lshrrev_b32_e32 v32, 16, v6
	s_and_not1_b32 s44, s44, exec_lo
	s_and_b32 s50, s52, exec_lo
	s_delay_alu instid0(SALU_CYCLE_1)
	s_or_b32 s44, s44, s50
.LBB108_384:                            ;   in Loop: Header=BB108_6 Depth=1
	s_or_b32 exec_lo, exec_lo, s33
	s_mov_b32 s33, 0
	s_mov_b32 s50, -1
.LBB108_385:                            ;   in Loop: Header=BB108_6 Depth=1
	s_or_not1_b32 s52, s44, exec_lo
.LBB108_386:                            ;   in Loop: Header=BB108_6 Depth=1
	s_or_b32 exec_lo, exec_lo, s51
	s_mov_b32 s51, 0
	s_and_saveexec_b32 s44, s52
	s_cbranch_execz .LBB108_397
; %bb.387:                              ;   in Loop: Header=BB108_6 Depth=1
	v_dual_mov_b32 v2, 1 :: v_dual_mov_b32 v3, 1
	s_xor_b32 s51, s31, -1
	s_delay_alu instid0(SALU_CYCLE_1)
	s_and_saveexec_b32 s31, s51
	s_cbranch_execz .LBB108_396
; %bb.388:                              ;   in Loop: Header=BB108_6 Depth=1
	s_mov_b32 s51, exec_lo
	v_cmpx_ge_u32_e64 s17, v4
	s_xor_b32 s51, exec_lo, s51
	s_cbranch_execz .LBB108_393
; %bb.389:                              ;   in Loop: Header=BB108_6 Depth=1
	ds_load_b32 v2, v17 offset:4096
	v_and_b32_e32 v25, s19, v25
	v_or_b32_e32 v31, s18, v31
	s_wait_dscnt 0x0
	v_cmp_ne_u32_e32 vcc_lo, 0, v2
	s_cbranch_vccnz .LBB108_393
; %bb.390:                              ;   in Loop: Header=BB108_6 Depth=1
	s_and_saveexec_b32 s18, s5
; %bb.391:                              ;   in Loop: Header=BB108_6 Depth=1
	v_mov_b32_e32 v2, s17
	ds_store_b32 v17, v2 offset:4100
; %bb.392:                              ;   in Loop: Header=BB108_6 Depth=1
	s_or_b32 exec_lo, exec_lo, s18
	s_wait_dscnt 0x0
	s_barrier_signal -1
	s_barrier_wait -1
.LBB108_393:                            ;   in Loop: Header=BB108_6 Depth=1
	s_and_not1_saveexec_b32 s18, s51
; %bb.394:                              ;   in Loop: Header=BB108_6 Depth=1
	v_subrev_nc_u32_e32 v4, s17, v4
; %bb.395:                              ;   in Loop: Header=BB108_6 Depth=1
	s_or_b32 exec_lo, exec_lo, s18
	s_delay_alu instid0(VALU_DEP_1)
	v_dual_mov_b32 v2, 5 :: v_dual_mov_b32 v3, v4
.LBB108_396:                            ;   in Loop: Header=BB108_6 Depth=1
	s_or_b32 exec_lo, exec_lo, s31
	s_delay_alu instid0(VALU_DEP_1)
	v_mov_b32_e32 v4, v3
	s_mov_b32 s51, exec_lo
.LBB108_397:                            ;   in Loop: Header=BB108_6 Depth=1
	s_or_b32 exec_lo, exec_lo, s44
	s_delay_alu instid0(SALU_CYCLE_1)
	s_or_not1_b32 s31, s51, exec_lo
.LBB108_398:                            ;   in Loop: Header=BB108_6 Depth=1
	s_or_b32 exec_lo, exec_lo, s20
	v_mov_b32_e32 v3, v4
	s_and_not1_b32 s17, s29, exec_lo
	s_and_b32 s18, s50, exec_lo
	s_and_not1_b32 s19, s28, exec_lo
	s_and_b32 s20, s33, exec_lo
	s_or_b32 s29, s17, s18
	s_or_b32 s28, s19, s20
	s_and_b32 s44, s31, exec_lo
.LBB108_399:                            ;   in Loop: Header=BB108_6 Depth=1
	s_or_b32 exec_lo, exec_lo, s30
	s_delay_alu instid0(SALU_CYCLE_1)
	s_or_not1_b32 s30, s44, exec_lo
.LBB108_400:                            ;   in Loop: Header=BB108_6 Depth=1
	s_or_b32 exec_lo, exec_lo, s21
	v_mov_b32_e32 v5, v3
	s_and_not1_b32 s17, s25, exec_lo
	s_and_b32 s18, s29, exec_lo
	s_and_not1_b32 s19, s22, exec_lo
	s_and_b32 s20, s28, exec_lo
	s_or_b32 s25, s17, s18
	s_or_b32 s22, s19, s20
	s_and_b32 s30, s30, exec_lo
.LBB108_401:                            ;   in Loop: Header=BB108_6 Depth=1
	s_or_b32 exec_lo, exec_lo, s27
	s_delay_alu instid0(SALU_CYCLE_1)
	s_or_not1_b32 s27, s30, exec_lo
.LBB108_402:                            ;   in Loop: Header=BB108_6 Depth=1
	s_or_b32 exec_lo, exec_lo, s14
	s_mov_b32 s14, s23
	s_mov_b32 s17, s15
	s_and_saveexec_b32 s18, s27
; %bb.403:                              ;   in Loop: Header=BB108_6 Depth=1
	v_cmp_ne_u32_e32 vcc_lo, 5, v2
	v_cmp_eq_u32_e64 s14, 5, v2
	s_and_not1_b32 s17, s15, exec_lo
	s_and_not1_b32 s19, s23, exec_lo
	s_and_b32 s20, vcc_lo, exec_lo
	s_and_b32 s14, s14, exec_lo
	s_or_b32 s17, s17, s20
	s_or_b32 s14, s19, s14
; %bb.404:                              ;   in Loop: Header=BB108_6 Depth=1
	s_or_b32 exec_lo, exec_lo, s18
	s_delay_alu instid0(SALU_CYCLE_1)
	s_and_not1_b32 s18, s26, exec_lo
	s_and_b32 s19, s25, exec_lo
	s_and_not1_b32 s16, s16, exec_lo
	s_and_b32 s20, s22, exec_lo
	s_or_b32 s26, s18, s19
	s_and_not1_b32 s15, s15, exec_lo
	s_and_b32 s17, s17, exec_lo
	s_and_not1_b32 s18, s23, exec_lo
	s_and_b32 s14, s14, exec_lo
	s_or_b32 s16, s16, s20
	s_or_b32 s15, s15, s17
	;; [unrolled: 1-line block ×3, first 2 shown]
.LBB108_405:                            ;   in Loop: Header=BB108_6 Depth=1
	s_or_b32 exec_lo, exec_lo, s24
	s_mov_b32 s24, 0
	s_mov_b32 s25, 0
	s_and_saveexec_b32 s14, s23
.LBB108_406:                            ;   in Loop: Header=BB108_6 Depth=1
	v_mov_b32_e32 v2, 0
	s_or_b32 s15, s15, exec_lo
.LBB108_407:                            ;   in Loop: Header=BB108_6 Depth=1
	s_or_b32 exec_lo, exec_lo, s14
	s_delay_alu instid0(SALU_CYCLE_1)
	s_and_not1_b32 s14, s93, exec_lo
	s_and_b32 s18, s26, exec_lo
	s_and_not1_b32 s19, s91, exec_lo
	s_and_b32 s16, s16, exec_lo
	v_mov_b32_e32 v33, v5
	s_or_b32 s93, s14, s18
	s_or_b32 s91, s19, s16
	s_and_not1_b32 s14, s95, exec_lo
	s_and_b32 s16, s25, exec_lo
	s_and_not1_b32 s18, s94, exec_lo
	s_and_b32 s19, s24, exec_lo
	s_mov_b32 s17, -1
	s_and_not1_b32 s92, s92, exec_lo
	s_or_b32 s95, s14, s16
	s_or_b32 s94, s18, s19
	s_and_saveexec_b32 s14, s15
	s_delay_alu instid0(SALU_CYCLE_1)
	s_xor_b32 s14, exec_lo, s14
	s_cbranch_execz .LBB108_5
; %bb.408:                              ;   in Loop: Header=BB108_6 Depth=1
	s_mov_b32 s15, -1
	s_mov_b32 s16, -1
	s_mov_b32 s17, exec_lo
	v_cmpx_eq_u32_e32 0, v2
	s_cbranch_execz .LBB108_4
; %bb.409:                              ;   in Loop: Header=BB108_6 Depth=1
	s_xor_b32 s86, s86, 1
	s_add_co_i32 s18, s82, -2
	s_cmp_eq_u32 s82, 0
	s_mov_b32 s82, s18
	s_cselect_b32 s15, -1, 0
	s_xor_b32 s16, exec_lo, -1
	s_or_not1_b32 s15, s15, exec_lo
	s_branch .LBB108_4
.LBB108_410:
	s_or_b32 exec_lo, exec_lo, s83
	s_xor_b32 s7, s90, -1
	s_xor_b32 s9, s88, -1
	;; [unrolled: 1-line block ×5, first 2 shown]
	s_mov_b32 s8, 0
	s_and_saveexec_b32 s12, s11
	s_delay_alu instid0(SALU_CYCLE_1)
	s_xor_b32 s12, exec_lo, s12
	s_cbranch_execnz .LBB108_415
; %bb.411:
	s_and_not1_saveexec_b32 s0, s12
	s_cbranch_execnz .LBB108_434
.LBB108_412:
	s_or_b32 exec_lo, exec_lo, s0
	s_and_saveexec_b32 s0, s8
.LBB108_413:
	; divergent unreachable
.LBB108_414:
	s_sendmsg sendmsg(MSG_DEALLOC_VGPRS)
	s_endpgm
.LBB108_415:
	s_and_saveexec_b32 s11, s10
	s_delay_alu instid0(SALU_CYCLE_1)
	s_xor_b32 s13, exec_lo, s11
	s_cbranch_execz .LBB108_432
; %bb.416:
	s_and_saveexec_b32 s10, s9
	s_delay_alu instid0(SALU_CYCLE_1)
	s_xor_b32 s14, exec_lo, s10
	s_cbranch_execz .LBB108_430
; %bb.417:
	;; [unrolled: 5-line block ×3, first 2 shown]
	s_and_saveexec_b32 s7, s6
	s_delay_alu instid0(SALU_CYCLE_1)
	s_xor_b32 s6, exec_lo, s7
; %bb.419:
	v_and_b32_e32 v1, 0x8000, v25
	v_mov_b32_e32 v2, 0xffff
	s_delay_alu instid0(VALU_DEP_2) | instskip(NEXT) | instid1(VALU_DEP_2)
	v_cmp_eq_u32_e32 vcc_lo, 0, v1
	v_cndmask_b32_e32 v1, 0x8000, v2, vcc_lo
	s_delay_alu instid0(VALU_DEP_1)
	v_xor_b32_e32 v32, v1, v25
; %bb.420:
	s_or_b32 exec_lo, exec_lo, s6
	s_and_saveexec_b32 s6, s5
; %bb.421:
	v_mov_b32_e32 v1, 0
	ds_store_b32 v1, v1 offset:4108
; %bb.422:
	s_or_b32 exec_lo, exec_lo, s6
	v_mov_b32_e32 v5, 0
	s_wait_dscnt 0x0
	s_barrier_signal -1
	s_barrier_wait -1
	s_and_saveexec_b32 s5, s3
	s_cbranch_execz .LBB108_424
; %bb.423:
	global_load_u16 v5, v[12:13], off
.LBB108_424:
	s_wait_xcnt 0x0
	s_or_b32 exec_lo, exec_lo, s5
	v_dual_mov_b32 v1, 0x8000 :: v_dual_lshlrev_b32 v4, 16, v32
	s_clause 0x1
	s_load_b32 s5, s[0:1], 0x1c8
	s_load_b32 s16, s[0:1], 0x2a8
	v_cmp_lt_i16_e32 vcc_lo, -1, v32
	v_and_b32_e32 v2, 0xffff, v32
	s_add_co_i32 s17, s36, 31
	s_mov_b32 s11, 0
	s_and_not1_b32 s17, s17, 31
	v_cndmask_b32_e32 v3, 0xffff, v1, vcc_lo
	v_cmp_o_f32_e32 vcc_lo, v4, v4
	s_mul_i32 s10, s59, s57
	s_mul_i32 s6, s58, s57
	s_mov_b32 s7, s11
	v_xor_b32_e32 v2, v3, v2
	s_lshl_b64 s[8:9], s[10:11], 1
	s_lshl_b64 s[18:19], s[6:7], 3
	s_wait_xcnt 0x0
	s_mov_b32 s0, -1
	s_add_nc_u64 s[6:7], s[42:43], s[8:9]
	v_cndmask_b32_e32 v4, 0xffff, v2, vcc_lo
	v_cmp_gt_u32_e32 vcc_lo, s17, v0
	s_add_nc_u64 s[8:9], s[40:41], s[18:19]
	s_mov_b32 s1, 0
	s_and_saveexec_b32 s10, vcc_lo
	s_cbranch_execnz .LBB108_435
; %bb.425:
	s_or_b32 exec_lo, exec_lo, s10
	s_and_saveexec_b32 s4, s0
	s_cbranch_execnz .LBB108_452
.LBB108_426:
	s_or_b32 exec_lo, exec_lo, s4
	s_and_saveexec_b32 s0, s1
	s_delay_alu instid0(SALU_CYCLE_1)
	s_xor_b32 s0, exec_lo, s0
	s_cbranch_execnz .LBB108_477
.LBB108_427:
	s_or_b32 exec_lo, exec_lo, s0
	s_delay_alu instid0(SALU_CYCLE_1)
	s_and_b32 s8, s11, exec_lo
.LBB108_428:
	s_and_not1_saveexec_b32 s0, s15
	s_cbranch_execnz .LBB108_479
.LBB108_429:
	s_or_b32 exec_lo, exec_lo, s0
	s_delay_alu instid0(SALU_CYCLE_1)
	s_and_b32 s8, s8, exec_lo
.LBB108_430:
	s_and_not1_saveexec_b32 s0, s14
	s_cbranch_execnz .LBB108_478
.LBB108_431:
	s_or_b32 exec_lo, exec_lo, s0
	s_delay_alu instid0(SALU_CYCLE_1)
	s_and_b32 s8, s8, exec_lo
.LBB108_432:
	s_and_not1_saveexec_b32 s0, s13
	s_cbranch_execnz .LBB108_473
.LBB108_433:
	s_or_b32 exec_lo, exec_lo, s0
	s_delay_alu instid0(SALU_CYCLE_1)
	s_and_b32 s8, s8, exec_lo
	s_and_not1_saveexec_b32 s0, s12
	s_cbranch_execz .LBB108_412
.LBB108_434:
	s_or_b32 s8, s8, exec_lo
	s_trap 2
	s_or_b32 exec_lo, exec_lo, s0
	s_and_saveexec_b32 s0, s8
	s_cbranch_execnz .LBB108_413
	s_branch .LBB108_414
.LBB108_435:
	v_dual_mov_b32 v3, 0 :: v_dual_add_nc_u32 v2, s54, v0
	s_mov_b32 s18, 0
                                        ; implicit-def: $sgpr19
                                        ; implicit-def: $vgpr9
	s_delay_alu instid0(VALU_DEP_1)
	v_mul_lo_u32 v6, s55, v2
	v_mov_b32_e32 v2, v0
	s_branch .LBB108_437
.LBB108_436:                            ;   in Loop: Header=BB108_437 Depth=1
	s_or_b32 exec_lo, exec_lo, s21
	s_xor_b32 s0, s20, -1
	s_and_b32 s1, exec_lo, s1
	s_wait_loadcnt 0x0
	v_dual_mov_b32 v2, v7 :: v_dual_mov_b32 v5, v8
	s_or_b32 s18, s1, s18
	s_and_not1_b32 s1, s19, exec_lo
	s_and_b32 s0, s0, exec_lo
	s_delay_alu instid0(SALU_CYCLE_1)
	s_or_b32 s19, s1, s0
	s_and_not1_b32 exec_lo, exec_lo, s18
	s_cbranch_execz .LBB108_451
.LBB108_437:                            ; =>This Inner Loop Header: Depth=1
	s_delay_alu instid0(VALU_DEP_1) | instskip(SKIP_1) | instid1(VALU_DEP_1)
	v_dual_mov_b32 v8, 0 :: v_dual_add_nc_u32 v7, s54, v2
	s_mov_b32 s1, exec_lo
	v_cmpx_gt_u32_e64 s36, v7
	s_cbranch_execz .LBB108_439
; %bb.438:                              ;   in Loop: Header=BB108_437 Depth=1
	global_load_u16 v8, v6, s[34:35] scale_offset
.LBB108_439:                            ;   in Loop: Header=BB108_437 Depth=1
	s_wait_xcnt 0x0
	s_or_b32 exec_lo, exec_lo, s1
	s_mov_b32 s20, 0
	s_mov_b32 s1, exec_lo
	v_cmpx_gt_u32_e64 s36, v2
	s_cbranch_execz .LBB108_441
; %bb.440:                              ;   in Loop: Header=BB108_437 Depth=1
	s_wait_loadcnt 0x0
	v_cmp_lt_i16_e64 s0, -1, v5
	v_and_b32_e32 v11, 0xffff, v5
	s_delay_alu instid0(VALU_DEP_2) | instskip(NEXT) | instid1(VALU_DEP_1)
	v_cndmask_b32_e64 v14, 0xffff, v1, s0
	v_dual_lshlrev_b32 v15, 16, v5 :: v_dual_bitop2_b32 v11, v14, v11 bitop3:0x14
	s_delay_alu instid0(VALU_DEP_1) | instskip(NEXT) | instid1(VALU_DEP_1)
	v_cmp_o_f32_e64 s0, v15, v15
	v_cndmask_b32_e64 v11, 0xffff, v11, s0
	s_delay_alu instid0(VALU_DEP_1) | instskip(NEXT) | instid1(VALU_DEP_1)
	v_cmp_gt_u32_e64 s0, v11, v4
	v_cndmask_b32_e64 v14, 0, 1, s0
	v_cmp_lt_u32_e64 s0, v11, v4
	s_delay_alu instid0(VALU_DEP_1) | instskip(NEXT) | instid1(VALU_DEP_1)
	v_cndmask_b32_e64 v11, 0, 1, s0
	v_cndmask_b32_e64 v11, v11, v14, s4
	s_delay_alu instid0(VALU_DEP_1) | instskip(NEXT) | instid1(VALU_DEP_1)
	v_and_b32_e32 v11, 1, v11
	v_cmp_eq_u32_e64 s0, 1, v11
	s_and_b32 s20, s0, exec_lo
.LBB108_441:                            ;   in Loop: Header=BB108_437 Depth=1
	s_or_b32 exec_lo, exec_lo, s1
	v_cndmask_b32_e64 v11, 0, 1, s20
	s_delay_alu instid0(VALU_DEP_1) | instskip(SKIP_2) | instid1(SALU_CYCLE_1)
	v_cmp_ne_u32_e64 s0, 0, v11
	s_cmp_lg_u32 s0, 0
	s_cselect_b32 s1, -1, 0
	s_and_b32 s1, s2, s1
	s_delay_alu instid0(SALU_CYCLE_1)
	s_and_saveexec_b32 s21, s1
	s_cbranch_execz .LBB108_445
; %bb.442:                              ;   in Loop: Header=BB108_437 Depth=1
	s_mov_b32 s24, exec_lo
	s_bcnt1_i32_b32 s22, s0
	s_wait_dscnt 0x0
	v_mbcnt_lo_u32_b32 v9, s24, 0
	s_mov_b32 s23, exec_lo
                                        ; implicit-def: $vgpr11
	s_delay_alu instid0(VALU_DEP_1)
	v_cmpx_eq_u32_e32 0, v9
; %bb.443:                              ;   in Loop: Header=BB108_437 Depth=1
	s_bcnt1_i32_b32 s1, s24
	s_delay_alu instid0(SALU_CYCLE_1) | instskip(NEXT) | instid1(SALU_CYCLE_1)
	s_mul_i32 s1, s22, s1
	v_mov_b32_e32 v11, s1
	ds_add_rtn_u32 v11, v3, v11 offset:4108
; %bb.444:                              ;   in Loop: Header=BB108_437 Depth=1
	s_or_b32 exec_lo, exec_lo, s23
	s_wait_dscnt 0x0
	v_readfirstlane_b32 s1, v11
	s_delay_alu instid0(VALU_DEP_1)
	v_mad_u32_u24 v9, s22, v9, s1
.LBB108_445:                            ;   in Loop: Header=BB108_437 Depth=1
	s_or_b32 exec_lo, exec_lo, s21
	s_wait_dscnt 0x0
	ds_bpermute_b32 v9, v3, v9
	s_mov_b32 s1, -1
	s_mov_b32 s22, -1
	s_and_saveexec_b32 s21, s20
	s_cbranch_execz .LBB108_449
; %bb.446:                              ;   in Loop: Header=BB108_437 Depth=1
	v_and_b32_e32 v11, s0, v10
	s_mov_b32 s20, 0
	s_mov_b32 s22, exec_lo
	s_wait_dscnt 0x0
	s_delay_alu instid0(VALU_DEP_1) | instskip(NEXT) | instid1(VALU_DEP_1)
	v_bcnt_u32_b32 v11, v11, v9
	v_cmpx_gt_u32_e64 s37, v11
	s_cbranch_execz .LBB108_448
; %bb.447:                              ;   in Loop: Header=BB108_437 Depth=1
	s_wait_kmcnt 0x0
	v_mul_lo_u32 v14, v11, s5
	v_mul_lo_u32 v11, v11, s16
	s_mov_b32 s20, exec_lo
	s_wait_loadcnt 0x0
	global_store_b16 v14, v5, s[6:7] scale_offset
	global_store_b64 v11, v[2:3], s[8:9] scale_offset
.LBB108_448:                            ;   in Loop: Header=BB108_437 Depth=1
	s_wait_xcnt 0x0
	s_or_b32 exec_lo, exec_lo, s22
	s_delay_alu instid0(SALU_CYCLE_1)
	s_or_not1_b32 s22, s20, exec_lo
.LBB108_449:                            ;   in Loop: Header=BB108_437 Depth=1
	s_or_b32 exec_lo, exec_lo, s21
	s_mov_b32 s20, -1
	s_and_saveexec_b32 s21, s22
	s_cbranch_execz .LBB108_436
; %bb.450:                              ;   in Loop: Header=BB108_437 Depth=1
	v_cmp_le_u32_e64 s0, s17, v7
	v_add_nc_u32_e32 v6, s56, v6
	s_xor_b32 s20, exec_lo, -1
	s_or_not1_b32 s1, s0, exec_lo
	s_branch .LBB108_436
.LBB108_451:
	s_or_b32 exec_lo, exec_lo, s18
	s_delay_alu instid0(SALU_CYCLE_1)
	s_mov_b32 s1, exec_lo
	s_or_not1_b32 s0, s19, exec_lo
	s_or_b32 exec_lo, exec_lo, s10
	s_and_saveexec_b32 s4, s0
	s_cbranch_execz .LBB108_426
.LBB108_452:
	v_mov_b32_e32 v8, 0
	s_wait_storecnt 0x0
	s_wait_loadcnt_dscnt 0x0
	s_barrier_signal -1
	s_barrier_wait -1
	s_and_saveexec_b32 s0, s3
	s_cbranch_execz .LBB108_454
; %bb.453:
	global_load_u16 v8, v[12:13], off
.LBB108_454:
	s_wait_xcnt 0x0
	s_or_b32 exec_lo, exec_lo, s0
	s_mov_b32 s0, 0
	s_and_saveexec_b32 s3, vcc_lo
	s_cbranch_execz .LBB108_476
; %bb.455:
	v_add_nc_u32_e32 v1, s54, v0
	v_mov_b32_e32 v3, 0x8000
	s_mov_b32 s10, 0
                                        ; implicit-def: $sgpr11
                                        ; implicit-def: $vgpr7
	s_delay_alu instid0(VALU_DEP_2)
	v_mul_lo_u32 v2, s55, v1
	v_mov_b32_e32 v1, 0
	s_branch .LBB108_458
.LBB108_456:                            ;   in Loop: Header=BB108_458 Depth=1
	s_or_b32 exec_lo, exec_lo, s20
	s_delay_alu instid0(SALU_CYCLE_1)
	s_or_not1_b32 s20, s18, exec_lo
	s_or_not1_b32 s19, s19, exec_lo
.LBB108_457:                            ;   in Loop: Header=BB108_458 Depth=1
	s_or_b32 exec_lo, exec_lo, s0
	s_xor_b32 s0, s20, -1
	s_and_b32 s18, exec_lo, s19
	s_wait_loadcnt 0x0
	v_dual_mov_b32 v0, v6 :: v_dual_mov_b32 v8, v5
	s_or_b32 s10, s18, s10
	s_and_not1_b32 s11, s11, exec_lo
	s_and_b32 s0, s0, exec_lo
	s_delay_alu instid0(SALU_CYCLE_1)
	s_or_b32 s11, s11, s0
	s_and_not1_b32 exec_lo, exec_lo, s10
	s_cbranch_execz .LBB108_474
.LBB108_458:                            ; =>This Inner Loop Header: Depth=1
	v_dual_mov_b32 v5, 0 :: v_dual_add_nc_u32 v6, s54, v0
	s_mov_b32 s0, exec_lo
	s_delay_alu instid0(VALU_DEP_1)
	v_cmpx_gt_u32_e64 s36, v6
	s_cbranch_execz .LBB108_460
; %bb.459:                              ;   in Loop: Header=BB108_458 Depth=1
	global_load_u16 v5, v2, s[34:35] scale_offset
.LBB108_460:                            ;   in Loop: Header=BB108_458 Depth=1
	s_wait_xcnt 0x0
	s_or_b32 exec_lo, exec_lo, s0
	s_mov_b32 s18, 0
	s_mov_b32 s0, exec_lo
	v_cmpx_gt_u32_e64 s36, v0
	s_cbranch_execz .LBB108_462
; %bb.461:                              ;   in Loop: Header=BB108_458 Depth=1
	s_wait_loadcnt 0x0
	v_cmp_lt_i16_e32 vcc_lo, -1, v8
	v_and_b32_e32 v9, 0xffff, v8
	v_dual_cndmask_b32 v11, 0xffff, v3 :: v_dual_lshlrev_b32 v12, 16, v8
	s_delay_alu instid0(VALU_DEP_1) | instskip(NEXT) | instid1(VALU_DEP_2)
	v_cmp_o_f32_e32 vcc_lo, v12, v12
	v_xor_b32_e32 v9, v11, v9
	s_delay_alu instid0(VALU_DEP_1) | instskip(NEXT) | instid1(VALU_DEP_1)
	v_cndmask_b32_e32 v9, 0xffff, v9, vcc_lo
	v_cmp_eq_u32_e32 vcc_lo, v9, v4
	s_and_b32 s18, vcc_lo, exec_lo
.LBB108_462:                            ;   in Loop: Header=BB108_458 Depth=1
	s_or_b32 exec_lo, exec_lo, s0
	v_cndmask_b32_e64 v9, 0, 1, s18
	s_delay_alu instid0(VALU_DEP_1) | instskip(SKIP_2) | instid1(SALU_CYCLE_1)
	v_cmp_ne_u32_e32 vcc_lo, 0, v9
	s_cmp_lg_u32 vcc_lo, 0
	s_cselect_b32 s0, -1, 0
	s_and_b32 s0, s2, s0
	s_delay_alu instid0(SALU_CYCLE_1)
	s_and_saveexec_b32 s19, s0
	s_cbranch_execz .LBB108_466
; %bb.463:                              ;   in Loop: Header=BB108_458 Depth=1
	s_mov_b32 s22, exec_lo
	s_bcnt1_i32_b32 s20, vcc_lo
	v_mbcnt_lo_u32_b32 v7, s22, 0
	s_mov_b32 s21, exec_lo
                                        ; implicit-def: $vgpr9
	s_delay_alu instid0(VALU_DEP_1)
	v_cmpx_eq_u32_e32 0, v7
; %bb.464:                              ;   in Loop: Header=BB108_458 Depth=1
	s_bcnt1_i32_b32 s0, s22
	s_delay_alu instid0(SALU_CYCLE_1) | instskip(NEXT) | instid1(SALU_CYCLE_1)
	s_mul_i32 s0, s20, s0
	v_mov_b32_e32 v9, s0
	ds_add_rtn_u32 v9, v1, v9 offset:4108
; %bb.465:                              ;   in Loop: Header=BB108_458 Depth=1
	s_or_b32 exec_lo, exec_lo, s21
	s_wait_dscnt 0x0
	v_readfirstlane_b32 s0, v9
	s_delay_alu instid0(VALU_DEP_1)
	v_mad_u32_u24 v7, s20, v7, s0
.LBB108_466:                            ;   in Loop: Header=BB108_458 Depth=1
	s_or_b32 exec_lo, exec_lo, s19
	ds_bpermute_b32 v7, v1, v7
	s_cmp_eq_u32 vcc_lo, 0
	s_mov_b32 s19, -1
	s_cselect_b32 s20, -1, 0
	s_wait_dscnt 0x0
	v_cmp_gt_u32_e64 s0, s37, v7
	s_or_b32 s21, s20, s0
	s_mov_b32 s20, -1
	s_and_saveexec_b32 s0, s21
	s_cbranch_execz .LBB108_457
; %bb.467:                              ;   in Loop: Header=BB108_458 Depth=1
	v_dual_sub_nc_u32 v11, s37, v7 :: v_dual_bitop2_b32 v9, vcc_lo, v10 bitop3:0x40
	s_mov_b32 s21, -1
	s_delay_alu instid0(VALU_DEP_1) | instskip(NEXT) | instid1(VALU_DEP_1)
	v_bcnt_u32_b32 v9, v9, 0
	v_bcnt_u32_b32 v9, 0, v9
	s_delay_alu instid0(VALU_DEP_1)
	v_cmp_gt_u32_e32 vcc_lo, v11, v9
	s_and_b32 s22, s18, vcc_lo
	s_mov_b32 s18, -1
	s_and_saveexec_b32 s20, s22
	s_cbranch_execz .LBB108_471
; %bb.468:                              ;   in Loop: Header=BB108_458 Depth=1
	v_add_nc_u32_e32 v9, v7, v9
	s_mov_b32 s21, 0
	s_mov_b32 s18, exec_lo
	s_delay_alu instid0(VALU_DEP_1)
	v_cmpx_gt_u32_e64 s37, v9
	s_cbranch_execz .LBB108_470
; %bb.469:                              ;   in Loop: Header=BB108_458 Depth=1
	s_wait_kmcnt 0x0
	v_mul_lo_u32 v11, v9, s5
	v_mul_lo_u32 v9, v9, s16
	s_mov_b32 s21, exec_lo
	s_wait_loadcnt 0x0
	global_store_b16 v11, v8, s[6:7] scale_offset
	global_store_b64 v9, v[0:1], s[8:9] scale_offset
.LBB108_470:                            ;   in Loop: Header=BB108_458 Depth=1
	s_wait_xcnt 0x0
	s_or_b32 exec_lo, exec_lo, s18
	s_delay_alu instid0(SALU_CYCLE_1)
	s_xor_b32 s18, exec_lo, -1
	s_or_not1_b32 s21, s21, exec_lo
.LBB108_471:                            ;   in Loop: Header=BB108_458 Depth=1
	s_or_b32 exec_lo, exec_lo, s20
	s_and_saveexec_b32 s20, s21
	s_cbranch_execz .LBB108_456
; %bb.472:                              ;   in Loop: Header=BB108_458 Depth=1
	v_cmp_le_u32_e32 vcc_lo, s17, v6
	v_add_nc_u32_e32 v2, s56, v2
	s_or_b32 s18, s18, exec_lo
	s_or_not1_b32 s19, vcc_lo, exec_lo
	s_branch .LBB108_456
.LBB108_473:
	s_or_b32 s8, s8, exec_lo
	s_trap 2
	s_branch .LBB108_433
.LBB108_474:
	s_or_b32 exec_lo, exec_lo, s10
	s_mov_b32 s0, 0
	s_and_saveexec_b32 s2, s11
	s_delay_alu instid0(SALU_CYCLE_1)
	s_xor_b32 s2, exec_lo, s2
	s_cbranch_execnz .LBB108_480
.LBB108_475:
	s_or_b32 exec_lo, exec_lo, s2
	s_delay_alu instid0(SALU_CYCLE_1)
	s_and_b32 s0, s0, exec_lo
.LBB108_476:
	s_or_b32 exec_lo, exec_lo, s3
	s_delay_alu instid0(SALU_CYCLE_1) | instskip(SKIP_3) | instid1(SALU_CYCLE_1)
	s_and_b32 s11, s0, exec_lo
	s_and_not1_b32 s1, s1, exec_lo
	s_or_b32 exec_lo, exec_lo, s4
	s_and_saveexec_b32 s0, s1
	s_xor_b32 s0, exec_lo, s0
	s_cbranch_execz .LBB108_427
.LBB108_477:
	s_or_b32 s11, s11, exec_lo
	s_trap 2
	s_branch .LBB108_427
.LBB108_478:
	s_or_b32 s8, s8, exec_lo
	s_trap 2
	s_branch .LBB108_431
.LBB108_479:
	s_or_b32 s8, s8, exec_lo
	s_trap 2
	s_branch .LBB108_429
.LBB108_480:
	s_mov_b32 s0, exec_lo
	s_trap 2
	s_branch .LBB108_475
	.section	.rodata,"a",@progbits
	.p2align	6, 0x0
	.amdhsa_kernel _ZN2at6native6sbtopk10gatherTopKIN3c108BFloat16EjLi1ELb0EEEvNS_4cuda6detail10TensorInfoIKT_T0_EESA_SA_bSA_SA_NS7_IS8_SA_EESA_NS7_IlSA_EESA_PS8_
		.amdhsa_group_segment_fixed_size 4112
		.amdhsa_private_segment_fixed_size 0
		.amdhsa_kernarg_size 952
		.amdhsa_user_sgpr_count 2
		.amdhsa_user_sgpr_dispatch_ptr 0
		.amdhsa_user_sgpr_queue_ptr 0
		.amdhsa_user_sgpr_kernarg_segment_ptr 1
		.amdhsa_user_sgpr_dispatch_id 0
		.amdhsa_user_sgpr_kernarg_preload_length 0
		.amdhsa_user_sgpr_kernarg_preload_offset 0
		.amdhsa_user_sgpr_private_segment_size 0
		.amdhsa_wavefront_size32 1
		.amdhsa_uses_dynamic_stack 0
		.amdhsa_enable_private_segment 0
		.amdhsa_system_sgpr_workgroup_id_x 1
		.amdhsa_system_sgpr_workgroup_id_y 1
		.amdhsa_system_sgpr_workgroup_id_z 1
		.amdhsa_system_sgpr_workgroup_info 0
		.amdhsa_system_vgpr_workitem_id 0
		.amdhsa_next_free_vgpr 65
		.amdhsa_next_free_sgpr 105
		.amdhsa_named_barrier_count 0
		.amdhsa_reserve_vcc 1
		.amdhsa_float_round_mode_32 0
		.amdhsa_float_round_mode_16_64 0
		.amdhsa_float_denorm_mode_32 3
		.amdhsa_float_denorm_mode_16_64 3
		.amdhsa_fp16_overflow 0
		.amdhsa_memory_ordered 1
		.amdhsa_forward_progress 1
		.amdhsa_inst_pref_size 139
		.amdhsa_round_robin_scheduling 0
		.amdhsa_exception_fp_ieee_invalid_op 0
		.amdhsa_exception_fp_denorm_src 0
		.amdhsa_exception_fp_ieee_div_zero 0
		.amdhsa_exception_fp_ieee_overflow 0
		.amdhsa_exception_fp_ieee_underflow 0
		.amdhsa_exception_fp_ieee_inexact 0
		.amdhsa_exception_int_div_zero 0
	.end_amdhsa_kernel
	.section	.text._ZN2at6native6sbtopk10gatherTopKIN3c108BFloat16EjLi1ELb0EEEvNS_4cuda6detail10TensorInfoIKT_T0_EESA_SA_bSA_SA_NS7_IS8_SA_EESA_NS7_IlSA_EESA_PS8_,"axG",@progbits,_ZN2at6native6sbtopk10gatherTopKIN3c108BFloat16EjLi1ELb0EEEvNS_4cuda6detail10TensorInfoIKT_T0_EESA_SA_bSA_SA_NS7_IS8_SA_EESA_NS7_IlSA_EESA_PS8_,comdat
.Lfunc_end108:
	.size	_ZN2at6native6sbtopk10gatherTopKIN3c108BFloat16EjLi1ELb0EEEvNS_4cuda6detail10TensorInfoIKT_T0_EESA_SA_bSA_SA_NS7_IS8_SA_EESA_NS7_IlSA_EESA_PS8_, .Lfunc_end108-_ZN2at6native6sbtopk10gatherTopKIN3c108BFloat16EjLi1ELb0EEEvNS_4cuda6detail10TensorInfoIKT_T0_EESA_SA_bSA_SA_NS7_IS8_SA_EESA_NS7_IlSA_EESA_PS8_
                                        ; -- End function
	.set _ZN2at6native6sbtopk10gatherTopKIN3c108BFloat16EjLi1ELb0EEEvNS_4cuda6detail10TensorInfoIKT_T0_EESA_SA_bSA_SA_NS7_IS8_SA_EESA_NS7_IlSA_EESA_PS8_.num_vgpr, 65
	.set _ZN2at6native6sbtopk10gatherTopKIN3c108BFloat16EjLi1ELb0EEEvNS_4cuda6detail10TensorInfoIKT_T0_EESA_SA_bSA_SA_NS7_IS8_SA_EESA_NS7_IlSA_EESA_PS8_.num_agpr, 0
	.set _ZN2at6native6sbtopk10gatherTopKIN3c108BFloat16EjLi1ELb0EEEvNS_4cuda6detail10TensorInfoIKT_T0_EESA_SA_bSA_SA_NS7_IS8_SA_EESA_NS7_IlSA_EESA_PS8_.numbered_sgpr, 105
	.set _ZN2at6native6sbtopk10gatherTopKIN3c108BFloat16EjLi1ELb0EEEvNS_4cuda6detail10TensorInfoIKT_T0_EESA_SA_bSA_SA_NS7_IS8_SA_EESA_NS7_IlSA_EESA_PS8_.num_named_barrier, 0
	.set _ZN2at6native6sbtopk10gatherTopKIN3c108BFloat16EjLi1ELb0EEEvNS_4cuda6detail10TensorInfoIKT_T0_EESA_SA_bSA_SA_NS7_IS8_SA_EESA_NS7_IlSA_EESA_PS8_.private_seg_size, 0
	.set _ZN2at6native6sbtopk10gatherTopKIN3c108BFloat16EjLi1ELb0EEEvNS_4cuda6detail10TensorInfoIKT_T0_EESA_SA_bSA_SA_NS7_IS8_SA_EESA_NS7_IlSA_EESA_PS8_.uses_vcc, 1
	.set _ZN2at6native6sbtopk10gatherTopKIN3c108BFloat16EjLi1ELb0EEEvNS_4cuda6detail10TensorInfoIKT_T0_EESA_SA_bSA_SA_NS7_IS8_SA_EESA_NS7_IlSA_EESA_PS8_.uses_flat_scratch, 0
	.set _ZN2at6native6sbtopk10gatherTopKIN3c108BFloat16EjLi1ELb0EEEvNS_4cuda6detail10TensorInfoIKT_T0_EESA_SA_bSA_SA_NS7_IS8_SA_EESA_NS7_IlSA_EESA_PS8_.has_dyn_sized_stack, 0
	.set _ZN2at6native6sbtopk10gatherTopKIN3c108BFloat16EjLi1ELb0EEEvNS_4cuda6detail10TensorInfoIKT_T0_EESA_SA_bSA_SA_NS7_IS8_SA_EESA_NS7_IlSA_EESA_PS8_.has_recursion, 0
	.set _ZN2at6native6sbtopk10gatherTopKIN3c108BFloat16EjLi1ELb0EEEvNS_4cuda6detail10TensorInfoIKT_T0_EESA_SA_bSA_SA_NS7_IS8_SA_EESA_NS7_IlSA_EESA_PS8_.has_indirect_call, 0
	.section	.AMDGPU.csdata,"",@progbits
; Kernel info:
; codeLenInByte = 17688
; TotalNumSgprs: 107
; NumVgprs: 65
; ScratchSize: 0
; MemoryBound: 0
; FloatMode: 240
; IeeeMode: 1
; LDSByteSize: 4112 bytes/workgroup (compile time only)
; SGPRBlocks: 0
; VGPRBlocks: 4
; NumSGPRsForWavesPerEU: 107
; NumVGPRsForWavesPerEU: 65
; NamedBarCnt: 0
; Occupancy: 12
; WaveLimiterHint : 1
; COMPUTE_PGM_RSRC2:SCRATCH_EN: 0
; COMPUTE_PGM_RSRC2:USER_SGPR: 2
; COMPUTE_PGM_RSRC2:TRAP_HANDLER: 0
; COMPUTE_PGM_RSRC2:TGID_X_EN: 1
; COMPUTE_PGM_RSRC2:TGID_Y_EN: 1
; COMPUTE_PGM_RSRC2:TGID_Z_EN: 1
; COMPUTE_PGM_RSRC2:TIDIG_COMP_CNT: 0
	.section	.text._ZN2at6native6mbtopk23computeBlockDigitCountsIN3c108BFloat16EjjLi2EEEvNS_4cuda6detail10TensorInfoIKT_T0_EEjPjjSA_iijT1_PSD_Ps,"axG",@progbits,_ZN2at6native6mbtopk23computeBlockDigitCountsIN3c108BFloat16EjjLi2EEEvNS_4cuda6detail10TensorInfoIKT_T0_EEjPjjSA_iijT1_PSD_Ps,comdat
	.protected	_ZN2at6native6mbtopk23computeBlockDigitCountsIN3c108BFloat16EjjLi2EEEvNS_4cuda6detail10TensorInfoIKT_T0_EEjPjjSA_iijT1_PSD_Ps ; -- Begin function _ZN2at6native6mbtopk23computeBlockDigitCountsIN3c108BFloat16EjjLi2EEEvNS_4cuda6detail10TensorInfoIKT_T0_EEjPjjSA_iijT1_PSD_Ps
	.globl	_ZN2at6native6mbtopk23computeBlockDigitCountsIN3c108BFloat16EjjLi2EEEvNS_4cuda6detail10TensorInfoIKT_T0_EEjPjjSA_iijT1_PSD_Ps
	.p2align	8
	.type	_ZN2at6native6mbtopk23computeBlockDigitCountsIN3c108BFloat16EjjLi2EEEvNS_4cuda6detail10TensorInfoIKT_T0_EEjPjjSA_iijT1_PSD_Ps,@function
_ZN2at6native6mbtopk23computeBlockDigitCountsIN3c108BFloat16EjjLi2EEEvNS_4cuda6detail10TensorInfoIKT_T0_EEjPjjSA_iijT1_PSD_Ps: ; @_ZN2at6native6mbtopk23computeBlockDigitCountsIN3c108BFloat16EjjLi2EEEvNS_4cuda6detail10TensorInfoIKT_T0_EEjPjjSA_iijT1_PSD_Ps
; %bb.0:
	s_load_b64 s[2:3], s[0:1], 0xf8
	s_bfe_u32 s4, ttmp6, 0x40010
	s_and_b32 s6, ttmp7, 0xffff
	s_add_co_i32 s7, s4, 1
	s_bfe_u32 s8, ttmp6, 0x40004
	s_mul_i32 s7, s6, s7
	s_load_b64 s[4:5], s[0:1], 0x110
	s_add_co_i32 s7, s8, s7
	s_bfe_u32 s9, ttmp6, 0x4000c
	s_bfe_u32 s11, ttmp6, 0x40014
	s_add_co_i32 s9, s9, 1
	s_and_b32 s10, ttmp6, 15
	s_mul_i32 s9, ttmp9, s9
	s_add_co_i32 s11, s11, 1
	s_add_co_i32 s12, s10, s9
	s_bfe_u32 s10, ttmp6, 0x40008
	s_mov_b32 s15, 0
	s_wait_kmcnt 0x0
	s_cvt_f32_u32 s8, s2
	s_delay_alu instid0(SALU_CYCLE_3) | instskip(SKIP_1) | instid1(SALU_CYCLE_1)
	v_rcp_iflag_f32_e32 v1, s8
	s_lshr_b32 s8, ttmp7, 16
	s_mul_i32 s9, s8, s11
	s_getreg_b32 s11, hwreg(HW_REG_IB_STS2, 6, 4)
	s_add_co_i32 s10, s10, s9
	s_cmp_eq_u32 s11, 0
	v_nop
	v_readfirstlane_b32 s13, v1
	s_cselect_b32 s14, s8, s10
	s_load_b128 s[8:11], s[0:1], 0xe8
	s_mul_i32 s5, s5, s14
	s_cselect_b32 s12, ttmp9, s12
	s_mul_f32 s13, s13, 0x4f7ffffe
	s_cselect_b32 s6, s6, s7
	s_sub_co_i32 s7, 0, s2
	s_add_co_i32 s5, s5, s6
	s_cvt_u32_f32 s13, s13
	s_mul_i32 s16, s5, s4
	s_delay_alu instid0(SALU_CYCLE_1) | instskip(NEXT) | instid1(SALU_CYCLE_1)
	s_add_co_i32 s16, s16, s12
	s_mul_i32 s7, s7, s13
	s_delay_alu instid0(SALU_CYCLE_1) | instskip(NEXT) | instid1(SALU_CYCLE_1)
	s_mul_hi_u32 s4, s13, s7
	s_add_co_i32 s13, s13, s4
	s_delay_alu instid0(SALU_CYCLE_1) | instskip(NEXT) | instid1(SALU_CYCLE_1)
	s_mul_hi_u32 s4, s16, s13
	s_mul_i32 s5, s4, s2
	s_add_co_i32 s6, s4, 1
	s_sub_co_i32 s5, s16, s5
	s_delay_alu instid0(SALU_CYCLE_1)
	s_sub_co_i32 s7, s5, s2
	s_cmp_ge_u32 s5, s2
	s_cselect_b32 s4, s6, s4
	s_cselect_b32 s5, s7, s5
	s_add_co_i32 s6, s4, 1
	s_cmp_ge_u32 s5, s2
	s_cselect_b32 s14, s6, s4
	s_wait_kmcnt 0x0
	s_cmp_ge_u32 s14, s8
	s_cbranch_scc1 .LBB109_27
; %bb.1:
	s_load_b32 s18, s[0:1], 0xc
	v_cmp_gt_u32_e32 vcc_lo, 0x100, v0
	s_wait_kmcnt 0x0
	s_cvt_f32_u32 s4, s18
	s_delay_alu instid0(SALU_CYCLE_3) | instskip(SKIP_1) | instid1(TRANS32_DEP_1)
	v_rcp_iflag_f32_e32 v1, s4
	v_nop
	v_readfirstlane_b32 s19, v1
	v_lshlrev_b32_e32 v1, 2, v0
	s_and_saveexec_b32 s4, vcc_lo
; %bb.2:
	v_mov_b32_e32 v2, 0
	ds_store_b32 v1, v2
; %bb.3:
	s_or_b32 exec_lo, exec_lo, s4
	s_clause 0x1
	s_load_b32 s8, s[0:1], 0xd8
	s_load_b128 s[4:7], s[0:1], 0x100
	s_mul_i32 s12, s14, s2
	s_mov_b32 s13, 0
	s_sub_co_i32 s22, s16, s12
	s_wait_dscnt 0x0
	s_mul_i32 s12, s11, s22
	s_add_co_i32 s22, s22, 1
	s_lshl_b32 s17, s12, 8
	s_barrier_signal -1
	s_barrier_wait -1
	s_wait_kmcnt 0x0
	s_sub_co_i32 s12, s8, s17
	s_delay_alu instid0(SALU_CYCLE_1) | instskip(NEXT) | instid1(SALU_CYCLE_1)
	s_add_nc_u64 s[20:21], s[12:13], 0xff
	s_lshr_b64 s[20:21], s[20:21], 8
	s_cmp_lt_u32 s22, s2
	s_cselect_b32 s11, s11, s20
	s_delay_alu instid0(SALU_CYCLE_1)
	s_cmp_lt_i32 s11, 1
	s_cbranch_scc1 .LBB109_25
; %bb.4:
	s_mul_f32 s2, s19, 0x4f7ffffe
	s_sub_co_i32 s12, 0, s18
	s_mov_b32 s21, s15
	s_clause 0x1
	s_load_b64 s[22:23], s[0:1], 0x6c
	s_load_b64 s[24:25], s[0:1], 0x0
	s_cvt_u32_f32 s2, s2
	s_wait_xcnt 0x0
	s_load_b32 s1, s[4:5], s14 offset:0x0 scale_offset
	s_delay_alu instid0(SALU_CYCLE_1) | instskip(NEXT) | instid1(SALU_CYCLE_1)
	s_mul_i32 s12, s12, s2
	s_mul_hi_u32 s12, s2, s12
	s_delay_alu instid0(SALU_CYCLE_1) | instskip(NEXT) | instid1(SALU_CYCLE_1)
	s_add_co_i32 s20, s2, s12
	s_mul_u64 s[20:21], s[14:15], s[20:21]
	s_delay_alu instid0(SALU_CYCLE_1) | instskip(NEXT) | instid1(SALU_CYCLE_1)
	s_mul_i32 s2, s21, s18
	s_sub_co_i32 s0, s14, s2
	s_add_co_i32 s2, s21, 1
	s_sub_co_i32 s12, s0, s18
	s_cmp_ge_u32 s0, s18
	s_cselect_b32 s2, s2, s21
	s_cselect_b32 s0, s12, s0
	s_wait_xcnt 0x0
	s_add_co_i32 s4, s2, 1
	s_cmp_ge_u32 s0, s18
	s_cselect_b32 s0, s4, s2
	s_delay_alu instid0(SALU_CYCLE_1) | instskip(SKIP_3) | instid1(SALU_CYCLE_1)
	s_mul_i32 s2, s0, s18
	s_wait_kmcnt 0x0
	s_mul_i32 s0, s0, s22
	s_sub_co_i32 s2, s14, s2
	s_mul_i32 s2, s2, s23
	s_delay_alu instid0(SALU_CYCLE_1)
	s_add_co_i32 s12, s0, s2
	s_and_b32 s2, s10, 0xff
	s_lshl_b64 s[4:5], s[12:13], 1
	s_cmp_lt_u32 s11, 4
	s_add_nc_u64 s[4:5], s[24:25], s[4:5]
	s_cbranch_scc1 .LBB109_19
; %bb.5:
	v_dual_mov_b32 v7, 1 :: v_dual_add_nc_u32 v6, s17, v0
	v_mov_b32_e32 v8, 0x8000
	s_and_b32 s13, s11, 0x7ffffffc
	s_lshl_b32 s10, s9, 10
	s_delay_alu instid0(VALU_DEP_2)
	v_add_nc_u32_e32 v2, 0x300, v6
	v_add_nc_u32_e32 v4, 0x200, v6
	;; [unrolled: 1-line block ×3, first 2 shown]
	v_mul_lo_u32 v6, s9, v6
	s_mov_b32 s12, 0
	v_mul_lo_u32 v3, s9, v2
	v_mul_lo_u32 v4, s9, v4
	;; [unrolled: 1-line block ×3, first 2 shown]
	s_mov_b32 s14, 0
	s_branch .LBB109_7
.LBB109_6:                              ;   in Loop: Header=BB109_7 Depth=1
	s_or_b32 exec_lo, exec_lo, s15
	v_add_nc_u32_e32 v2, 0x400, v2
	s_add_co_i32 s14, s14, 4
	s_add_co_i32 s12, s12, s10
	s_cmp_eq_u32 s13, s14
	s_cbranch_scc1 .LBB109_19
.LBB109_7:                              ; =>This Inner Loop Header: Depth=1
	v_add_nc_u32_e32 v9, 0xfffffd00, v2
	s_mov_b32 s15, exec_lo
	s_delay_alu instid0(VALU_DEP_1)
	v_cmpx_gt_u32_e64 s8, v9
	s_cbranch_execz .LBB109_10
; %bb.8:                                ;   in Loop: Header=BB109_7 Depth=1
	v_add_nc_u32_e32 v9, s12, v6
	global_load_u16 v9, v9, s[4:5] scale_offset
	s_wait_loadcnt 0x0
	v_cmp_lt_i16_e64 s0, -1, v9
	v_and_b32_e32 v10, 0xffff, v9
	s_delay_alu instid0(VALU_DEP_2) | instskip(SKIP_1) | instid1(VALU_DEP_1)
	v_cndmask_b32_e64 v11, 0xffff, v8, s0
	s_wait_xcnt 0x0
	v_dual_lshlrev_b32 v9, 16, v9 :: v_dual_bitop2_b32 v10, v11, v10 bitop3:0x14
	s_delay_alu instid0(VALU_DEP_1) | instskip(NEXT) | instid1(VALU_DEP_1)
	v_cmp_o_f32_e64 s0, v9, v9
	v_cndmask_b32_e64 v9, 0xffff, v10, s0
	s_delay_alu instid0(VALU_DEP_1) | instskip(NEXT) | instid1(VALU_DEP_1)
	v_bitop3_b32 v10, v9, s3, s1 bitop3:0x48
	v_cmp_eq_u32_e64 s0, 0, v10
	s_and_b32 exec_lo, exec_lo, s0
; %bb.9:                                ;   in Loop: Header=BB109_7 Depth=1
	v_bfe_u32 v9, v9, s2, 8
	s_delay_alu instid0(VALU_DEP_1)
	v_lshlrev_b32_e32 v9, 2, v9
	ds_add_u32 v9, v7
.LBB109_10:                             ;   in Loop: Header=BB109_7 Depth=1
	s_or_b32 exec_lo, exec_lo, s15
	v_add_nc_u32_e32 v9, 0xfffffe00, v2
	s_mov_b32 s15, exec_lo
	s_delay_alu instid0(VALU_DEP_1)
	v_cmpx_gt_u32_e64 s8, v9
	s_cbranch_execz .LBB109_13
; %bb.11:                               ;   in Loop: Header=BB109_7 Depth=1
	v_add_nc_u32_e32 v9, s12, v5
	global_load_u16 v9, v9, s[4:5] scale_offset
	s_wait_loadcnt 0x0
	v_cmp_lt_i16_e64 s0, -1, v9
	v_and_b32_e32 v10, 0xffff, v9
	v_lshlrev_b32_e32 v9, 16, v9
	s_delay_alu instid0(VALU_DEP_3) | instskip(NEXT) | instid1(VALU_DEP_2)
	v_cndmask_b32_e64 v11, 0xffff, v8, s0
	v_cmp_o_f32_e64 s0, v9, v9
	s_delay_alu instid0(VALU_DEP_2) | instskip(NEXT) | instid1(VALU_DEP_1)
	v_xor_b32_e32 v10, v11, v10
	v_cndmask_b32_e64 v9, 0xffff, v10, s0
	s_delay_alu instid0(VALU_DEP_1) | instskip(NEXT) | instid1(VALU_DEP_1)
	v_bitop3_b32 v10, v9, s3, s1 bitop3:0x48
	v_cmp_eq_u32_e64 s0, 0, v10
	s_and_b32 exec_lo, exec_lo, s0
; %bb.12:                               ;   in Loop: Header=BB109_7 Depth=1
	v_bfe_u32 v9, v9, s2, 8
	s_delay_alu instid0(VALU_DEP_1)
	v_lshlrev_b32_e32 v9, 2, v9
	ds_add_u32 v9, v7
.LBB109_13:                             ;   in Loop: Header=BB109_7 Depth=1
	s_or_b32 exec_lo, exec_lo, s15
	v_add_nc_u32_e32 v9, 0xffffff00, v2
	s_mov_b32 s15, exec_lo
	s_delay_alu instid0(VALU_DEP_1)
	v_cmpx_gt_u32_e64 s8, v9
	s_cbranch_execz .LBB109_16
; %bb.14:                               ;   in Loop: Header=BB109_7 Depth=1
	v_add_nc_u32_e32 v9, s12, v4
	global_load_u16 v9, v9, s[4:5] scale_offset
	s_wait_loadcnt 0x0
	v_cmp_lt_i16_e64 s0, -1, v9
	v_and_b32_e32 v10, 0xffff, v9
	v_lshlrev_b32_e32 v9, 16, v9
	s_delay_alu instid0(VALU_DEP_3) | instskip(NEXT) | instid1(VALU_DEP_2)
	v_cndmask_b32_e64 v11, 0xffff, v8, s0
	v_cmp_o_f32_e64 s0, v9, v9
	s_delay_alu instid0(VALU_DEP_2) | instskip(NEXT) | instid1(VALU_DEP_1)
	v_xor_b32_e32 v10, v11, v10
	v_cndmask_b32_e64 v9, 0xffff, v10, s0
	s_delay_alu instid0(VALU_DEP_1) | instskip(NEXT) | instid1(VALU_DEP_1)
	v_bitop3_b32 v10, v9, s3, s1 bitop3:0x48
	v_cmp_eq_u32_e64 s0, 0, v10
	s_and_b32 exec_lo, exec_lo, s0
; %bb.15:                               ;   in Loop: Header=BB109_7 Depth=1
	v_bfe_u32 v9, v9, s2, 8
	s_delay_alu instid0(VALU_DEP_1)
	v_lshlrev_b32_e32 v9, 2, v9
	ds_add_u32 v9, v7
.LBB109_16:                             ;   in Loop: Header=BB109_7 Depth=1
	s_or_b32 exec_lo, exec_lo, s15
	s_delay_alu instid0(SALU_CYCLE_1)
	s_mov_b32 s15, exec_lo
	v_cmpx_gt_u32_e64 s8, v2
	s_cbranch_execz .LBB109_6
; %bb.17:                               ;   in Loop: Header=BB109_7 Depth=1
	v_add_nc_u32_e32 v9, s12, v3
	global_load_u16 v9, v9, s[4:5] scale_offset
	s_wait_loadcnt 0x0
	v_cmp_lt_i16_e64 s0, -1, v9
	v_and_b32_e32 v10, 0xffff, v9
	v_lshlrev_b32_e32 v9, 16, v9
	s_delay_alu instid0(VALU_DEP_3) | instskip(NEXT) | instid1(VALU_DEP_2)
	v_cndmask_b32_e64 v11, 0xffff, v8, s0
	v_cmp_o_f32_e64 s0, v9, v9
	s_delay_alu instid0(VALU_DEP_2) | instskip(NEXT) | instid1(VALU_DEP_1)
	v_xor_b32_e32 v10, v11, v10
	v_cndmask_b32_e64 v9, 0xffff, v10, s0
	s_delay_alu instid0(VALU_DEP_1) | instskip(NEXT) | instid1(VALU_DEP_1)
	v_bitop3_b32 v10, v9, s3, s1 bitop3:0x48
	v_cmp_eq_u32_e64 s0, 0, v10
	s_and_b32 exec_lo, exec_lo, s0
	s_cbranch_execz .LBB109_6
; %bb.18:                               ;   in Loop: Header=BB109_7 Depth=1
	v_bfe_u32 v9, v9, s2, 8
	s_delay_alu instid0(VALU_DEP_1)
	v_lshlrev_b32_e32 v9, 2, v9
	ds_add_u32 v9, v7
	s_branch .LBB109_6
.LBB109_19:
	s_and_b32 s10, s11, 3
	s_delay_alu instid0(SALU_CYCLE_1)
	s_cmp_eq_u32 s10, 0
	s_cbranch_scc1 .LBB109_25
; %bb.20:
	s_lshl_b32 s0, s13, 8
	v_dual_mov_b32 v4, 1 :: v_dual_mov_b32 v5, 0x8000
	v_add3_u32 v2, s0, s17, v0
	s_delay_alu instid0(VALU_DEP_1)
	v_mul_lo_u32 v3, s9, v2
	s_lshl_b32 s9, s9, 8
	s_branch .LBB109_22
.LBB109_21:                             ;   in Loop: Header=BB109_22 Depth=1
	s_or_b32 exec_lo, exec_lo, s11
	s_delay_alu instid0(VALU_DEP_2) | instskip(SKIP_2) | instid1(SALU_CYCLE_1)
	v_add_nc_u32_e32 v3, s9, v3
	v_add_nc_u32_e32 v2, 0x100, v2
	s_add_co_i32 s10, s10, -1
	s_cmp_lg_u32 s10, 0
	s_cbranch_scc0 .LBB109_25
.LBB109_22:                             ; =>This Inner Loop Header: Depth=1
	s_mov_b32 s11, exec_lo
	v_cmpx_gt_u32_e64 s8, v2
	s_cbranch_execz .LBB109_21
; %bb.23:                               ;   in Loop: Header=BB109_22 Depth=1
	global_load_u16 v6, v3, s[4:5] scale_offset
	s_wait_loadcnt 0x0
	v_cmp_lt_i16_e64 s0, -1, v6
	v_and_b32_e32 v7, 0xffff, v6
	s_delay_alu instid0(VALU_DEP_2) | instskip(NEXT) | instid1(VALU_DEP_1)
	v_cndmask_b32_e64 v8, 0xffff, v5, s0
	v_dual_lshlrev_b32 v6, 16, v6 :: v_dual_bitop2_b32 v7, v8, v7 bitop3:0x14
	s_delay_alu instid0(VALU_DEP_1) | instskip(NEXT) | instid1(VALU_DEP_1)
	v_cmp_o_f32_e64 s0, v6, v6
	v_cndmask_b32_e64 v6, 0xffff, v7, s0
	s_delay_alu instid0(VALU_DEP_1) | instskip(NEXT) | instid1(VALU_DEP_1)
	v_bitop3_b32 v7, v6, s3, s1 bitop3:0x48
	v_cmp_eq_u32_e64 s0, 0, v7
	s_and_b32 exec_lo, exec_lo, s0
	s_cbranch_execz .LBB109_21
; %bb.24:                               ;   in Loop: Header=BB109_22 Depth=1
	v_bfe_u32 v6, v6, s2, 8
	s_delay_alu instid0(VALU_DEP_1)
	v_lshlrev_b32_e32 v6, 2, v6
	ds_add_u32 v6, v4
	s_branch .LBB109_21
.LBB109_25:
	s_wait_dscnt 0x0
	s_barrier_signal -1
	s_barrier_wait -1
	s_and_saveexec_b32 s0, vcc_lo
	s_cbranch_execz .LBB109_27
; %bb.26:
	ds_load_b32 v1, v1
	v_lshl_or_b32 v0, s16, 8, v0
	s_wait_dscnt 0x0
	global_store_b16 v0, v1, s[6:7] scale_offset
.LBB109_27:
	s_endpgm
	.section	.rodata,"a",@progbits
	.p2align	6, 0x0
	.amdhsa_kernel _ZN2at6native6mbtopk23computeBlockDigitCountsIN3c108BFloat16EjjLi2EEEvNS_4cuda6detail10TensorInfoIKT_T0_EEjPjjSA_iijT1_PSD_Ps
		.amdhsa_group_segment_fixed_size 1024
		.amdhsa_private_segment_fixed_size 0
		.amdhsa_kernarg_size 528
		.amdhsa_user_sgpr_count 2
		.amdhsa_user_sgpr_dispatch_ptr 0
		.amdhsa_user_sgpr_queue_ptr 0
		.amdhsa_user_sgpr_kernarg_segment_ptr 1
		.amdhsa_user_sgpr_dispatch_id 0
		.amdhsa_user_sgpr_kernarg_preload_length 0
		.amdhsa_user_sgpr_kernarg_preload_offset 0
		.amdhsa_user_sgpr_private_segment_size 0
		.amdhsa_wavefront_size32 1
		.amdhsa_uses_dynamic_stack 0
		.amdhsa_enable_private_segment 0
		.amdhsa_system_sgpr_workgroup_id_x 1
		.amdhsa_system_sgpr_workgroup_id_y 1
		.amdhsa_system_sgpr_workgroup_id_z 1
		.amdhsa_system_sgpr_workgroup_info 0
		.amdhsa_system_vgpr_workitem_id 0
		.amdhsa_next_free_vgpr 12
		.amdhsa_next_free_sgpr 26
		.amdhsa_named_barrier_count 0
		.amdhsa_reserve_vcc 1
		.amdhsa_float_round_mode_32 0
		.amdhsa_float_round_mode_16_64 0
		.amdhsa_float_denorm_mode_32 3
		.amdhsa_float_denorm_mode_16_64 3
		.amdhsa_fp16_overflow 0
		.amdhsa_memory_ordered 1
		.amdhsa_forward_progress 1
		.amdhsa_inst_pref_size 14
		.amdhsa_round_robin_scheduling 0
		.amdhsa_exception_fp_ieee_invalid_op 0
		.amdhsa_exception_fp_denorm_src 0
		.amdhsa_exception_fp_ieee_div_zero 0
		.amdhsa_exception_fp_ieee_overflow 0
		.amdhsa_exception_fp_ieee_underflow 0
		.amdhsa_exception_fp_ieee_inexact 0
		.amdhsa_exception_int_div_zero 0
	.end_amdhsa_kernel
	.section	.text._ZN2at6native6mbtopk23computeBlockDigitCountsIN3c108BFloat16EjjLi2EEEvNS_4cuda6detail10TensorInfoIKT_T0_EEjPjjSA_iijT1_PSD_Ps,"axG",@progbits,_ZN2at6native6mbtopk23computeBlockDigitCountsIN3c108BFloat16EjjLi2EEEvNS_4cuda6detail10TensorInfoIKT_T0_EEjPjjSA_iijT1_PSD_Ps,comdat
.Lfunc_end109:
	.size	_ZN2at6native6mbtopk23computeBlockDigitCountsIN3c108BFloat16EjjLi2EEEvNS_4cuda6detail10TensorInfoIKT_T0_EEjPjjSA_iijT1_PSD_Ps, .Lfunc_end109-_ZN2at6native6mbtopk23computeBlockDigitCountsIN3c108BFloat16EjjLi2EEEvNS_4cuda6detail10TensorInfoIKT_T0_EEjPjjSA_iijT1_PSD_Ps
                                        ; -- End function
	.set _ZN2at6native6mbtopk23computeBlockDigitCountsIN3c108BFloat16EjjLi2EEEvNS_4cuda6detail10TensorInfoIKT_T0_EEjPjjSA_iijT1_PSD_Ps.num_vgpr, 12
	.set _ZN2at6native6mbtopk23computeBlockDigitCountsIN3c108BFloat16EjjLi2EEEvNS_4cuda6detail10TensorInfoIKT_T0_EEjPjjSA_iijT1_PSD_Ps.num_agpr, 0
	.set _ZN2at6native6mbtopk23computeBlockDigitCountsIN3c108BFloat16EjjLi2EEEvNS_4cuda6detail10TensorInfoIKT_T0_EEjPjjSA_iijT1_PSD_Ps.numbered_sgpr, 26
	.set _ZN2at6native6mbtopk23computeBlockDigitCountsIN3c108BFloat16EjjLi2EEEvNS_4cuda6detail10TensorInfoIKT_T0_EEjPjjSA_iijT1_PSD_Ps.num_named_barrier, 0
	.set _ZN2at6native6mbtopk23computeBlockDigitCountsIN3c108BFloat16EjjLi2EEEvNS_4cuda6detail10TensorInfoIKT_T0_EEjPjjSA_iijT1_PSD_Ps.private_seg_size, 0
	.set _ZN2at6native6mbtopk23computeBlockDigitCountsIN3c108BFloat16EjjLi2EEEvNS_4cuda6detail10TensorInfoIKT_T0_EEjPjjSA_iijT1_PSD_Ps.uses_vcc, 1
	.set _ZN2at6native6mbtopk23computeBlockDigitCountsIN3c108BFloat16EjjLi2EEEvNS_4cuda6detail10TensorInfoIKT_T0_EEjPjjSA_iijT1_PSD_Ps.uses_flat_scratch, 0
	.set _ZN2at6native6mbtopk23computeBlockDigitCountsIN3c108BFloat16EjjLi2EEEvNS_4cuda6detail10TensorInfoIKT_T0_EEjPjjSA_iijT1_PSD_Ps.has_dyn_sized_stack, 0
	.set _ZN2at6native6mbtopk23computeBlockDigitCountsIN3c108BFloat16EjjLi2EEEvNS_4cuda6detail10TensorInfoIKT_T0_EEjPjjSA_iijT1_PSD_Ps.has_recursion, 0
	.set _ZN2at6native6mbtopk23computeBlockDigitCountsIN3c108BFloat16EjjLi2EEEvNS_4cuda6detail10TensorInfoIKT_T0_EEjPjjSA_iijT1_PSD_Ps.has_indirect_call, 0
	.section	.AMDGPU.csdata,"",@progbits
; Kernel info:
; codeLenInByte = 1716
; TotalNumSgprs: 28
; NumVgprs: 12
; ScratchSize: 0
; MemoryBound: 0
; FloatMode: 240
; IeeeMode: 1
; LDSByteSize: 1024 bytes/workgroup (compile time only)
; SGPRBlocks: 0
; VGPRBlocks: 0
; NumSGPRsForWavesPerEU: 28
; NumVGPRsForWavesPerEU: 12
; NamedBarCnt: 0
; Occupancy: 16
; WaveLimiterHint : 1
; COMPUTE_PGM_RSRC2:SCRATCH_EN: 0
; COMPUTE_PGM_RSRC2:USER_SGPR: 2
; COMPUTE_PGM_RSRC2:TRAP_HANDLER: 0
; COMPUTE_PGM_RSRC2:TGID_X_EN: 1
; COMPUTE_PGM_RSRC2:TGID_Y_EN: 1
; COMPUTE_PGM_RSRC2:TGID_Z_EN: 1
; COMPUTE_PGM_RSRC2:TIDIG_COMP_CNT: 0
	.section	.text._ZN2at6native6mbtopk10gatherTopKIN3c108BFloat16EjLi2EEEvNS_4cuda6detail10TensorInfoIKT_T0_EESA_SA_bjSA_NS7_IS8_SA_EESA_NS7_IlSA_EESA_jjPS8_PjSF_j,"axG",@progbits,_ZN2at6native6mbtopk10gatherTopKIN3c108BFloat16EjLi2EEEvNS_4cuda6detail10TensorInfoIKT_T0_EESA_SA_bjSA_NS7_IS8_SA_EESA_NS7_IlSA_EESA_jjPS8_PjSF_j,comdat
	.protected	_ZN2at6native6mbtopk10gatherTopKIN3c108BFloat16EjLi2EEEvNS_4cuda6detail10TensorInfoIKT_T0_EESA_SA_bjSA_NS7_IS8_SA_EESA_NS7_IlSA_EESA_jjPS8_PjSF_j ; -- Begin function _ZN2at6native6mbtopk10gatherTopKIN3c108BFloat16EjLi2EEEvNS_4cuda6detail10TensorInfoIKT_T0_EESA_SA_bjSA_NS7_IS8_SA_EESA_NS7_IlSA_EESA_jjPS8_PjSF_j
	.globl	_ZN2at6native6mbtopk10gatherTopKIN3c108BFloat16EjLi2EEEvNS_4cuda6detail10TensorInfoIKT_T0_EESA_SA_bjSA_NS7_IS8_SA_EESA_NS7_IlSA_EESA_jjPS8_PjSF_j
	.p2align	8
	.type	_ZN2at6native6mbtopk10gatherTopKIN3c108BFloat16EjLi2EEEvNS_4cuda6detail10TensorInfoIKT_T0_EESA_SA_bjSA_NS7_IS8_SA_EESA_NS7_IlSA_EESA_jjPS8_PjSF_j,@function
_ZN2at6native6mbtopk10gatherTopKIN3c108BFloat16EjLi2EEEvNS_4cuda6detail10TensorInfoIKT_T0_EESA_SA_bjSA_NS7_IS8_SA_EESA_NS7_IlSA_EESA_jjPS8_PjSF_j: ; @_ZN2at6native6mbtopk10gatherTopKIN3c108BFloat16EjLi2EEEvNS_4cuda6detail10TensorInfoIKT_T0_EESA_SA_bjSA_NS7_IS8_SA_EESA_NS7_IlSA_EESA_jjPS8_PjSF_j
; %bb.0:
	s_bfe_u32 s2, ttmp6, 0x40010
	s_and_b32 s4, ttmp7, 0xffff
	s_add_co_i32 s5, s2, 1
	s_clause 0x1
	s_load_b32 s6, s[0:1], 0x2d0
	s_load_b64 s[2:3], s[0:1], 0x2d8
	s_bfe_u32 s8, ttmp6, 0x4000c
	s_mul_i32 s5, s4, s5
	s_bfe_u32 s7, ttmp6, 0x40004
	s_add_co_i32 s8, s8, 1
	s_bfe_u32 s9, ttmp6, 0x40014
	s_add_co_i32 s7, s7, s5
	s_and_b32 s5, ttmp6, 15
	s_mul_i32 s8, ttmp9, s8
	s_lshr_b32 s10, ttmp7, 16
	s_add_co_i32 s9, s9, 1
	s_add_co_i32 s5, s5, s8
	s_mul_i32 s8, s10, s9
	s_bfe_u32 s9, ttmp6, 0x40008
	s_getreg_b32 s11, hwreg(HW_REG_IB_STS2, 6, 4)
	s_add_co_i32 s9, s9, s8
	s_cmp_eq_u32 s11, 0
	s_mov_b32 s17, 0
	s_cselect_b32 s8, s10, s9
	s_cselect_b32 s4, s4, s7
	s_wait_kmcnt 0x0
	s_mul_i32 s3, s3, s8
	s_cselect_b32 s5, ttmp9, s5
	s_add_co_i32 s3, s3, s4
	s_delay_alu instid0(SALU_CYCLE_1) | instskip(NEXT) | instid1(SALU_CYCLE_1)
	s_mul_i32 s3, s3, s2
	s_add_co_i32 s3, s3, s5
	s_delay_alu instid0(SALU_CYCLE_1)
	s_cmp_ge_u32 s3, s6
	s_cbranch_scc1 .LBB110_40
; %bb.1:
	s_clause 0x1
	s_load_b96 s[12:14], s[0:1], 0x2a8
	s_load_b64 s[18:19], s[0:1], 0x23c
	s_mov_b32 s25, s17
	s_mov_b32 s27, s17
	s_load_b64 s[20:21], s[0:1], 0x15c
	s_wait_kmcnt 0x0
	s_cvt_f32_u32 s2, s14
	s_sub_co_i32 s4, 0, s14
	s_delay_alu instid0(SALU_CYCLE_2) | instskip(SKIP_1) | instid1(TRANS32_DEP_1)
	v_rcp_iflag_f32_e32 v1, s2
	v_nop
	v_readfirstlane_b32 s2, v1
	s_mul_f32 s2, s2, 0x4f7ffffe
	s_delay_alu instid0(SALU_CYCLE_3) | instskip(NEXT) | instid1(SALU_CYCLE_3)
	s_cvt_u32_f32 s2, s2
	s_mul_i32 s4, s4, s2
	s_delay_alu instid0(SALU_CYCLE_1) | instskip(NEXT) | instid1(SALU_CYCLE_1)
	s_mul_hi_u32 s4, s2, s4
	s_add_co_i32 s2, s2, s4
	s_load_b128 s[4:7], s[0:1], 0x2b8
	s_mul_hi_u32 s2, s3, s2
	s_delay_alu instid0(SALU_CYCLE_1) | instskip(SKIP_2) | instid1(SALU_CYCLE_1)
	s_mul_i32 s8, s2, s14
	s_add_co_i32 s9, s2, 1
	s_sub_co_i32 s8, s3, s8
	s_sub_co_i32 s10, s8, s14
	s_cmp_ge_u32 s8, s14
	s_cselect_b32 s2, s9, s2
	s_cselect_b32 s8, s10, s8
	s_add_co_i32 s9, s2, 1
	s_cmp_ge_u32 s8, s14
	s_cselect_b32 s16, s9, s2
	s_delay_alu instid0(SALU_CYCLE_1) | instskip(SKIP_1) | instid1(SALU_CYCLE_1)
	v_mov_b32_e32 v1, s16
	s_mul_i32 s28, s16, s14
	s_sub_co_i32 s42, s3, s28
	s_wait_kmcnt 0x0
	global_load_u16 v1, v1, s[4:5] scale_offset
	s_clause 0x3
	s_load_b32 s41, s[0:1], 0xc
	s_load_b32 s40, s[0:1], 0xfc
	;; [unrolled: 1-line block ×3, first 2 shown]
	s_load_b64 s[22:23], s[0:1], 0x6c
	s_wait_kmcnt 0x0
	s_cvt_f32_u32 s2, s41
	s_cvt_f32_u32 s4, s40
	;; [unrolled: 1-line block ×3, first 2 shown]
	s_sub_co_i32 s11, 0, s40
	v_rcp_iflag_f32_e32 v2, s2
	v_rcp_iflag_f32_e32 v3, s4
	;; [unrolled: 1-line block ×3, first 2 shown]
	s_sub_co_i32 s24, 0, s15
	s_mov_b32 s5, s17
	s_delay_alu instid0(TRANS32_DEP_3) | instskip(NEXT) | instid1(TRANS32_DEP_2)
	v_readfirstlane_b32 s2, v2
	v_readfirstlane_b32 s4, v3
	s_delay_alu instid0(TRANS32_DEP_1)
	v_readfirstlane_b32 s8, v4
	s_mul_f32 s9, s2, 0x4f7ffffe
	s_mul_f32 s4, s4, 0x4f7ffffe
	;; [unrolled: 1-line block ×3, first 2 shown]
	v_cmp_ne_u32_e64 s2, 0, v0
	s_cvt_u32_f32 s9, s9
	s_cvt_u32_f32 s10, s4
	s_sub_co_i32 s4, 0, s41
	s_cvt_u32_f32 s8, s8
	s_mul_i32 s4, s4, s9
	s_mul_i32 s11, s11, s10
	s_mul_hi_u32 s3, s9, s4
	s_mul_i32 s24, s24, s8
	s_add_co_i32 s4, s9, s3
	v_cmp_eq_u32_e64 s3, 0, v0
	s_mul_hi_u32 s11, s10, s11
	s_mul_hi_u32 s26, s8, s24
	s_add_co_i32 s24, s10, s11
	s_add_co_i32 s26, s8, s26
	s_wait_loadcnt 0x0
	v_readfirstlane_b32 s33, v1
	s_and_saveexec_b32 s43, s3
	s_cbranch_execz .LBB110_17
; %bb.2:
	s_load_b64 s[34:35], s[0:1], 0x2c8
	s_mov_b32 s29, 0
	s_delay_alu instid0(SALU_CYCLE_1)
	s_lshl_b64 s[36:37], s[28:29], 2
	s_cmp_lt_u32 s14, 4
	s_cbranch_scc1 .LBB110_14
; %bb.3:
	s_mov_b64 s[30:31], 0
	s_mov_b32 s28, 0
.LBB110_4:                              ; =>This Inner Loop Header: Depth=1
	s_add_nc_u64 s[38:39], s[6:7], s[36:37]
	s_cmp_ge_u32 s28, s42
	s_load_b128 s[8:11], s[38:39], 0x0
	s_wait_kmcnt 0x0
	s_add_nc_u64 s[38:39], s[34:35], s[36:37]
	s_cbranch_scc0 .LBB110_11
; %bb.5:                                ;   in Loop: Header=BB110_4 Depth=1
	s_add_co_i32 s44, s28, 1
	s_delay_alu instid0(SALU_CYCLE_1)
	s_cmp_ge_u32 s44, s42
	s_cbranch_scc0 .LBB110_12
.LBB110_6:                              ;   in Loop: Header=BB110_4 Depth=1
	s_add_co_i32 s44, s44, 1
	s_delay_alu instid0(SALU_CYCLE_1)
	s_cmp_ge_u32 s44, s42
	s_cbranch_scc0 .LBB110_13
.LBB110_7:                              ;   in Loop: Header=BB110_4 Depth=1
	s_add_co_i32 s44, s44, 1
	s_delay_alu instid0(SALU_CYCLE_1)
	s_cmp_ge_u32 s44, s42
	s_cbranch_scc1 .LBB110_9
.LBB110_8:                              ;   in Loop: Header=BB110_4 Depth=1
	s_load_b32 s38, s[38:39], 0xc
	s_add_co_i32 s31, s11, s31
	s_wait_kmcnt 0x0
	s_add_co_i32 s30, s38, s30
.LBB110_9:                              ;   in Loop: Header=BB110_4 Depth=1
	s_add_co_i32 s8, s8, s29
	s_add_nc_u64 s[6:7], s[6:7], 16
	s_add_co_i32 s8, s8, s9
	s_add_co_i32 s9, s44, 4
	;; [unrolled: 1-line block ×3, first 2 shown]
	s_add_nc_u64 s[34:35], s[34:35], 16
	s_add_co_i32 s29, s8, s11
	s_add_co_i32 s8, s44, 1
	s_cmp_ge_u32 s9, s14
	s_cbranch_scc1 .LBB110_15
; %bb.10:                               ;   in Loop: Header=BB110_4 Depth=1
	s_mov_b32 s28, s8
	s_branch .LBB110_4
.LBB110_11:                             ;   in Loop: Header=BB110_4 Depth=1
	s_load_b32 s44, s[38:39], 0x0
	s_add_co_i32 s31, s8, s31
	s_wait_kmcnt 0x0
	s_add_co_i32 s30, s44, s30
	s_add_co_i32 s44, s28, 1
	s_delay_alu instid0(SALU_CYCLE_1)
	s_cmp_ge_u32 s44, s42
	s_cbranch_scc1 .LBB110_6
.LBB110_12:                             ;   in Loop: Header=BB110_4 Depth=1
	s_load_b32 s45, s[38:39], 0x4
	s_add_co_i32 s31, s9, s31
	s_wait_kmcnt 0x0
	s_add_co_i32 s30, s45, s30
	s_add_co_i32 s44, s44, 1
	s_delay_alu instid0(SALU_CYCLE_1)
	s_cmp_ge_u32 s44, s42
	s_cbranch_scc1 .LBB110_7
.LBB110_13:                             ;   in Loop: Header=BB110_4 Depth=1
	s_load_b32 s45, s[38:39], 0x8
	s_add_co_i32 s31, s10, s31
	s_wait_kmcnt 0x0
	s_add_co_i32 s30, s45, s30
	s_add_co_i32 s44, s44, 1
	s_delay_alu instid0(SALU_CYCLE_1)
	s_cmp_ge_u32 s44, s42
	s_cbranch_scc0 .LBB110_8
	s_branch .LBB110_9
.LBB110_14:
	s_mov_b64 s[30:31], 0
	s_add_nc_u64 s[6:7], s[6:7], s[36:37]
	s_wait_kmcnt 0x0
	s_add_nc_u64 s[8:9], s[34:35], s[36:37]
	s_mov_b32 s10, 0
	s_delay_alu instid0(SALU_CYCLE_1)
	s_cmp_ge_u32 s10, s14
	s_cbranch_scc0 .LBB110_38
	s_branch .LBB110_16
.LBB110_15:
	s_add_co_i32 s10, s28, 4
	s_add_nc_u64 s[8:9], s[34:35], s[36:37]
	s_add_nc_u64 s[6:7], s[6:7], s[36:37]
	s_cmp_ge_u32 s10, s14
	s_cbranch_scc0 .LBB110_38
.LBB110_16:
	v_dual_mov_b32 v2, s30 :: v_dual_mov_b32 v3, s29
	v_dual_mov_b32 v4, s31 :: v_dual_mov_b32 v1, 0
	ds_store_b96 v1, v[2:4] offset:1056
.LBB110_17:
	s_or_b32 exec_lo, exec_lo, s43
	s_mul_u64 s[6:7], s[16:17], s[26:27]
	s_mul_u64 s[34:35], s[16:17], s[4:5]
	s_clause 0x3
	s_load_b96 s[4:6], s[0:1], 0xd8
	s_load_b64 s[28:29], s[0:1], 0x1d0
	s_load_b64 s[10:11], s[0:1], 0xf0
	s_load_b64 s[8:9], s[0:1], 0x0
	s_mul_u64 s[30:31], s[16:17], s[24:25]
	s_mul_i32 s17, s13, s42
	s_mov_b32 s25, 0
	s_lshl_b32 s17, s17, 8
	s_add_co_i32 s42, s42, 1
	s_wait_dscnt 0x0
	s_barrier_signal -1
	s_barrier_wait -1
	s_wait_kmcnt 0x0
	s_sub_co_i32 s24, s4, s17
	s_delay_alu instid0(SALU_CYCLE_1) | instskip(NEXT) | instid1(SALU_CYCLE_1)
	s_add_nc_u64 s[26:27], s[24:25], 0xff
	s_lshr_b64 s[26:27], s[26:27], 8
	s_cmp_lt_u32 s42, s14
	s_cselect_b32 s13, s13, s26
	s_delay_alu instid0(SALU_CYCLE_1)
	s_cmp_eq_u32 s13, 0
	s_cbranch_scc1 .LBB110_40
; %bb.18:
	s_mul_i32 s14, s35, s41
	s_add_co_i32 s24, s35, 1
	s_sub_co_i32 s14, s16, s14
	s_mul_i32 s26, s31, s40
	s_sub_co_i32 s27, s14, s41
	s_cmp_ge_u32 s14, s41
	s_mul_i32 s30, s7, s15
	s_cselect_b32 s24, s24, s35
	s_cselect_b32 s14, s27, s14
	s_add_co_i32 s34, s24, 1
	s_cmp_ge_u32 s14, s41
	v_dual_mov_b32 v7, 0 :: v_dual_lshrrev_b32 v1, 3, v0
	s_cselect_b32 s14, s34, s24
	s_sub_co_i32 s26, s16, s26
	s_mul_i32 s24, s14, s41
	s_mul_i32 s14, s14, s22
	s_sub_co_i32 s24, s16, s24
	s_add_co_i32 s34, s31, 1
	s_mul_i32 s24, s24, s23
	s_sub_co_i32 s22, s26, s40
	s_add_co_i32 s24, s14, s24
	s_cmp_ge_u32 s26, s40
	ds_load_b96 v[2:4], v7 offset:1056
	s_cselect_b32 s14, s34, s31
	s_cselect_b32 s22, s22, s26
	s_add_co_i32 s26, s14, 1
	s_cmp_ge_u32 s22, s40
	v_dual_add_nc_u32 v5, -1, v0 :: v_dual_bitop2_b32 v6, 28, v1 bitop3:0x40
	s_cselect_b32 s14, s26, s14
	s_sub_co_i32 s22, s16, s30
	s_mul_i32 s26, s14, s40
	s_mul_i32 s14, s14, s20
	s_sub_co_i32 s26, s16, s26
	s_add_co_i32 s30, s7, 1
	s_mul_i32 s26, s26, s21
	s_sub_co_i32 s20, s22, s15
	s_add_co_i32 s26, s14, s26
	s_cmp_ge_u32 s22, s15
	s_mov_b32 s27, s25
	s_cselect_b32 s7, s30, s7
	s_cselect_b32 s14, s20, s22
	s_add_co_i32 s20, s7, 1
	s_cmp_ge_u32 s14, s15
	s_mov_b32 s23, s25
	s_cselect_b32 s7, s20, s7
	s_wait_dscnt 0x0
	v_dual_lshrrev_b32 v8, 3, v5 :: v_dual_add_nc_u32 v1, v2, v3
	s_mul_i32 s20, s7, s15
	s_mul_i32 s7, s7, s18
	s_sub_co_i32 s16, s16, s20
	s_lshl_b64 s[14:15], s[24:25], 1
	s_mul_i32 s16, s16, s19
	s_add_nc_u64 s[8:9], s[8:9], s[14:15]
	s_add_co_i32 s22, s7, s16
	s_clause 0x1
	s_load_b32 s16, s[0:1], 0xe8
	s_load_b32 s15, s[0:1], 0x1c8
	v_lshl_add_u32 v2, v0, 2, v6
	v_dual_add_nc_u32 v6, s17, v0 :: v_dual_lshlrev_b32 v10, 5, v0
	s_sext_i32_i16 s31, s33
	s_lshl_b64 s[18:19], s[26:27], 1
	s_and_b32 s7, 0xffff, s33
	s_lshl_b64 s[20:21], s[22:23], 3
	s_mov_b32 s30, 0x8000
	s_cmp_gt_i32 s31, -1
	v_and_b32_e32 v9, 0xfc, v0
	s_cselect_b32 s22, s30, 0xffff
	s_wait_xcnt 0x0
	v_cmp_gt_u32_e64 s0, 32, v0
	s_lshl_b32 s23, s33, 16
	v_and_b32_e32 v8, 0x1ffffffc, v8
	v_mbcnt_lo_u32_b32 v3, -1, 0
	s_xor_b32 s7, s22, s7
	s_cmp_o_f32 s23, s23
	v_mov_b32_e32 v12, 0x8000
	s_wait_kmcnt 0x0
	v_mul_lo_u32 v0, s16, v6
	v_lshl_add_u32 v5, v5, 2, v8
	v_dual_add_nc_u32 v8, v9, v10 :: v_dual_bitop2_b32 v9, 15, v3 bitop3:0x40
	v_bfe_i32 v10, v3, 4, 1
	v_add_nc_u32_e32 v11, -1, v3
	s_cselect_b32 s14, s7, 0xffff
	s_bitcmp1_b32 s6, 0
	s_add_nc_u64 s[10:11], s[10:11], s[18:19]
	s_add_nc_u64 s[6:7], s[28:29], s[20:21]
	s_cselect_b32 s1, -1, 0
	s_lshl_b32 s16, s16, 8
                                        ; implicit-def: $vgpr13
	s_branch .LBB110_21
.LBB110_19:                             ;   in Loop: Header=BB110_21 Depth=1
	s_wait_xcnt 0x0
	s_or_b32 exec_lo, exec_lo, s17
	v_add_nc_u32_e32 v1, v16, v1
.LBB110_20:                             ;   in Loop: Header=BB110_21 Depth=1
	v_add_nc_u32_e32 v4, v15, v4
	v_add_nc_u32_e32 v0, s16, v0
	;; [unrolled: 1-line block ×3, first 2 shown]
	s_add_co_i32 s13, s13, -1
	s_delay_alu instid0(SALU_CYCLE_1)
	s_cmp_lg_u32 s13, 0
	s_cbranch_scc0 .LBB110_40
.LBB110_21:                             ; =>This Inner Loop Header: Depth=1
	v_dual_mov_b32 v16, 0 :: v_dual_mov_b32 v14, 0
	s_mov_b32 s17, exec_lo
	v_cmpx_gt_u32_e64 s4, v6
	s_cbranch_execz .LBB110_23
; %bb.22:                               ;   in Loop: Header=BB110_21 Depth=1
	global_load_u16 v13, v0, s[8:9] scale_offset
	s_wait_loadcnt 0x0
	v_cmp_lt_i16_e32 vcc_lo, -1, v13
	v_and_b32_e32 v14, 0xffff, v13
	v_dual_cndmask_b32 v15, 0xffff, v12 :: v_dual_lshlrev_b32 v16, 16, v13
	s_delay_alu instid0(VALU_DEP_1) | instskip(NEXT) | instid1(VALU_DEP_2)
	v_cmp_o_f32_e32 vcc_lo, v16, v16
	v_xor_b32_e32 v14, v15, v14
	s_delay_alu instid0(VALU_DEP_1) | instskip(NEXT) | instid1(VALU_DEP_1)
	v_cndmask_b32_e32 v14, 0xffff, v14, vcc_lo
	v_cmp_lt_u32_e32 vcc_lo, s14, v14
	v_cndmask_b32_e64 v15, 0, 1, vcc_lo
	v_cmp_gt_u32_e32 vcc_lo, s14, v14
	v_cndmask_b32_e64 v16, 0, 1, vcc_lo
	v_cmp_eq_u32_e32 vcc_lo, s14, v14
	s_delay_alu instid0(VALU_DEP_2) | instskip(SKIP_1) | instid1(VALU_DEP_2)
	v_cndmask_b32_e64 v15, v16, v15, s1
	v_cndmask_b32_e64 v14, 0, 1, vcc_lo
	v_and_b32_e32 v16, 1, v15
.LBB110_23:                             ;   in Loop: Header=BB110_21 Depth=1
	s_wait_xcnt 0x0
	s_or_b32 exec_lo, exec_lo, s17
	ds_store_b32 v2, v16
	s_wait_dscnt 0x0
	s_barrier_signal -1
	s_barrier_wait -1
	s_and_saveexec_b32 s17, s0
	s_cbranch_execz .LBB110_25
; %bb.24:                               ;   in Loop: Header=BB110_21 Depth=1
	ds_load_2addr_b32 v[18:19], v8 offset1:1
	ds_load_2addr_b32 v[20:21], v8 offset0:2 offset1:3
	ds_load_2addr_b32 v[22:23], v8 offset0:4 offset1:5
	;; [unrolled: 1-line block ×3, first 2 shown]
	v_cmp_ne_u32_e32 vcc_lo, 0, v9
	; wave barrier
	s_wait_dscnt 0x3
	v_add_nc_u32_e32 v15, v19, v18
	s_wait_dscnt 0x2
	s_delay_alu instid0(VALU_DEP_1) | instskip(SKIP_1) | instid1(VALU_DEP_1)
	v_add3_u32 v15, v15, v20, v21
	s_wait_dscnt 0x1
	v_add3_u32 v15, v15, v22, v23
	s_wait_dscnt 0x0
	s_delay_alu instid0(VALU_DEP_1) | instskip(NEXT) | instid1(VALU_DEP_1)
	v_add3_u32 v15, v15, v24, v25
	v_mov_b32_dpp v17, v15 row_shr:1 row_mask:0xf bank_mask:0xf
	s_delay_alu instid0(VALU_DEP_1) | instskip(SKIP_1) | instid1(VALU_DEP_2)
	v_cndmask_b32_e32 v17, 0, v17, vcc_lo
	v_cmp_lt_u32_e32 vcc_lo, 1, v9
	v_add_nc_u32_e32 v15, v17, v15
	s_delay_alu instid0(VALU_DEP_1) | instskip(NEXT) | instid1(VALU_DEP_1)
	v_mov_b32_dpp v17, v15 row_shr:2 row_mask:0xf bank_mask:0xf
	v_cndmask_b32_e32 v17, 0, v17, vcc_lo
	v_cmp_lt_u32_e32 vcc_lo, 3, v9
	s_delay_alu instid0(VALU_DEP_2) | instskip(NEXT) | instid1(VALU_DEP_1)
	v_add_nc_u32_e32 v15, v15, v17
	v_mov_b32_dpp v17, v15 row_shr:4 row_mask:0xf bank_mask:0xf
	s_delay_alu instid0(VALU_DEP_1) | instskip(SKIP_1) | instid1(VALU_DEP_2)
	v_cndmask_b32_e32 v17, 0, v17, vcc_lo
	v_cmp_lt_u32_e32 vcc_lo, 7, v9
	v_add_nc_u32_e32 v15, v15, v17
	s_delay_alu instid0(VALU_DEP_1) | instskip(NEXT) | instid1(VALU_DEP_1)
	v_mov_b32_dpp v17, v15 row_shr:8 row_mask:0xf bank_mask:0xf
	v_cndmask_b32_e32 v17, 0, v17, vcc_lo
	v_cmp_gt_i32_e32 vcc_lo, 0, v11
	s_delay_alu instid0(VALU_DEP_2) | instskip(SKIP_4) | instid1(VALU_DEP_1)
	v_add_nc_u32_e32 v15, v15, v17
	v_cndmask_b32_e32 v19, v11, v3, vcc_lo
	ds_swizzle_b32 v17, v15 offset:swizzle(BROADCAST,32,15)
	s_wait_dscnt 0x0
	v_dual_lshlrev_b32 v19, 2, v19 :: v_dual_bitop2_b32 v17, v10, v17 bitop3:0x40
	v_add_nc_u32_e32 v15, v15, v17
	ds_bpermute_b32 v15, v19, v15
	s_wait_dscnt 0x0
	v_add_nc_u32_e32 v15, v15, v18
	s_delay_alu instid0(VALU_DEP_1)
	v_cndmask_b32_e64 v15, v15, v16, s3
	ds_store_b32 v8, v15
	; wave barrier
	ds_load_2addr_b32 v[18:19], v8 offset0:1 offset1:2
	ds_load_2addr_b32 v[20:21], v8 offset0:3 offset1:4
	;; [unrolled: 1-line block ×3, first 2 shown]
	ds_load_b32 v17, v8 offset:28
	s_wait_dscnt 0x3
	v_add_nc_u32_e32 v15, v18, v15
	s_delay_alu instid0(VALU_DEP_1) | instskip(SKIP_1) | instid1(VALU_DEP_1)
	v_add_nc_u32_e32 v18, v19, v15
	s_wait_dscnt 0x2
	v_add_nc_u32_e32 v19, v20, v18
	s_delay_alu instid0(VALU_DEP_1) | instskip(SKIP_1) | instid1(VALU_DEP_1)
	v_add_nc_u32_e32 v20, v21, v19
	;; [unrolled: 4-line block ×3, first 2 shown]
	s_wait_dscnt 0x0
	v_add_nc_u32_e32 v17, v17, v22
	ds_store_2addr_b32 v8, v15, v18 offset0:1 offset1:2
	ds_store_2addr_b32 v8, v19, v20 offset0:3 offset1:4
	;; [unrolled: 1-line block ×3, first 2 shown]
	ds_store_b32 v8, v17 offset:28
.LBB110_25:                             ;   in Loop: Header=BB110_21 Depth=1
	s_or_b32 exec_lo, exec_lo, s17
	v_mov_b32_e32 v17, 0
	s_wait_dscnt 0x0
	s_barrier_signal -1
	s_barrier_wait -1
	s_and_saveexec_b32 s17, s2
; %bb.26:                               ;   in Loop: Header=BB110_21 Depth=1
	ds_load_b32 v17, v5
; %bb.27:                               ;   in Loop: Header=BB110_21 Depth=1
	s_or_b32 exec_lo, exec_lo, s17
	ds_load_b32 v15, v7 offset:1048
	s_mov_b32 s17, exec_lo
	s_wait_dscnt 0x0
	s_barrier_signal -1
	s_barrier_wait -1
	v_cmpx_ne_u32_e32 0, v16
	s_cbranch_execz .LBB110_29
; %bb.28:                               ;   in Loop: Header=BB110_21 Depth=1
	v_add_nc_u32_e32 v16, v17, v4
	s_delay_alu instid0(VALU_DEP_1)
	v_mul_lo_u32 v17, v16, s15
	v_mul_lo_u32 v16, v16, s12
	global_store_b16 v17, v13, s[10:11] scale_offset
	global_store_b64 v16, v[6:7], s[6:7] scale_offset
.LBB110_29:                             ;   in Loop: Header=BB110_21 Depth=1
	s_wait_xcnt 0x0
	s_or_b32 exec_lo, exec_lo, s17
	v_cmp_le_u32_e32 vcc_lo, s5, v1
	s_cbranch_vccnz .LBB110_20
; %bb.30:                               ;   in Loop: Header=BB110_21 Depth=1
	ds_store_b32 v2, v14
	s_wait_storecnt_dscnt 0x0
	s_barrier_signal -1
	s_barrier_wait -1
	s_and_saveexec_b32 s17, s0
	s_cbranch_execz .LBB110_32
; %bb.31:                               ;   in Loop: Header=BB110_21 Depth=1
	ds_load_2addr_b32 v[16:17], v8 offset1:1
	ds_load_2addr_b32 v[18:19], v8 offset0:2 offset1:3
	ds_load_2addr_b32 v[20:21], v8 offset0:4 offset1:5
	;; [unrolled: 1-line block ×3, first 2 shown]
	v_cmp_ne_u32_e32 vcc_lo, 0, v9
	; wave barrier
	s_wait_dscnt 0x3
	v_add_nc_u32_e32 v17, v17, v16
	s_wait_dscnt 0x2
	s_delay_alu instid0(VALU_DEP_1) | instskip(SKIP_1) | instid1(VALU_DEP_1)
	v_add3_u32 v17, v17, v18, v19
	s_wait_dscnt 0x1
	v_add3_u32 v17, v17, v20, v21
	s_wait_dscnt 0x0
	s_delay_alu instid0(VALU_DEP_1) | instskip(NEXT) | instid1(VALU_DEP_1)
	v_add3_u32 v17, v17, v22, v23
	v_mov_b32_dpp v18, v17 row_shr:1 row_mask:0xf bank_mask:0xf
	s_delay_alu instid0(VALU_DEP_1) | instskip(SKIP_1) | instid1(VALU_DEP_2)
	v_cndmask_b32_e32 v18, 0, v18, vcc_lo
	v_cmp_lt_u32_e32 vcc_lo, 1, v9
	v_add_nc_u32_e32 v17, v18, v17
	s_delay_alu instid0(VALU_DEP_1) | instskip(NEXT) | instid1(VALU_DEP_1)
	v_mov_b32_dpp v18, v17 row_shr:2 row_mask:0xf bank_mask:0xf
	v_cndmask_b32_e32 v18, 0, v18, vcc_lo
	v_cmp_lt_u32_e32 vcc_lo, 3, v9
	s_delay_alu instid0(VALU_DEP_2) | instskip(NEXT) | instid1(VALU_DEP_1)
	v_add_nc_u32_e32 v17, v17, v18
	v_mov_b32_dpp v18, v17 row_shr:4 row_mask:0xf bank_mask:0xf
	s_delay_alu instid0(VALU_DEP_1) | instskip(SKIP_1) | instid1(VALU_DEP_2)
	v_cndmask_b32_e32 v18, 0, v18, vcc_lo
	v_cmp_lt_u32_e32 vcc_lo, 7, v9
	v_add_nc_u32_e32 v17, v17, v18
	s_delay_alu instid0(VALU_DEP_1) | instskip(NEXT) | instid1(VALU_DEP_1)
	v_mov_b32_dpp v18, v17 row_shr:8 row_mask:0xf bank_mask:0xf
	v_cndmask_b32_e32 v18, 0, v18, vcc_lo
	v_cmp_gt_i32_e32 vcc_lo, 0, v11
	s_delay_alu instid0(VALU_DEP_2) | instskip(SKIP_3) | instid1(VALU_DEP_1)
	v_dual_add_nc_u32 v17, v17, v18 :: v_dual_cndmask_b32 v19, v11, v3, vcc_lo
	ds_swizzle_b32 v18, v17 offset:swizzle(BROADCAST,32,15)
	s_wait_dscnt 0x0
	v_dual_lshlrev_b32 v19, 2, v19 :: v_dual_bitop2_b32 v18, v10, v18 bitop3:0x40
	v_add_nc_u32_e32 v17, v17, v18
	ds_bpermute_b32 v17, v19, v17
	s_wait_dscnt 0x0
	v_add_nc_u32_e32 v16, v17, v16
	s_delay_alu instid0(VALU_DEP_1)
	v_cndmask_b32_e64 v22, v16, v14, s3
	ds_store_b32 v8, v22
	; wave barrier
	ds_load_2addr_b32 v[16:17], v8 offset0:1 offset1:2
	ds_load_2addr_b32 v[18:19], v8 offset0:3 offset1:4
	;; [unrolled: 1-line block ×3, first 2 shown]
	ds_load_b32 v23, v8 offset:28
	s_wait_dscnt 0x3
	v_add_nc_u32_e32 v16, v16, v22
	s_delay_alu instid0(VALU_DEP_1) | instskip(SKIP_1) | instid1(VALU_DEP_1)
	v_add_nc_u32_e32 v17, v17, v16
	s_wait_dscnt 0x2
	v_add_nc_u32_e32 v18, v18, v17
	s_delay_alu instid0(VALU_DEP_1) | instskip(SKIP_1) | instid1(VALU_DEP_1)
	v_add_nc_u32_e32 v19, v19, v18
	;; [unrolled: 4-line block ×3, first 2 shown]
	s_wait_dscnt 0x0
	v_add_nc_u32_e32 v22, v23, v21
	ds_store_2addr_b32 v8, v16, v17 offset0:1 offset1:2
	ds_store_2addr_b32 v8, v18, v19 offset0:3 offset1:4
	;; [unrolled: 1-line block ×3, first 2 shown]
	ds_store_b32 v8, v22 offset:28
.LBB110_32:                             ;   in Loop: Header=BB110_21 Depth=1
	s_or_b32 exec_lo, exec_lo, s17
	v_mov_b32_e32 v17, 0
	s_wait_dscnt 0x0
	s_barrier_signal -1
	s_barrier_wait -1
	s_and_saveexec_b32 s17, s2
; %bb.33:                               ;   in Loop: Header=BB110_21 Depth=1
	ds_load_b32 v17, v5
; %bb.34:                               ;   in Loop: Header=BB110_21 Depth=1
	s_or_b32 exec_lo, exec_lo, s17
	ds_load_b32 v16, v7 offset:1048
	s_mov_b32 s17, exec_lo
	s_wait_dscnt 0x0
	s_barrier_signal -1
	s_barrier_wait -1
	v_cmpx_ne_u32_e32 0, v14
	s_cbranch_execz .LBB110_19
; %bb.35:                               ;   in Loop: Header=BB110_21 Depth=1
	v_add_nc_u32_e32 v14, v17, v1
	s_delay_alu instid0(VALU_DEP_1)
	v_cmp_gt_u32_e32 vcc_lo, s5, v14
	s_and_b32 exec_lo, exec_lo, vcc_lo
	s_cbranch_execz .LBB110_19
; %bb.36:                               ;   in Loop: Header=BB110_21 Depth=1
	v_mul_lo_u32 v17, v14, s15
	v_mul_lo_u32 v14, v14, s12
	global_store_b16 v17, v13, s[10:11] scale_offset
	global_store_b64 v14, v[6:7], s[6:7] scale_offset
	s_branch .LBB110_19
.LBB110_37:                             ;   in Loop: Header=BB110_38 Depth=1
	s_add_co_i32 s10, s10, 1
	s_wait_kmcnt 0x0
	s_add_co_i32 s29, s11, s29
	s_add_nc_u64 s[6:7], s[6:7], 4
	s_cmp_lt_u32 s10, s14
	s_add_nc_u64 s[8:9], s[8:9], 4
	s_cbranch_scc0 .LBB110_16
.LBB110_38:                             ; =>This Inner Loop Header: Depth=1
	s_load_b32 s11, s[6:7], 0x0
	s_cmp_ge_u32 s10, s42
	s_cbranch_scc1 .LBB110_37
; %bb.39:                               ;   in Loop: Header=BB110_38 Depth=1
	s_load_b32 s28, s[8:9], 0x0
	s_wait_kmcnt 0x0
	s_add_co_i32 s31, s11, s31
	s_add_co_i32 s30, s28, s30
	s_branch .LBB110_37
.LBB110_40:
	s_endpgm
	.section	.rodata,"a",@progbits
	.p2align	6, 0x0
	.amdhsa_kernel _ZN2at6native6mbtopk10gatherTopKIN3c108BFloat16EjLi2EEEvNS_4cuda6detail10TensorInfoIKT_T0_EESA_SA_bjSA_NS7_IS8_SA_EESA_NS7_IlSA_EESA_jjPS8_PjSF_j
		.amdhsa_group_segment_fixed_size 1068
		.amdhsa_private_segment_fixed_size 0
		.amdhsa_kernarg_size 984
		.amdhsa_user_sgpr_count 2
		.amdhsa_user_sgpr_dispatch_ptr 0
		.amdhsa_user_sgpr_queue_ptr 0
		.amdhsa_user_sgpr_kernarg_segment_ptr 1
		.amdhsa_user_sgpr_dispatch_id 0
		.amdhsa_user_sgpr_kernarg_preload_length 0
		.amdhsa_user_sgpr_kernarg_preload_offset 0
		.amdhsa_user_sgpr_private_segment_size 0
		.amdhsa_wavefront_size32 1
		.amdhsa_uses_dynamic_stack 0
		.amdhsa_enable_private_segment 0
		.amdhsa_system_sgpr_workgroup_id_x 1
		.amdhsa_system_sgpr_workgroup_id_y 1
		.amdhsa_system_sgpr_workgroup_id_z 1
		.amdhsa_system_sgpr_workgroup_info 0
		.amdhsa_system_vgpr_workitem_id 0
		.amdhsa_next_free_vgpr 26
		.amdhsa_next_free_sgpr 46
		.amdhsa_named_barrier_count 0
		.amdhsa_reserve_vcc 1
		.amdhsa_float_round_mode_32 0
		.amdhsa_float_round_mode_16_64 0
		.amdhsa_float_denorm_mode_32 3
		.amdhsa_float_denorm_mode_16_64 3
		.amdhsa_fp16_overflow 0
		.amdhsa_memory_ordered 1
		.amdhsa_forward_progress 1
		.amdhsa_inst_pref_size 23
		.amdhsa_round_robin_scheduling 0
		.amdhsa_exception_fp_ieee_invalid_op 0
		.amdhsa_exception_fp_denorm_src 0
		.amdhsa_exception_fp_ieee_div_zero 0
		.amdhsa_exception_fp_ieee_overflow 0
		.amdhsa_exception_fp_ieee_underflow 0
		.amdhsa_exception_fp_ieee_inexact 0
		.amdhsa_exception_int_div_zero 0
	.end_amdhsa_kernel
	.section	.text._ZN2at6native6mbtopk10gatherTopKIN3c108BFloat16EjLi2EEEvNS_4cuda6detail10TensorInfoIKT_T0_EESA_SA_bjSA_NS7_IS8_SA_EESA_NS7_IlSA_EESA_jjPS8_PjSF_j,"axG",@progbits,_ZN2at6native6mbtopk10gatherTopKIN3c108BFloat16EjLi2EEEvNS_4cuda6detail10TensorInfoIKT_T0_EESA_SA_bjSA_NS7_IS8_SA_EESA_NS7_IlSA_EESA_jjPS8_PjSF_j,comdat
.Lfunc_end110:
	.size	_ZN2at6native6mbtopk10gatherTopKIN3c108BFloat16EjLi2EEEvNS_4cuda6detail10TensorInfoIKT_T0_EESA_SA_bjSA_NS7_IS8_SA_EESA_NS7_IlSA_EESA_jjPS8_PjSF_j, .Lfunc_end110-_ZN2at6native6mbtopk10gatherTopKIN3c108BFloat16EjLi2EEEvNS_4cuda6detail10TensorInfoIKT_T0_EESA_SA_bjSA_NS7_IS8_SA_EESA_NS7_IlSA_EESA_jjPS8_PjSF_j
                                        ; -- End function
	.set _ZN2at6native6mbtopk10gatherTopKIN3c108BFloat16EjLi2EEEvNS_4cuda6detail10TensorInfoIKT_T0_EESA_SA_bjSA_NS7_IS8_SA_EESA_NS7_IlSA_EESA_jjPS8_PjSF_j.num_vgpr, 26
	.set _ZN2at6native6mbtopk10gatherTopKIN3c108BFloat16EjLi2EEEvNS_4cuda6detail10TensorInfoIKT_T0_EESA_SA_bjSA_NS7_IS8_SA_EESA_NS7_IlSA_EESA_jjPS8_PjSF_j.num_agpr, 0
	.set _ZN2at6native6mbtopk10gatherTopKIN3c108BFloat16EjLi2EEEvNS_4cuda6detail10TensorInfoIKT_T0_EESA_SA_bjSA_NS7_IS8_SA_EESA_NS7_IlSA_EESA_jjPS8_PjSF_j.numbered_sgpr, 46
	.set _ZN2at6native6mbtopk10gatherTopKIN3c108BFloat16EjLi2EEEvNS_4cuda6detail10TensorInfoIKT_T0_EESA_SA_bjSA_NS7_IS8_SA_EESA_NS7_IlSA_EESA_jjPS8_PjSF_j.num_named_barrier, 0
	.set _ZN2at6native6mbtopk10gatherTopKIN3c108BFloat16EjLi2EEEvNS_4cuda6detail10TensorInfoIKT_T0_EESA_SA_bjSA_NS7_IS8_SA_EESA_NS7_IlSA_EESA_jjPS8_PjSF_j.private_seg_size, 0
	.set _ZN2at6native6mbtopk10gatherTopKIN3c108BFloat16EjLi2EEEvNS_4cuda6detail10TensorInfoIKT_T0_EESA_SA_bjSA_NS7_IS8_SA_EESA_NS7_IlSA_EESA_jjPS8_PjSF_j.uses_vcc, 1
	.set _ZN2at6native6mbtopk10gatherTopKIN3c108BFloat16EjLi2EEEvNS_4cuda6detail10TensorInfoIKT_T0_EESA_SA_bjSA_NS7_IS8_SA_EESA_NS7_IlSA_EESA_jjPS8_PjSF_j.uses_flat_scratch, 0
	.set _ZN2at6native6mbtopk10gatherTopKIN3c108BFloat16EjLi2EEEvNS_4cuda6detail10TensorInfoIKT_T0_EESA_SA_bjSA_NS7_IS8_SA_EESA_NS7_IlSA_EESA_jjPS8_PjSF_j.has_dyn_sized_stack, 0
	.set _ZN2at6native6mbtopk10gatherTopKIN3c108BFloat16EjLi2EEEvNS_4cuda6detail10TensorInfoIKT_T0_EESA_SA_bjSA_NS7_IS8_SA_EESA_NS7_IlSA_EESA_jjPS8_PjSF_j.has_recursion, 0
	.set _ZN2at6native6mbtopk10gatherTopKIN3c108BFloat16EjLi2EEEvNS_4cuda6detail10TensorInfoIKT_T0_EESA_SA_bjSA_NS7_IS8_SA_EESA_NS7_IlSA_EESA_jjPS8_PjSF_j.has_indirect_call, 0
	.section	.AMDGPU.csdata,"",@progbits
; Kernel info:
; codeLenInByte = 2864
; TotalNumSgprs: 48
; NumVgprs: 26
; ScratchSize: 0
; MemoryBound: 0
; FloatMode: 240
; IeeeMode: 1
; LDSByteSize: 1068 bytes/workgroup (compile time only)
; SGPRBlocks: 0
; VGPRBlocks: 1
; NumSGPRsForWavesPerEU: 48
; NumVGPRsForWavesPerEU: 26
; NamedBarCnt: 0
; Occupancy: 16
; WaveLimiterHint : 1
; COMPUTE_PGM_RSRC2:SCRATCH_EN: 0
; COMPUTE_PGM_RSRC2:USER_SGPR: 2
; COMPUTE_PGM_RSRC2:TRAP_HANDLER: 0
; COMPUTE_PGM_RSRC2:TGID_X_EN: 1
; COMPUTE_PGM_RSRC2:TGID_Y_EN: 1
; COMPUTE_PGM_RSRC2:TGID_Z_EN: 1
; COMPUTE_PGM_RSRC2:TIDIG_COMP_CNT: 0
	.section	.text._ZN2at6native6sbtopk10gatherTopKIN3c108BFloat16EjLi2ELb0EEEvNS_4cuda6detail10TensorInfoIKT_T0_EESA_SA_bSA_SA_NS7_IS8_SA_EESA_NS7_IlSA_EESA_PS8_,"axG",@progbits,_ZN2at6native6sbtopk10gatherTopKIN3c108BFloat16EjLi2ELb0EEEvNS_4cuda6detail10TensorInfoIKT_T0_EESA_SA_bSA_SA_NS7_IS8_SA_EESA_NS7_IlSA_EESA_PS8_,comdat
	.protected	_ZN2at6native6sbtopk10gatherTopKIN3c108BFloat16EjLi2ELb0EEEvNS_4cuda6detail10TensorInfoIKT_T0_EESA_SA_bSA_SA_NS7_IS8_SA_EESA_NS7_IlSA_EESA_PS8_ ; -- Begin function _ZN2at6native6sbtopk10gatherTopKIN3c108BFloat16EjLi2ELb0EEEvNS_4cuda6detail10TensorInfoIKT_T0_EESA_SA_bSA_SA_NS7_IS8_SA_EESA_NS7_IlSA_EESA_PS8_
	.globl	_ZN2at6native6sbtopk10gatherTopKIN3c108BFloat16EjLi2ELb0EEEvNS_4cuda6detail10TensorInfoIKT_T0_EESA_SA_bSA_SA_NS7_IS8_SA_EESA_NS7_IlSA_EESA_PS8_
	.p2align	8
	.type	_ZN2at6native6sbtopk10gatherTopKIN3c108BFloat16EjLi2ELb0EEEvNS_4cuda6detail10TensorInfoIKT_T0_EESA_SA_bSA_SA_NS7_IS8_SA_EESA_NS7_IlSA_EESA_PS8_,@function
_ZN2at6native6sbtopk10gatherTopKIN3c108BFloat16EjLi2ELb0EEEvNS_4cuda6detail10TensorInfoIKT_T0_EESA_SA_bSA_SA_NS7_IS8_SA_EESA_NS7_IlSA_EESA_PS8_: ; @_ZN2at6native6sbtopk10gatherTopKIN3c108BFloat16EjLi2ELb0EEEvNS_4cuda6detail10TensorInfoIKT_T0_EESA_SA_bSA_SA_NS7_IS8_SA_EESA_NS7_IlSA_EESA_PS8_
; %bb.0:
	s_clause 0x1
	s_load_b128 s[36:39], s[0:1], 0xd8
	s_load_b64 s[8:9], s[0:1], 0x2b8
	s_bfe_u32 s2, ttmp6, 0x40010
	s_and_b32 s3, ttmp7, 0xffff
	s_add_co_i32 s2, s2, 1
	s_bfe_u32 s5, ttmp6, 0x4000c
	s_mul_i32 s2, s3, s2
	s_bfe_u32 s4, ttmp6, 0x40004
	s_add_co_i32 s5, s5, 1
	s_bfe_u32 s6, ttmp6, 0x40014
	s_add_co_i32 s4, s4, s2
	s_and_b32 s2, ttmp6, 15
	s_mul_i32 s5, ttmp9, s5
	s_lshr_b32 s7, ttmp7, 16
	s_add_co_i32 s6, s6, 1
	s_add_co_i32 s2, s2, s5
	s_mul_i32 s5, s7, s6
	s_bfe_u32 s6, ttmp6, 0x40008
	s_getreg_b32 s10, hwreg(HW_REG_IB_STS2, 6, 4)
	s_add_co_i32 s6, s6, s5
	s_cmp_eq_u32 s10, 0
	s_mov_b32 s41, 0
	s_cselect_b32 s5, s7, s6
	s_cselect_b32 s3, s3, s4
	s_wait_kmcnt 0x0
	s_mul_i32 s5, s9, s5
	s_cselect_b32 s9, ttmp9, s2
	s_add_co_i32 s2, s5, s3
	s_delay_alu instid0(SALU_CYCLE_1) | instskip(NEXT) | instid1(SALU_CYCLE_1)
	s_mul_i32 s2, s2, s8
	s_add_co_i32 s40, s2, s9
	s_delay_alu instid0(SALU_CYCLE_1)
	s_cmp_ge_u32 s40, s39
	s_cbranch_scc1 .LBB111_414
; %bb.1:
	s_clause 0x6
	s_load_b32 s4, s[0:1], 0xc
	s_load_b64 s[42:43], s[0:1], 0x23c
	s_load_b32 s64, s[0:1], 0xfc
	s_load_b32 s63, s[0:1], 0x1dc
	;; [unrolled: 1-line block ×3, first 2 shown]
	s_load_b64 s[12:13], s[0:1], 0x6c
	s_load_b64 s[10:11], s[0:1], 0x0
	s_add_nc_u64 s[14:15], s[0:1], 0x2b8
	v_mov_b32_e32 v17, 0
	s_wait_kmcnt 0x0
	s_cvt_f32_u32 s2, s4
	s_sub_co_i32 s5, 0, s64
	s_cvt_f32_u32 s3, s63
	s_delay_alu instid0(SALU_CYCLE_1) | instskip(SKIP_2) | instid1(TRANS32_DEP_1)
	v_rcp_iflag_f32_e32 v1, s2
	s_sub_co_i32 s2, 0, s4
	v_nop
	v_mul_f32_e32 v1, 0x4f7ffffe, v1
	s_delay_alu instid0(VALU_DEP_1) | instskip(NEXT) | instid1(VALU_DEP_1)
	v_cvt_u32_f32_e32 v1, v1
	v_mul_lo_u32 v2, s2, v1
	s_cvt_f32_u32 s2, s64
	s_delay_alu instid0(VALU_DEP_1) | instskip(NEXT) | instid1(VALU_DEP_1)
	v_mul_hi_u32 v2, v1, v2
	v_add_nc_u32_e32 v16, v1, v2
	s_delay_alu instid0(SALU_CYCLE_1) | instskip(NEXT) | instid1(VALU_DEP_1)
	v_rcp_iflag_f32_e32 v1, s2
	v_mul_u64_e32 v[2:3], s[40:41], v[16:17]
	v_rcp_iflag_f32_e32 v2, s3
	s_delay_alu instid0(TRANS32_DEP_2) | instskip(SKIP_1) | instid1(TRANS32_DEP_1)
	v_readfirstlane_b32 s2, v1
	s_mul_f32 s2, s2, 0x4f7ffffe
	v_readfirstlane_b32 s3, v2
	s_delay_alu instid0(SALU_CYCLE_2) | instskip(SKIP_1) | instid1(SALU_CYCLE_2)
	s_cvt_u32_f32 s2, s2
	s_mul_f32 s3, s3, 0x4f7ffffe
	s_mul_i32 s5, s5, s2
	s_delay_alu instid0(SALU_CYCLE_2) | instskip(SKIP_2) | instid1(SALU_CYCLE_1)
	s_cvt_u32_f32 s6, s3
	s_sub_co_i32 s3, 0, s63
	s_mul_hi_u32 s5, s2, s5
	s_mul_i32 s3, s3, s6
	s_add_co_i32 s2, s2, s5
	v_cmp_eq_u32_e64 s5, 0, v0
	s_mul_hi_u32 s7, s6, s3
	s_mov_b32 s3, s41
	s_add_co_i32 s6, s6, s7
	s_mov_b32 s7, s41
	s_and_saveexec_b32 s16, s5
; %bb.2:
	v_dual_mov_b32 v4, 0 :: v_dual_mov_b32 v5, s36
	s_delay_alu instid0(VALU_DEP_1)
	v_mov_b32_e32 v6, v4
	ds_store_b96 v4, v[4:6] offset:4096
; %bb.3:
	s_or_b32 exec_lo, exec_lo, s16
	v_mul_lo_u32 v1, v3, s4
	s_clause 0x1
	s_load_b64 s[16:17], s[0:1], 0x1d0
	s_load_b64 s[48:49], s[0:1], 0xf0
	v_add_nc_u32_e32 v2, 1, v3
                                        ; implicit-def: $vgpr71 : SGPR spill to VGPR lane
	s_wait_dscnt 0x0
	s_barrier_signal -1
	s_barrier_wait -1
	v_mbcnt_lo_u32_b32 v11, -1, 0
	v_add_max_u32_e64 v7, v0, 2, s36
	s_delay_alu instid0(VALU_DEP_4)
	v_dual_lshlrev_b32 v22, 1, v0 :: v_dual_sub_nc_u32 v4, s40, v1
	s_mul_u64 s[34:35], s[40:41], s[6:7]
	v_cmp_gt_u32_e64 s7, 32, v0
	s_bitcmp1_b32 s38, 0
	s_mul_u64 s[50:51], s[40:41], s[2:3]
	v_subrev_nc_u32_e32 v5, s4, v4
	v_cmp_le_u32_e32 vcc_lo, s4, v4
	v_mul_lo_u32 v18, s62, v0
	v_cmp_gt_u32_e64 s3, s36, v0
	v_cmp_gt_u32_e64 s6, 2, v0
	v_dual_cndmask_b32 v2, v3, v2 :: v_dual_lshlrev_b32 v1, 2, v0
	v_cndmask_b32_e32 v3, v4, v5, vcc_lo
	s_wait_kmcnt 0x0
	v_writelane_b32 v71, s16, 0
	v_lshrrev_b32_e32 v5, 1, v0
	v_mad_u32 v30, s62, v1, s62
	v_add_nc_u32_e32 v4, 1, v2
	v_cmp_le_u32_e32 vcc_lo, s4, v3
	v_mov_b32_e32 v19, v17
	v_writelane_b32 v71, s17, 1
	s_load_b32 s16, s[14:15], 0xc
	s_movk_i32 s17, 0x1f0
	v_cndmask_b32_e32 v4, v2, v4, vcc_lo
	v_lshlrev_b64_e64 v[2:3], v11, -1
	v_cmp_gt_i32_e32 vcc_lo, 4, v11
	v_and_or_b32 v24, v5, s17, 0xc00
	v_cmp_eq_u32_e64 s2, 0, v11
	v_mul_lo_u32 v6, v4, s4
	s_cselect_b32 s4, -1, 0
	v_mul_lo_u32 v4, v4, s12
	s_xor_b32 s65, s4, -1
	s_and_b32 s66, s7, vcc_lo
	v_not_b32_e32 v10, v2
	v_dual_mov_b32 v40, s37 :: v_dual_add_nc_u32 v23, 0xc00, v22
	v_lshl_or_b32 v36, v11, 2, 0xc00
	v_dual_mov_b32 v37, 0x8000 :: v_dual_mov_b32 v28, 0
	v_sub_nc_u32_e32 v3, s40, v6
	v_xad_u32 v6, v0, -1, v7
	s_wait_kmcnt 0x0
	s_and_b32 s41, s16, 0xffff
	v_dual_mov_b32 v39, 0 :: v_dual_mov_b32 v38, 0
	s_lshl_b32 s67, s41, 2
	v_add_nc_u32_e32 v5, -4, v6
	v_mul_lo_u32 v3, v3, s13
	s_cmp_gt_u32 s36, 0x600
	s_cvt_f32_u32 s7, s67
	s_cselect_b32 s68, -1, 0
	s_cmp_gt_u32 s41, 31
	s_mov_b32 s39, 0
	s_cselect_b32 s69, -1, 0
	s_add_co_i32 s70, s41, -1
	v_lshrrev_b32_e32 v7, 2, v5
	s_add_co_i32 s13, s70, s36
	s_cmp_lt_u32 s9, s8
	v_add_nc_u32_e32 v16, v4, v3
	v_rcp_iflag_f32_e32 v4, s7
	s_cselect_b32 s38, 12, 18
	s_bfe_u32 s71, s16, 0xb0005
	v_lshlrev_b32_e32 v35, 3, v0
	s_add_co_i32 s7, s71, -2
	v_lshlrev_b64_e32 v[2:3], 1, v[16:17]
	s_lshr_b32 s8, s7, 1
	v_readfirstlane_b32 s9, v4
	s_add_co_i32 s8, s8, 1
	s_cmp_gt_u32 s41, 63
	v_or_b32_e32 v4, 3, v1
	s_cselect_b32 s72, -1, 0
	s_and_b32 s73, s71, 0x7fe
	s_and_b32 s74, s8, 7
	s_cmp_gt_u32 s7, 13
	s_mul_f32 s7, s9, 0x4f7ffffe
	s_cselect_b32 s75, -1, 0
	s_and_b32 s76, s8, -8
	s_cmp_lg_u32 s74, 0
	s_cvt_u32_f32 s8, s7
	s_cselect_b32 s77, -1, 0
	s_cmp_lg_u32 s73, s71
	s_cvt_f32_u32 s9, s41
	s_cselect_b32 s78, -1, 0
	s_sub_co_i32 s7, 0, s67
	v_add_nc_u64_e32 v[12:13], s[10:11], v[2:3]
	s_mul_i32 s7, s7, s8
	v_rcp_iflag_f32_e32 v3, s9
	s_mul_hi_u32 s10, s8, s7
	v_add_nc_u32_e32 v2, 1, v7
	s_add_co_i32 s52, s8, s10
	v_mul_lo_u32 v32, s62, v4
	s_mul_hi_u32 s8, s36, s52
	v_lshl_add_u64 v[14:15], v[18:19], 1, v[12:13]
	s_mul_i32 s8, s8, s67
	v_readfirstlane_b32 s9, v3
	s_sub_co_i32 s8, s36, s8
	v_and_b32_e32 v19, -4, v6
	s_sub_co_i32 s10, s8, s67
	s_cmp_ge_u32 s8, s67
	s_mul_f32 s9, s9, 0x4f7ffffe
	s_cselect_b32 s8, s10, s8
	v_dual_add_nc_u32 v25, v0, v19 :: v_dual_bitop2_b32 v3, 3, v2 bitop3:0x40
	s_sub_co_i32 s10, s8, s67
	s_cmp_ge_u32 s8, s67
	s_cvt_u32_f32 s9, s9
	s_cselect_b32 s16, s10, s8
	s_sub_co_i32 s10, 0, s41
	s_sub_co_i32 s82, s36, s16
	s_mul_i32 s10, s10, s9
	v_dual_add_nc_u32 v26, s82, v0 :: v_dual_lshlrev_b32 v29, 3, v3
	s_mul_hi_u32 s10, s9, s10
	v_and_b32_e32 v27, 0x7ffffffc, v2
	s_add_co_i32 s54, s9, s10
	v_add3_u32 v2, s41, s36, v0
	s_mul_hi_u32 s10, s13, s54
	v_cmp_ne_u32_e64 s9, 0, v3
	s_mul_i32 s10, s10, s41
	v_mul_lo_u32 v16, v26, s62
	s_sub_co_i32 s11, s13, s10
	v_dual_lshlrev_b32 v33, 2, v18 :: v_dual_bitop2_b32 v3, 2, v1 bitop3:0x54
	s_sub_co_i32 s12, s11, s41
	s_cmp_ge_u32 s11, s41
	v_subrev_nc_u32_e32 v2, s16, v2
	s_cselect_b32 s17, s12, s11
	v_mul_lo_u32 v31, s62, v3
	s_sub_co_i32 s18, s17, s41
	s_cmp_ge_u32 s17, s41
	v_mul_lo_u32 v34, s62, v2
	s_cselect_b32 s17, s18, s17
	v_cmp_lt_u32_e64 s7, 31, v6
	s_sub_co_i32 s83, s13, s17
	v_cmp_lt_u32_e64 s8, 11, v5
	v_cmp_ne_u32_e64 s10, v6, v19
	v_cmp_gt_u32_e64 s11, s82, v1
	v_cmp_gt_u32_e64 s12, s36, v26
	v_lshl_add_u64 v[20:21], v[16:17], 1, v[12:13]
	v_cmp_gt_u32_e64 s13, s83, v0
	s_mul_i32 s50, s62, s41
	s_mov_b32 s79, s62
	s_mov_b32 s80, s62
	s_mov_b32 s81, s62
	s_mov_b32 s53, s39
	s_mov_b32 s55, s39
	s_lshl_b32 s84, s50, 2
	s_lshl_b32 s85, s41, 3
	;; [unrolled: 1-line block ×3, first 2 shown]
	s_mov_b32 s87, 14
	s_add_nc_u64 s[56:57], s[14:15], s[38:39]
	s_movk_i32 s89, 0x3f80
	s_mov_b32 s88, 0
	s_mov_b32 s91, 0
                                        ; implicit-def: $sgpr90
                                        ; implicit-def: $sgpr94
                                        ; implicit-def: $sgpr93
                                        ; implicit-def: $sgpr95
                                        ; implicit-def: $sgpr92
                                        ; implicit-def: $sgpr99
                                        ; implicit-def: $sgpr100
                                        ; implicit-def: $sgpr96
                                        ; implicit-def: $sgpr98
                                        ; implicit-def: $sgpr97
	s_branch .LBB111_6
.LBB111_4:                              ;   in Loop: Header=BB111_6 Depth=1
	s_or_b32 exec_lo, exec_lo, s17
	v_mov_b32_e32 v40, v5
	s_and_not1_b32 s17, s97, exec_lo
	s_and_b32 s16, s16, exec_lo
	s_and_not1_b32 s98, s98, exec_lo
	s_or_b32 s97, s17, s16
	s_and_not1_b32 s96, s96, exec_lo
	s_and_not1_b32 s100, s100, exec_lo
	;; [unrolled: 1-line block ×3, first 2 shown]
	s_or_not1_b32 s17, s15, exec_lo
.LBB111_5:                              ;   in Loop: Header=BB111_6 Depth=1
	s_or_b32 exec_lo, exec_lo, s14
	s_delay_alu instid0(SALU_CYCLE_1) | instskip(NEXT) | instid1(SALU_CYCLE_1)
	s_and_b32 s14, exec_lo, s17
	s_or_b32 s88, s14, s88
	s_and_not1_b32 s14, s92, exec_lo
	s_and_b32 s15, s97, exec_lo
	s_and_not1_b32 s16, s95, exec_lo
	s_or_b32 s92, s14, s15
	s_and_b32 s14, s98, exec_lo
	s_and_not1_b32 s15, s93, exec_lo
	s_and_b32 s17, s96, exec_lo
	s_or_b32 s95, s16, s14
	s_or_b32 s93, s15, s17
	s_and_not1_b32 s14, s94, exec_lo
	s_and_b32 s15, s100, exec_lo
	s_and_not1_b32 s16, s90, exec_lo
	s_and_b32 s17, s99, exec_lo
	s_or_b32 s94, s14, s15
	s_or_b32 s90, s16, s17
	s_and_not1_b32 exec_lo, exec_lo, s88
	s_cbranch_execz .LBB111_410
.LBB111_6:                              ; =>This Loop Header: Depth=1
                                        ;     Child Loop BB111_11 Depth 2
                                        ;     Child Loop BB111_32 Depth 2
	;; [unrolled: 1-line block ×27, first 2 shown]
	ds_load_b64 v[2:3], v17 offset:4096
	s_wait_dscnt 0x0
	v_readfirstlane_b32 s38, v2
	s_cmp_lg_u32 s38, 0
	s_cbranch_scc1 .LBB111_51
; %bb.7:                                ;   in Loop: Header=BB111_6 Depth=1
	s_and_b32 vcc_lo, exec_lo, s68
	s_cbranch_vccz .LBB111_19
; %bb.8:                                ;   in Loop: Header=BB111_6 Depth=1
	v_cmp_gt_u32_e32 vcc_lo, 0x601, v3
	s_mov_b32 s16, 0
	s_mov_b32 s14, 0
	s_cbranch_vccz .LBB111_20
; %bb.9:                                ;   in Loop: Header=BB111_6 Depth=1
	global_load_u16 v3, v[14:15], off
	s_load_u16 s17, s[56:57], 0x0
	s_mov_b32 s18, 0
	s_wait_kmcnt 0x0
	v_dual_mov_b32 v4, v0 :: v_dual_add_nc_u32 v2, s17, v0
	s_mul_i32 s19, s62, s17
	s_delay_alu instid0(VALU_DEP_1)
	v_mul_lo_u32 v2, s62, v2
	s_branch .LBB111_11
.LBB111_10:                             ;   in Loop: Header=BB111_11 Depth=2
	s_or_b32 exec_lo, exec_lo, s15
	v_dual_mov_b32 v3, v5 :: v_dual_add_nc_u32 v2, s19, v2
	s_and_not1_b32 exec_lo, exec_lo, s18
	s_cbranch_execz .LBB111_26
.LBB111_11:                             ;   Parent Loop BB111_6 Depth=1
                                        ; =>  This Inner Loop Header: Depth=2
	s_wait_dscnt 0x0
	v_dual_add_nc_u32 v4, s17, v4 :: v_dual_mov_b32 v6, 0
	v_mov_b32_e32 v5, 0
	s_mov_b32 s15, exec_lo
	s_delay_alu instid0(VALU_DEP_2)
	v_cmp_le_u32_e32 vcc_lo, s36, v4
	v_cmpx_gt_u32_e64 s36, v4
	s_cbranch_execz .LBB111_13
; %bb.12:                               ;   in Loop: Header=BB111_11 Depth=2
	v_readfirstlane_b32 s20, v12
	v_readfirstlane_b32 s21, v13
	global_load_u16 v5, v2, s[20:21] scale_offset
.LBB111_13:                             ;   in Loop: Header=BB111_11 Depth=2
	s_wait_xcnt 0x0
	s_or_b32 exec_lo, exec_lo, s15
	s_wait_loadcnt 0x0
	v_cmp_lt_i16_e64 s14, -1, v3
	v_and_b32_e32 v7, 0xffff, v3
	v_lshlrev_b32_e32 v9, 16, v3
	s_delay_alu instid0(VALU_DEP_3) | instskip(NEXT) | instid1(VALU_DEP_2)
	v_cndmask_b32_e64 v8, 0xffff, v37, s14
	v_cmp_o_f32_e64 s14, v9, v9
	s_delay_alu instid0(VALU_DEP_2) | instskip(NEXT) | instid1(VALU_DEP_1)
	v_xor_b32_e32 v7, v8, v7
	v_cndmask_b32_e64 v7, 0xffff, v7, s14
	s_delay_alu instid0(VALU_DEP_1) | instskip(NEXT) | instid1(VALU_DEP_1)
	v_and_b32_e32 v7, v7, v38
	v_cmp_eq_u32_e64 s14, v7, v28
	s_cmp_lg_u32 s14, 0
	s_cselect_b32 s15, -1, 0
	s_delay_alu instid0(SALU_CYCLE_1) | instskip(NEXT) | instid1(SALU_CYCLE_1)
	s_and_b32 s15, s2, s15
	s_and_saveexec_b32 s20, s15
	s_cbranch_execz .LBB111_17
; %bb.14:                               ;   in Loop: Header=BB111_11 Depth=2
	s_mov_b32 s23, exec_lo
	s_bcnt1_i32_b32 s21, s14
	v_mbcnt_lo_u32_b32 v6, s23, 0
	s_mov_b32 s22, exec_lo
                                        ; implicit-def: $vgpr7
	s_delay_alu instid0(VALU_DEP_1)
	v_cmpx_eq_u32_e32 0, v6
; %bb.15:                               ;   in Loop: Header=BB111_11 Depth=2
	s_bcnt1_i32_b32 s15, s23
	s_delay_alu instid0(SALU_CYCLE_1) | instskip(NEXT) | instid1(SALU_CYCLE_1)
	s_mul_i32 s15, s21, s15
	v_mov_b32_e32 v7, s15
	ds_add_rtn_u32 v7, v17, v7 offset:4104
; %bb.16:                               ;   in Loop: Header=BB111_11 Depth=2
	s_or_b32 exec_lo, exec_lo, s22
	s_wait_dscnt 0x0
	v_readfirstlane_b32 s15, v7
	s_delay_alu instid0(VALU_DEP_1)
	v_mad_u32_u24 v6, s21, v6, s15
.LBB111_17:                             ;   in Loop: Header=BB111_11 Depth=2
	s_or_b32 exec_lo, exec_lo, s20
	ds_bpermute_b32 v6, v17, v6
	s_and_b32 s15, exec_lo, vcc_lo
	s_delay_alu instid0(SALU_CYCLE_1)
	s_or_b32 s18, s15, s18
	s_and_saveexec_b32 s15, s14
	s_cbranch_execz .LBB111_10
; %bb.18:                               ;   in Loop: Header=BB111_11 Depth=2
	v_and_b32_e32 v7, s14, v10
	s_delay_alu instid0(VALU_DEP_1) | instskip(NEXT) | instid1(VALU_DEP_1)
	v_bcnt_u32_b32 v7, v7, 0
	v_lshlrev_b32_e32 v7, 1, v7
	s_wait_dscnt 0x0
	s_delay_alu instid0(VALU_DEP_1)
	v_lshl_add_u32 v6, v6, 1, v7
	ds_store_b16 v6, v3
	s_branch .LBB111_10
.LBB111_19:                             ;   in Loop: Header=BB111_6 Depth=1
	s_mov_b32 s16, -1
	s_mov_b32 s14, 0
.LBB111_20:                             ;   in Loop: Header=BB111_6 Depth=1
	s_and_b32 vcc_lo, exec_lo, s16
	s_cbranch_vccz .LBB111_49
.LBB111_21:                             ;   in Loop: Header=BB111_6 Depth=1
	s_and_saveexec_b32 s15, s3
	s_cbranch_execz .LBB111_46
; %bb.22:                               ;   in Loop: Header=BB111_6 Depth=1
	global_load_u16 v16, v[14:15], off
	s_load_u16 s17, s[56:57], 0x0
	s_mov_b32 s16, exec_lo
	s_wait_kmcnt 0x0
	v_dual_mov_b32 v4, v0 :: v_dual_add_nc_u32 v2, s17, v0
	s_delay_alu instid0(VALU_DEP_1)
	v_cmpx_gt_u32_e64 s36, v2
	s_cbranch_execz .LBB111_45
; %bb.23:                               ;   in Loop: Header=BB111_6 Depth=1
	s_mov_b32 s14, 0
	s_mul_i32 s18, s62, s17
                                        ; implicit-def: $vgpr4
                                        ; implicit-def: $vgpr3
                                        ; implicit-def: $vgpr5
	s_and_saveexec_b32 s19, s7
	s_delay_alu instid0(SALU_CYCLE_1)
	s_xor_b32 s19, exec_lo, s19
	s_cbranch_execnz .LBB111_29
; %bb.24:                               ;   in Loop: Header=BB111_6 Depth=1
	s_and_not1_saveexec_b32 s19, s19
	s_cbranch_execnz .LBB111_40
.LBB111_25:                             ;   in Loop: Header=BB111_6 Depth=1
	s_or_b32 exec_lo, exec_lo, s19
	s_and_saveexec_b32 s18, s14
	s_cbranch_execnz .LBB111_41
	s_branch .LBB111_44
.LBB111_26:                             ;   in Loop: Header=BB111_6 Depth=1
	s_or_b32 exec_lo, exec_lo, s18
	s_wait_dscnt 0x0
	s_barrier_signal -1
	s_barrier_wait -1
	s_and_saveexec_b32 s14, s5
	s_cbranch_execz .LBB111_28
; %bb.27:                               ;   in Loop: Header=BB111_6 Depth=1
	ds_load_b32 v2, v17 offset:4104
	s_wait_dscnt 0x0
	ds_store_b32 v17, v2 offset:4096
.LBB111_28:                             ;   in Loop: Header=BB111_6 Depth=1
	s_or_b32 exec_lo, exec_lo, s14
	s_wait_dscnt 0x0
	s_barrier_signal -1
	s_mov_b32 s14, -1
	s_barrier_wait -1
	s_and_b32 vcc_lo, exec_lo, s16
	s_cbranch_vccnz .LBB111_21
	s_branch .LBB111_49
.LBB111_29:                             ;   in Loop: Header=BB111_6 Depth=1
	s_cvt_f32_u32 s14, s17
	v_add_max_u32_e64 v3, v2, s17, s36
	s_delay_alu instid0(SALU_CYCLE_2) | instskip(SKIP_1) | instid1(VALU_DEP_1)
	v_rcp_iflag_f32_e32 v4, s14
	s_lshl_b32 s14, s17, 1
	v_sub_nc_u32_e32 v3, v3, v0
	s_delay_alu instid0(VALU_DEP_1) | instskip(NEXT) | instid1(TRANS32_DEP_1)
	v_cmp_ne_u32_e32 vcc_lo, s14, v3
	v_readfirstlane_b32 s20, v4
	v_cndmask_b32_e64 v4, 0, 1, vcc_lo
	s_mul_f32 s20, s20, 0x4f7ffffe
	s_delay_alu instid0(VALU_DEP_1) | instskip(NEXT) | instid1(SALU_CYCLE_2)
	v_or_b32_e32 v4, s14, v4
	s_cvt_u32_f32 s14, s20
	s_sub_co_i32 s20, 0, s17
	s_delay_alu instid0(SALU_CYCLE_2) | instskip(NEXT) | instid1(VALU_DEP_1)
	s_mul_i32 s20, s20, s14
	v_sub_nc_u32_e32 v3, v3, v4
	s_mul_hi_u32 s20, s14, s20
	s_delay_alu instid0(SALU_CYCLE_1)
	s_add_co_i32 s14, s14, s20
	s_delay_alu instid0(VALU_DEP_1) | instid1(SALU_CYCLE_1)
	v_mul_hi_u32 v4, v3, s14
	s_delay_alu instid0(VALU_DEP_1) | instskip(NEXT) | instid1(VALU_DEP_1)
	v_mul_lo_u32 v5, v4, s17
	v_dual_sub_nc_u32 v3, v3, v5 :: v_dual_add_nc_u32 v5, 1, v4
	s_delay_alu instid0(VALU_DEP_1) | instskip(SKIP_1) | instid1(VALU_DEP_1)
	v_subrev_nc_u32_e32 v6, s17, v3
	v_cmp_le_u32_e64 s14, s17, v3
	v_dual_cndmask_b32 v4, v4, v5, s14 :: v_dual_cndmask_b32 v3, v3, v6, s14
	s_delay_alu instid0(VALU_DEP_1) | instskip(NEXT) | instid1(VALU_DEP_2)
	v_add_nc_u32_e32 v5, 1, v4
	v_cmp_le_u32_e64 s14, s17, v3
	s_delay_alu instid0(VALU_DEP_1) | instskip(SKIP_2) | instid1(VALU_DEP_2)
	v_cndmask_b32_e64 v3, v4, v5, s14
	v_mul_lo_u32 v4, s62, v2
	s_abs_i32 s14, s18
	v_add_co_ci_u32_e64 v3, null, 0, v3, vcc_lo
	s_delay_alu instid0(VALU_DEP_1) | instskip(SKIP_2) | instid1(SALU_CYCLE_1)
	v_mul_hi_u32 v5, s14, v3
	v_mul_lo_u32 v3, s14, v3
	s_not_b32 s14, s18
	s_ashr_i32 s14, s14, 31
	s_cmp_eq_u32 s17, 1
	s_delay_alu instid0(VALU_DEP_4) | instskip(SKIP_1) | instid1(VALU_DEP_3)
	v_xor_b32_e32 v4, s14, v4
	s_cselect_b32 s20, -1, 0
	v_cmp_eq_u32_e32 vcc_lo, 0, v5
	s_delay_alu instid0(VALU_DEP_2) | instskip(SKIP_2) | instid1(SALU_CYCLE_1)
	v_cmp_le_u32_e64 s14, v3, v4
	v_mov_b32_e32 v3, v0
                                        ; implicit-def: $vgpr4
	s_and_b32 s20, vcc_lo, s20
	s_and_b32 s21, s20, s14
	s_mov_b32 s20, -1
	s_and_saveexec_b32 s14, s21
	s_cbranch_execz .LBB111_39
; %bb.30:                               ;   in Loop: Header=BB111_6 Depth=1
	v_dual_add_nc_u32 v5, 3, v2 :: v_dual_add_nc_u32 v4, 2, v2
	s_wait_loadcnt 0x0
	v_dual_add_nc_u32 v3, 1, v2 :: v_dual_lshlrev_b32 v41, 16, v16
	v_mov_b32_e32 v44, 0
                                        ; implicit-def: $vgpr16
	s_delay_alu instid0(VALU_DEP_3) | instskip(NEXT) | instid1(VALU_DEP_3)
	v_mov_b64_e32 v[8:9], v[4:5]
	v_mov_b64_e32 v[6:7], v[2:3]
	s_and_saveexec_b32 s20, s8
	s_cbranch_execz .LBB111_34
; %bb.31:                               ;   in Loop: Header=BB111_6 Depth=1
	v_mov_b64_e32 v[8:9], v[4:5]
	v_mov_b64_e32 v[6:7], v[2:3]
	v_dual_mov_b32 v42, v27 :: v_dual_mov_b32 v43, v22
	s_mov_b32 s21, 0
	s_mov_b32 s22, 0
.LBB111_32:                             ;   Parent Loop BB111_6 Depth=1
                                        ; =>  This Inner Loop Header: Depth=2
	s_delay_alu instid0(VALU_DEP_2) | instskip(SKIP_1) | instid1(VALU_DEP_4)
	v_mul_lo_u32 v16, v6, s62
	v_dual_mov_b32 v5, v17 :: v_dual_add_nc_u32 v3, 4, v6
	v_dual_add_nc_u32 v48, 4, v7 :: v_dual_add_nc_u32 v50, 4, v8
	v_mul_lo_u32 v46, v7, s79
	v_dual_mov_b32 v47, v17 :: v_dual_mov_b32 v45, v17
	s_delay_alu instid0(VALU_DEP_3)
	v_mul_lo_u32 v48, v48, s79
	v_dual_mov_b32 v49, v17 :: v_dual_add_nc_u32 v52, 4, v9
	v_lshl_add_u64 v[66:67], v[16:17], 1, v[12:13]
	v_mul_lo_u32 v16, v3, s62
	v_dual_add_nc_u32 v68, 8, v6 :: v_dual_add_nc_u32 v54, 8, v7
	v_dual_add_nc_u32 v60, 12, v7 :: v_dual_add_nc_u32 v62, 12, v8
	v_lshl_add_u64 v[46:47], v[46:47], 1, v[12:13]
	s_clause 0x1
	global_load_u16 v3, v[66:67], off
	global_load_u16 v70, v[46:47], off
	s_wait_xcnt 0x0
	v_lshl_add_u64 v[46:47], v[48:49], 1, v[12:13]
	v_lshl_add_u64 v[48:49], v[16:17], 1, v[12:13]
	v_mul_lo_u32 v16, v68, s62
	v_mul_lo_u32 v44, v8, s80
	v_dual_add_nc_u32 v56, 8, v8 :: v_dual_add_nc_u32 v58, 8, v9
	v_dual_mov_b32 v59, v17 :: v_dual_add_nc_u32 v69, 12, v6
	v_mul_lo_u32 v4, v9, s81
	v_dual_mov_b32 v61, v17 :: v_dual_add_nc_u32 v64, 12, v9
	v_mul_lo_u32 v62, v62, s80
	v_mul_lo_u32 v50, v50, s80
	;; [unrolled: 1-line block ×7, first 2 shown]
	v_lshl_add_u64 v[66:67], v[16:17], 1, v[12:13]
	v_mul_lo_u32 v16, v69, s62
	v_mul_lo_u32 v64, v64, s81
	v_dual_mov_b32 v63, v17 :: v_dual_mov_b32 v65, v17
	v_dual_mov_b32 v51, v17 :: v_dual_mov_b32 v53, v17
	;; [unrolled: 1-line block ×3, first 2 shown]
	v_lshl_add_u64 v[44:45], v[44:45], 1, v[12:13]
	v_lshl_add_u64 v[4:5], v[4:5], 1, v[12:13]
	;; [unrolled: 1-line block ×9, first 2 shown]
	s_clause 0x8
	global_load_u16 v45, v[44:45], off
	global_load_u16 v68, v[4:5], off
	;; [unrolled: 1-line block ×9, first 2 shown]
	v_lshl_add_u64 v[4:5], v[16:17], 1, v[12:13]
	v_lshl_add_u64 v[64:65], v[64:65], 1, v[12:13]
	s_clause 0x4
	global_load_u16 v56, v[62:63], off
	global_load_u16 v48, v[48:49], off
	;; [unrolled: 1-line block ×5, first 2 shown]
	s_add_co_i32 s22, s22, 16
	s_delay_alu instid0(SALU_CYCLE_1) | instskip(SKIP_2) | instid1(VALU_DEP_3)
	v_dual_add_nc_u32 v42, -4, v42 :: v_dual_mov_b32 v44, s22
	v_dual_add_nc_u32 v9, 16, v9 :: v_dual_add_nc_u32 v8, 16, v8
	v_dual_add_nc_u32 v7, 16, v7 :: v_dual_add_nc_u32 v6, 16, v6
	v_cmp_eq_u32_e32 vcc_lo, 0, v42
	s_or_b32 s21, vcc_lo, s21
	s_wait_loadcnt 0xf
	v_alignbit_b32 v46, v3, v41, 16
	s_wait_loadcnt 0xd
	v_perm_b32 v47, v45, v70, 0x5040100
	s_wait_loadcnt 0xa
	s_wait_xcnt 0x3
	v_perm_b32 v49, v50, v69, 0x5040100
	s_wait_loadcnt 0x7
	v_perm_b32 v51, v53, v51, 0x5040100
	s_wait_loadcnt 0x3
	v_perm_b32 v48, v48, v68, 0x5040100
	v_perm_b32 v53, v56, v55, 0x5040100
	s_wait_loadcnt 0x2
	v_perm_b32 v50, v57, v52, 0x5040100
	s_wait_loadcnt 0x1
	;; [unrolled: 2-line block ×3, first 2 shown]
	v_perm_b32 v41, v16, v56, 0x5040100
	ds_store_b128 v43, v[46:49]
	ds_store_b128 v43, v[50:53] offset:16
	v_add_nc_u32_e32 v43, 32, v43
	s_wait_xcnt 0x0
	s_and_not1_b32 exec_lo, exec_lo, s21
	s_cbranch_execnz .LBB111_32
; %bb.33:                               ;   in Loop: Header=BB111_6 Depth=1
	s_or_b32 exec_lo, exec_lo, s21
.LBB111_34:                             ;   in Loop: Header=BB111_6 Depth=1
	s_delay_alu instid0(SALU_CYCLE_1)
	s_or_b32 exec_lo, exec_lo, s20
	s_and_saveexec_b32 s20, s9
	s_cbranch_execz .LBB111_38
; %bb.35:                               ;   in Loop: Header=BB111_6 Depth=1
	v_lshl_add_u32 v3, v44, 1, v22
	v_mov_b32_e32 v4, v29
	s_mov_b32 s21, 0
.LBB111_36:                             ;   Parent Loop BB111_6 Depth=1
                                        ; =>  This Inner Loop Header: Depth=2
	v_mul_lo_u32 v42, v7, s79
	v_mul_lo_u32 v44, v8, s80
	;; [unrolled: 1-line block ×4, first 2 shown]
	v_dual_mov_b32 v43, v17 :: v_dual_mov_b32 v45, v17
	v_dual_mov_b32 v47, v17 :: v_dual_add_nc_u32 v9, 4, v9
	v_dual_add_nc_u32 v4, -8, v4 :: v_dual_add_nc_u32 v6, 4, v6
	v_dual_add_nc_u32 v8, 4, v8 :: v_dual_add_nc_u32 v7, 4, v7
	s_delay_alu instid0(VALU_DEP_4)
	v_lshl_add_u64 v[42:43], v[42:43], 1, v[12:13]
	v_lshl_add_u64 v[44:45], v[44:45], 1, v[12:13]
	;; [unrolled: 1-line block ×4, first 2 shown]
	s_clause 0x3
	global_load_u16 v5, v[42:43], off
	global_load_u16 v44, v[44:45], off
	;; [unrolled: 1-line block ×4, first 2 shown]
	v_cmp_eq_u32_e32 vcc_lo, 0, v4
	s_or_b32 s21, vcc_lo, s21
	s_wait_loadcnt 0x2
	v_perm_b32 v43, v44, v5, 0x5040100
	s_wait_loadcnt 0x1
	v_alignbit_b32 v42, v42, v41, 16
	s_wait_loadcnt 0x0
	v_perm_b32 v41, v16, v44, 0x5040100
	ds_store_b64 v3, v[42:43]
	v_add_nc_u32_e32 v3, 8, v3
	s_and_not1_b32 exec_lo, exec_lo, s21
	s_cbranch_execnz .LBB111_36
; %bb.37:                               ;   in Loop: Header=BB111_6 Depth=1
	s_or_b32 exec_lo, exec_lo, s21
.LBB111_38:                             ;   in Loop: Header=BB111_6 Depth=1
	s_delay_alu instid0(SALU_CYCLE_1) | instskip(SKIP_2) | instid1(VALU_DEP_1)
	s_or_b32 exec_lo, exec_lo, s20
	v_dual_mov_b32 v3, v25 :: v_dual_add_nc_u32 v2, v2, v19
	s_or_not1_b32 s20, s10, exec_lo
	v_add_nc_u32_e32 v4, -1, v2
.LBB111_39:                             ;   in Loop: Header=BB111_6 Depth=1
	s_or_b32 exec_lo, exec_lo, s14
	v_mov_b32_e32 v5, s18
	s_and_b32 s14, s20, exec_lo
	s_and_not1_saveexec_b32 s19, s19
	s_cbranch_execz .LBB111_25
.LBB111_40:                             ;   in Loop: Header=BB111_6 Depth=1
	v_dual_mov_b32 v5, s18 :: v_dual_mov_b32 v3, v0
	s_or_b32 s14, s14, exec_lo
	s_or_b32 exec_lo, exec_lo, s19
	s_and_saveexec_b32 s18, s14
	s_cbranch_execz .LBB111_44
.LBB111_41:                             ;   in Loop: Header=BB111_6 Depth=1
	v_mul_lo_u32 v4, s62, v2
	s_mov_b32 s19, 0
	s_sub_co_i32 s14, 0, s17
.LBB111_42:                             ;   Parent Loop BB111_6 Depth=1
                                        ; =>  This Inner Loop Header: Depth=2
	v_readfirstlane_b32 s20, v12
	v_readfirstlane_b32 s21, v13
	s_wait_loadcnt 0x0
	v_dual_mov_b32 v6, v16 :: v_dual_mov_b32 v7, v2
	v_lshlrev_b32_e32 v8, 1, v3
	global_load_u16 v16, v4, s[20:21] scale_offset
	s_wait_xcnt 0x0
	v_dual_add_nc_u32 v4, v4, v5 :: v_dual_add_nc_u32 v2, s17, v7
	v_mov_b32_e32 v3, v7
	ds_store_b16 v8, v6
	v_cmp_le_u32_e32 vcc_lo, s36, v2
	s_or_b32 s19, vcc_lo, s19
	s_delay_alu instid0(SALU_CYCLE_1)
	s_and_not1_b32 exec_lo, exec_lo, s19
	s_cbranch_execnz .LBB111_42
; %bb.43:                               ;   in Loop: Header=BB111_6 Depth=1
	s_or_b32 exec_lo, exec_lo, s19
	v_add_nc_u32_e32 v4, s14, v2
.LBB111_44:                             ;   in Loop: Header=BB111_6 Depth=1
	s_or_b32 exec_lo, exec_lo, s18
.LBB111_45:                             ;   in Loop: Header=BB111_6 Depth=1
	s_delay_alu instid0(SALU_CYCLE_1) | instskip(NEXT) | instid1(VALU_DEP_1)
	s_or_b32 exec_lo, exec_lo, s16
	v_lshlrev_b32_e32 v2, 1, v4
	s_wait_loadcnt 0x0
	ds_store_b16 v2, v16
.LBB111_46:                             ;   in Loop: Header=BB111_6 Depth=1
	s_or_b32 exec_lo, exec_lo, s15
	s_wait_dscnt 0x0
	s_barrier_signal -1
	s_barrier_wait -1
	s_and_saveexec_b32 s14, s5
; %bb.47:                               ;   in Loop: Header=BB111_6 Depth=1
	v_mov_b32_e32 v2, s36
	ds_store_b32 v17, v2 offset:4096
; %bb.48:                               ;   in Loop: Header=BB111_6 Depth=1
	s_or_b32 exec_lo, exec_lo, s14
	s_mov_b32 s14, -1
	s_wait_dscnt 0x0
	s_barrier_signal -1
	s_barrier_wait -1
.LBB111_49:                             ;   in Loop: Header=BB111_6 Depth=1
	s_and_b32 vcc_lo, exec_lo, s14
	s_mov_b32 s38, 0
	s_cbranch_vccz .LBB111_51
; %bb.50:                               ;   in Loop: Header=BB111_6 Depth=1
	ds_load_b32 v2, v17 offset:4096
	s_wait_dscnt 0x0
	v_readfirstlane_b32 s38, v2
.LBB111_51:                             ;   in Loop: Header=BB111_6 Depth=1
	s_delay_alu instid0(VALU_DEP_1)
	s_cmp_lt_i32 s38, 1
	s_mov_b32 s14, -1
                                        ; implicit-def: $vgpr4_vgpr5
	s_cbranch_scc1 .LBB111_64
; %bb.52:                               ;   in Loop: Header=BB111_6 Depth=1
	s_and_b32 vcc_lo, exec_lo, s14
	s_cbranch_vccnz .LBB111_75
.LBB111_53:                             ;   in Loop: Header=BB111_6 Depth=1
	s_lshl_b32 s16, s91, 7
	s_and_saveexec_b32 s14, s2
.LBB111_54:                             ;   in Loop: Header=BB111_6 Depth=1
	v_lshl_add_u32 v6, s16, 2, v24
	ds_store_b128 v6, v[2:5]
.LBB111_55:                             ;   in Loop: Header=BB111_6 Depth=1
	s_or_b32 exec_lo, exec_lo, s14
	s_wait_dscnt 0x0
	s_barrier_signal -1
	s_barrier_wait -1
	s_and_saveexec_b32 s17, s66
	s_cbranch_execz .LBB111_88
; %bb.56:                               ;   in Loop: Header=BB111_6 Depth=1
	v_dual_add_nc_u32 v4, s16, v11 :: v_dual_mov_b32 v2, 0
	s_and_not1_b32 vcc_lo, exec_lo, s69
	s_cbranch_vccnz .LBB111_87
; %bb.57:                               ;   in Loop: Header=BB111_6 Depth=1
	s_and_not1_b32 vcc_lo, exec_lo, s72
	s_cbranch_vccnz .LBB111_84
; %bb.58:                               ;   in Loop: Header=BB111_6 Depth=1
	v_lshl_add_u32 v5, v4, 2, 0xc00
	s_and_not1_b32 vcc_lo, exec_lo, s75
	s_cbranch_vccnz .LBB111_112
; %bb.59:                               ;   in Loop: Header=BB111_6 Depth=1
	v_dual_mov_b32 v2, 0 :: v_dual_mov_b32 v3, 0
	s_mov_b32 s15, 1
	s_mov_b32 s14, 0
	;; [unrolled: 1-line block ×3, first 2 shown]
.LBB111_60:                             ;   Parent Loop BB111_6 Depth=1
                                        ; =>  This Inner Loop Header: Depth=2
	v_lshl_add_u32 v16, s15, 4, v5
	v_lshl_add_u32 v41, s14, 4, v5
	s_add_co_i32 s18, s18, -8
	s_add_co_i32 s15, s15, 16
	s_add_co_i32 s14, s14, 16
	ds_load_2addr_b32 v[6:7], v16 offset1:8
	ds_load_2addr_b32 v[8:9], v41 offset1:8
	ds_load_2addr_b32 v[42:43], v16 offset0:16 offset1:24
	ds_load_2addr_b32 v[44:45], v41 offset0:16 offset1:24
	;; [unrolled: 1-line block ×6, first 2 shown]
	s_cmp_lg_u32 s18, 0
	s_wait_dscnt 0x7
	v_add3_u32 v3, v6, v3, v7
	s_wait_dscnt 0x6
	v_add3_u32 v2, v8, v2, v9
	s_wait_dscnt 0x5
	s_delay_alu instid0(VALU_DEP_2) | instskip(SKIP_1) | instid1(VALU_DEP_2)
	v_add3_u32 v3, v42, v3, v43
	s_wait_dscnt 0x4
	v_add3_u32 v2, v44, v2, v45
	s_wait_dscnt 0x3
	s_delay_alu instid0(VALU_DEP_2) | instskip(SKIP_1) | instid1(VALU_DEP_2)
	;; [unrolled: 5-line block ×3, first 2 shown]
	v_add3_u32 v3, v50, v3, v51
	s_wait_dscnt 0x0
	v_add3_u32 v2, v52, v2, v53
	s_cbranch_scc1 .LBB111_60
; %bb.61:                               ;   in Loop: Header=BB111_6 Depth=1
	s_and_not1_b32 vcc_lo, exec_lo, s77
	s_mov_b32 s18, s74
	s_cbranch_vccnz .LBB111_63
.LBB111_62:                             ;   Parent Loop BB111_6 Depth=1
                                        ; =>  This Inner Loop Header: Depth=2
	v_lshl_add_u32 v6, s15, 4, v5
	v_lshl_add_u32 v7, s14, 4, v5
	s_add_co_i32 s18, s18, -1
	s_add_co_i32 s15, s15, 2
	s_add_co_i32 s14, s14, 2
	ds_load_b32 v6, v6
	ds_load_b32 v7, v7
	s_cmp_lg_u32 s18, 0
	s_wait_dscnt 0x0
	v_dual_add_nc_u32 v3, v6, v3 :: v_dual_add_nc_u32 v2, v7, v2
	s_cbranch_scc1 .LBB111_62
.LBB111_63:                             ;   in Loop: Header=BB111_6 Depth=1
	s_delay_alu instid0(VALU_DEP_1) | instskip(SKIP_2) | instid1(SALU_CYCLE_1)
	v_add_nc_u32_e32 v2, v2, v3
	s_mov_b32 s14, s73
	s_mov_b32 s15, s78
	s_and_b32 vcc_lo, exec_lo, s15
	s_cbranch_vccnz .LBB111_85
	s_branch .LBB111_87
.LBB111_64:                             ;   in Loop: Header=BB111_6 Depth=1
	v_mov_b64_e32 v[4:5], 0
	v_mov_b64_e32 v[2:3], 0
	s_and_saveexec_b32 s101, s11
	s_cbranch_execz .LBB111_68
; %bb.65:                               ;   in Loop: Header=BB111_6 Depth=1
	v_mov_b32_e32 v6, v1
	s_mov_b32 s102, 0
	s_mov_b32 s103, 0
	;; [unrolled: 1-line block ×6, first 2 shown]
.LBB111_66:                             ;   Parent Loop BB111_6 Depth=1
                                        ; =>  This Inner Loop Header: Depth=2
	v_dual_add_nc_u32 v2, s103, v33 :: v_dual_add_nc_u32 v3, s103, v30
	v_readfirstlane_b32 s14, v12
	v_readfirstlane_b32 s15, v13
	v_dual_add_nc_u32 v4, s103, v31 :: v_dual_add_nc_u32 v5, s103, v32
	s_clause 0x3
	global_load_u16 v2, v2, s[14:15] scale_offset
	global_load_u16 v3, v3, s[14:15] scale_offset
	;; [unrolled: 1-line block ×4, first 2 shown]
	v_add_nc_u32_e32 v6, s67, v6
	s_add_co_i32 s103, s103, s84
	s_wait_loadcnt 0x3
	s_wait_xcnt 0x0
	v_cmp_lt_i16_e64 s14, -1, v2
	v_and_b32_e32 v7, 0xffff, v2
	v_lshlrev_b32_e32 v2, 16, v2
	s_wait_loadcnt 0x2
	v_and_b32_e32 v9, 0xffff, v3
	s_wait_loadcnt 0x1
	v_and_b32_e32 v41, 0xffff, v4
	v_cndmask_b32_e64 v8, 0xffff, v37, s14
	v_cmp_lt_i16_e64 s14, -1, v3
	v_lshlrev_b32_e32 v3, 16, v3
	s_wait_loadcnt 0x0
	v_and_b32_e32 v43, 0xffff, v5
	v_cmp_le_u32_e32 vcc_lo, s82, v6
	v_xor_b32_e32 v7, v8, v7
	v_cndmask_b32_e64 v16, 0xffff, v37, s14
	v_cmp_lt_i16_e64 s14, -1, v4
	v_lshlrev_b32_e32 v4, 16, v4
	v_cmp_o_f32_e64 s17, v2, v2
	s_delay_alu instid0(VALU_DEP_4) | instskip(NEXT) | instid1(VALU_DEP_4)
	v_xor_b32_e32 v8, v16, v9
	v_cndmask_b32_e64 v42, 0xffff, v37, s14
	v_cmp_lt_i16_e64 s14, -1, v5
	v_lshlrev_b32_e32 v5, 16, v5
	v_cmp_o_f32_e64 s15, v4, v4
	v_cndmask_b32_e64 v2, 0xffff, v7, s17
	s_delay_alu instid0(VALU_DEP_4)
	v_cndmask_b32_e64 v44, 0xffff, v37, s14
	v_cmp_o_f32_e64 s14, v3, v3
	v_xor_b32_e32 v3, v42, v41
	v_cmp_o_f32_e64 s16, v5, v5
	v_and_b32_e32 v7, v2, v38
	v_xor_b32_e32 v4, v44, v43
	v_cndmask_b32_e64 v5, 0xffff, v8, s14
	v_cndmask_b32_e64 v3, 0xffff, v3, s15
	v_bfe_u32 v2, v2, s87, 2
	v_cmp_eq_u32_e64 s14, v7, v28
	v_cndmask_b32_e64 v4, 0xffff, v4, s16
	v_and_b32_e32 v8, v5, v38
	v_bfe_u32 v5, v5, s87, 2
	v_and_b32_e32 v9, v3, v38
	v_bfe_u32 v3, v3, s87, 2
	v_cmp_eq_u32_e64 s18, 0, v2
	v_and_b32_e32 v16, v4, v38
	v_bfe_u32 v4, v4, s87, 2
	v_cmp_eq_u32_e64 s15, v8, v28
	v_cmp_eq_u32_e64 s19, 0, v5
	;; [unrolled: 1-line block ×4, first 2 shown]
	s_and_b32 s18, s14, s18
	v_cmp_eq_u32_e64 s17, v16, v28
	v_cmp_eq_u32_e64 s21, 0, v4
	;; [unrolled: 1-line block ×5, first 2 shown]
	v_cndmask_b32_e64 v2, 0, 1, s18
	s_and_b32 s18, s15, s19
	v_cmp_eq_u32_e64 s24, 1, v3
	v_cmp_eq_u32_e64 s28, 2, v3
	;; [unrolled: 1-line block ×3, first 2 shown]
	v_cndmask_b32_e64 v3, 0, 1, s18
	s_and_b32 s18, s16, s20
	v_cmp_eq_u32_e64 s23, 1, v5
	v_cmp_eq_u32_e64 s25, 1, v4
	;; [unrolled: 1-line block ×4, first 2 shown]
	v_cndmask_b32_e64 v4, 0, 1, s18
	s_and_b32 s18, s17, s21
	v_cmp_eq_u32_e64 s27, 2, v5
	v_cmp_eq_u32_e64 s31, 3, v5
	v_cndmask_b32_e64 v5, 0, 1, s18
	s_and_b32 s18, s14, s22
	s_delay_alu instid0(SALU_CYCLE_1) | instskip(SKIP_1) | instid1(SALU_CYCLE_1)
	v_cndmask_b32_e64 v7, 0, 1, s18
	s_and_b32 s18, s15, s23
	v_cndmask_b32_e64 v8, 0, 1, s18
	s_and_b32 s18, s16, s24
	s_delay_alu instid0(SALU_CYCLE_1) | instskip(SKIP_1) | instid1(VALU_DEP_2)
	v_cndmask_b32_e64 v9, 0, 1, s18
	s_and_b32 s18, s17, s25
	v_cmp_ne_u32_e64 s19, 0, v8
	v_cndmask_b32_e64 v16, 0, 1, s18
	s_and_b32 s18, s14, s26
	s_and_b32 s14, s14, s30
	v_cndmask_b32_e64 v41, 0, 1, s18
	s_and_b32 s18, s15, s27
	v_cndmask_b32_e64 v45, 0, 1, s14
	;; [unrolled: 2-line block ×7, first 2 shown]
	v_cndmask_b32_e64 v48, 0, 1, s14
	v_cmp_ne_u32_e64 s14, 0, v2
	v_cmp_ne_u32_e64 s18, 0, v7
	;; [unrolled: 1-line block ×11, first 2 shown]
	s_bcnt1_i32_b32 s14, s14
	s_bcnt1_i32_b32 s18, s18
	;; [unrolled: 1-line block ×4, first 2 shown]
	v_cmp_ne_u32_e64 s17, 0, v5
	v_cmp_ne_u32_e64 s21, 0, v16
	;; [unrolled: 1-line block ×4, first 2 shown]
	s_bcnt1_i32_b32 s15, s15
	s_bcnt1_i32_b32 s19, s19
	s_bcnt1_i32_b32 s23, s23
	s_bcnt1_i32_b32 s27, s27
	s_add_co_i32 s14, s14, s58
	s_add_co_i32 s18, s18, s59
	s_add_co_i32 s22, s22, s60
	s_add_co_i32 s26, s26, s61
	s_bcnt1_i32_b32 s16, s16
	s_bcnt1_i32_b32 s20, s20
	s_bcnt1_i32_b32 s24, s24
	s_bcnt1_i32_b32 s28, s28
	s_add_co_i32 s18, s18, s19
	s_add_co_i32 s14, s14, s15
	s_add_co_i32 s15, s26, s27
	s_add_co_i32 s19, s22, s23
	;; [unrolled: 8-line block ×3, first 2 shown]
	s_add_co_i32 s59, s16, s21
	s_add_co_i32 s58, s14, s17
	;; [unrolled: 1-line block ×4, first 2 shown]
	v_mov_b64_e32 v[2:3], s[58:59]
	v_mov_b64_e32 v[4:5], s[60:61]
	s_or_b32 s102, vcc_lo, s102
	s_delay_alu instid0(SALU_CYCLE_1)
	s_and_not1_b32 exec_lo, exec_lo, s102
	s_cbranch_execnz .LBB111_66
; %bb.67:                               ;   in Loop: Header=BB111_6 Depth=1
	s_or_b32 exec_lo, exec_lo, s102
.LBB111_68:                             ;   in Loop: Header=BB111_6 Depth=1
	s_delay_alu instid0(SALU_CYCLE_1)
	s_or_b32 exec_lo, exec_lo, s101
	s_and_saveexec_b32 s18, s12
	s_cbranch_execz .LBB111_74
; %bb.69:                               ;   in Loop: Header=BB111_6 Depth=1
	global_load_u16 v9, v[20:21], off
	v_dual_mov_b32 v6, v34 :: v_dual_mov_b32 v7, v26
	s_mov_b32 s19, 0
	s_branch .LBB111_71
.LBB111_70:                             ;   in Loop: Header=BB111_71 Depth=2
	s_wait_xcnt 0x0
	s_or_b32 exec_lo, exec_lo, s15
	s_wait_loadcnt 0x0
	v_cmp_lt_i16_e64 s14, -1, v9
	v_and_b32_e32 v16, 0xffff, v9
	s_and_b32 s15, exec_lo, vcc_lo
	s_delay_alu instid0(SALU_CYCLE_1) | instskip(SKIP_1) | instid1(VALU_DEP_1)
	s_or_b32 s19, s15, s19
	v_cndmask_b32_e64 v41, 0xffff, v37, s14
	v_dual_lshlrev_b32 v9, 16, v9 :: v_dual_bitop2_b32 v16, v41, v16 bitop3:0x14
	s_delay_alu instid0(VALU_DEP_1) | instskip(NEXT) | instid1(VALU_DEP_1)
	v_cmp_o_f32_e64 s14, v9, v9
	v_cndmask_b32_e64 v9, 0xffff, v16, s14
	s_delay_alu instid0(VALU_DEP_1) | instskip(SKIP_1) | instid1(VALU_DEP_2)
	v_and_b32_e32 v16, v9, v38
	v_bfe_u32 v9, v9, s87, 2
	v_cmp_eq_u32_e32 vcc_lo, v16, v28
	s_delay_alu instid0(VALU_DEP_2) | instskip(SKIP_4) | instid1(SALU_CYCLE_1)
	v_cmp_eq_u32_e64 s14, 0, v9
	v_cmp_eq_u32_e64 s15, 1, v9
	v_cmp_eq_u32_e64 s16, 2, v9
	v_cmp_eq_u32_e64 s17, 3, v9
	s_and_b32 s14, vcc_lo, s14
	v_cndmask_b32_e64 v9, 0, 1, s14
	s_and_b32 s14, vcc_lo, s15
	s_delay_alu instid0(SALU_CYCLE_1) | instskip(SKIP_1) | instid1(SALU_CYCLE_1)
	v_cndmask_b32_e64 v16, 0, 1, s14
	s_and_b32 s14, vcc_lo, s16
	v_cndmask_b32_e64 v41, 0, 1, s14
	s_and_b32 s14, vcc_lo, s17
	v_cmp_ne_u32_e32 vcc_lo, 0, v9
	v_cndmask_b32_e64 v42, 0, 1, s14
	v_cmp_ne_u32_e64 s14, 0, v16
	v_cmp_ne_u32_e64 s15, 0, v41
	v_mov_b32_e32 v9, v8
	s_bcnt1_i32_b32 s17, vcc_lo
	v_cmp_ne_u32_e64 s16, 0, v42
	s_bcnt1_i32_b32 s14, s14
	s_bcnt1_i32_b32 s15, s15
	v_dual_add_nc_u32 v3, s14, v3 :: v_dual_add_nc_u32 v2, s17, v2
	v_add_nc_u32_e32 v4, s15, v4
	s_bcnt1_i32_b32 s16, s16
	s_delay_alu instid0(SALU_CYCLE_1)
	v_dual_add_nc_u32 v6, s50, v6 :: v_dual_add_nc_u32 v5, s16, v5
	s_and_not1_b32 exec_lo, exec_lo, s19
	s_cbranch_execz .LBB111_73
.LBB111_71:                             ;   Parent Loop BB111_6 Depth=1
                                        ; =>  This Inner Loop Header: Depth=2
	s_delay_alu instid0(VALU_DEP_1) | instskip(SKIP_1) | instid1(VALU_DEP_1)
	v_dual_mov_b32 v8, 0 :: v_dual_add_nc_u32 v7, s41, v7
	s_mov_b32 s15, exec_lo
	v_cmp_le_u32_e32 vcc_lo, s36, v7
	s_wait_xcnt 0x0
	v_cmpx_gt_u32_e64 s36, v7
	s_cbranch_execz .LBB111_70
; %bb.72:                               ;   in Loop: Header=BB111_71 Depth=2
	v_readfirstlane_b32 s16, v12
	v_readfirstlane_b32 s17, v13
	global_load_u16 v8, v6, s[16:17] scale_offset
	s_branch .LBB111_70
.LBB111_73:                             ;   in Loop: Header=BB111_6 Depth=1
	s_or_b32 exec_lo, exec_lo, s19
.LBB111_74:                             ;   in Loop: Header=BB111_6 Depth=1
	s_delay_alu instid0(SALU_CYCLE_1)
	s_or_b32 exec_lo, exec_lo, s18
	s_branch .LBB111_53
.LBB111_75:                             ;   in Loop: Header=BB111_6 Depth=1
	s_mul_u64 s[14:15], s[38:39], s[52:53]
	v_mov_b64_e32 v[4:5], 0
	s_mul_i32 s14, s15, s67
	v_mov_b64_e32 v[2:3], 0
	s_sub_co_i32 s14, s38, s14
	s_mov_b32 s34, exec_lo
	s_sub_co_i32 s15, s14, s67
	s_cmp_ge_u32 s14, s67
	s_cselect_b32 s14, s15, s14
	s_delay_alu instid0(SALU_CYCLE_1) | instskip(SKIP_2) | instid1(SALU_CYCLE_1)
	s_sub_co_i32 s15, s14, s67
	s_cmp_ge_u32 s14, s67
	s_cselect_b32 s14, s15, s14
	s_sub_co_i32 s33, s38, s14
	s_delay_alu instid0(SALU_CYCLE_1)
	v_cmpx_gt_u32_e64 s33, v1
	s_cbranch_execz .LBB111_79
; %bb.76:                               ;   in Loop: Header=BB111_6 Depth=1
	v_dual_mov_b32 v6, v35 :: v_dual_mov_b32 v7, v1
	s_mov_b32 s58, 0
	s_mov_b32 s28, 0
	;; [unrolled: 1-line block ×5, first 2 shown]
.LBB111_77:                             ;   Parent Loop BB111_6 Depth=1
                                        ; =>  This Inner Loop Header: Depth=2
	ds_load_b64 v[2:3], v6
	v_dual_add_nc_u32 v7, s67, v7 :: v_dual_add_nc_u32 v6, s85, v6
	s_delay_alu instid0(VALU_DEP_1) | instskip(SKIP_4) | instid1(VALU_DEP_3)
	v_cmp_le_u32_e32 vcc_lo, s33, v7
	s_wait_dscnt 0x0
	v_cmp_lt_i16_e64 s14, -1, v2
	v_dual_lshrrev_b32 v4, 16, v2 :: v_dual_lshrrev_b32 v5, 16, v3
	v_dual_lshlrev_b32 v9, 16, v2 :: v_dual_lshlrev_b32 v42, 16, v3
	v_cndmask_b32_e64 v8, 0xffff, v37, s14
	v_cmp_lt_i16_e64 s14, -1, v3
	s_delay_alu instid0(VALU_DEP_4)
	v_cmp_lt_i16_e64 s15, -1, v5
	v_and_b32_e32 v16, 0xffff0000, v2
	v_and_b32_e32 v43, 0xffff0000, v3
	v_bitop3_b32 v2, v8, v2, 0xffff bitop3:0x78
	v_cndmask_b32_e64 v41, 0xffff, v37, s14
	v_cmp_lt_i16_e64 s14, -1, v4
	s_delay_alu instid0(VALU_DEP_2) | instskip(SKIP_2) | instid1(VALU_DEP_4)
	v_bitop3_b32 v3, v41, v3, 0xffff bitop3:0x78
	v_cndmask_b32_e64 v41, 0xffff, v37, s15
	v_cmp_o_f32_e64 s15, v9, v9
	v_cndmask_b32_e64 v8, 0xffff, v37, s14
	v_cmp_o_f32_e64 s14, v42, v42
	s_delay_alu instid0(VALU_DEP_4) | instskip(NEXT) | instid1(VALU_DEP_4)
	v_xor_b32_e32 v5, v41, v5
	v_cndmask_b32_e64 v2, 0xffff, v2, s15
	s_delay_alu instid0(VALU_DEP_4) | instskip(NEXT) | instid1(VALU_DEP_4)
	v_xor_b32_e32 v4, v8, v4
	v_cndmask_b32_e64 v3, 0xffff, v3, s14
	v_cmp_o_f32_e64 s15, v16, v16
	v_cmp_o_f32_e64 s14, v43, v43
	v_and_b32_e32 v8, v2, v38
	v_bfe_u32 v2, v2, s87, 2
	v_and_b32_e32 v9, v3, v38
	v_cndmask_b32_e64 v4, 0xffff, v4, s15
	v_bfe_u32 v3, v3, s87, 2
	v_cndmask_b32_e64 v5, 0xffff, v5, s14
	v_cmp_eq_u32_e64 s14, v8, v28
	v_cmp_eq_u32_e64 s16, 0, v2
	;; [unrolled: 1-line block ×4, first 2 shown]
	v_and_b32_e32 v8, v4, v38
	v_cmp_eq_u32_e64 s15, v9, v28
	v_cmp_eq_u32_e64 s17, 0, v3
	;; [unrolled: 1-line block ×4, first 2 shown]
	v_and_b32_e32 v9, v5, v38
	v_bfe_u32 v4, v4, s87, 2
	v_bfe_u32 v5, v5, s87, 2
	v_cmp_eq_u32_e64 s22, 3, v2
	s_and_b32 s16, s14, s16
	s_and_b32 s18, s14, s18
	;; [unrolled: 1-line block ×3, first 2 shown]
	v_cmp_eq_u32_e64 s24, v8, v28
	v_cndmask_b32_e64 v2, 0, 1, s16
	s_and_b32 s16, s15, s17
	v_cndmask_b32_e64 v8, 0, 1, s18
	s_and_b32 s18, s15, s19
	;; [unrolled: 2-line block ×3, first 2 shown]
	v_cmp_eq_u32_e64 s23, 3, v3
	v_cmp_eq_u32_e64 s25, v9, v28
	;; [unrolled: 1-line block ×4, first 2 shown]
	v_cndmask_b32_e64 v3, 0, 1, s16
	v_cmp_eq_u32_e64 s16, 1, v4
	v_cmp_eq_u32_e64 s17, 1, v5
	v_cndmask_b32_e64 v9, 0, 1, s18
	v_cmp_eq_u32_e64 s18, 2, v4
	v_cmp_eq_u32_e64 s19, 2, v5
	v_cndmask_b32_e64 v41, 0, 1, s20
	v_cmp_eq_u32_e64 s20, 3, v4
	s_and_b32 s14, s14, s22
	v_cmp_eq_u32_e64 s21, 3, v5
	v_cndmask_b32_e64 v4, 0, 1, s14
	s_and_b32 s14, s15, s23
	s_and_b32 s15, s24, s26
	;; [unrolled: 1-line block ×8, first 2 shown]
	v_cndmask_b32_e64 v5, 0, 1, s14
	v_cmp_ne_u32_e64 s14, 0, v2
	v_cndmask_b32_e64 v2, 0, 1, s15
	v_cmp_ne_u32_e64 s15, 0, v3
	;; [unrolled: 2-line block ×7, first 2 shown]
	v_cndmask_b32_e64 v4, 0, 1, s20
	s_and_b32 s21, s25, s21
	v_cmp_ne_u32_e64 s20, 0, v5
	v_cndmask_b32_e64 v5, 0, 1, s21
	s_bcnt1_i32_b32 s23, s14
	v_cmp_ne_u32_e64 s14, 0, v2
	v_cmp_ne_u32_e64 s21, 0, v8
	s_bcnt1_i32_b32 s26, s17
	v_cmp_ne_u32_e64 s17, 0, v16
	s_bcnt1_i32_b32 s44, s19
	;; [unrolled: 2-line block ×3, first 2 shown]
	s_bcnt1_i32_b32 s24, s15
	v_cmp_ne_u32_e64 s15, 0, v3
	s_bcnt1_i32_b32 s25, s16
	v_cmp_ne_u32_e64 s16, 0, v9
	;; [unrolled: 2-line block ×4, first 2 shown]
	s_add_co_i32 s23, s23, s28
	s_add_co_i32 s22, s22, s29
	;; [unrolled: 1-line block ×4, first 2 shown]
	s_bcnt1_i32_b32 s14, s14
	s_bcnt1_i32_b32 s21, s21
	;; [unrolled: 1-line block ×4, first 2 shown]
	s_add_co_i32 s21, s22, s21
	s_add_co_i32 s14, s23, s14
	s_add_co_i32 s19, s28, s19
	s_add_co_i32 s17, s26, s17
	s_bcnt1_i32_b32 s15, s15
	s_bcnt1_i32_b32 s16, s16
	;; [unrolled: 1-line block ×4, first 2 shown]
	s_add_co_i32 s14, s14, s24
	s_add_co_i32 s21, s21, s25
	;; [unrolled: 1-line block ×8, first 2 shown]
	v_mov_b64_e32 v[2:3], s[28:29]
	v_mov_b64_e32 v[4:5], s[30:31]
	s_or_b32 s58, vcc_lo, s58
	s_delay_alu instid0(SALU_CYCLE_1)
	s_and_not1_b32 exec_lo, exec_lo, s58
	s_cbranch_execnz .LBB111_77
; %bb.78:                               ;   in Loop: Header=BB111_6 Depth=1
	s_or_b32 exec_lo, exec_lo, s58
.LBB111_79:                             ;   in Loop: Header=BB111_6 Depth=1
	s_delay_alu instid0(SALU_CYCLE_1) | instskip(SKIP_2) | instid1(VALU_DEP_1)
	s_or_b32 exec_lo, exec_lo, s34
	v_add_nc_u32_e32 v6, s33, v0
	s_mov_b32 s19, exec_lo
	v_cmpx_gt_u32_e64 s38, v6
	s_cbranch_execz .LBB111_83
; %bb.80:                               ;   in Loop: Header=BB111_6 Depth=1
	v_lshlrev_b32_e32 v7, 1, v6
	s_mov_b32 s20, 0
.LBB111_81:                             ;   Parent Loop BB111_6 Depth=1
                                        ; =>  This Inner Loop Header: Depth=2
	ds_load_u16 v8, v7
	v_dual_add_nc_u32 v6, s41, v6 :: v_dual_add_nc_u32 v7, s86, v7
	s_delay_alu instid0(VALU_DEP_1) | instskip(SKIP_3) | instid1(VALU_DEP_2)
	v_cmp_le_u32_e32 vcc_lo, s38, v6
	s_wait_dscnt 0x0
	v_cmp_lt_i16_e64 s14, -1, v8
	v_and_b32_e32 v9, 0xffff, v8
	v_cndmask_b32_e64 v16, 0xffff, v37, s14
	s_delay_alu instid0(VALU_DEP_1) | instskip(NEXT) | instid1(VALU_DEP_1)
	v_dual_lshlrev_b32 v8, 16, v8 :: v_dual_bitop2_b32 v9, v16, v9 bitop3:0x14
	v_cmp_o_f32_e64 s14, v8, v8
	s_delay_alu instid0(VALU_DEP_1) | instskip(NEXT) | instid1(VALU_DEP_1)
	v_cndmask_b32_e64 v8, 0xffff, v9, s14
	v_and_b32_e32 v9, v8, v38
	v_bfe_u32 v8, v8, s87, 2
	s_delay_alu instid0(VALU_DEP_2) | instskip(NEXT) | instid1(VALU_DEP_2)
	v_cmp_eq_u32_e64 s14, v9, v28
	v_cmp_eq_u32_e64 s15, 0, v8
	;; [unrolled: 1-line block ×5, first 2 shown]
	s_and_b32 s15, s14, s15
	s_delay_alu instid0(SALU_CYCLE_1) | instskip(SKIP_1) | instid1(SALU_CYCLE_1)
	v_cndmask_b32_e64 v8, 0, 1, s15
	s_and_b32 s15, s14, s16
	v_cndmask_b32_e64 v9, 0, 1, s15
	s_and_b32 s15, s14, s17
	s_and_b32 s14, s14, s18
	v_cndmask_b32_e64 v16, 0, 1, s15
	v_cndmask_b32_e64 v41, 0, 1, s14
	v_cmp_ne_u32_e64 s14, 0, v8
	v_cmp_ne_u32_e64 s15, 0, v9
	s_delay_alu instid0(VALU_DEP_4) | instskip(NEXT) | instid1(VALU_DEP_4)
	v_cmp_ne_u32_e64 s16, 0, v16
	v_cmp_ne_u32_e64 s17, 0, v41
	s_bcnt1_i32_b32 s14, s14
	s_bcnt1_i32_b32 s15, s15
	;; [unrolled: 1-line block ×4, first 2 shown]
	v_dual_add_nc_u32 v3, s15, v3 :: v_dual_add_nc_u32 v2, s14, v2
	v_dual_add_nc_u32 v5, s17, v5 :: v_dual_add_nc_u32 v4, s16, v4
	s_or_b32 s20, vcc_lo, s20
	s_delay_alu instid0(SALU_CYCLE_1)
	s_and_not1_b32 exec_lo, exec_lo, s20
	s_cbranch_execnz .LBB111_81
; %bb.82:                               ;   in Loop: Header=BB111_6 Depth=1
	s_or_b32 exec_lo, exec_lo, s20
.LBB111_83:                             ;   in Loop: Header=BB111_6 Depth=1
	s_delay_alu instid0(SALU_CYCLE_1)
	s_or_b32 exec_lo, exec_lo, s19
	s_lshl_b32 s16, s91, 7
	s_and_saveexec_b32 s14, s2
	s_cbranch_execnz .LBB111_54
	s_branch .LBB111_55
.LBB111_84:                             ;   in Loop: Header=BB111_6 Depth=1
	v_mov_b32_e32 v2, 0
	s_mov_b32 s14, 0
	s_cbranch_execz .LBB111_87
.LBB111_85:                             ;   in Loop: Header=BB111_6 Depth=1
	s_lshl_b32 s15, s91, 9
	s_lshl_b32 s18, s14, 4
	s_sub_co_i32 s14, s71, s14
	v_add3_u32 v3, s15, s18, v36
.LBB111_86:                             ;   Parent Loop BB111_6 Depth=1
                                        ; =>  This Inner Loop Header: Depth=2
	ds_load_b32 v5, v3
	v_add_nc_u32_e32 v3, 16, v3
	s_add_co_i32 s14, s14, -1
	s_delay_alu instid0(SALU_CYCLE_1)
	s_cmp_eq_u32 s14, 0
	s_wait_dscnt 0x0
	v_add_nc_u32_e32 v2, v5, v2
	s_cbranch_scc0 .LBB111_86
.LBB111_87:                             ;   in Loop: Header=BB111_6 Depth=1
	s_delay_alu instid0(VALU_DEP_1)
	v_lshlrev_b32_e32 v3, 2, v4
	ds_store_b32 v3, v2 offset:3072
.LBB111_88:                             ;   in Loop: Header=BB111_6 Depth=1
	s_or_b32 exec_lo, exec_lo, s17
	s_lshl_b32 s14, s16, 2
	s_wait_dscnt 0x0
	v_mov_b32_e32 v2, s14
	s_barrier_signal -1
	s_barrier_wait -1
	v_cmp_eq_u32_e64 s14, 1, v40
	ds_load_b128 v[2:5], v2 offset:3072
	s_lshl_b32 s18, 3, s87
	s_mov_b32 s26, -1
	s_not_b32 s19, s18
	s_mov_b32 s16, 0
	s_and_not1_b32 vcc_lo, exec_lo, s65
	s_mov_b32 s23, 0
	s_mov_b32 s15, 0
                                        ; implicit-def: $sgpr24
                                        ; implicit-def: $sgpr25
                                        ; implicit-def: $vgpr6
	s_wait_dscnt 0x0
	v_readfirstlane_b32 s17, v2
	v_readfirstlane_b32 s20, v3
	;; [unrolled: 1-line block ×4, first 2 shown]
                                        ; implicit-def: $vgpr5
                                        ; implicit-def: $vgpr2
                                        ; implicit-def: $vgpr3
                                        ; implicit-def: $vgpr4
	s_cbranch_vccnz .LBB111_247
; %bb.89:                               ;   in Loop: Header=BB111_6 Depth=1
	s_cmp_eq_u32 s17, 1
	v_dual_mov_b32 v3, v28 :: v_dual_mov_b32 v4, v38
	v_mov_b32_e32 v6, v39
	s_cselect_b32 s15, -1, 0
	s_mov_b32 s29, -1
	s_and_b32 s28, s15, s14
                                        ; implicit-def: $sgpr25
                                        ; implicit-def: $sgpr24
	s_delay_alu instid0(SALU_CYCLE_1)
	s_and_saveexec_b32 s15, s28
	s_cbranch_execz .LBB111_116
; %bb.90:                               ;   in Loop: Header=BB111_6 Depth=1
	ds_load_b32 v2, v17 offset:4096
	s_wait_dscnt 0x0
	s_barrier_signal -1
	s_barrier_wait -1
	v_readfirstlane_b32 s26, v2
	s_and_saveexec_b32 s23, s6
; %bb.91:                               ;   in Loop: Header=BB111_6 Depth=1
	ds_store_b16 v23, v17
; %bb.92:                               ;   in Loop: Header=BB111_6 Depth=1
	s_or_b32 exec_lo, exec_lo, s23
	v_and_b32_e32 v3, s19, v28
	v_or_b32_e32 v4, s18, v38
	s_mov_b32 s24, -1
	s_mov_b32 s25, 0
	s_cmp_eq_u32 s26, 0
	s_mov_b32 s23, 0
	s_mov_b32 s27, -1
	s_wait_dscnt 0x0
	s_barrier_signal -1
	s_barrier_wait -1
                                        ; implicit-def: $vgpr6
	s_cbranch_scc1 .LBB111_103
; %bb.93:                               ;   in Loop: Header=BB111_6 Depth=1
	s_add_co_i32 s38, s26, s70
	s_mov_b32 s29, exec_lo
	s_mul_u64 s[30:31], s[38:39], s[54:55]
                                        ; implicit-def: $vgpr6
	s_delay_alu instid0(SALU_CYCLE_1) | instskip(NEXT) | instid1(SALU_CYCLE_1)
	s_mul_i32 s23, s31, s41
	s_sub_co_i32 s23, s38, s23
	s_delay_alu instid0(SALU_CYCLE_1) | instskip(SKIP_2) | instid1(SALU_CYCLE_1)
	s_sub_co_i32 s27, s23, s41
	s_cmp_ge_u32 s23, s41
	s_cselect_b32 s23, s27, s23
	s_sub_co_i32 s27, s23, s41
	s_cmp_ge_u32 s23, s41
	s_cselect_b32 s23, s27, s23
	s_mov_b32 s27, 0
	s_sub_co_i32 s30, s38, s23
	s_mov_b32 s23, 0
	v_cmpx_gt_u32_e64 s30, v0
	s_cbranch_execz .LBB111_102
; %bb.94:                               ;   in Loop: Header=BB111_6 Depth=1
	v_dual_mov_b32 v2, v22 :: v_dual_mov_b32 v5, v0
                                        ; implicit-def: $sgpr31
	s_branch .LBB111_97
.LBB111_95:                             ;   in Loop: Header=BB111_97 Depth=2
	s_or_b32 exec_lo, exec_lo, s33
	s_wait_dscnt 0x0
	s_barrier_signal -1
	s_barrier_wait -1
	ds_load_b32 v6, v17 offset:3072
	s_mov_b32 s33, -1
	s_mov_b32 s34, -1
	s_wait_dscnt 0x0
	s_barrier_signal -1
	s_barrier_wait -1
	v_and_b32_e32 v7, 0x7fff, v6
	s_delay_alu instid0(VALU_DEP_1)
	v_cmp_ne_u32_e32 vcc_lo, 0, v7
	s_cbranch_vccz .LBB111_100
.LBB111_96:                             ;   in Loop: Header=BB111_97 Depth=2
	s_and_b32 s33, exec_lo, s33
	s_delay_alu instid0(SALU_CYCLE_1) | instskip(SKIP_2) | instid1(SALU_CYCLE_1)
	s_or_b32 s23, s33, s23
	s_and_not1_b32 s31, s31, exec_lo
	s_and_b32 s33, s34, exec_lo
	s_or_b32 s31, s31, s33
	s_and_not1_b32 exec_lo, exec_lo, s23
	s_cbranch_execz .LBB111_101
.LBB111_97:                             ;   Parent Loop BB111_6 Depth=1
                                        ; =>  This Inner Loop Header: Depth=2
	s_mov_b32 s33, exec_lo
	s_delay_alu instid0(VALU_DEP_1)
	v_cmpx_gt_u32_e64 s26, v5
	s_cbranch_execz .LBB111_95
; %bb.98:                               ;   in Loop: Header=BB111_97 Depth=2
	ds_load_u16 v6, v2
	s_wait_dscnt 0x0
	v_cmp_lt_i16_e32 vcc_lo, -1, v6
	v_and_b32_e32 v7, 0xffff, v6
	v_dual_cndmask_b32 v8, 0xffff, v37 :: v_dual_lshlrev_b32 v9, 16, v6
	s_delay_alu instid0(VALU_DEP_1) | instskip(NEXT) | instid1(VALU_DEP_2)
	v_cmp_o_f32_e32 vcc_lo, v9, v9
	v_xor_b32_e32 v7, v8, v7
	s_delay_alu instid0(VALU_DEP_1) | instskip(NEXT) | instid1(VALU_DEP_1)
	v_cndmask_b32_e32 v7, 0xffff, v7, vcc_lo
	v_and_b32_e32 v7, v7, v4
	s_delay_alu instid0(VALU_DEP_1)
	v_cmp_eq_u32_e32 vcc_lo, v7, v3
	s_and_b32 exec_lo, exec_lo, vcc_lo
	s_cbranch_execz .LBB111_95
; %bb.99:                               ;   in Loop: Header=BB111_97 Depth=2
	v_perm_b32 v6, v6, s89, 0x5040100
	ds_store_b32 v17, v6 offset:3072
	s_branch .LBB111_95
.LBB111_100:                            ;   in Loop: Header=BB111_97 Depth=2
	v_dual_add_nc_u32 v5, s41, v5 :: v_dual_add_nc_u32 v2, s86, v2
	s_mov_b32 s34, 0
	s_delay_alu instid0(VALU_DEP_1)
	v_cmp_le_u32_e32 vcc_lo, s30, v5
	s_or_not1_b32 s33, vcc_lo, exec_lo
	s_branch .LBB111_96
.LBB111_101:                            ;   in Loop: Header=BB111_6 Depth=1
	s_or_b32 exec_lo, exec_lo, s23
	v_lshrrev_b32_e32 v6, 16, v6
	s_and_b32 s23, s31, exec_lo
.LBB111_102:                            ;   in Loop: Header=BB111_6 Depth=1
	s_or_b32 exec_lo, exec_lo, s29
.LBB111_103:                            ;   in Loop: Header=BB111_6 Depth=1
	s_delay_alu instid0(SALU_CYCLE_1)
	s_and_b32 vcc_lo, exec_lo, s27
	s_cbranch_vccz .LBB111_115
; %bb.104:                              ;   in Loop: Header=BB111_6 Depth=1
                                        ; implicit-def: $vgpr6
	s_and_saveexec_b32 s24, s13
	s_cbranch_execz .LBB111_114
; %bb.105:                              ;   in Loop: Header=BB111_6 Depth=1
	v_dual_mov_b32 v2, v18 :: v_dual_mov_b32 v5, v0
	s_mov_b32 s25, 0
                                        ; implicit-def: $sgpr26
	s_branch .LBB111_108
.LBB111_106:                            ;   in Loop: Header=BB111_108 Depth=2
	s_or_b32 exec_lo, exec_lo, s27
	s_wait_dscnt 0x0
	s_barrier_signal -1
	s_barrier_wait -1
	ds_load_b32 v6, v17 offset:3072
	s_mov_b32 s27, -1
	s_mov_b32 s29, -1
	s_wait_dscnt 0x0
	s_barrier_signal -1
	s_barrier_wait -1
	v_and_b32_e32 v7, 0x7fff, v6
	s_delay_alu instid0(VALU_DEP_1)
	v_cmp_ne_u32_e32 vcc_lo, 0, v7
	s_cbranch_vccz .LBB111_111
.LBB111_107:                            ;   in Loop: Header=BB111_108 Depth=2
	s_and_b32 s27, exec_lo, s27
	s_delay_alu instid0(SALU_CYCLE_1) | instskip(SKIP_2) | instid1(SALU_CYCLE_1)
	s_or_b32 s25, s27, s25
	s_and_not1_b32 s26, s26, exec_lo
	s_and_b32 s27, s29, exec_lo
	s_or_b32 s26, s26, s27
	s_and_not1_b32 exec_lo, exec_lo, s25
	s_cbranch_execz .LBB111_113
.LBB111_108:                            ;   Parent Loop BB111_6 Depth=1
                                        ; =>  This Inner Loop Header: Depth=2
	s_mov_b32 s27, exec_lo
	s_delay_alu instid0(VALU_DEP_1)
	v_cmpx_gt_u32_e64 s36, v5
	s_cbranch_execz .LBB111_106
; %bb.109:                              ;   in Loop: Header=BB111_108 Depth=2
	v_readfirstlane_b32 s30, v12
	v_readfirstlane_b32 s31, v13
	global_load_u16 v6, v2, s[30:31] scale_offset
	s_wait_loadcnt 0x0
	v_cmp_lt_i16_e32 vcc_lo, -1, v6
	v_and_b32_e32 v7, 0xffff, v6
	v_dual_cndmask_b32 v8, 0xffff, v37 :: v_dual_lshlrev_b32 v9, 16, v6
	s_delay_alu instid0(VALU_DEP_1) | instskip(NEXT) | instid1(VALU_DEP_2)
	v_cmp_o_f32_e32 vcc_lo, v9, v9
	v_xor_b32_e32 v7, v8, v7
	s_delay_alu instid0(VALU_DEP_1) | instskip(NEXT) | instid1(VALU_DEP_1)
	v_cndmask_b32_e32 v7, 0xffff, v7, vcc_lo
	v_and_b32_e32 v7, v7, v4
	s_delay_alu instid0(VALU_DEP_1)
	v_cmp_eq_u32_e32 vcc_lo, v7, v3
	s_and_b32 exec_lo, exec_lo, vcc_lo
	s_cbranch_execz .LBB111_106
; %bb.110:                              ;   in Loop: Header=BB111_108 Depth=2
	v_perm_b32 v6, v6, s89, 0x5040100
	ds_store_b32 v17, v6 offset:3072
	s_branch .LBB111_106
.LBB111_111:                            ;   in Loop: Header=BB111_108 Depth=2
	v_dual_add_nc_u32 v5, s41, v5 :: v_dual_add_nc_u32 v2, s50, v2
	s_mov_b32 s29, 0
	s_delay_alu instid0(VALU_DEP_1)
	v_cmp_le_u32_e32 vcc_lo, s83, v5
	s_or_not1_b32 s27, vcc_lo, exec_lo
	s_branch .LBB111_107
.LBB111_112:                            ;   in Loop: Header=BB111_6 Depth=1
	s_mov_b64 s[14:15], 0x100000000
	v_mov_b64_e32 v[2:3], 0
	s_and_not1_b32 vcc_lo, exec_lo, s77
	s_mov_b32 s18, s74
	s_cbranch_vccz .LBB111_62
	s_branch .LBB111_63
.LBB111_113:                            ;   in Loop: Header=BB111_6 Depth=1
	s_or_b32 exec_lo, exec_lo, s25
	v_lshrrev_b32_e32 v6, 16, v6
	s_and_not1_b32 s23, s23, exec_lo
	s_and_b32 s25, s26, exec_lo
	s_delay_alu instid0(SALU_CYCLE_1)
	s_or_b32 s23, s23, s25
.LBB111_114:                            ;   in Loop: Header=BB111_6 Depth=1
	s_or_b32 exec_lo, exec_lo, s24
	s_mov_b32 s24, 0
	s_mov_b32 s25, -1
.LBB111_115:                            ;   in Loop: Header=BB111_6 Depth=1
	s_or_not1_b32 s29, s23, exec_lo
.LBB111_116:                            ;   in Loop: Header=BB111_6 Depth=1
	s_or_b32 exec_lo, exec_lo, s15
	s_mov_b32 s26, 0
	s_mov_b32 s23, 0
	;; [unrolled: 1-line block ×3, first 2 shown]
                                        ; implicit-def: $vgpr5
                                        ; implicit-def: $vgpr2
	s_and_saveexec_b32 s27, s29
	s_cbranch_execz .LBB111_246
; %bb.117:                              ;   in Loop: Header=BB111_6 Depth=1
	v_dual_mov_b32 v5, 1 :: v_dual_mov_b32 v2, 1
	s_xor_b32 s23, s28, -1
	s_mov_b32 s30, 0
	s_and_saveexec_b32 s15, s23
	s_cbranch_execz .LBB111_126
; %bb.118:                              ;   in Loop: Header=BB111_6 Depth=1
	s_mov_b32 s23, exec_lo
	v_cmpx_ge_u32_e64 s17, v40
	s_xor_b32 s23, exec_lo, s23
	s_cbranch_execz .LBB111_123
; %bb.119:                              ;   in Loop: Header=BB111_6 Depth=1
	ds_load_b32 v2, v17 offset:4096
	v_and_b32_e32 v3, s19, v3
	v_or_b32_e32 v4, s18, v4
	s_wait_dscnt 0x0
	v_cmp_ne_u32_e32 vcc_lo, 0, v2
	s_cbranch_vccnz .LBB111_123
; %bb.120:                              ;   in Loop: Header=BB111_6 Depth=1
	s_and_saveexec_b32 s28, s5
; %bb.121:                              ;   in Loop: Header=BB111_6 Depth=1
	v_mov_b32_e32 v2, s17
	ds_store_b32 v17, v2 offset:4100
; %bb.122:                              ;   in Loop: Header=BB111_6 Depth=1
	s_or_b32 exec_lo, exec_lo, s28
	s_wait_dscnt 0x0
	s_barrier_signal -1
	s_barrier_wait -1
.LBB111_123:                            ;   in Loop: Header=BB111_6 Depth=1
	s_or_saveexec_b32 s23, s23
	v_dual_mov_b32 v2, 8 :: v_dual_mov_b32 v5, v40
	s_mov_b32 s28, 0
	s_xor_b32 exec_lo, exec_lo, s23
; %bb.124:                              ;   in Loop: Header=BB111_6 Depth=1
	v_subrev_nc_u32_e32 v5, s17, v40
	v_mov_b32_e32 v2, 0
	s_mov_b32 s28, exec_lo
; %bb.125:                              ;   in Loop: Header=BB111_6 Depth=1
	s_or_b32 exec_lo, exec_lo, s23
	s_delay_alu instid0(SALU_CYCLE_1)
	s_and_b32 s30, s28, exec_lo
.LBB111_126:                            ;   in Loop: Header=BB111_6 Depth=1
	s_or_b32 exec_lo, exec_lo, s15
	s_mov_b32 s29, -1
                                        ; implicit-def: $sgpr23
                                        ; implicit-def: $sgpr28
	s_and_saveexec_b32 s15, s30
	s_delay_alu instid0(SALU_CYCLE_1)
	s_xor_b32 s15, exec_lo, s15
	s_cbranch_execz .LBB111_243
; %bb.127:                              ;   in Loop: Header=BB111_6 Depth=1
	v_cmp_eq_u32_e32 vcc_lo, 1, v5
	s_cmp_eq_u32 s20, 1
	s_mov_b32 s31, -1
	s_cselect_b32 s23, -1, 0
                                        ; implicit-def: $sgpr28
	s_delay_alu instid0(SALU_CYCLE_1) | instskip(NEXT) | instid1(SALU_CYCLE_1)
	s_and_b32 s30, s23, vcc_lo
                                        ; implicit-def: $sgpr23
	s_and_saveexec_b32 s29, s30
	s_cbranch_execz .LBB111_153
; %bb.128:                              ;   in Loop: Header=BB111_6 Depth=1
	ds_load_b32 v6, v17 offset:4096
	s_wait_dscnt 0x0
	s_barrier_signal -1
	s_barrier_wait -1
	v_readfirstlane_b32 s33, v6
	s_and_saveexec_b32 s23, s6
; %bb.129:                              ;   in Loop: Header=BB111_6 Depth=1
	ds_store_b16 v23, v17
; %bb.130:                              ;   in Loop: Header=BB111_6 Depth=1
	s_or_b32 exec_lo, exec_lo, s23
	s_lshl_b32 s23, 1, s87
	v_or_b32_e32 v4, s18, v4
	v_and_or_b32 v3, v3, s19, s23
	s_mov_b32 s23, -1
	s_mov_b32 s28, 0
	s_cmp_eq_u32 s33, 0
	s_mov_b32 s31, 0
	s_mov_b32 s34, -1
	s_wait_dscnt 0x0
	s_barrier_signal -1
	s_barrier_wait -1
                                        ; implicit-def: $vgpr6
	s_cbranch_scc1 .LBB111_141
; %bb.131:                              ;   in Loop: Header=BB111_6 Depth=1
	s_add_co_i32 s38, s33, s70
                                        ; implicit-def: $vgpr6
	s_delay_alu instid0(SALU_CYCLE_1) | instskip(NEXT) | instid1(SALU_CYCLE_1)
	s_mul_u64 s[44:45], s[38:39], s[54:55]
	s_mul_i32 s31, s45, s41
	s_delay_alu instid0(SALU_CYCLE_1) | instskip(NEXT) | instid1(SALU_CYCLE_1)
	s_sub_co_i32 s31, s38, s31
	s_sub_co_i32 s34, s31, s41
	s_cmp_ge_u32 s31, s41
	s_cselect_b32 s31, s34, s31
	s_delay_alu instid0(SALU_CYCLE_1)
	s_sub_co_i32 s34, s31, s41
	s_cmp_ge_u32 s31, s41
	s_cselect_b32 s31, s34, s31
	s_mov_b32 s34, 0
	s_sub_co_i32 s58, s38, s31
	s_mov_b32 s31, 0
	s_mov_b32 s38, exec_lo
	v_cmpx_gt_u32_e64 s58, v0
	s_cbranch_execz .LBB111_140
; %bb.132:                              ;   in Loop: Header=BB111_6 Depth=1
	v_dual_mov_b32 v6, v22 :: v_dual_mov_b32 v7, v0
                                        ; implicit-def: $sgpr44
	s_branch .LBB111_135
.LBB111_133:                            ;   in Loop: Header=BB111_135 Depth=2
	s_or_b32 exec_lo, exec_lo, s45
	s_wait_dscnt 0x0
	s_barrier_signal -1
	s_barrier_wait -1
	ds_load_b32 v8, v17 offset:3072
	s_mov_b32 s45, -1
	s_mov_b32 s59, -1
	s_wait_dscnt 0x0
	s_barrier_signal -1
	s_barrier_wait -1
	v_and_b32_e32 v9, 0x7fff, v8
	s_delay_alu instid0(VALU_DEP_1)
	v_cmp_ne_u32_e32 vcc_lo, 0, v9
	s_cbranch_vccz .LBB111_138
.LBB111_134:                            ;   in Loop: Header=BB111_135 Depth=2
	s_and_b32 s45, exec_lo, s45
	s_delay_alu instid0(SALU_CYCLE_1) | instskip(SKIP_2) | instid1(SALU_CYCLE_1)
	s_or_b32 s31, s45, s31
	s_and_not1_b32 s44, s44, exec_lo
	s_and_b32 s45, s59, exec_lo
	s_or_b32 s44, s44, s45
	s_and_not1_b32 exec_lo, exec_lo, s31
	s_cbranch_execz .LBB111_139
.LBB111_135:                            ;   Parent Loop BB111_6 Depth=1
                                        ; =>  This Inner Loop Header: Depth=2
	s_mov_b32 s45, exec_lo
	s_delay_alu instid0(VALU_DEP_1)
	v_cmpx_gt_u32_e64 s33, v7
	s_cbranch_execz .LBB111_133
; %bb.136:                              ;   in Loop: Header=BB111_135 Depth=2
	ds_load_u16 v8, v6
	s_wait_dscnt 0x0
	v_cmp_lt_i16_e32 vcc_lo, -1, v8
	v_and_b32_e32 v9, 0xffff, v8
	v_dual_cndmask_b32 v16, 0xffff, v37 :: v_dual_lshlrev_b32 v41, 16, v8
	s_delay_alu instid0(VALU_DEP_1) | instskip(NEXT) | instid1(VALU_DEP_2)
	v_cmp_o_f32_e32 vcc_lo, v41, v41
	v_xor_b32_e32 v9, v16, v9
	s_delay_alu instid0(VALU_DEP_1) | instskip(NEXT) | instid1(VALU_DEP_1)
	v_cndmask_b32_e32 v9, 0xffff, v9, vcc_lo
	v_and_b32_e32 v9, v9, v4
	s_delay_alu instid0(VALU_DEP_1)
	v_cmp_eq_u32_e32 vcc_lo, v9, v3
	s_and_b32 exec_lo, exec_lo, vcc_lo
	s_cbranch_execz .LBB111_133
; %bb.137:                              ;   in Loop: Header=BB111_135 Depth=2
	v_perm_b32 v8, v8, s89, 0x5040100
	ds_store_b32 v17, v8 offset:3072
	s_branch .LBB111_133
.LBB111_138:                            ;   in Loop: Header=BB111_135 Depth=2
	v_dual_add_nc_u32 v7, s41, v7 :: v_dual_add_nc_u32 v6, s86, v6
	s_mov_b32 s59, 0
	s_delay_alu instid0(VALU_DEP_1)
	v_cmp_le_u32_e32 vcc_lo, s58, v7
	s_or_not1_b32 s45, vcc_lo, exec_lo
	s_branch .LBB111_134
.LBB111_139:                            ;   in Loop: Header=BB111_6 Depth=1
	s_or_b32 exec_lo, exec_lo, s31
	v_lshrrev_b32_e32 v6, 16, v8
	s_and_b32 s31, s44, exec_lo
.LBB111_140:                            ;   in Loop: Header=BB111_6 Depth=1
	s_or_b32 exec_lo, exec_lo, s38
.LBB111_141:                            ;   in Loop: Header=BB111_6 Depth=1
	s_delay_alu instid0(SALU_CYCLE_1)
	s_and_b32 vcc_lo, exec_lo, s34
	s_cbranch_vccz .LBB111_152
; %bb.142:                              ;   in Loop: Header=BB111_6 Depth=1
                                        ; implicit-def: $vgpr6
	s_and_saveexec_b32 s23, s13
	s_cbranch_execz .LBB111_151
; %bb.143:                              ;   in Loop: Header=BB111_6 Depth=1
	v_dual_mov_b32 v6, v18 :: v_dual_mov_b32 v7, v0
	s_mov_b32 s28, 0
                                        ; implicit-def: $sgpr33
	s_branch .LBB111_146
.LBB111_144:                            ;   in Loop: Header=BB111_146 Depth=2
	s_or_b32 exec_lo, exec_lo, s34
	s_wait_dscnt 0x0
	s_barrier_signal -1
	s_barrier_wait -1
	ds_load_b32 v8, v17 offset:3072
	s_mov_b32 s34, -1
	s_mov_b32 s38, -1
	s_wait_dscnt 0x0
	s_barrier_signal -1
	s_barrier_wait -1
	v_and_b32_e32 v9, 0x7fff, v8
	s_delay_alu instid0(VALU_DEP_1)
	v_cmp_eq_u32_e32 vcc_lo, 0, v9
	s_cbranch_vccnz .LBB111_149
.LBB111_145:                            ;   in Loop: Header=BB111_146 Depth=2
	s_and_b32 s34, exec_lo, s34
	s_delay_alu instid0(SALU_CYCLE_1) | instskip(SKIP_2) | instid1(SALU_CYCLE_1)
	s_or_b32 s28, s34, s28
	s_and_not1_b32 s33, s33, exec_lo
	s_and_b32 s34, s38, exec_lo
	s_or_b32 s33, s33, s34
	s_and_not1_b32 exec_lo, exec_lo, s28
	s_cbranch_execz .LBB111_150
.LBB111_146:                            ;   Parent Loop BB111_6 Depth=1
                                        ; =>  This Inner Loop Header: Depth=2
	s_mov_b32 s34, exec_lo
	s_delay_alu instid0(VALU_DEP_1)
	v_cmpx_gt_u32_e64 s36, v7
	s_cbranch_execz .LBB111_144
; %bb.147:                              ;   in Loop: Header=BB111_146 Depth=2
	v_readfirstlane_b32 s44, v12
	v_readfirstlane_b32 s45, v13
	global_load_u16 v8, v6, s[44:45] scale_offset
	s_wait_loadcnt 0x0
	v_cmp_lt_i16_e32 vcc_lo, -1, v8
	v_and_b32_e32 v9, 0xffff, v8
	v_dual_cndmask_b32 v16, 0xffff, v37 :: v_dual_lshlrev_b32 v41, 16, v8
	s_delay_alu instid0(VALU_DEP_1) | instskip(NEXT) | instid1(VALU_DEP_2)
	v_cmp_o_f32_e32 vcc_lo, v41, v41
	v_xor_b32_e32 v9, v16, v9
	s_delay_alu instid0(VALU_DEP_1) | instskip(NEXT) | instid1(VALU_DEP_1)
	v_cndmask_b32_e32 v9, 0xffff, v9, vcc_lo
	v_and_b32_e32 v9, v9, v4
	s_delay_alu instid0(VALU_DEP_1)
	v_cmp_eq_u32_e32 vcc_lo, v9, v3
	s_and_b32 exec_lo, exec_lo, vcc_lo
	s_cbranch_execz .LBB111_144
; %bb.148:                              ;   in Loop: Header=BB111_146 Depth=2
	v_perm_b32 v8, v8, s89, 0x5040100
	ds_store_b32 v17, v8 offset:3072
	s_branch .LBB111_144
.LBB111_149:                            ;   in Loop: Header=BB111_146 Depth=2
	v_dual_add_nc_u32 v7, s41, v7 :: v_dual_add_nc_u32 v6, s50, v6
	s_mov_b32 s38, 0
	s_delay_alu instid0(VALU_DEP_1)
	v_cmp_le_u32_e32 vcc_lo, s83, v7
	s_or_not1_b32 s34, vcc_lo, exec_lo
	s_branch .LBB111_145
.LBB111_150:                            ;   in Loop: Header=BB111_6 Depth=1
	s_or_b32 exec_lo, exec_lo, s28
	v_lshrrev_b32_e32 v6, 16, v8
	s_and_not1_b32 s28, s31, exec_lo
	s_and_b32 s31, s33, exec_lo
	s_delay_alu instid0(SALU_CYCLE_1)
	s_or_b32 s31, s28, s31
.LBB111_151:                            ;   in Loop: Header=BB111_6 Depth=1
	s_or_b32 exec_lo, exec_lo, s23
	s_mov_b32 s23, 0
	s_mov_b32 s28, -1
.LBB111_152:                            ;   in Loop: Header=BB111_6 Depth=1
	s_or_not1_b32 s31, s31, exec_lo
.LBB111_153:                            ;   in Loop: Header=BB111_6 Depth=1
	s_or_b32 exec_lo, exec_lo, s29
	s_mov_b32 s33, 0
	s_and_saveexec_b32 s29, s31
	s_cbranch_execz .LBB111_242
; %bb.154:                              ;   in Loop: Header=BB111_6 Depth=1
	v_dual_mov_b32 v7, 1 :: v_dual_mov_b32 v2, 1
	s_xor_b32 s31, s30, -1
	s_mov_b32 s38, 0
	s_and_saveexec_b32 s30, s31
	s_cbranch_execz .LBB111_163
; %bb.155:                              ;   in Loop: Header=BB111_6 Depth=1
	s_mov_b32 s31, exec_lo
	v_cmpx_ge_u32_e64 s20, v5
	s_xor_b32 s31, exec_lo, s31
	s_cbranch_execz .LBB111_160
; %bb.156:                              ;   in Loop: Header=BB111_6 Depth=1
	ds_load_b32 v2, v17 offset:4096
	s_lshl_b32 s33, 1, s87
	v_or_b32_e32 v4, s18, v4
	v_and_or_b32 v3, v3, s19, s33
	s_wait_dscnt 0x0
	v_cmp_ne_u32_e32 vcc_lo, 0, v2
	s_cbranch_vccnz .LBB111_160
; %bb.157:                              ;   in Loop: Header=BB111_6 Depth=1
	s_and_saveexec_b32 s33, s5
; %bb.158:                              ;   in Loop: Header=BB111_6 Depth=1
	v_mov_b32_e32 v2, s20
	ds_store_b32 v17, v2 offset:4100
; %bb.159:                              ;   in Loop: Header=BB111_6 Depth=1
	s_or_b32 exec_lo, exec_lo, s33
	s_wait_dscnt 0x0
	s_barrier_signal -1
	s_barrier_wait -1
.LBB111_160:                            ;   in Loop: Header=BB111_6 Depth=1
	s_or_saveexec_b32 s31, s31
	v_mov_b32_e32 v2, 8
	s_mov_b32 s33, 0
	s_xor_b32 exec_lo, exec_lo, s31
; %bb.161:                              ;   in Loop: Header=BB111_6 Depth=1
	v_subrev_nc_u32_e32 v5, s20, v5
	v_mov_b32_e32 v2, 0
	s_mov_b32 s33, exec_lo
; %bb.162:                              ;   in Loop: Header=BB111_6 Depth=1
	s_or_b32 exec_lo, exec_lo, s31
	s_delay_alu instid0(VALU_DEP_2)
	v_mov_b32_e32 v7, v5
	s_and_b32 s38, s33, exec_lo
.LBB111_163:                            ;   in Loop: Header=BB111_6 Depth=1
	s_or_b32 exec_lo, exec_lo, s30
	s_mov_b32 s34, -1
                                        ; implicit-def: $sgpr31
                                        ; implicit-def: $sgpr33
	s_and_saveexec_b32 s30, s38
	s_cbranch_execz .LBB111_241
; %bb.164:                              ;   in Loop: Header=BB111_6 Depth=1
	v_cmp_eq_u32_e32 vcc_lo, 1, v7
	s_cmp_eq_u32 s21, 1
	s_mov_b32 s38, -1
	s_cselect_b32 s31, -1, 0
                                        ; implicit-def: $sgpr33
	s_delay_alu instid0(SALU_CYCLE_1) | instskip(NEXT) | instid1(SALU_CYCLE_1)
	s_and_b32 s58, s31, vcc_lo
                                        ; implicit-def: $sgpr31
	s_and_saveexec_b32 s34, s58
	s_cbranch_execz .LBB111_190
; %bb.165:                              ;   in Loop: Header=BB111_6 Depth=1
	ds_load_b32 v5, v17 offset:4096
	s_wait_dscnt 0x0
	s_barrier_signal -1
	s_barrier_wait -1
	v_readfirstlane_b32 s59, v5
	s_and_saveexec_b32 s31, s6
; %bb.166:                              ;   in Loop: Header=BB111_6 Depth=1
	ds_store_b16 v23, v17
; %bb.167:                              ;   in Loop: Header=BB111_6 Depth=1
	s_or_b32 exec_lo, exec_lo, s31
	s_lshl_b32 s31, 2, s87
	v_or_b32_e32 v4, s18, v4
	v_and_or_b32 v3, v3, s19, s31
	s_mov_b32 s31, -1
	s_mov_b32 s33, 0
	s_cmp_eq_u32 s59, 0
	s_mov_b32 s38, 0
	s_mov_b32 s60, -1
	s_wait_dscnt 0x0
	s_barrier_signal -1
	s_barrier_wait -1
                                        ; implicit-def: $vgpr6
	s_cbranch_scc1 .LBB111_178
; %bb.168:                              ;   in Loop: Header=BB111_6 Depth=1
	s_add_co_i32 s38, s59, s70
	s_mov_b32 s60, 0
	s_mul_u64 s[44:45], s[38:39], s[54:55]
	s_mov_b32 s61, exec_lo
	s_mul_i32 s44, s45, s41
                                        ; implicit-def: $vgpr6
	s_delay_alu instid0(SALU_CYCLE_1) | instskip(NEXT) | instid1(SALU_CYCLE_1)
	s_sub_co_i32 s44, s38, s44
	s_sub_co_i32 s45, s44, s41
	s_cmp_ge_u32 s44, s41
	s_cselect_b32 s44, s45, s44
	s_delay_alu instid0(SALU_CYCLE_1) | instskip(SKIP_2) | instid1(SALU_CYCLE_1)
	s_sub_co_i32 s45, s44, s41
	s_cmp_ge_u32 s44, s41
	s_cselect_b32 s44, s45, s44
	s_sub_co_i32 s101, s38, s44
	s_mov_b32 s38, 0
	v_cmpx_gt_u32_e64 s101, v0
	s_cbranch_execz .LBB111_177
; %bb.169:                              ;   in Loop: Header=BB111_6 Depth=1
	v_dual_mov_b32 v5, v22 :: v_dual_mov_b32 v6, v0
                                        ; implicit-def: $sgpr44
	s_branch .LBB111_172
.LBB111_170:                            ;   in Loop: Header=BB111_172 Depth=2
	s_or_b32 exec_lo, exec_lo, s45
	s_wait_dscnt 0x0
	s_barrier_signal -1
	s_barrier_wait -1
	ds_load_b32 v8, v17 offset:3072
	s_mov_b32 s45, -1
	s_mov_b32 s102, -1
	s_wait_dscnt 0x0
	s_barrier_signal -1
	s_barrier_wait -1
	v_and_b32_e32 v9, 0x7fff, v8
	s_delay_alu instid0(VALU_DEP_1)
	v_cmp_ne_u32_e32 vcc_lo, 0, v9
	s_cbranch_vccz .LBB111_175
.LBB111_171:                            ;   in Loop: Header=BB111_172 Depth=2
	s_and_b32 s45, exec_lo, s45
	s_delay_alu instid0(SALU_CYCLE_1) | instskip(SKIP_2) | instid1(SALU_CYCLE_1)
	s_or_b32 s38, s45, s38
	s_and_not1_b32 s44, s44, exec_lo
	s_and_b32 s45, s102, exec_lo
	s_or_b32 s44, s44, s45
	s_and_not1_b32 exec_lo, exec_lo, s38
	s_cbranch_execz .LBB111_176
.LBB111_172:                            ;   Parent Loop BB111_6 Depth=1
                                        ; =>  This Inner Loop Header: Depth=2
	s_mov_b32 s45, exec_lo
	s_delay_alu instid0(VALU_DEP_1)
	v_cmpx_gt_u32_e64 s59, v6
	s_cbranch_execz .LBB111_170
; %bb.173:                              ;   in Loop: Header=BB111_172 Depth=2
	ds_load_u16 v8, v5
	s_wait_dscnt 0x0
	v_cmp_lt_i16_e32 vcc_lo, -1, v8
	v_and_b32_e32 v9, 0xffff, v8
	v_dual_cndmask_b32 v16, 0xffff, v37 :: v_dual_lshlrev_b32 v41, 16, v8
	s_delay_alu instid0(VALU_DEP_1) | instskip(NEXT) | instid1(VALU_DEP_2)
	v_cmp_o_f32_e32 vcc_lo, v41, v41
	v_xor_b32_e32 v9, v16, v9
	s_delay_alu instid0(VALU_DEP_1) | instskip(NEXT) | instid1(VALU_DEP_1)
	v_cndmask_b32_e32 v9, 0xffff, v9, vcc_lo
	v_and_b32_e32 v9, v9, v4
	s_delay_alu instid0(VALU_DEP_1)
	v_cmp_eq_u32_e32 vcc_lo, v9, v3
	s_and_b32 exec_lo, exec_lo, vcc_lo
	s_cbranch_execz .LBB111_170
; %bb.174:                              ;   in Loop: Header=BB111_172 Depth=2
	v_perm_b32 v8, v8, s89, 0x5040100
	ds_store_b32 v17, v8 offset:3072
	s_branch .LBB111_170
.LBB111_175:                            ;   in Loop: Header=BB111_172 Depth=2
	v_dual_add_nc_u32 v6, s41, v6 :: v_dual_add_nc_u32 v5, s86, v5
	s_mov_b32 s102, 0
	s_delay_alu instid0(VALU_DEP_1)
	v_cmp_le_u32_e32 vcc_lo, s101, v6
	s_or_not1_b32 s45, vcc_lo, exec_lo
	s_branch .LBB111_171
.LBB111_176:                            ;   in Loop: Header=BB111_6 Depth=1
	s_or_b32 exec_lo, exec_lo, s38
	v_lshrrev_b32_e32 v6, 16, v8
	s_and_b32 s38, s44, exec_lo
.LBB111_177:                            ;   in Loop: Header=BB111_6 Depth=1
	s_or_b32 exec_lo, exec_lo, s61
.LBB111_178:                            ;   in Loop: Header=BB111_6 Depth=1
	s_delay_alu instid0(SALU_CYCLE_1)
	s_and_b32 vcc_lo, exec_lo, s60
	s_cbranch_vccz .LBB111_189
; %bb.179:                              ;   in Loop: Header=BB111_6 Depth=1
                                        ; implicit-def: $vgpr6
	s_and_saveexec_b32 s31, s13
	s_cbranch_execz .LBB111_188
; %bb.180:                              ;   in Loop: Header=BB111_6 Depth=1
	v_dual_mov_b32 v5, v18 :: v_dual_mov_b32 v6, v0
	s_mov_b32 s33, 0
                                        ; implicit-def: $sgpr59
	s_branch .LBB111_183
.LBB111_181:                            ;   in Loop: Header=BB111_183 Depth=2
	s_or_b32 exec_lo, exec_lo, s44
	s_wait_dscnt 0x0
	s_barrier_signal -1
	s_barrier_wait -1
	ds_load_b32 v8, v17 offset:3072
	s_mov_b32 s44, -1
	s_mov_b32 s45, -1
	s_wait_dscnt 0x0
	s_barrier_signal -1
	s_barrier_wait -1
	v_and_b32_e32 v9, 0x7fff, v8
	s_delay_alu instid0(VALU_DEP_1)
	v_cmp_eq_u32_e32 vcc_lo, 0, v9
	s_cbranch_vccnz .LBB111_186
.LBB111_182:                            ;   in Loop: Header=BB111_183 Depth=2
	s_and_b32 s44, exec_lo, s44
	s_delay_alu instid0(SALU_CYCLE_1) | instskip(SKIP_2) | instid1(SALU_CYCLE_1)
	s_or_b32 s33, s44, s33
	s_and_not1_b32 s44, s59, exec_lo
	s_and_b32 s45, s45, exec_lo
	s_or_b32 s59, s44, s45
	s_and_not1_b32 exec_lo, exec_lo, s33
	s_cbranch_execz .LBB111_187
.LBB111_183:                            ;   Parent Loop BB111_6 Depth=1
                                        ; =>  This Inner Loop Header: Depth=2
	s_mov_b32 s44, exec_lo
	s_delay_alu instid0(VALU_DEP_1)
	v_cmpx_gt_u32_e64 s36, v6
	s_cbranch_execz .LBB111_181
; %bb.184:                              ;   in Loop: Header=BB111_183 Depth=2
	v_readfirstlane_b32 s46, v12
	v_readfirstlane_b32 s47, v13
	global_load_u16 v8, v5, s[46:47] scale_offset
	s_wait_loadcnt 0x0
	v_cmp_lt_i16_e32 vcc_lo, -1, v8
	v_and_b32_e32 v9, 0xffff, v8
	v_dual_cndmask_b32 v16, 0xffff, v37 :: v_dual_lshlrev_b32 v41, 16, v8
	s_delay_alu instid0(VALU_DEP_1) | instskip(NEXT) | instid1(VALU_DEP_2)
	v_cmp_o_f32_e32 vcc_lo, v41, v41
	v_xor_b32_e32 v9, v16, v9
	s_delay_alu instid0(VALU_DEP_1) | instskip(NEXT) | instid1(VALU_DEP_1)
	v_cndmask_b32_e32 v9, 0xffff, v9, vcc_lo
	v_and_b32_e32 v9, v9, v4
	s_delay_alu instid0(VALU_DEP_1)
	v_cmp_eq_u32_e32 vcc_lo, v9, v3
	s_and_b32 exec_lo, exec_lo, vcc_lo
	s_cbranch_execz .LBB111_181
; %bb.185:                              ;   in Loop: Header=BB111_183 Depth=2
	v_perm_b32 v8, v8, s89, 0x5040100
	ds_store_b32 v17, v8 offset:3072
	s_branch .LBB111_181
.LBB111_186:                            ;   in Loop: Header=BB111_183 Depth=2
	v_dual_add_nc_u32 v6, s41, v6 :: v_dual_add_nc_u32 v5, s50, v5
	s_mov_b32 s45, 0
	s_delay_alu instid0(VALU_DEP_1)
	v_cmp_le_u32_e32 vcc_lo, s83, v6
	s_or_not1_b32 s44, vcc_lo, exec_lo
	s_branch .LBB111_182
.LBB111_187:                            ;   in Loop: Header=BB111_6 Depth=1
	s_or_b32 exec_lo, exec_lo, s33
	v_lshrrev_b32_e32 v6, 16, v8
	s_and_not1_b32 s33, s38, exec_lo
	s_and_b32 s38, s59, exec_lo
	s_delay_alu instid0(SALU_CYCLE_1)
	s_or_b32 s38, s33, s38
.LBB111_188:                            ;   in Loop: Header=BB111_6 Depth=1
	s_or_b32 exec_lo, exec_lo, s31
	s_mov_b32 s31, 0
	s_mov_b32 s33, -1
.LBB111_189:                            ;   in Loop: Header=BB111_6 Depth=1
	s_or_not1_b32 s38, s38, exec_lo
.LBB111_190:                            ;   in Loop: Header=BB111_6 Depth=1
	s_or_b32 exec_lo, exec_lo, s34
	s_mov_b32 s44, 0
	s_and_saveexec_b32 s34, s38
	s_cbranch_execz .LBB111_240
; %bb.191:                              ;   in Loop: Header=BB111_6 Depth=1
	v_dual_mov_b32 v5, 1 :: v_dual_mov_b32 v2, 1
	s_xor_b32 s45, s58, -1
	s_delay_alu instid0(SALU_CYCLE_1)
	s_and_saveexec_b32 s38, s45
	s_cbranch_execz .LBB111_200
; %bb.192:                              ;   in Loop: Header=BB111_6 Depth=1
	s_mov_b32 s44, exec_lo
	v_cmpx_ge_u32_e64 s21, v7
	s_xor_b32 s44, exec_lo, s44
	s_cbranch_execz .LBB111_197
; %bb.193:                              ;   in Loop: Header=BB111_6 Depth=1
	ds_load_b32 v2, v17 offset:4096
	s_lshl_b32 s45, 2, s87
	v_or_b32_e32 v4, s18, v4
	v_and_or_b32 v3, v3, s19, s45
	s_wait_dscnt 0x0
	v_cmp_ne_u32_e32 vcc_lo, 0, v2
	s_cbranch_vccnz .LBB111_197
; %bb.194:                              ;   in Loop: Header=BB111_6 Depth=1
	s_and_saveexec_b32 s45, s5
; %bb.195:                              ;   in Loop: Header=BB111_6 Depth=1
	v_mov_b32_e32 v2, s21
	ds_store_b32 v17, v2 offset:4100
; %bb.196:                              ;   in Loop: Header=BB111_6 Depth=1
	s_or_b32 exec_lo, exec_lo, s45
	s_wait_dscnt 0x0
	s_barrier_signal -1
	s_barrier_wait -1
.LBB111_197:                            ;   in Loop: Header=BB111_6 Depth=1
	s_or_saveexec_b32 s44, s44
	v_mov_b32_e32 v2, 8
	s_mov_b32 s45, 0
	s_xor_b32 exec_lo, exec_lo, s44
; %bb.198:                              ;   in Loop: Header=BB111_6 Depth=1
	v_subrev_nc_u32_e32 v7, s21, v7
	v_mov_b32_e32 v2, 0
	s_mov_b32 s45, exec_lo
; %bb.199:                              ;   in Loop: Header=BB111_6 Depth=1
	s_or_b32 exec_lo, exec_lo, s44
	s_delay_alu instid0(VALU_DEP_2)
	v_mov_b32_e32 v5, v7
	s_and_b32 s44, s45, exec_lo
.LBB111_200:                            ;   in Loop: Header=BB111_6 Depth=1
	s_or_b32 exec_lo, exec_lo, s38
	s_mov_b32 s38, -1
                                        ; implicit-def: $sgpr61
                                        ; implicit-def: $sgpr60
	s_and_saveexec_b32 s58, s44
	s_cbranch_execz .LBB111_239
; %bb.201:                              ;   in Loop: Header=BB111_6 Depth=1
	v_cmp_eq_u32_e32 vcc_lo, 1, v5
	s_cmp_eq_u32 s22, 1
	s_mov_b32 s44, -1
	s_cselect_b32 s38, -1, 0
                                        ; implicit-def: $sgpr61
                                        ; implicit-def: $sgpr60
	s_delay_alu instid0(SALU_CYCLE_1) | instskip(NEXT) | instid1(SALU_CYCLE_1)
	s_and_b32 s59, s38, vcc_lo
	s_and_saveexec_b32 s101, s59
	s_cbranch_execz .LBB111_227
; %bb.202:                              ;   in Loop: Header=BB111_6 Depth=1
	ds_load_b32 v6, v17 offset:4096
	s_wait_dscnt 0x0
	s_barrier_signal -1
	s_barrier_wait -1
	v_readfirstlane_b32 s102, v6
	s_and_saveexec_b32 s38, s6
; %bb.203:                              ;   in Loop: Header=BB111_6 Depth=1
	ds_store_b16 v23, v17
; %bb.204:                              ;   in Loop: Header=BB111_6 Depth=1
	s_or_b32 exec_lo, exec_lo, s38
	v_or_b32_e32 v3, s18, v3
	v_or_b32_e32 v4, s18, v4
	s_mov_b32 s60, -1
	s_mov_b32 s61, 0
	s_cmp_eq_u32 s102, 0
	s_mov_b32 s38, 0
	s_mov_b32 s103, -1
	s_wait_dscnt 0x0
	s_barrier_signal -1
	s_barrier_wait -1
                                        ; implicit-def: $vgpr6
	s_cbranch_scc1 .LBB111_215
; %bb.205:                              ;   in Loop: Header=BB111_6 Depth=1
	s_add_co_i32 s38, s102, s70
	s_mov_b32 s103, 0
	s_mul_u64 s[44:45], s[38:39], s[54:55]
	s_mov_b32 s104, exec_lo
	s_mul_i32 s44, s45, s41
                                        ; implicit-def: $vgpr6
	s_delay_alu instid0(SALU_CYCLE_1) | instskip(NEXT) | instid1(SALU_CYCLE_1)
	s_sub_co_i32 s44, s38, s44
	s_sub_co_i32 s45, s44, s41
	s_cmp_ge_u32 s44, s41
	s_cselect_b32 s44, s45, s44
	s_delay_alu instid0(SALU_CYCLE_1) | instskip(SKIP_2) | instid1(SALU_CYCLE_1)
	s_sub_co_i32 s45, s44, s41
	s_cmp_ge_u32 s44, s41
	s_cselect_b32 s44, s45, s44
	s_sub_co_i32 vcc_hi, s38, s44
	s_mov_b32 s38, 0
	v_cmpx_gt_u32_e64 vcc_hi, v0
	s_cbranch_execz .LBB111_214
; %bb.206:                              ;   in Loop: Header=BB111_6 Depth=1
	v_dual_mov_b32 v6, v22 :: v_dual_mov_b32 v7, v0
                                        ; implicit-def: $sgpr44
	s_branch .LBB111_209
.LBB111_207:                            ;   in Loop: Header=BB111_209 Depth=2
	s_or_b32 exec_lo, exec_lo, s45
	s_wait_dscnt 0x0
	s_barrier_signal -1
	s_barrier_wait -1
	ds_load_b32 v8, v17 offset:3072
	s_mov_b32 s45, -1
	s_mov_b32 s46, -1
	s_wait_dscnt 0x0
	s_barrier_signal -1
	s_barrier_wait -1
	v_and_b32_e32 v9, 0x7fff, v8
	s_delay_alu instid0(VALU_DEP_1)
	v_cmp_ne_u32_e32 vcc_lo, 0, v9
	s_cbranch_vccz .LBB111_212
.LBB111_208:                            ;   in Loop: Header=BB111_209 Depth=2
	s_and_b32 s45, exec_lo, s45
	s_delay_alu instid0(SALU_CYCLE_1) | instskip(SKIP_2) | instid1(SALU_CYCLE_1)
	s_or_b32 s38, s45, s38
	s_and_not1_b32 s44, s44, exec_lo
	s_and_b32 s45, s46, exec_lo
	s_or_b32 s44, s44, s45
	s_and_not1_b32 exec_lo, exec_lo, s38
	s_cbranch_execz .LBB111_213
.LBB111_209:                            ;   Parent Loop BB111_6 Depth=1
                                        ; =>  This Inner Loop Header: Depth=2
	s_mov_b32 s45, exec_lo
	s_delay_alu instid0(VALU_DEP_1)
	v_cmpx_gt_u32_e64 s102, v7
	s_cbranch_execz .LBB111_207
; %bb.210:                              ;   in Loop: Header=BB111_209 Depth=2
	ds_load_u16 v8, v6
	s_wait_dscnt 0x0
	v_cmp_lt_i16_e32 vcc_lo, -1, v8
	v_and_b32_e32 v9, 0xffff, v8
	v_dual_cndmask_b32 v16, 0xffff, v37 :: v_dual_lshlrev_b32 v41, 16, v8
	s_delay_alu instid0(VALU_DEP_1) | instskip(NEXT) | instid1(VALU_DEP_2)
	v_cmp_o_f32_e32 vcc_lo, v41, v41
	v_xor_b32_e32 v9, v16, v9
	s_delay_alu instid0(VALU_DEP_1) | instskip(NEXT) | instid1(VALU_DEP_1)
	v_cndmask_b32_e32 v9, 0xffff, v9, vcc_lo
	v_and_b32_e32 v9, v9, v4
	s_delay_alu instid0(VALU_DEP_1)
	v_cmp_eq_u32_e32 vcc_lo, v9, v3
	s_and_b32 exec_lo, exec_lo, vcc_lo
	s_cbranch_execz .LBB111_207
; %bb.211:                              ;   in Loop: Header=BB111_209 Depth=2
	v_perm_b32 v8, v8, s89, 0x5040100
	ds_store_b32 v17, v8 offset:3072
	s_branch .LBB111_207
.LBB111_212:                            ;   in Loop: Header=BB111_209 Depth=2
	v_dual_add_nc_u32 v7, s41, v7 :: v_dual_add_nc_u32 v6, s86, v6
	s_mov_b32 s46, 0
	s_delay_alu instid0(VALU_DEP_1)
	v_cmp_le_u32_e32 vcc_lo, vcc_hi, v7
	s_or_not1_b32 s45, vcc_lo, exec_lo
	s_branch .LBB111_208
.LBB111_213:                            ;   in Loop: Header=BB111_6 Depth=1
	s_or_b32 exec_lo, exec_lo, s38
	v_lshrrev_b32_e32 v6, 16, v8
	s_and_b32 s38, s44, exec_lo
.LBB111_214:                            ;   in Loop: Header=BB111_6 Depth=1
	s_or_b32 exec_lo, exec_lo, s104
.LBB111_215:                            ;   in Loop: Header=BB111_6 Depth=1
	s_delay_alu instid0(SALU_CYCLE_1)
	s_and_b32 vcc_lo, exec_lo, s103
	s_cbranch_vccz .LBB111_226
; %bb.216:                              ;   in Loop: Header=BB111_6 Depth=1
                                        ; implicit-def: $vgpr6
	s_and_saveexec_b32 s60, s13
	s_cbranch_execz .LBB111_225
; %bb.217:                              ;   in Loop: Header=BB111_6 Depth=1
	v_dual_mov_b32 v6, v18 :: v_dual_mov_b32 v7, v0
	s_mov_b32 s61, 0
                                        ; implicit-def: $sgpr102
	s_branch .LBB111_220
.LBB111_218:                            ;   in Loop: Header=BB111_220 Depth=2
	s_or_b32 exec_lo, exec_lo, s44
	s_wait_dscnt 0x0
	s_barrier_signal -1
	s_barrier_wait -1
	ds_load_b32 v8, v17 offset:3072
	s_mov_b32 s44, -1
	s_mov_b32 s45, -1
	s_wait_dscnt 0x0
	s_barrier_signal -1
	s_barrier_wait -1
	v_and_b32_e32 v9, 0x7fff, v8
	s_delay_alu instid0(VALU_DEP_1)
	v_cmp_eq_u32_e32 vcc_lo, 0, v9
	s_cbranch_vccnz .LBB111_223
.LBB111_219:                            ;   in Loop: Header=BB111_220 Depth=2
	s_and_b32 s44, exec_lo, s44
	s_delay_alu instid0(SALU_CYCLE_1) | instskip(SKIP_2) | instid1(SALU_CYCLE_1)
	s_or_b32 s61, s44, s61
	s_and_not1_b32 s44, s102, exec_lo
	s_and_b32 s45, s45, exec_lo
	s_or_b32 s102, s44, s45
	s_and_not1_b32 exec_lo, exec_lo, s61
	s_cbranch_execz .LBB111_224
.LBB111_220:                            ;   Parent Loop BB111_6 Depth=1
                                        ; =>  This Inner Loop Header: Depth=2
	s_mov_b32 s44, exec_lo
	s_delay_alu instid0(VALU_DEP_1)
	v_cmpx_gt_u32_e64 s36, v7
	s_cbranch_execz .LBB111_218
; %bb.221:                              ;   in Loop: Header=BB111_220 Depth=2
	v_readfirstlane_b32 s46, v12
	v_readfirstlane_b32 s47, v13
	global_load_u16 v8, v6, s[46:47] scale_offset
	s_wait_loadcnt 0x0
	v_cmp_lt_i16_e32 vcc_lo, -1, v8
	v_and_b32_e32 v9, 0xffff, v8
	v_dual_cndmask_b32 v16, 0xffff, v37 :: v_dual_lshlrev_b32 v41, 16, v8
	s_delay_alu instid0(VALU_DEP_1) | instskip(NEXT) | instid1(VALU_DEP_2)
	v_cmp_o_f32_e32 vcc_lo, v41, v41
	v_xor_b32_e32 v9, v16, v9
	s_delay_alu instid0(VALU_DEP_1) | instskip(NEXT) | instid1(VALU_DEP_1)
	v_cndmask_b32_e32 v9, 0xffff, v9, vcc_lo
	v_and_b32_e32 v9, v9, v4
	s_delay_alu instid0(VALU_DEP_1)
	v_cmp_eq_u32_e32 vcc_lo, v9, v3
	s_and_b32 exec_lo, exec_lo, vcc_lo
	s_cbranch_execz .LBB111_218
; %bb.222:                              ;   in Loop: Header=BB111_220 Depth=2
	v_perm_b32 v8, v8, s89, 0x5040100
	ds_store_b32 v17, v8 offset:3072
	s_branch .LBB111_218
.LBB111_223:                            ;   in Loop: Header=BB111_220 Depth=2
	v_dual_add_nc_u32 v7, s41, v7 :: v_dual_add_nc_u32 v6, s50, v6
	s_mov_b32 s45, 0
	s_delay_alu instid0(VALU_DEP_1)
	v_cmp_le_u32_e32 vcc_lo, s83, v7
	s_or_not1_b32 s44, vcc_lo, exec_lo
	s_branch .LBB111_219
.LBB111_224:                            ;   in Loop: Header=BB111_6 Depth=1
	s_or_b32 exec_lo, exec_lo, s61
	v_lshrrev_b32_e32 v6, 16, v8
	s_and_not1_b32 s38, s38, exec_lo
	s_and_b32 s44, s102, exec_lo
	s_delay_alu instid0(SALU_CYCLE_1)
	s_or_b32 s38, s38, s44
.LBB111_225:                            ;   in Loop: Header=BB111_6 Depth=1
	s_or_b32 exec_lo, exec_lo, s60
	s_mov_b32 s60, 0
	s_mov_b32 s61, -1
.LBB111_226:                            ;   in Loop: Header=BB111_6 Depth=1
	s_or_not1_b32 s44, s38, exec_lo
.LBB111_227:                            ;   in Loop: Header=BB111_6 Depth=1
	s_or_b32 exec_lo, exec_lo, s101
	s_mov_b32 s45, 0
	s_and_saveexec_b32 s38, s44
	s_cbranch_execz .LBB111_238
; %bb.228:                              ;   in Loop: Header=BB111_6 Depth=1
	v_dual_mov_b32 v2, 1 :: v_dual_mov_b32 v7, 1
	s_xor_b32 s45, s59, -1
	s_delay_alu instid0(SALU_CYCLE_1)
	s_and_saveexec_b32 s44, s45
	s_cbranch_execz .LBB111_237
; %bb.229:                              ;   in Loop: Header=BB111_6 Depth=1
	s_mov_b32 s45, exec_lo
	v_cmpx_ge_u32_e64 s22, v5
	s_xor_b32 s45, exec_lo, s45
	s_cbranch_execz .LBB111_234
; %bb.230:                              ;   in Loop: Header=BB111_6 Depth=1
	ds_load_b32 v2, v17 offset:4096
	v_or_b32_e32 v3, s18, v3
	v_or_b32_e32 v4, s18, v4
	s_wait_dscnt 0x0
	v_cmp_ne_u32_e32 vcc_lo, 0, v2
	s_cbranch_vccnz .LBB111_234
; %bb.231:                              ;   in Loop: Header=BB111_6 Depth=1
	s_and_saveexec_b32 s46, s5
; %bb.232:                              ;   in Loop: Header=BB111_6 Depth=1
	v_mov_b32_e32 v2, s22
	ds_store_b32 v17, v2 offset:4100
; %bb.233:                              ;   in Loop: Header=BB111_6 Depth=1
	s_or_b32 exec_lo, exec_lo, s46
	s_wait_dscnt 0x0
	s_barrier_signal -1
	s_barrier_wait -1
.LBB111_234:                            ;   in Loop: Header=BB111_6 Depth=1
	s_and_not1_saveexec_b32 s45, s45
; %bb.235:                              ;   in Loop: Header=BB111_6 Depth=1
	v_subrev_nc_u32_e32 v5, s22, v5
; %bb.236:                              ;   in Loop: Header=BB111_6 Depth=1
	s_or_b32 exec_lo, exec_lo, s45
	s_delay_alu instid0(VALU_DEP_1)
	v_dual_mov_b32 v2, 8 :: v_dual_mov_b32 v7, v5
.LBB111_237:                            ;   in Loop: Header=BB111_6 Depth=1
	s_or_b32 exec_lo, exec_lo, s44
	s_delay_alu instid0(VALU_DEP_1)
	v_mov_b32_e32 v5, v7
	s_mov_b32 s45, exec_lo
.LBB111_238:                            ;   in Loop: Header=BB111_6 Depth=1
	s_or_b32 exec_lo, exec_lo, s38
	s_delay_alu instid0(SALU_CYCLE_1)
	s_or_not1_b32 s38, s45, exec_lo
.LBB111_239:                            ;   in Loop: Header=BB111_6 Depth=1
	s_or_b32 exec_lo, exec_lo, s58
	v_mov_b32_e32 v7, v5
	s_and_not1_b32 s33, s33, exec_lo
	s_and_b32 s44, s61, exec_lo
	s_and_not1_b32 s31, s31, exec_lo
	s_and_b32 s45, s60, exec_lo
	s_or_b32 s33, s33, s44
	s_or_b32 s31, s31, s45
	s_and_b32 s44, s38, exec_lo
.LBB111_240:                            ;   in Loop: Header=BB111_6 Depth=1
	s_or_b32 exec_lo, exec_lo, s34
	s_delay_alu instid0(SALU_CYCLE_1)
	s_or_not1_b32 s34, s44, exec_lo
.LBB111_241:                            ;   in Loop: Header=BB111_6 Depth=1
	s_or_b32 exec_lo, exec_lo, s30
	v_mov_b32_e32 v5, v7
	s_and_not1_b32 s28, s28, exec_lo
	s_and_b32 s30, s33, exec_lo
	s_and_not1_b32 s23, s23, exec_lo
	s_and_b32 s31, s31, exec_lo
	s_or_b32 s28, s28, s30
	s_or_b32 s23, s23, s31
	s_and_b32 s33, s34, exec_lo
.LBB111_242:                            ;   in Loop: Header=BB111_6 Depth=1
	s_or_b32 exec_lo, exec_lo, s29
	s_delay_alu instid0(SALU_CYCLE_1)
	s_or_not1_b32 s29, s33, exec_lo
.LBB111_243:                            ;   in Loop: Header=BB111_6 Depth=1
	s_or_b32 exec_lo, exec_lo, s15
	s_mov_b32 s30, 0
	s_mov_b32 s31, 0
	s_and_saveexec_b32 s15, s29
	s_delay_alu instid0(SALU_CYCLE_1)
	s_xor_b32 s29, exec_lo, s15
; %bb.244:                              ;   in Loop: Header=BB111_6 Depth=1
	v_cmp_ne_u32_e32 vcc_lo, 8, v2
	v_cmp_eq_u32_e64 s15, 8, v2
	s_and_b32 s31, vcc_lo, exec_lo
	s_and_b32 s30, s15, exec_lo
; %bb.245:                              ;   in Loop: Header=BB111_6 Depth=1
	s_or_b32 exec_lo, exec_lo, s29
	s_delay_alu instid0(SALU_CYCLE_1)
	s_and_not1_b32 s15, s25, exec_lo
	s_and_b32 s25, s28, exec_lo
	s_and_not1_b32 s24, s24, exec_lo
	s_and_b32 s23, s23, exec_lo
	s_or_b32 s25, s15, s25
	s_or_b32 s24, s24, s23
	s_and_b32 s15, s31, exec_lo
	s_and_b32 s23, s30, exec_lo
.LBB111_246:                            ;   in Loop: Header=BB111_6 Depth=1
	s_or_b32 exec_lo, exec_lo, s27
.LBB111_247:                            ;   in Loop: Header=BB111_6 Depth=1
	s_delay_alu instid0(SALU_CYCLE_1)
	s_and_b32 vcc_lo, exec_lo, s26
	s_cbranch_vccz .LBB111_260
; %bb.248:                              ;   in Loop: Header=BB111_6 Depth=1
	s_cmp_eq_u32 s22, 1
	s_mov_b32 s25, -1
	s_cselect_b32 s16, -1, 0
                                        ; implicit-def: $sgpr26
	s_delay_alu instid0(SALU_CYCLE_1) | instskip(NEXT) | instid1(SALU_CYCLE_1)
	s_and_b32 s14, s16, s14
                                        ; implicit-def: $sgpr16
	s_and_saveexec_b32 s24, s14
	s_cbranch_execz .LBB111_275
; %bb.249:                              ;   in Loop: Header=BB111_6 Depth=1
	ds_load_b32 v2, v17 offset:4096
	s_wait_dscnt 0x0
	s_barrier_signal -1
	s_barrier_wait -1
	v_readfirstlane_b32 s27, v2
	s_and_saveexec_b32 s16, s6
; %bb.250:                              ;   in Loop: Header=BB111_6 Depth=1
	ds_store_b16 v23, v17
; %bb.251:                              ;   in Loop: Header=BB111_6 Depth=1
	s_or_b32 exec_lo, exec_lo, s16
	v_or_b32_e32 v28, s18, v28
	v_or_b32_e32 v38, s18, v38
	s_mov_b32 s16, -1
	s_mov_b32 s26, 0
	s_cmp_eq_u32 s27, 0
	s_mov_b32 s25, 0
	s_mov_b32 s28, -1
	s_wait_dscnt 0x0
	s_barrier_signal -1
	s_barrier_wait -1
                                        ; implicit-def: $vgpr39
	s_cbranch_scc1 .LBB111_263
; %bb.252:                              ;   in Loop: Header=BB111_6 Depth=1
	s_add_co_i32 s38, s27, s70
                                        ; implicit-def: $vgpr39
	s_delay_alu instid0(SALU_CYCLE_1) | instskip(NEXT) | instid1(SALU_CYCLE_1)
	s_mul_u64 s[28:29], s[38:39], s[54:55]
	s_mul_i32 s25, s29, s41
	s_mov_b32 s29, exec_lo
	s_sub_co_i32 s25, s38, s25
	s_delay_alu instid0(SALU_CYCLE_1) | instskip(SKIP_2) | instid1(SALU_CYCLE_1)
	s_sub_co_i32 s28, s25, s41
	s_cmp_ge_u32 s25, s41
	s_cselect_b32 s25, s28, s25
	s_sub_co_i32 s28, s25, s41
	s_cmp_ge_u32 s25, s41
	s_cselect_b32 s25, s28, s25
	s_mov_b32 s28, 0
	s_sub_co_i32 s30, s38, s25
	s_mov_b32 s25, 0
	v_cmpx_gt_u32_e64 s30, v0
	s_cbranch_execz .LBB111_262
; %bb.253:                              ;   in Loop: Header=BB111_6 Depth=1
	v_dual_mov_b32 v2, v22 :: v_dual_mov_b32 v3, v0
                                        ; implicit-def: $sgpr31
	s_branch .LBB111_256
.LBB111_254:                            ;   in Loop: Header=BB111_256 Depth=2
	s_or_b32 exec_lo, exec_lo, s33
	s_wait_dscnt 0x0
	s_barrier_signal -1
	s_barrier_wait -1
	ds_load_b32 v4, v17 offset:3072
	s_mov_b32 s33, -1
	s_mov_b32 s34, -1
	s_wait_dscnt 0x0
	s_barrier_signal -1
	s_barrier_wait -1
	v_and_b32_e32 v5, 0x7fff, v4
	s_delay_alu instid0(VALU_DEP_1)
	v_cmp_ne_u32_e32 vcc_lo, 0, v5
	s_cbranch_vccz .LBB111_259
.LBB111_255:                            ;   in Loop: Header=BB111_256 Depth=2
	s_and_b32 s33, exec_lo, s33
	s_delay_alu instid0(SALU_CYCLE_1) | instskip(SKIP_2) | instid1(SALU_CYCLE_1)
	s_or_b32 s25, s33, s25
	s_and_not1_b32 s31, s31, exec_lo
	s_and_b32 s33, s34, exec_lo
	s_or_b32 s31, s31, s33
	s_and_not1_b32 exec_lo, exec_lo, s25
	s_cbranch_execz .LBB111_261
.LBB111_256:                            ;   Parent Loop BB111_6 Depth=1
                                        ; =>  This Inner Loop Header: Depth=2
	s_mov_b32 s33, exec_lo
	s_delay_alu instid0(VALU_DEP_1)
	v_cmpx_gt_u32_e64 s27, v3
	s_cbranch_execz .LBB111_254
; %bb.257:                              ;   in Loop: Header=BB111_256 Depth=2
	ds_load_u16 v4, v2
	s_wait_dscnt 0x0
	v_cmp_lt_i16_e32 vcc_lo, -1, v4
	v_and_b32_e32 v5, 0xffff, v4
	v_dual_cndmask_b32 v6, 0xffff, v37 :: v_dual_lshlrev_b32 v7, 16, v4
	s_delay_alu instid0(VALU_DEP_1) | instskip(NEXT) | instid1(VALU_DEP_2)
	v_cmp_o_f32_e32 vcc_lo, v7, v7
	v_xor_b32_e32 v5, v6, v5
	s_delay_alu instid0(VALU_DEP_1) | instskip(NEXT) | instid1(VALU_DEP_1)
	v_cndmask_b32_e32 v5, 0xffff, v5, vcc_lo
	v_and_b32_e32 v5, v5, v38
	s_delay_alu instid0(VALU_DEP_1)
	v_cmp_eq_u32_e32 vcc_lo, v5, v28
	s_and_b32 exec_lo, exec_lo, vcc_lo
	s_cbranch_execz .LBB111_254
; %bb.258:                              ;   in Loop: Header=BB111_256 Depth=2
	v_perm_b32 v4, v4, s89, 0x5040100
	ds_store_b32 v17, v4 offset:3072
	s_branch .LBB111_254
.LBB111_259:                            ;   in Loop: Header=BB111_256 Depth=2
	v_dual_add_nc_u32 v3, s41, v3 :: v_dual_add_nc_u32 v2, s86, v2
	s_mov_b32 s34, 0
	s_delay_alu instid0(VALU_DEP_1)
	v_cmp_le_u32_e32 vcc_lo, s30, v3
	s_or_not1_b32 s33, vcc_lo, exec_lo
	s_branch .LBB111_255
.LBB111_260:                            ;   in Loop: Header=BB111_6 Depth=1
	v_dual_mov_b32 v28, v3 :: v_dual_mov_b32 v38, v4
	v_mov_b32_e32 v39, v6
	s_mov_b32 s26, 0
	s_and_saveexec_b32 s14, s23
	s_cbranch_execnz .LBB111_406
	s_branch .LBB111_407
.LBB111_261:                            ;   in Loop: Header=BB111_6 Depth=1
	s_or_b32 exec_lo, exec_lo, s25
	v_lshrrev_b32_e32 v39, 16, v4
	s_and_b32 s25, s31, exec_lo
.LBB111_262:                            ;   in Loop: Header=BB111_6 Depth=1
	s_or_b32 exec_lo, exec_lo, s29
.LBB111_263:                            ;   in Loop: Header=BB111_6 Depth=1
	s_delay_alu instid0(SALU_CYCLE_1)
	s_and_b32 vcc_lo, exec_lo, s28
	s_cbranch_vccz .LBB111_274
; %bb.264:                              ;   in Loop: Header=BB111_6 Depth=1
                                        ; implicit-def: $vgpr39
	s_and_saveexec_b32 s16, s13
	s_cbranch_execz .LBB111_273
; %bb.265:                              ;   in Loop: Header=BB111_6 Depth=1
	v_dual_mov_b32 v2, v18 :: v_dual_mov_b32 v3, v0
	s_mov_b32 s26, 0
                                        ; implicit-def: $sgpr27
	s_branch .LBB111_268
.LBB111_266:                            ;   in Loop: Header=BB111_268 Depth=2
	s_or_b32 exec_lo, exec_lo, s28
	s_wait_dscnt 0x0
	s_barrier_signal -1
	s_barrier_wait -1
	ds_load_b32 v4, v17 offset:3072
	s_mov_b32 s28, -1
	s_mov_b32 s29, -1
	s_wait_dscnt 0x0
	s_barrier_signal -1
	s_barrier_wait -1
	v_and_b32_e32 v5, 0x7fff, v4
	s_delay_alu instid0(VALU_DEP_1)
	v_cmp_ne_u32_e32 vcc_lo, 0, v5
	s_cbranch_vccz .LBB111_271
.LBB111_267:                            ;   in Loop: Header=BB111_268 Depth=2
	s_and_b32 s28, exec_lo, s28
	s_delay_alu instid0(SALU_CYCLE_1) | instskip(SKIP_2) | instid1(SALU_CYCLE_1)
	s_or_b32 s26, s28, s26
	s_and_not1_b32 s27, s27, exec_lo
	s_and_b32 s28, s29, exec_lo
	s_or_b32 s27, s27, s28
	s_and_not1_b32 exec_lo, exec_lo, s26
	s_cbranch_execz .LBB111_272
.LBB111_268:                            ;   Parent Loop BB111_6 Depth=1
                                        ; =>  This Inner Loop Header: Depth=2
	s_mov_b32 s28, exec_lo
	s_delay_alu instid0(VALU_DEP_1)
	v_cmpx_gt_u32_e64 s36, v3
	s_cbranch_execz .LBB111_266
; %bb.269:                              ;   in Loop: Header=BB111_268 Depth=2
	v_readfirstlane_b32 s30, v12
	v_readfirstlane_b32 s31, v13
	global_load_u16 v4, v2, s[30:31] scale_offset
	s_wait_loadcnt 0x0
	v_cmp_lt_i16_e32 vcc_lo, -1, v4
	v_and_b32_e32 v5, 0xffff, v4
	v_dual_cndmask_b32 v6, 0xffff, v37 :: v_dual_lshlrev_b32 v7, 16, v4
	s_delay_alu instid0(VALU_DEP_1) | instskip(NEXT) | instid1(VALU_DEP_2)
	v_cmp_o_f32_e32 vcc_lo, v7, v7
	v_xor_b32_e32 v5, v6, v5
	s_delay_alu instid0(VALU_DEP_1) | instskip(NEXT) | instid1(VALU_DEP_1)
	v_cndmask_b32_e32 v5, 0xffff, v5, vcc_lo
	v_and_b32_e32 v5, v5, v38
	s_delay_alu instid0(VALU_DEP_1)
	v_cmp_eq_u32_e32 vcc_lo, v5, v28
	s_and_b32 exec_lo, exec_lo, vcc_lo
	s_cbranch_execz .LBB111_266
; %bb.270:                              ;   in Loop: Header=BB111_268 Depth=2
	v_perm_b32 v4, v4, s89, 0x5040100
	ds_store_b32 v17, v4 offset:3072
	s_branch .LBB111_266
.LBB111_271:                            ;   in Loop: Header=BB111_268 Depth=2
	v_dual_add_nc_u32 v3, s41, v3 :: v_dual_add_nc_u32 v2, s50, v2
	s_mov_b32 s29, 0
	s_delay_alu instid0(VALU_DEP_1)
	v_cmp_le_u32_e32 vcc_lo, s83, v3
	s_or_not1_b32 s28, vcc_lo, exec_lo
	s_branch .LBB111_267
.LBB111_272:                            ;   in Loop: Header=BB111_6 Depth=1
	s_or_b32 exec_lo, exec_lo, s26
	v_lshrrev_b32_e32 v39, 16, v4
	s_and_not1_b32 s25, s25, exec_lo
	s_and_b32 s26, s27, exec_lo
	s_delay_alu instid0(SALU_CYCLE_1)
	s_or_b32 s25, s25, s26
.LBB111_273:                            ;   in Loop: Header=BB111_6 Depth=1
	s_or_b32 exec_lo, exec_lo, s16
	s_mov_b32 s16, 0
	s_mov_b32 s26, -1
.LBB111_274:                            ;   in Loop: Header=BB111_6 Depth=1
	s_or_not1_b32 s25, s25, exec_lo
.LBB111_275:                            ;   in Loop: Header=BB111_6 Depth=1
	s_or_b32 exec_lo, exec_lo, s24
                                        ; implicit-def: $vgpr5
                                        ; implicit-def: $vgpr2
	s_and_saveexec_b32 s24, s25
	s_cbranch_execz .LBB111_405
; %bb.276:                              ;   in Loop: Header=BB111_6 Depth=1
	v_dual_mov_b32 v5, 1 :: v_dual_mov_b32 v2, 1
	s_xor_b32 s25, s14, -1
	s_mov_b32 s28, 0
	s_and_saveexec_b32 s14, s25
	s_cbranch_execz .LBB111_285
; %bb.277:                              ;   in Loop: Header=BB111_6 Depth=1
	s_mov_b32 s25, exec_lo
	v_cmpx_ge_u32_e64 s22, v40
	s_xor_b32 s25, exec_lo, s25
	s_cbranch_execz .LBB111_282
; %bb.278:                              ;   in Loop: Header=BB111_6 Depth=1
	ds_load_b32 v2, v17 offset:4096
	v_or_b32_e32 v28, s18, v28
	v_or_b32_e32 v38, s18, v38
	s_wait_dscnt 0x0
	v_cmp_ne_u32_e32 vcc_lo, 0, v2
	s_cbranch_vccnz .LBB111_282
; %bb.279:                              ;   in Loop: Header=BB111_6 Depth=1
	s_and_saveexec_b32 s27, s5
; %bb.280:                              ;   in Loop: Header=BB111_6 Depth=1
	v_mov_b32_e32 v2, s22
	ds_store_b32 v17, v2 offset:4100
; %bb.281:                              ;   in Loop: Header=BB111_6 Depth=1
	s_or_b32 exec_lo, exec_lo, s27
	s_wait_dscnt 0x0
	s_barrier_signal -1
	s_barrier_wait -1
.LBB111_282:                            ;   in Loop: Header=BB111_6 Depth=1
	s_or_saveexec_b32 s25, s25
	v_mov_b32_e32 v2, 5
	s_mov_b32 s27, 0
	s_xor_b32 exec_lo, exec_lo, s25
; %bb.283:                              ;   in Loop: Header=BB111_6 Depth=1
	v_subrev_nc_u32_e32 v40, s22, v40
	v_mov_b32_e32 v2, 0
	s_mov_b32 s27, exec_lo
; %bb.284:                              ;   in Loop: Header=BB111_6 Depth=1
	s_or_b32 exec_lo, exec_lo, s25
	s_delay_alu instid0(VALU_DEP_2)
	v_mov_b32_e32 v5, v40
	s_and_b32 s28, s27, exec_lo
.LBB111_285:                            ;   in Loop: Header=BB111_6 Depth=1
	s_or_b32 exec_lo, exec_lo, s14
	s_mov_b32 s27, -1
                                        ; implicit-def: $sgpr22
                                        ; implicit-def: $sgpr25
	s_and_saveexec_b32 s14, s28
	s_delay_alu instid0(SALU_CYCLE_1)
	s_xor_b32 s14, exec_lo, s14
	s_cbranch_execz .LBB111_402
; %bb.286:                              ;   in Loop: Header=BB111_6 Depth=1
	v_cmp_eq_u32_e32 vcc_lo, 1, v5
	s_cmp_eq_u32 s21, 1
	s_mov_b32 s29, -1
	s_cselect_b32 s22, -1, 0
                                        ; implicit-def: $sgpr25
	s_delay_alu instid0(SALU_CYCLE_1) | instskip(NEXT) | instid1(SALU_CYCLE_1)
	s_and_b32 s28, s22, vcc_lo
                                        ; implicit-def: $sgpr22
	s_and_saveexec_b32 s27, s28
	s_cbranch_execz .LBB111_312
; %bb.287:                              ;   in Loop: Header=BB111_6 Depth=1
	ds_load_b32 v3, v17 offset:4096
	s_wait_dscnt 0x0
	s_barrier_signal -1
	s_barrier_wait -1
	v_readfirstlane_b32 s30, v3
	s_and_saveexec_b32 s22, s6
; %bb.288:                              ;   in Loop: Header=BB111_6 Depth=1
	ds_store_b16 v23, v17
; %bb.289:                              ;   in Loop: Header=BB111_6 Depth=1
	s_or_b32 exec_lo, exec_lo, s22
	s_lshl_b32 s22, 2, s87
	v_or_b32_e32 v38, s18, v38
	v_and_or_b32 v28, v28, s19, s22
	s_mov_b32 s22, -1
	s_mov_b32 s25, 0
	s_cmp_eq_u32 s30, 0
	s_mov_b32 s29, 0
	s_mov_b32 s31, -1
	s_wait_dscnt 0x0
	s_barrier_signal -1
	s_barrier_wait -1
                                        ; implicit-def: $vgpr39
	s_cbranch_scc1 .LBB111_300
; %bb.290:                              ;   in Loop: Header=BB111_6 Depth=1
	s_add_co_i32 s38, s30, s70
	s_mov_b32 s33, exec_lo
	s_mul_u64 s[44:45], s[38:39], s[54:55]
                                        ; implicit-def: $vgpr39
	s_delay_alu instid0(SALU_CYCLE_1) | instskip(NEXT) | instid1(SALU_CYCLE_1)
	s_mul_i32 s29, s45, s41
	s_sub_co_i32 s29, s38, s29
	s_delay_alu instid0(SALU_CYCLE_1) | instskip(SKIP_2) | instid1(SALU_CYCLE_1)
	s_sub_co_i32 s31, s29, s41
	s_cmp_ge_u32 s29, s41
	s_cselect_b32 s29, s31, s29
	s_sub_co_i32 s31, s29, s41
	s_cmp_ge_u32 s29, s41
	s_cselect_b32 s29, s31, s29
	s_mov_b32 s31, 0
	s_sub_co_i32 s34, s38, s29
	s_mov_b32 s29, 0
	v_cmpx_gt_u32_e64 s34, v0
	s_cbranch_execz .LBB111_299
; %bb.291:                              ;   in Loop: Header=BB111_6 Depth=1
	v_dual_mov_b32 v3, v22 :: v_dual_mov_b32 v4, v0
                                        ; implicit-def: $sgpr38
	s_branch .LBB111_294
.LBB111_292:                            ;   in Loop: Header=BB111_294 Depth=2
	s_or_b32 exec_lo, exec_lo, s44
	s_wait_dscnt 0x0
	s_barrier_signal -1
	s_barrier_wait -1
	ds_load_b32 v6, v17 offset:3072
	s_mov_b32 s44, -1
	s_mov_b32 s45, -1
	s_wait_dscnt 0x0
	s_barrier_signal -1
	s_barrier_wait -1
	v_and_b32_e32 v7, 0x7fff, v6
	s_delay_alu instid0(VALU_DEP_1)
	v_cmp_ne_u32_e32 vcc_lo, 0, v7
	s_cbranch_vccz .LBB111_297
.LBB111_293:                            ;   in Loop: Header=BB111_294 Depth=2
	s_and_b32 s44, exec_lo, s44
	s_delay_alu instid0(SALU_CYCLE_1) | instskip(SKIP_2) | instid1(SALU_CYCLE_1)
	s_or_b32 s29, s44, s29
	s_and_not1_b32 s38, s38, exec_lo
	s_and_b32 s44, s45, exec_lo
	s_or_b32 s38, s38, s44
	s_and_not1_b32 exec_lo, exec_lo, s29
	s_cbranch_execz .LBB111_298
.LBB111_294:                            ;   Parent Loop BB111_6 Depth=1
                                        ; =>  This Inner Loop Header: Depth=2
	s_mov_b32 s44, exec_lo
	s_delay_alu instid0(VALU_DEP_1)
	v_cmpx_gt_u32_e64 s30, v4
	s_cbranch_execz .LBB111_292
; %bb.295:                              ;   in Loop: Header=BB111_294 Depth=2
	ds_load_u16 v6, v3
	s_wait_dscnt 0x0
	v_cmp_lt_i16_e32 vcc_lo, -1, v6
	v_and_b32_e32 v7, 0xffff, v6
	v_dual_cndmask_b32 v8, 0xffff, v37 :: v_dual_lshlrev_b32 v9, 16, v6
	s_delay_alu instid0(VALU_DEP_1) | instskip(NEXT) | instid1(VALU_DEP_2)
	v_cmp_o_f32_e32 vcc_lo, v9, v9
	v_xor_b32_e32 v7, v8, v7
	s_delay_alu instid0(VALU_DEP_1) | instskip(NEXT) | instid1(VALU_DEP_1)
	v_cndmask_b32_e32 v7, 0xffff, v7, vcc_lo
	v_and_b32_e32 v7, v7, v38
	s_delay_alu instid0(VALU_DEP_1)
	v_cmp_eq_u32_e32 vcc_lo, v7, v28
	s_and_b32 exec_lo, exec_lo, vcc_lo
	s_cbranch_execz .LBB111_292
; %bb.296:                              ;   in Loop: Header=BB111_294 Depth=2
	v_perm_b32 v6, v6, s89, 0x5040100
	ds_store_b32 v17, v6 offset:3072
	s_branch .LBB111_292
.LBB111_297:                            ;   in Loop: Header=BB111_294 Depth=2
	v_dual_add_nc_u32 v4, s41, v4 :: v_dual_add_nc_u32 v3, s86, v3
	s_mov_b32 s45, 0
	s_delay_alu instid0(VALU_DEP_1)
	v_cmp_le_u32_e32 vcc_lo, s34, v4
	s_or_not1_b32 s44, vcc_lo, exec_lo
	s_branch .LBB111_293
.LBB111_298:                            ;   in Loop: Header=BB111_6 Depth=1
	s_or_b32 exec_lo, exec_lo, s29
	v_lshrrev_b32_e32 v39, 16, v6
	s_and_b32 s29, s38, exec_lo
.LBB111_299:                            ;   in Loop: Header=BB111_6 Depth=1
	s_or_b32 exec_lo, exec_lo, s33
.LBB111_300:                            ;   in Loop: Header=BB111_6 Depth=1
	s_delay_alu instid0(SALU_CYCLE_1)
	s_and_b32 vcc_lo, exec_lo, s31
	s_cbranch_vccz .LBB111_311
; %bb.301:                              ;   in Loop: Header=BB111_6 Depth=1
                                        ; implicit-def: $vgpr39
	s_and_saveexec_b32 s22, s13
	s_cbranch_execz .LBB111_310
; %bb.302:                              ;   in Loop: Header=BB111_6 Depth=1
	v_dual_mov_b32 v3, v18 :: v_dual_mov_b32 v4, v0
	s_mov_b32 s25, 0
                                        ; implicit-def: $sgpr30
	s_branch .LBB111_305
.LBB111_303:                            ;   in Loop: Header=BB111_305 Depth=2
	s_or_b32 exec_lo, exec_lo, s31
	s_wait_dscnt 0x0
	s_barrier_signal -1
	s_barrier_wait -1
	ds_load_b32 v6, v17 offset:3072
	s_mov_b32 s31, -1
	s_mov_b32 s33, -1
	s_wait_dscnt 0x0
	s_barrier_signal -1
	s_barrier_wait -1
	v_and_b32_e32 v7, 0x7fff, v6
	s_delay_alu instid0(VALU_DEP_1)
	v_cmp_eq_u32_e32 vcc_lo, 0, v7
	s_cbranch_vccnz .LBB111_308
.LBB111_304:                            ;   in Loop: Header=BB111_305 Depth=2
	s_and_b32 s31, exec_lo, s31
	s_delay_alu instid0(SALU_CYCLE_1) | instskip(SKIP_2) | instid1(SALU_CYCLE_1)
	s_or_b32 s25, s31, s25
	s_and_not1_b32 s30, s30, exec_lo
	s_and_b32 s31, s33, exec_lo
	s_or_b32 s30, s30, s31
	s_and_not1_b32 exec_lo, exec_lo, s25
	s_cbranch_execz .LBB111_309
.LBB111_305:                            ;   Parent Loop BB111_6 Depth=1
                                        ; =>  This Inner Loop Header: Depth=2
	s_mov_b32 s31, exec_lo
	s_delay_alu instid0(VALU_DEP_1)
	v_cmpx_gt_u32_e64 s36, v4
	s_cbranch_execz .LBB111_303
; %bb.306:                              ;   in Loop: Header=BB111_305 Depth=2
	v_readfirstlane_b32 s44, v12
	v_readfirstlane_b32 s45, v13
	global_load_u16 v6, v3, s[44:45] scale_offset
	s_wait_loadcnt 0x0
	v_cmp_lt_i16_e32 vcc_lo, -1, v6
	v_and_b32_e32 v7, 0xffff, v6
	v_dual_cndmask_b32 v8, 0xffff, v37 :: v_dual_lshlrev_b32 v9, 16, v6
	s_delay_alu instid0(VALU_DEP_1) | instskip(NEXT) | instid1(VALU_DEP_2)
	v_cmp_o_f32_e32 vcc_lo, v9, v9
	v_xor_b32_e32 v7, v8, v7
	s_delay_alu instid0(VALU_DEP_1) | instskip(NEXT) | instid1(VALU_DEP_1)
	v_cndmask_b32_e32 v7, 0xffff, v7, vcc_lo
	v_and_b32_e32 v7, v7, v38
	s_delay_alu instid0(VALU_DEP_1)
	v_cmp_eq_u32_e32 vcc_lo, v7, v28
	s_and_b32 exec_lo, exec_lo, vcc_lo
	s_cbranch_execz .LBB111_303
; %bb.307:                              ;   in Loop: Header=BB111_305 Depth=2
	v_perm_b32 v6, v6, s89, 0x5040100
	ds_store_b32 v17, v6 offset:3072
	s_branch .LBB111_303
.LBB111_308:                            ;   in Loop: Header=BB111_305 Depth=2
	v_dual_add_nc_u32 v4, s41, v4 :: v_dual_add_nc_u32 v3, s50, v3
	s_mov_b32 s33, 0
	s_delay_alu instid0(VALU_DEP_1)
	v_cmp_le_u32_e32 vcc_lo, s83, v4
	s_or_not1_b32 s31, vcc_lo, exec_lo
	s_branch .LBB111_304
.LBB111_309:                            ;   in Loop: Header=BB111_6 Depth=1
	s_or_b32 exec_lo, exec_lo, s25
	v_lshrrev_b32_e32 v39, 16, v6
	s_and_not1_b32 s25, s29, exec_lo
	s_and_b32 s29, s30, exec_lo
	s_delay_alu instid0(SALU_CYCLE_1)
	s_or_b32 s29, s25, s29
.LBB111_310:                            ;   in Loop: Header=BB111_6 Depth=1
	s_or_b32 exec_lo, exec_lo, s22
	s_mov_b32 s22, 0
	s_mov_b32 s25, -1
.LBB111_311:                            ;   in Loop: Header=BB111_6 Depth=1
	s_or_not1_b32 s29, s29, exec_lo
.LBB111_312:                            ;   in Loop: Header=BB111_6 Depth=1
	s_or_b32 exec_lo, exec_lo, s27
	s_mov_b32 s30, 0
	s_and_saveexec_b32 s27, s29
	s_cbranch_execz .LBB111_401
; %bb.313:                              ;   in Loop: Header=BB111_6 Depth=1
	v_dual_mov_b32 v3, 1 :: v_dual_mov_b32 v2, 1
	s_xor_b32 s29, s28, -1
	s_mov_b32 s31, 0
	s_and_saveexec_b32 s28, s29
	s_cbranch_execz .LBB111_322
; %bb.314:                              ;   in Loop: Header=BB111_6 Depth=1
	s_mov_b32 s29, exec_lo
	v_cmpx_ge_u32_e64 s21, v5
	s_xor_b32 s29, exec_lo, s29
	s_cbranch_execz .LBB111_319
; %bb.315:                              ;   in Loop: Header=BB111_6 Depth=1
	ds_load_b32 v2, v17 offset:4096
	s_lshl_b32 s30, 2, s87
	v_or_b32_e32 v38, s18, v38
	v_and_or_b32 v28, v28, s19, s30
	s_wait_dscnt 0x0
	v_cmp_ne_u32_e32 vcc_lo, 0, v2
	s_cbranch_vccnz .LBB111_319
; %bb.316:                              ;   in Loop: Header=BB111_6 Depth=1
	s_and_saveexec_b32 s30, s5
; %bb.317:                              ;   in Loop: Header=BB111_6 Depth=1
	v_mov_b32_e32 v2, s21
	ds_store_b32 v17, v2 offset:4100
; %bb.318:                              ;   in Loop: Header=BB111_6 Depth=1
	s_or_b32 exec_lo, exec_lo, s30
	s_wait_dscnt 0x0
	s_barrier_signal -1
	s_barrier_wait -1
.LBB111_319:                            ;   in Loop: Header=BB111_6 Depth=1
	s_or_saveexec_b32 s29, s29
	v_mov_b32_e32 v2, 5
	s_mov_b32 s30, 0
	s_xor_b32 exec_lo, exec_lo, s29
; %bb.320:                              ;   in Loop: Header=BB111_6 Depth=1
	v_subrev_nc_u32_e32 v5, s21, v5
	v_mov_b32_e32 v2, 0
	s_mov_b32 s30, exec_lo
; %bb.321:                              ;   in Loop: Header=BB111_6 Depth=1
	s_or_b32 exec_lo, exec_lo, s29
	s_delay_alu instid0(VALU_DEP_2)
	v_mov_b32_e32 v3, v5
	s_and_b32 s31, s30, exec_lo
.LBB111_322:                            ;   in Loop: Header=BB111_6 Depth=1
	s_or_b32 exec_lo, exec_lo, s28
	s_mov_b32 s30, -1
                                        ; implicit-def: $sgpr28
                                        ; implicit-def: $sgpr29
	s_and_saveexec_b32 s21, s31
	s_cbranch_execz .LBB111_400
; %bb.323:                              ;   in Loop: Header=BB111_6 Depth=1
	v_cmp_eq_u32_e32 vcc_lo, 1, v3
	s_cmp_eq_u32 s20, 1
	s_mov_b32 s33, -1
	s_cselect_b32 s28, -1, 0
                                        ; implicit-def: $sgpr29
	s_delay_alu instid0(SALU_CYCLE_1) | instskip(NEXT) | instid1(SALU_CYCLE_1)
	s_and_b32 s31, s28, vcc_lo
                                        ; implicit-def: $sgpr28
	s_and_saveexec_b32 s30, s31
	s_cbranch_execz .LBB111_349
; %bb.324:                              ;   in Loop: Header=BB111_6 Depth=1
	ds_load_b32 v4, v17 offset:4096
	s_wait_dscnt 0x0
	s_barrier_signal -1
	s_barrier_wait -1
	v_readfirstlane_b32 s34, v4
	s_and_saveexec_b32 s28, s6
; %bb.325:                              ;   in Loop: Header=BB111_6 Depth=1
	ds_store_b16 v23, v17
; %bb.326:                              ;   in Loop: Header=BB111_6 Depth=1
	s_or_b32 exec_lo, exec_lo, s28
	s_lshl_b32 s28, 1, s87
	v_or_b32_e32 v38, s18, v38
	v_and_or_b32 v28, v28, s19, s28
	s_mov_b32 s28, -1
	s_mov_b32 s29, 0
	s_cmp_eq_u32 s34, 0
	s_mov_b32 s33, 0
	s_mov_b32 s38, -1
	s_wait_dscnt 0x0
	s_barrier_signal -1
	s_barrier_wait -1
                                        ; implicit-def: $vgpr39
	s_cbranch_scc1 .LBB111_337
; %bb.327:                              ;   in Loop: Header=BB111_6 Depth=1
	s_add_co_i32 s38, s34, s70
	s_mov_b32 s58, exec_lo
	s_mul_u64 s[44:45], s[38:39], s[54:55]
                                        ; implicit-def: $vgpr39
	s_delay_alu instid0(SALU_CYCLE_1) | instskip(NEXT) | instid1(SALU_CYCLE_1)
	s_mul_i32 s33, s45, s41
	s_sub_co_i32 s33, s38, s33
	s_delay_alu instid0(SALU_CYCLE_1) | instskip(SKIP_2) | instid1(SALU_CYCLE_1)
	s_sub_co_i32 s44, s33, s41
	s_cmp_ge_u32 s33, s41
	s_cselect_b32 s33, s44, s33
	s_sub_co_i32 s44, s33, s41
	s_cmp_ge_u32 s33, s41
	s_cselect_b32 s33, s44, s33
	s_delay_alu instid0(SALU_CYCLE_1)
	s_sub_co_i32 s59, s38, s33
	s_mov_b32 s38, 0
	s_mov_b32 s33, 0
	v_cmpx_gt_u32_e64 s59, v0
	s_cbranch_execz .LBB111_336
; %bb.328:                              ;   in Loop: Header=BB111_6 Depth=1
	v_dual_mov_b32 v4, v22 :: v_dual_mov_b32 v5, v0
                                        ; implicit-def: $sgpr44
	s_branch .LBB111_331
.LBB111_329:                            ;   in Loop: Header=BB111_331 Depth=2
	s_or_b32 exec_lo, exec_lo, s45
	s_wait_dscnt 0x0
	s_barrier_signal -1
	s_barrier_wait -1
	ds_load_b32 v6, v17 offset:3072
	s_mov_b32 s45, -1
	s_mov_b32 s46, -1
	s_wait_dscnt 0x0
	s_barrier_signal -1
	s_barrier_wait -1
	v_and_b32_e32 v7, 0x7fff, v6
	s_delay_alu instid0(VALU_DEP_1)
	v_cmp_ne_u32_e32 vcc_lo, 0, v7
	s_cbranch_vccz .LBB111_334
.LBB111_330:                            ;   in Loop: Header=BB111_331 Depth=2
	s_and_b32 s45, exec_lo, s45
	s_delay_alu instid0(SALU_CYCLE_1) | instskip(SKIP_2) | instid1(SALU_CYCLE_1)
	s_or_b32 s33, s45, s33
	s_and_not1_b32 s44, s44, exec_lo
	s_and_b32 s45, s46, exec_lo
	s_or_b32 s44, s44, s45
	s_and_not1_b32 exec_lo, exec_lo, s33
	s_cbranch_execz .LBB111_335
.LBB111_331:                            ;   Parent Loop BB111_6 Depth=1
                                        ; =>  This Inner Loop Header: Depth=2
	s_mov_b32 s45, exec_lo
	s_delay_alu instid0(VALU_DEP_1)
	v_cmpx_gt_u32_e64 s34, v5
	s_cbranch_execz .LBB111_329
; %bb.332:                              ;   in Loop: Header=BB111_331 Depth=2
	ds_load_u16 v6, v4
	s_wait_dscnt 0x0
	v_cmp_lt_i16_e32 vcc_lo, -1, v6
	v_and_b32_e32 v7, 0xffff, v6
	v_dual_cndmask_b32 v8, 0xffff, v37 :: v_dual_lshlrev_b32 v9, 16, v6
	s_delay_alu instid0(VALU_DEP_1) | instskip(NEXT) | instid1(VALU_DEP_2)
	v_cmp_o_f32_e32 vcc_lo, v9, v9
	v_xor_b32_e32 v7, v8, v7
	s_delay_alu instid0(VALU_DEP_1) | instskip(NEXT) | instid1(VALU_DEP_1)
	v_cndmask_b32_e32 v7, 0xffff, v7, vcc_lo
	v_and_b32_e32 v7, v7, v38
	s_delay_alu instid0(VALU_DEP_1)
	v_cmp_eq_u32_e32 vcc_lo, v7, v28
	s_and_b32 exec_lo, exec_lo, vcc_lo
	s_cbranch_execz .LBB111_329
; %bb.333:                              ;   in Loop: Header=BB111_331 Depth=2
	v_perm_b32 v6, v6, s89, 0x5040100
	ds_store_b32 v17, v6 offset:3072
	s_branch .LBB111_329
.LBB111_334:                            ;   in Loop: Header=BB111_331 Depth=2
	v_dual_add_nc_u32 v5, s41, v5 :: v_dual_add_nc_u32 v4, s86, v4
	s_mov_b32 s46, 0
	s_delay_alu instid0(VALU_DEP_1)
	v_cmp_le_u32_e32 vcc_lo, s59, v5
	s_or_not1_b32 s45, vcc_lo, exec_lo
	s_branch .LBB111_330
.LBB111_335:                            ;   in Loop: Header=BB111_6 Depth=1
	s_or_b32 exec_lo, exec_lo, s33
	v_lshrrev_b32_e32 v39, 16, v6
	s_and_b32 s33, s44, exec_lo
.LBB111_336:                            ;   in Loop: Header=BB111_6 Depth=1
	s_or_b32 exec_lo, exec_lo, s58
.LBB111_337:                            ;   in Loop: Header=BB111_6 Depth=1
	s_delay_alu instid0(SALU_CYCLE_1)
	s_and_b32 vcc_lo, exec_lo, s38
	s_cbranch_vccz .LBB111_348
; %bb.338:                              ;   in Loop: Header=BB111_6 Depth=1
                                        ; implicit-def: $vgpr39
	s_and_saveexec_b32 s28, s13
	s_cbranch_execz .LBB111_347
; %bb.339:                              ;   in Loop: Header=BB111_6 Depth=1
	v_dual_mov_b32 v4, v18 :: v_dual_mov_b32 v5, v0
	s_mov_b32 s29, 0
                                        ; implicit-def: $sgpr34
	s_branch .LBB111_342
.LBB111_340:                            ;   in Loop: Header=BB111_342 Depth=2
	s_or_b32 exec_lo, exec_lo, s38
	s_wait_dscnt 0x0
	s_barrier_signal -1
	s_barrier_wait -1
	ds_load_b32 v6, v17 offset:3072
	s_mov_b32 s38, -1
	s_mov_b32 s44, -1
	s_wait_dscnt 0x0
	s_barrier_signal -1
	s_barrier_wait -1
	v_and_b32_e32 v7, 0x7fff, v6
	s_delay_alu instid0(VALU_DEP_1)
	v_cmp_eq_u32_e32 vcc_lo, 0, v7
	s_cbranch_vccnz .LBB111_345
.LBB111_341:                            ;   in Loop: Header=BB111_342 Depth=2
	s_and_b32 s38, exec_lo, s38
	s_delay_alu instid0(SALU_CYCLE_1) | instskip(SKIP_2) | instid1(SALU_CYCLE_1)
	s_or_b32 s29, s38, s29
	s_and_not1_b32 s34, s34, exec_lo
	s_and_b32 s38, s44, exec_lo
	s_or_b32 s34, s34, s38
	s_and_not1_b32 exec_lo, exec_lo, s29
	s_cbranch_execz .LBB111_346
.LBB111_342:                            ;   Parent Loop BB111_6 Depth=1
                                        ; =>  This Inner Loop Header: Depth=2
	s_mov_b32 s38, exec_lo
	s_delay_alu instid0(VALU_DEP_1)
	v_cmpx_gt_u32_e64 s36, v5
	s_cbranch_execz .LBB111_340
; %bb.343:                              ;   in Loop: Header=BB111_342 Depth=2
	v_readfirstlane_b32 s44, v12
	v_readfirstlane_b32 s45, v13
	global_load_u16 v6, v4, s[44:45] scale_offset
	s_wait_loadcnt 0x0
	v_cmp_lt_i16_e32 vcc_lo, -1, v6
	v_and_b32_e32 v7, 0xffff, v6
	v_dual_cndmask_b32 v8, 0xffff, v37 :: v_dual_lshlrev_b32 v9, 16, v6
	s_delay_alu instid0(VALU_DEP_1) | instskip(NEXT) | instid1(VALU_DEP_2)
	v_cmp_o_f32_e32 vcc_lo, v9, v9
	v_xor_b32_e32 v7, v8, v7
	s_delay_alu instid0(VALU_DEP_1) | instskip(NEXT) | instid1(VALU_DEP_1)
	v_cndmask_b32_e32 v7, 0xffff, v7, vcc_lo
	v_and_b32_e32 v7, v7, v38
	s_delay_alu instid0(VALU_DEP_1)
	v_cmp_eq_u32_e32 vcc_lo, v7, v28
	s_and_b32 exec_lo, exec_lo, vcc_lo
	s_cbranch_execz .LBB111_340
; %bb.344:                              ;   in Loop: Header=BB111_342 Depth=2
	v_perm_b32 v6, v6, s89, 0x5040100
	ds_store_b32 v17, v6 offset:3072
	s_branch .LBB111_340
.LBB111_345:                            ;   in Loop: Header=BB111_342 Depth=2
	v_dual_add_nc_u32 v5, s41, v5 :: v_dual_add_nc_u32 v4, s50, v4
	s_mov_b32 s44, 0
	s_delay_alu instid0(VALU_DEP_1)
	v_cmp_le_u32_e32 vcc_lo, s83, v5
	s_or_not1_b32 s38, vcc_lo, exec_lo
	s_branch .LBB111_341
.LBB111_346:                            ;   in Loop: Header=BB111_6 Depth=1
	s_or_b32 exec_lo, exec_lo, s29
	v_lshrrev_b32_e32 v39, 16, v6
	s_and_not1_b32 s29, s33, exec_lo
	s_and_b32 s33, s34, exec_lo
	s_delay_alu instid0(SALU_CYCLE_1)
	s_or_b32 s33, s29, s33
.LBB111_347:                            ;   in Loop: Header=BB111_6 Depth=1
	s_or_b32 exec_lo, exec_lo, s28
	s_mov_b32 s28, 0
	s_mov_b32 s29, -1
.LBB111_348:                            ;   in Loop: Header=BB111_6 Depth=1
	s_or_not1_b32 s33, s33, exec_lo
.LBB111_349:                            ;   in Loop: Header=BB111_6 Depth=1
	s_or_b32 exec_lo, exec_lo, s30
	s_mov_b32 s34, 0
	s_and_saveexec_b32 s30, s33
	s_cbranch_execz .LBB111_399
; %bb.350:                              ;   in Loop: Header=BB111_6 Depth=1
	v_dual_mov_b32 v4, 1 :: v_dual_mov_b32 v2, 1
	s_xor_b32 s33, s31, -1
	s_mov_b32 s38, 0
	s_and_saveexec_b32 s31, s33
	s_cbranch_execz .LBB111_359
; %bb.351:                              ;   in Loop: Header=BB111_6 Depth=1
	s_mov_b32 s33, exec_lo
	v_cmpx_ge_u32_e64 s20, v3
	s_xor_b32 s33, exec_lo, s33
	s_cbranch_execz .LBB111_356
; %bb.352:                              ;   in Loop: Header=BB111_6 Depth=1
	ds_load_b32 v2, v17 offset:4096
	s_lshl_b32 s34, 1, s87
	v_or_b32_e32 v38, s18, v38
	v_and_or_b32 v28, v28, s19, s34
	s_wait_dscnt 0x0
	v_cmp_ne_u32_e32 vcc_lo, 0, v2
	s_cbranch_vccnz .LBB111_356
; %bb.353:                              ;   in Loop: Header=BB111_6 Depth=1
	s_and_saveexec_b32 s34, s5
; %bb.354:                              ;   in Loop: Header=BB111_6 Depth=1
	v_mov_b32_e32 v2, s20
	ds_store_b32 v17, v2 offset:4100
; %bb.355:                              ;   in Loop: Header=BB111_6 Depth=1
	s_or_b32 exec_lo, exec_lo, s34
	s_wait_dscnt 0x0
	s_barrier_signal -1
	s_barrier_wait -1
.LBB111_356:                            ;   in Loop: Header=BB111_6 Depth=1
	s_or_saveexec_b32 s33, s33
	v_mov_b32_e32 v2, 5
	s_mov_b32 s34, 0
	s_xor_b32 exec_lo, exec_lo, s33
; %bb.357:                              ;   in Loop: Header=BB111_6 Depth=1
	v_subrev_nc_u32_e32 v3, s20, v3
	v_mov_b32_e32 v2, 0
	s_mov_b32 s34, exec_lo
; %bb.358:                              ;   in Loop: Header=BB111_6 Depth=1
	s_or_b32 exec_lo, exec_lo, s33
	s_delay_alu instid0(VALU_DEP_2)
	v_mov_b32_e32 v4, v3
	s_and_b32 s38, s34, exec_lo
.LBB111_359:                            ;   in Loop: Header=BB111_6 Depth=1
	s_or_b32 exec_lo, exec_lo, s31
	s_mov_b32 s31, -1
                                        ; implicit-def: $sgpr34
                                        ; implicit-def: $sgpr33
	s_and_saveexec_b32 s20, s38
	s_cbranch_execz .LBB111_398
; %bb.360:                              ;   in Loop: Header=BB111_6 Depth=1
	v_cmp_eq_u32_e32 vcc_lo, 1, v4
	s_cmp_eq_u32 s17, 1
	s_mov_b32 s44, -1
	s_cselect_b32 s31, -1, 0
                                        ; implicit-def: $sgpr34
                                        ; implicit-def: $sgpr33
	s_delay_alu instid0(SALU_CYCLE_1) | instskip(NEXT) | instid1(SALU_CYCLE_1)
	s_and_b32 s31, s31, vcc_lo
	s_and_saveexec_b32 s58, s31
	s_cbranch_execz .LBB111_386
; %bb.361:                              ;   in Loop: Header=BB111_6 Depth=1
	ds_load_b32 v3, v17 offset:4096
	s_wait_dscnt 0x0
	s_barrier_signal -1
	s_barrier_wait -1
	v_readfirstlane_b32 s59, v3
	s_and_saveexec_b32 s33, s6
; %bb.362:                              ;   in Loop: Header=BB111_6 Depth=1
	ds_store_b16 v23, v17
; %bb.363:                              ;   in Loop: Header=BB111_6 Depth=1
	s_or_b32 exec_lo, exec_lo, s33
	v_and_b32_e32 v28, s19, v28
	v_or_b32_e32 v38, s18, v38
	s_mov_b32 s33, -1
	s_mov_b32 s34, 0
	s_cmp_eq_u32 s59, 0
	s_mov_b32 s38, 0
	s_mov_b32 s60, -1
	s_wait_dscnt 0x0
	s_barrier_signal -1
	s_barrier_wait -1
                                        ; implicit-def: $vgpr39
	s_cbranch_scc1 .LBB111_374
; %bb.364:                              ;   in Loop: Header=BB111_6 Depth=1
	s_add_co_i32 s38, s59, s70
	s_mov_b32 s60, 0
	s_mul_u64 s[44:45], s[38:39], s[54:55]
	s_mov_b32 s61, exec_lo
	s_mul_i32 s44, s45, s41
                                        ; implicit-def: $vgpr39
	s_delay_alu instid0(SALU_CYCLE_1) | instskip(NEXT) | instid1(SALU_CYCLE_1)
	s_sub_co_i32 s44, s38, s44
	s_sub_co_i32 s45, s44, s41
	s_cmp_ge_u32 s44, s41
	s_cselect_b32 s44, s45, s44
	s_delay_alu instid0(SALU_CYCLE_1) | instskip(SKIP_2) | instid1(SALU_CYCLE_1)
	s_sub_co_i32 s45, s44, s41
	s_cmp_ge_u32 s44, s41
	s_cselect_b32 s44, s45, s44
	s_sub_co_i32 s101, s38, s44
	s_mov_b32 s38, 0
	v_cmpx_gt_u32_e64 s101, v0
	s_cbranch_execz .LBB111_373
; %bb.365:                              ;   in Loop: Header=BB111_6 Depth=1
	v_dual_mov_b32 v3, v22 :: v_dual_mov_b32 v5, v0
                                        ; implicit-def: $sgpr44
	s_branch .LBB111_368
.LBB111_366:                            ;   in Loop: Header=BB111_368 Depth=2
	s_or_b32 exec_lo, exec_lo, s45
	s_wait_dscnt 0x0
	s_barrier_signal -1
	s_barrier_wait -1
	ds_load_b32 v6, v17 offset:3072
	s_mov_b32 s45, -1
	s_mov_b32 s46, -1
	s_wait_dscnt 0x0
	s_barrier_signal -1
	s_barrier_wait -1
	v_and_b32_e32 v7, 0x7fff, v6
	s_delay_alu instid0(VALU_DEP_1)
	v_cmp_ne_u32_e32 vcc_lo, 0, v7
	s_cbranch_vccz .LBB111_371
.LBB111_367:                            ;   in Loop: Header=BB111_368 Depth=2
	s_and_b32 s45, exec_lo, s45
	s_delay_alu instid0(SALU_CYCLE_1) | instskip(SKIP_2) | instid1(SALU_CYCLE_1)
	s_or_b32 s38, s45, s38
	s_and_not1_b32 s44, s44, exec_lo
	s_and_b32 s45, s46, exec_lo
	s_or_b32 s44, s44, s45
	s_and_not1_b32 exec_lo, exec_lo, s38
	s_cbranch_execz .LBB111_372
.LBB111_368:                            ;   Parent Loop BB111_6 Depth=1
                                        ; =>  This Inner Loop Header: Depth=2
	s_mov_b32 s45, exec_lo
	s_delay_alu instid0(VALU_DEP_1)
	v_cmpx_gt_u32_e64 s59, v5
	s_cbranch_execz .LBB111_366
; %bb.369:                              ;   in Loop: Header=BB111_368 Depth=2
	ds_load_u16 v6, v3
	s_wait_dscnt 0x0
	v_cmp_lt_i16_e32 vcc_lo, -1, v6
	v_and_b32_e32 v7, 0xffff, v6
	v_dual_cndmask_b32 v8, 0xffff, v37 :: v_dual_lshlrev_b32 v9, 16, v6
	s_delay_alu instid0(VALU_DEP_1) | instskip(NEXT) | instid1(VALU_DEP_2)
	v_cmp_o_f32_e32 vcc_lo, v9, v9
	v_xor_b32_e32 v7, v8, v7
	s_delay_alu instid0(VALU_DEP_1) | instskip(NEXT) | instid1(VALU_DEP_1)
	v_cndmask_b32_e32 v7, 0xffff, v7, vcc_lo
	v_and_b32_e32 v7, v7, v38
	s_delay_alu instid0(VALU_DEP_1)
	v_cmp_eq_u32_e32 vcc_lo, v7, v28
	s_and_b32 exec_lo, exec_lo, vcc_lo
	s_cbranch_execz .LBB111_366
; %bb.370:                              ;   in Loop: Header=BB111_368 Depth=2
	v_perm_b32 v6, v6, s89, 0x5040100
	ds_store_b32 v17, v6 offset:3072
	s_branch .LBB111_366
.LBB111_371:                            ;   in Loop: Header=BB111_368 Depth=2
	v_dual_add_nc_u32 v5, s41, v5 :: v_dual_add_nc_u32 v3, s86, v3
	s_mov_b32 s46, 0
	s_delay_alu instid0(VALU_DEP_1)
	v_cmp_le_u32_e32 vcc_lo, s101, v5
	s_or_not1_b32 s45, vcc_lo, exec_lo
	s_branch .LBB111_367
.LBB111_372:                            ;   in Loop: Header=BB111_6 Depth=1
	s_or_b32 exec_lo, exec_lo, s38
	v_lshrrev_b32_e32 v39, 16, v6
	s_and_b32 s38, s44, exec_lo
.LBB111_373:                            ;   in Loop: Header=BB111_6 Depth=1
	s_or_b32 exec_lo, exec_lo, s61
.LBB111_374:                            ;   in Loop: Header=BB111_6 Depth=1
	s_delay_alu instid0(SALU_CYCLE_1)
	s_and_b32 vcc_lo, exec_lo, s60
	s_cbranch_vccz .LBB111_385
; %bb.375:                              ;   in Loop: Header=BB111_6 Depth=1
                                        ; implicit-def: $vgpr39
	s_and_saveexec_b32 s33, s13
	s_cbranch_execz .LBB111_384
; %bb.376:                              ;   in Loop: Header=BB111_6 Depth=1
	v_dual_mov_b32 v3, v18 :: v_dual_mov_b32 v5, v0
	s_mov_b32 s34, 0
                                        ; implicit-def: $sgpr59
	s_branch .LBB111_379
.LBB111_377:                            ;   in Loop: Header=BB111_379 Depth=2
	s_or_b32 exec_lo, exec_lo, s44
	s_wait_dscnt 0x0
	s_barrier_signal -1
	s_barrier_wait -1
	ds_load_b32 v6, v17 offset:3072
	s_mov_b32 s44, -1
	s_mov_b32 s45, -1
	s_wait_dscnt 0x0
	s_barrier_signal -1
	s_barrier_wait -1
	v_and_b32_e32 v7, 0x7fff, v6
	s_delay_alu instid0(VALU_DEP_1)
	v_cmp_eq_u32_e32 vcc_lo, 0, v7
	s_cbranch_vccnz .LBB111_382
.LBB111_378:                            ;   in Loop: Header=BB111_379 Depth=2
	s_and_b32 s44, exec_lo, s44
	s_delay_alu instid0(SALU_CYCLE_1) | instskip(SKIP_2) | instid1(SALU_CYCLE_1)
	s_or_b32 s34, s44, s34
	s_and_not1_b32 s44, s59, exec_lo
	s_and_b32 s45, s45, exec_lo
	s_or_b32 s59, s44, s45
	s_and_not1_b32 exec_lo, exec_lo, s34
	s_cbranch_execz .LBB111_383
.LBB111_379:                            ;   Parent Loop BB111_6 Depth=1
                                        ; =>  This Inner Loop Header: Depth=2
	s_mov_b32 s44, exec_lo
	s_delay_alu instid0(VALU_DEP_1)
	v_cmpx_gt_u32_e64 s36, v5
	s_cbranch_execz .LBB111_377
; %bb.380:                              ;   in Loop: Header=BB111_379 Depth=2
	v_readfirstlane_b32 s46, v12
	v_readfirstlane_b32 s47, v13
	global_load_u16 v6, v3, s[46:47] scale_offset
	s_wait_loadcnt 0x0
	v_cmp_lt_i16_e32 vcc_lo, -1, v6
	v_and_b32_e32 v7, 0xffff, v6
	v_dual_cndmask_b32 v8, 0xffff, v37 :: v_dual_lshlrev_b32 v9, 16, v6
	s_delay_alu instid0(VALU_DEP_1) | instskip(NEXT) | instid1(VALU_DEP_2)
	v_cmp_o_f32_e32 vcc_lo, v9, v9
	v_xor_b32_e32 v7, v8, v7
	s_delay_alu instid0(VALU_DEP_1) | instskip(NEXT) | instid1(VALU_DEP_1)
	v_cndmask_b32_e32 v7, 0xffff, v7, vcc_lo
	v_and_b32_e32 v7, v7, v38
	s_delay_alu instid0(VALU_DEP_1)
	v_cmp_eq_u32_e32 vcc_lo, v7, v28
	s_and_b32 exec_lo, exec_lo, vcc_lo
	s_cbranch_execz .LBB111_377
; %bb.381:                              ;   in Loop: Header=BB111_379 Depth=2
	v_perm_b32 v6, v6, s89, 0x5040100
	ds_store_b32 v17, v6 offset:3072
	s_branch .LBB111_377
.LBB111_382:                            ;   in Loop: Header=BB111_379 Depth=2
	v_dual_add_nc_u32 v5, s41, v5 :: v_dual_add_nc_u32 v3, s50, v3
	s_mov_b32 s45, 0
	s_delay_alu instid0(VALU_DEP_1)
	v_cmp_le_u32_e32 vcc_lo, s83, v5
	s_or_not1_b32 s44, vcc_lo, exec_lo
	s_branch .LBB111_378
.LBB111_383:                            ;   in Loop: Header=BB111_6 Depth=1
	s_or_b32 exec_lo, exec_lo, s34
	v_lshrrev_b32_e32 v39, 16, v6
	s_and_not1_b32 s34, s38, exec_lo
	s_and_b32 s38, s59, exec_lo
	s_delay_alu instid0(SALU_CYCLE_1)
	s_or_b32 s38, s34, s38
.LBB111_384:                            ;   in Loop: Header=BB111_6 Depth=1
	s_or_b32 exec_lo, exec_lo, s33
	s_mov_b32 s33, 0
	s_mov_b32 s34, -1
.LBB111_385:                            ;   in Loop: Header=BB111_6 Depth=1
	s_or_not1_b32 s44, s38, exec_lo
.LBB111_386:                            ;   in Loop: Header=BB111_6 Depth=1
	s_or_b32 exec_lo, exec_lo, s58
	s_mov_b32 s45, 0
	s_and_saveexec_b32 s38, s44
	s_cbranch_execz .LBB111_397
; %bb.387:                              ;   in Loop: Header=BB111_6 Depth=1
	v_dual_mov_b32 v2, 1 :: v_dual_mov_b32 v3, 1
	s_xor_b32 s44, s31, -1
	s_delay_alu instid0(SALU_CYCLE_1)
	s_and_saveexec_b32 s31, s44
	s_cbranch_execz .LBB111_396
; %bb.388:                              ;   in Loop: Header=BB111_6 Depth=1
	s_mov_b32 s44, exec_lo
	v_cmpx_ge_u32_e64 s17, v4
	s_xor_b32 s44, exec_lo, s44
	s_cbranch_execz .LBB111_393
; %bb.389:                              ;   in Loop: Header=BB111_6 Depth=1
	ds_load_b32 v2, v17 offset:4096
	v_and_b32_e32 v28, s19, v28
	v_or_b32_e32 v38, s18, v38
	s_wait_dscnt 0x0
	v_cmp_ne_u32_e32 vcc_lo, 0, v2
	s_cbranch_vccnz .LBB111_393
; %bb.390:                              ;   in Loop: Header=BB111_6 Depth=1
	s_and_saveexec_b32 s18, s5
; %bb.391:                              ;   in Loop: Header=BB111_6 Depth=1
	v_mov_b32_e32 v2, s17
	ds_store_b32 v17, v2 offset:4100
; %bb.392:                              ;   in Loop: Header=BB111_6 Depth=1
	s_or_b32 exec_lo, exec_lo, s18
	s_wait_dscnt 0x0
	s_barrier_signal -1
	s_barrier_wait -1
.LBB111_393:                            ;   in Loop: Header=BB111_6 Depth=1
	s_and_not1_saveexec_b32 s18, s44
; %bb.394:                              ;   in Loop: Header=BB111_6 Depth=1
	v_subrev_nc_u32_e32 v4, s17, v4
; %bb.395:                              ;   in Loop: Header=BB111_6 Depth=1
	s_or_b32 exec_lo, exec_lo, s18
	s_delay_alu instid0(VALU_DEP_1)
	v_dual_mov_b32 v2, 5 :: v_dual_mov_b32 v3, v4
.LBB111_396:                            ;   in Loop: Header=BB111_6 Depth=1
	s_or_b32 exec_lo, exec_lo, s31
	s_delay_alu instid0(VALU_DEP_1)
	v_mov_b32_e32 v4, v3
	s_mov_b32 s45, exec_lo
.LBB111_397:                            ;   in Loop: Header=BB111_6 Depth=1
	s_or_b32 exec_lo, exec_lo, s38
	s_delay_alu instid0(SALU_CYCLE_1)
	s_or_not1_b32 s31, s45, exec_lo
.LBB111_398:                            ;   in Loop: Header=BB111_6 Depth=1
	s_or_b32 exec_lo, exec_lo, s20
	v_mov_b32_e32 v3, v4
	s_and_not1_b32 s17, s29, exec_lo
	s_and_b32 s18, s34, exec_lo
	s_and_not1_b32 s19, s28, exec_lo
	s_and_b32 s20, s33, exec_lo
	s_or_b32 s29, s17, s18
	s_or_b32 s28, s19, s20
	s_and_b32 s34, s31, exec_lo
.LBB111_399:                            ;   in Loop: Header=BB111_6 Depth=1
	s_or_b32 exec_lo, exec_lo, s30
	s_delay_alu instid0(SALU_CYCLE_1)
	s_or_not1_b32 s30, s34, exec_lo
.LBB111_400:                            ;   in Loop: Header=BB111_6 Depth=1
	s_or_b32 exec_lo, exec_lo, s21
	v_mov_b32_e32 v5, v3
	s_and_not1_b32 s17, s25, exec_lo
	s_and_b32 s18, s29, exec_lo
	s_and_not1_b32 s19, s22, exec_lo
	s_and_b32 s20, s28, exec_lo
	s_or_b32 s25, s17, s18
	s_or_b32 s22, s19, s20
	s_and_b32 s30, s30, exec_lo
.LBB111_401:                            ;   in Loop: Header=BB111_6 Depth=1
	s_or_b32 exec_lo, exec_lo, s27
	s_delay_alu instid0(SALU_CYCLE_1)
	s_or_not1_b32 s27, s30, exec_lo
.LBB111_402:                            ;   in Loop: Header=BB111_6 Depth=1
	s_or_b32 exec_lo, exec_lo, s14
	s_mov_b32 s14, s23
	s_mov_b32 s17, s15
	s_and_saveexec_b32 s18, s27
; %bb.403:                              ;   in Loop: Header=BB111_6 Depth=1
	v_cmp_ne_u32_e32 vcc_lo, 5, v2
	v_cmp_eq_u32_e64 s14, 5, v2
	s_and_not1_b32 s17, s15, exec_lo
	s_and_not1_b32 s19, s23, exec_lo
	s_and_b32 s20, vcc_lo, exec_lo
	s_and_b32 s14, s14, exec_lo
	s_or_b32 s17, s17, s20
	s_or_b32 s14, s19, s14
; %bb.404:                              ;   in Loop: Header=BB111_6 Depth=1
	s_or_b32 exec_lo, exec_lo, s18
	s_delay_alu instid0(SALU_CYCLE_1)
	s_and_not1_b32 s18, s26, exec_lo
	s_and_b32 s19, s25, exec_lo
	s_and_not1_b32 s16, s16, exec_lo
	s_and_b32 s20, s22, exec_lo
	s_or_b32 s26, s18, s19
	s_and_not1_b32 s15, s15, exec_lo
	s_and_b32 s17, s17, exec_lo
	s_and_not1_b32 s18, s23, exec_lo
	s_and_b32 s14, s14, exec_lo
	s_or_b32 s16, s16, s20
	s_or_b32 s15, s15, s17
	;; [unrolled: 1-line block ×3, first 2 shown]
.LBB111_405:                            ;   in Loop: Header=BB111_6 Depth=1
	s_or_b32 exec_lo, exec_lo, s24
	s_mov_b32 s24, 0
	s_mov_b32 s25, 0
	s_and_saveexec_b32 s14, s23
.LBB111_406:                            ;   in Loop: Header=BB111_6 Depth=1
	v_mov_b32_e32 v2, 0
	s_or_b32 s15, s15, exec_lo
.LBB111_407:                            ;   in Loop: Header=BB111_6 Depth=1
	s_or_b32 exec_lo, exec_lo, s14
	s_delay_alu instid0(SALU_CYCLE_1)
	s_and_not1_b32 s14, s98, exec_lo
	s_and_b32 s18, s26, exec_lo
	s_and_not1_b32 s19, s96, exec_lo
	s_and_b32 s16, s16, exec_lo
	v_mov_b32_e32 v40, v5
	s_or_b32 s98, s14, s18
	s_or_b32 s96, s19, s16
	s_and_not1_b32 s14, s100, exec_lo
	s_and_b32 s16, s25, exec_lo
	s_and_not1_b32 s18, s99, exec_lo
	s_and_b32 s19, s24, exec_lo
	s_mov_b32 s17, -1
	s_and_not1_b32 s97, s97, exec_lo
	s_or_b32 s100, s14, s16
	s_or_b32 s99, s18, s19
	s_and_saveexec_b32 s14, s15
	s_delay_alu instid0(SALU_CYCLE_1)
	s_xor_b32 s14, exec_lo, s14
	s_cbranch_execz .LBB111_5
; %bb.408:                              ;   in Loop: Header=BB111_6 Depth=1
	s_mov_b32 s15, -1
	s_mov_b32 s16, -1
	s_mov_b32 s17, exec_lo
	v_cmpx_eq_u32_e32 0, v2
	s_cbranch_execz .LBB111_4
; %bb.409:                              ;   in Loop: Header=BB111_6 Depth=1
	s_xor_b32 s91, s91, 1
	s_add_co_i32 s18, s87, -2
	s_cmp_eq_u32 s87, 0
	s_mov_b32 s87, s18
	s_cselect_b32 s15, -1, 0
	s_xor_b32 s16, exec_lo, -1
	s_or_not1_b32 s15, s15, exec_lo
	s_branch .LBB111_4
.LBB111_410:
	s_or_b32 exec_lo, exec_lo, s88
	s_xor_b32 s7, s95, -1
	s_xor_b32 s9, s93, -1
	;; [unrolled: 1-line block ×5, first 2 shown]
	s_mov_b32 s8, 0
	s_and_saveexec_b32 s12, s11
	s_delay_alu instid0(SALU_CYCLE_1)
	s_xor_b32 s12, exec_lo, s12
	s_cbranch_execnz .LBB111_415
; %bb.411:
	s_and_not1_saveexec_b32 s0, s12
	s_cbranch_execnz .LBB111_434
.LBB111_412:
	s_or_b32 exec_lo, exec_lo, s0
	s_and_saveexec_b32 s0, s8
.LBB111_413:
	; divergent unreachable
.LBB111_414:
	s_sendmsg sendmsg(MSG_DEALLOC_VGPRS)
	s_endpgm
.LBB111_415:
	s_and_saveexec_b32 s11, s10
	s_delay_alu instid0(SALU_CYCLE_1)
	s_xor_b32 s13, exec_lo, s11
	s_cbranch_execz .LBB111_432
; %bb.416:
	s_and_saveexec_b32 s10, s9
	s_delay_alu instid0(SALU_CYCLE_1)
	s_xor_b32 s14, exec_lo, s10
	s_cbranch_execz .LBB111_430
; %bb.417:
	;; [unrolled: 5-line block ×3, first 2 shown]
	s_and_saveexec_b32 s7, s6
	s_delay_alu instid0(SALU_CYCLE_1)
	s_xor_b32 s6, exec_lo, s7
; %bb.419:
	v_and_b32_e32 v1, 0x8000, v28
	v_mov_b32_e32 v2, 0xffff
	s_delay_alu instid0(VALU_DEP_2) | instskip(NEXT) | instid1(VALU_DEP_2)
	v_cmp_eq_u32_e32 vcc_lo, 0, v1
	v_cndmask_b32_e32 v1, 0x8000, v2, vcc_lo
	s_delay_alu instid0(VALU_DEP_1)
	v_xor_b32_e32 v39, v1, v28
; %bb.420:
	s_or_b32 exec_lo, exec_lo, s6
	s_and_saveexec_b32 s6, s5
; %bb.421:
	v_mov_b32_e32 v1, 0
	ds_store_b32 v1, v1 offset:4108
; %bb.422:
	s_or_b32 exec_lo, exec_lo, s6
	v_mov_b32_e32 v5, 0
	s_wait_dscnt 0x0
	s_barrier_signal -1
	s_barrier_wait -1
	s_and_saveexec_b32 s5, s3
	s_cbranch_execz .LBB111_424
; %bb.423:
	global_load_u16 v5, v[14:15], off
.LBB111_424:
	s_wait_xcnt 0x0
	s_or_b32 exec_lo, exec_lo, s5
	s_mul_i32 s6, s51, s64
	s_add_co_i32 s5, s36, 31
	s_sub_co_i32 s6, s40, s6
	s_and_not1_b32 s5, s5, 31
	s_add_co_i32 s7, s51, 1
	s_sub_co_i32 s8, s6, s64
	s_cmp_ge_u32 s6, s64
	v_dual_mov_b32 v1, 0x8000 :: v_dual_lshlrev_b32 v4, 16, v39
	s_cselect_b32 s7, s7, s51
	s_cselect_b32 s6, s8, s6
	s_add_co_i32 s8, s7, 1
	s_cmp_ge_u32 s6, s64
	v_cmp_lt_i16_e32 vcc_lo, -1, v39
	s_cselect_b32 s6, s8, s7
	s_load_b64 s[8:9], s[0:1], 0x15c
	s_mul_i32 s7, s6, s64
	s_clause 0x1
	s_load_b32 s16, s[0:1], 0x1c8
	s_load_b32 s17, s[0:1], 0x2a8
	s_sub_co_i32 s7, s40, s7
	v_and_b32_e32 v2, 0xffff, v39
	v_cndmask_b32_e32 v3, 0xffff, v1, vcc_lo
	s_mov_b32 s11, 0
	v_cmp_o_f32_e32 vcc_lo, v4, v4
	s_wait_xcnt 0x0
	s_mov_b32 s0, -1
	v_xor_b32_e32 v2, v3, v2
	s_delay_alu instid0(VALU_DEP_1)
	v_cndmask_b32_e32 v4, 0xffff, v2, vcc_lo
	v_cmp_gt_u32_e32 vcc_lo, s5, v0
	s_wait_kmcnt 0x0
	s_mul_i32 s7, s7, s9
	s_mul_i32 s6, s6, s8
	;; [unrolled: 1-line block ×3, first 2 shown]
	s_add_co_i32 s10, s6, s7
	s_sub_co_i32 s6, s40, s8
	s_add_co_i32 s7, s35, 1
	s_sub_co_i32 s8, s6, s63
	s_cmp_ge_u32 s6, s63
	s_cselect_b32 s7, s7, s35
	s_cselect_b32 s6, s8, s6
	s_add_co_i32 s8, s7, 1
	s_cmp_ge_u32 s6, s63
	s_cselect_b32 s1, s8, s7
	s_mov_b32 s7, s11
	s_mul_i32 s6, s1, s63
	s_mul_i32 s1, s1, s42
	s_sub_co_i32 s6, s40, s6
	s_lshl_b64 s[8:9], s[10:11], 1
	s_mul_i32 s6, s6, s43
	s_delay_alu instid0(SALU_CYCLE_1)
	s_add_co_i32 s6, s1, s6
	s_mov_b32 s1, 0
	s_lshl_b64 s[18:19], s[6:7], 3
	s_add_nc_u64 s[6:7], s[48:49], s[8:9]
	v_readlane_b32 s8, v71, 0
	v_readlane_b32 s9, v71, 1
	s_add_nc_u64 s[8:9], s[8:9], s[18:19]
	s_and_saveexec_b32 s10, vcc_lo
	s_cbranch_execnz .LBB111_435
; %bb.425:
	s_or_b32 exec_lo, exec_lo, s10
	s_and_saveexec_b32 s4, s0
	s_cbranch_execnz .LBB111_452
.LBB111_426:
	s_or_b32 exec_lo, exec_lo, s4
	s_and_saveexec_b32 s0, s1
	s_delay_alu instid0(SALU_CYCLE_1)
	s_xor_b32 s0, exec_lo, s0
	s_cbranch_execnz .LBB111_477
.LBB111_427:
	s_or_b32 exec_lo, exec_lo, s0
	s_delay_alu instid0(SALU_CYCLE_1)
	s_and_b32 s8, s11, exec_lo
.LBB111_428:
	s_and_not1_saveexec_b32 s0, s15
	s_cbranch_execnz .LBB111_479
.LBB111_429:
	s_or_b32 exec_lo, exec_lo, s0
	s_delay_alu instid0(SALU_CYCLE_1)
	s_and_b32 s8, s8, exec_lo
.LBB111_430:
	s_and_not1_saveexec_b32 s0, s14
	s_cbranch_execnz .LBB111_478
.LBB111_431:
	s_or_b32 exec_lo, exec_lo, s0
	s_delay_alu instid0(SALU_CYCLE_1)
	s_and_b32 s8, s8, exec_lo
.LBB111_432:
	s_and_not1_saveexec_b32 s0, s13
	s_cbranch_execnz .LBB111_473
.LBB111_433:
	s_or_b32 exec_lo, exec_lo, s0
	s_delay_alu instid0(SALU_CYCLE_1)
	s_and_b32 s8, s8, exec_lo
	s_and_not1_saveexec_b32 s0, s12
	s_cbranch_execz .LBB111_412
.LBB111_434:
	s_or_b32 s8, s8, exec_lo
	s_trap 2
	s_or_b32 exec_lo, exec_lo, s0
	s_and_saveexec_b32 s0, s8
	s_cbranch_execnz .LBB111_413
	s_branch .LBB111_414
.LBB111_435:
	v_dual_mov_b32 v3, 0 :: v_dual_add_nc_u32 v2, s41, v0
	s_mov_b32 s18, 0
                                        ; implicit-def: $sgpr19
                                        ; implicit-def: $vgpr9
	s_delay_alu instid0(VALU_DEP_1)
	v_mul_lo_u32 v6, s62, v2
	v_mov_b32_e32 v2, v0
	s_branch .LBB111_437
.LBB111_436:                            ;   in Loop: Header=BB111_437 Depth=1
	s_or_b32 exec_lo, exec_lo, s21
	s_xor_b32 s0, s20, -1
	s_and_b32 s1, exec_lo, s1
	s_wait_loadcnt 0x0
	v_dual_mov_b32 v2, v7 :: v_dual_mov_b32 v5, v8
	s_or_b32 s18, s1, s18
	s_and_not1_b32 s1, s19, exec_lo
	s_and_b32 s0, s0, exec_lo
	s_delay_alu instid0(SALU_CYCLE_1)
	s_or_b32 s19, s1, s0
	s_and_not1_b32 exec_lo, exec_lo, s18
	s_cbranch_execz .LBB111_451
.LBB111_437:                            ; =>This Inner Loop Header: Depth=1
	s_delay_alu instid0(VALU_DEP_1) | instskip(SKIP_1) | instid1(VALU_DEP_1)
	v_dual_mov_b32 v8, 0 :: v_dual_add_nc_u32 v7, s41, v2
	s_mov_b32 s1, exec_lo
	v_cmpx_gt_u32_e64 s36, v7
	s_cbranch_execz .LBB111_439
; %bb.438:                              ;   in Loop: Header=BB111_437 Depth=1
	v_readfirstlane_b32 s20, v12
	v_readfirstlane_b32 s21, v13
	global_load_u16 v8, v6, s[20:21] scale_offset
.LBB111_439:                            ;   in Loop: Header=BB111_437 Depth=1
	s_wait_xcnt 0x0
	s_or_b32 exec_lo, exec_lo, s1
	s_mov_b32 s20, 0
	s_mov_b32 s1, exec_lo
	v_cmpx_gt_u32_e64 s36, v2
	s_cbranch_execz .LBB111_441
; %bb.440:                              ;   in Loop: Header=BB111_437 Depth=1
	s_wait_loadcnt 0x0
	v_cmp_lt_i16_e64 s0, -1, v5
	v_and_b32_e32 v11, 0xffff, v5
	s_delay_alu instid0(VALU_DEP_2) | instskip(NEXT) | instid1(VALU_DEP_1)
	v_cndmask_b32_e64 v16, 0xffff, v1, s0
	v_dual_lshlrev_b32 v17, 16, v5 :: v_dual_bitop2_b32 v11, v16, v11 bitop3:0x14
	s_delay_alu instid0(VALU_DEP_1) | instskip(NEXT) | instid1(VALU_DEP_1)
	v_cmp_o_f32_e64 s0, v17, v17
	v_cndmask_b32_e64 v11, 0xffff, v11, s0
	s_delay_alu instid0(VALU_DEP_1) | instskip(NEXT) | instid1(VALU_DEP_1)
	v_cmp_gt_u32_e64 s0, v11, v4
	v_cndmask_b32_e64 v16, 0, 1, s0
	v_cmp_lt_u32_e64 s0, v11, v4
	s_delay_alu instid0(VALU_DEP_1) | instskip(NEXT) | instid1(VALU_DEP_1)
	v_cndmask_b32_e64 v11, 0, 1, s0
	v_cndmask_b32_e64 v11, v11, v16, s4
	s_delay_alu instid0(VALU_DEP_1) | instskip(NEXT) | instid1(VALU_DEP_1)
	v_and_b32_e32 v11, 1, v11
	v_cmp_eq_u32_e64 s0, 1, v11
	s_and_b32 s20, s0, exec_lo
.LBB111_441:                            ;   in Loop: Header=BB111_437 Depth=1
	s_or_b32 exec_lo, exec_lo, s1
	v_cndmask_b32_e64 v11, 0, 1, s20
	s_delay_alu instid0(VALU_DEP_1) | instskip(SKIP_2) | instid1(SALU_CYCLE_1)
	v_cmp_ne_u32_e64 s0, 0, v11
	s_cmp_lg_u32 s0, 0
	s_cselect_b32 s1, -1, 0
	s_and_b32 s1, s2, s1
	s_delay_alu instid0(SALU_CYCLE_1)
	s_and_saveexec_b32 s21, s1
	s_cbranch_execz .LBB111_445
; %bb.442:                              ;   in Loop: Header=BB111_437 Depth=1
	s_mov_b32 s24, exec_lo
	s_bcnt1_i32_b32 s22, s0
	s_wait_dscnt 0x0
	v_mbcnt_lo_u32_b32 v9, s24, 0
	s_mov_b32 s23, exec_lo
                                        ; implicit-def: $vgpr11
	s_delay_alu instid0(VALU_DEP_1)
	v_cmpx_eq_u32_e32 0, v9
; %bb.443:                              ;   in Loop: Header=BB111_437 Depth=1
	s_bcnt1_i32_b32 s1, s24
	s_delay_alu instid0(SALU_CYCLE_1) | instskip(NEXT) | instid1(SALU_CYCLE_1)
	s_mul_i32 s1, s22, s1
	v_mov_b32_e32 v11, s1
	ds_add_rtn_u32 v11, v3, v11 offset:4108
; %bb.444:                              ;   in Loop: Header=BB111_437 Depth=1
	s_or_b32 exec_lo, exec_lo, s23
	s_wait_dscnt 0x0
	v_readfirstlane_b32 s1, v11
	s_delay_alu instid0(VALU_DEP_1)
	v_mad_u32_u24 v9, s22, v9, s1
.LBB111_445:                            ;   in Loop: Header=BB111_437 Depth=1
	s_or_b32 exec_lo, exec_lo, s21
	s_wait_dscnt 0x0
	ds_bpermute_b32 v9, v3, v9
	s_mov_b32 s1, -1
	s_mov_b32 s22, -1
	s_and_saveexec_b32 s21, s20
	s_cbranch_execz .LBB111_449
; %bb.446:                              ;   in Loop: Header=BB111_437 Depth=1
	v_and_b32_e32 v11, s0, v10
	s_mov_b32 s20, 0
	s_mov_b32 s22, exec_lo
	s_wait_dscnt 0x0
	s_delay_alu instid0(VALU_DEP_1) | instskip(NEXT) | instid1(VALU_DEP_1)
	v_bcnt_u32_b32 v11, v11, v9
	v_cmpx_gt_u32_e64 s37, v11
	s_cbranch_execz .LBB111_448
; %bb.447:                              ;   in Loop: Header=BB111_437 Depth=1
	v_mul_lo_u32 v16, v11, s16
	v_mul_lo_u32 v11, v11, s17
	s_mov_b32 s20, exec_lo
	s_wait_loadcnt 0x0
	global_store_b16 v16, v5, s[6:7] scale_offset
	global_store_b64 v11, v[2:3], s[8:9] scale_offset
.LBB111_448:                            ;   in Loop: Header=BB111_437 Depth=1
	s_wait_xcnt 0x0
	s_or_b32 exec_lo, exec_lo, s22
	s_delay_alu instid0(SALU_CYCLE_1)
	s_or_not1_b32 s22, s20, exec_lo
.LBB111_449:                            ;   in Loop: Header=BB111_437 Depth=1
	s_or_b32 exec_lo, exec_lo, s21
	s_mov_b32 s20, -1
	s_and_saveexec_b32 s21, s22
	s_cbranch_execz .LBB111_436
; %bb.450:                              ;   in Loop: Header=BB111_437 Depth=1
	v_cmp_le_u32_e64 s0, s5, v7
	v_add_nc_u32_e32 v6, s50, v6
	s_xor_b32 s20, exec_lo, -1
	s_or_not1_b32 s1, s0, exec_lo
	s_branch .LBB111_436
.LBB111_451:
	s_or_b32 exec_lo, exec_lo, s18
	s_delay_alu instid0(SALU_CYCLE_1)
	s_mov_b32 s1, exec_lo
	s_or_not1_b32 s0, s19, exec_lo
	s_or_b32 exec_lo, exec_lo, s10
	s_and_saveexec_b32 s4, s0
	s_cbranch_execz .LBB111_426
.LBB111_452:
	v_mov_b32_e32 v8, 0
	s_wait_storecnt 0x0
	s_wait_loadcnt_dscnt 0x0
	s_barrier_signal -1
	s_barrier_wait -1
	s_and_saveexec_b32 s0, s3
	s_cbranch_execz .LBB111_454
; %bb.453:
	global_load_u16 v8, v[14:15], off
.LBB111_454:
	s_wait_xcnt 0x0
	s_or_b32 exec_lo, exec_lo, s0
	s_mov_b32 s0, 0
	s_and_saveexec_b32 s3, vcc_lo
	s_cbranch_execz .LBB111_476
; %bb.455:
	v_add_nc_u32_e32 v1, s41, v0
	v_mov_b32_e32 v3, 0x8000
	s_mov_b32 s10, 0
                                        ; implicit-def: $sgpr11
                                        ; implicit-def: $vgpr7
	s_delay_alu instid0(VALU_DEP_2)
	v_mul_lo_u32 v2, s62, v1
	v_mov_b32_e32 v1, 0
	s_branch .LBB111_458
.LBB111_456:                            ;   in Loop: Header=BB111_458 Depth=1
	s_or_b32 exec_lo, exec_lo, s20
	s_delay_alu instid0(SALU_CYCLE_1)
	s_or_not1_b32 s20, s18, exec_lo
	s_or_not1_b32 s19, s19, exec_lo
.LBB111_457:                            ;   in Loop: Header=BB111_458 Depth=1
	s_or_b32 exec_lo, exec_lo, s0
	s_xor_b32 s0, s20, -1
	s_and_b32 s18, exec_lo, s19
	s_wait_loadcnt 0x0
	v_dual_mov_b32 v0, v5 :: v_dual_mov_b32 v8, v6
	s_or_b32 s10, s18, s10
	s_and_not1_b32 s11, s11, exec_lo
	s_and_b32 s0, s0, exec_lo
	s_delay_alu instid0(SALU_CYCLE_1)
	s_or_b32 s11, s11, s0
	s_and_not1_b32 exec_lo, exec_lo, s10
	s_cbranch_execz .LBB111_474
.LBB111_458:                            ; =>This Inner Loop Header: Depth=1
	v_dual_mov_b32 v6, 0 :: v_dual_add_nc_u32 v5, s41, v0
	s_mov_b32 s0, exec_lo
	s_delay_alu instid0(VALU_DEP_1)
	v_cmpx_gt_u32_e64 s36, v5
	s_cbranch_execz .LBB111_460
; %bb.459:                              ;   in Loop: Header=BB111_458 Depth=1
	v_readfirstlane_b32 s18, v12
	v_readfirstlane_b32 s19, v13
	global_load_u16 v6, v2, s[18:19] scale_offset
.LBB111_460:                            ;   in Loop: Header=BB111_458 Depth=1
	s_wait_xcnt 0x0
	s_or_b32 exec_lo, exec_lo, s0
	s_mov_b32 s18, 0
	s_mov_b32 s0, exec_lo
	v_cmpx_gt_u32_e64 s36, v0
	s_cbranch_execz .LBB111_462
; %bb.461:                              ;   in Loop: Header=BB111_458 Depth=1
	s_wait_loadcnt 0x0
	v_cmp_lt_i16_e32 vcc_lo, -1, v8
	v_and_b32_e32 v9, 0xffff, v8
	v_dual_cndmask_b32 v11, 0xffff, v3 :: v_dual_lshlrev_b32 v14, 16, v8
	s_delay_alu instid0(VALU_DEP_1) | instskip(NEXT) | instid1(VALU_DEP_2)
	v_cmp_o_f32_e32 vcc_lo, v14, v14
	v_xor_b32_e32 v9, v11, v9
	s_delay_alu instid0(VALU_DEP_1) | instskip(NEXT) | instid1(VALU_DEP_1)
	v_cndmask_b32_e32 v9, 0xffff, v9, vcc_lo
	v_cmp_eq_u32_e32 vcc_lo, v9, v4
	s_and_b32 s18, vcc_lo, exec_lo
.LBB111_462:                            ;   in Loop: Header=BB111_458 Depth=1
	s_or_b32 exec_lo, exec_lo, s0
	v_cndmask_b32_e64 v9, 0, 1, s18
	s_delay_alu instid0(VALU_DEP_1) | instskip(SKIP_2) | instid1(SALU_CYCLE_1)
	v_cmp_ne_u32_e32 vcc_lo, 0, v9
	s_cmp_lg_u32 vcc_lo, 0
	s_cselect_b32 s0, -1, 0
	s_and_b32 s0, s2, s0
	s_delay_alu instid0(SALU_CYCLE_1)
	s_and_saveexec_b32 s19, s0
	s_cbranch_execz .LBB111_466
; %bb.463:                              ;   in Loop: Header=BB111_458 Depth=1
	s_mov_b32 s22, exec_lo
	s_bcnt1_i32_b32 s20, vcc_lo
	v_mbcnt_lo_u32_b32 v7, s22, 0
	s_mov_b32 s21, exec_lo
                                        ; implicit-def: $vgpr9
	s_delay_alu instid0(VALU_DEP_1)
	v_cmpx_eq_u32_e32 0, v7
; %bb.464:                              ;   in Loop: Header=BB111_458 Depth=1
	s_bcnt1_i32_b32 s0, s22
	s_delay_alu instid0(SALU_CYCLE_1) | instskip(NEXT) | instid1(SALU_CYCLE_1)
	s_mul_i32 s0, s20, s0
	v_mov_b32_e32 v9, s0
	ds_add_rtn_u32 v9, v1, v9 offset:4108
; %bb.465:                              ;   in Loop: Header=BB111_458 Depth=1
	s_or_b32 exec_lo, exec_lo, s21
	s_wait_dscnt 0x0
	v_readfirstlane_b32 s0, v9
	s_delay_alu instid0(VALU_DEP_1)
	v_mad_u32_u24 v7, s20, v7, s0
.LBB111_466:                            ;   in Loop: Header=BB111_458 Depth=1
	s_or_b32 exec_lo, exec_lo, s19
	ds_bpermute_b32 v7, v1, v7
	s_cmp_eq_u32 vcc_lo, 0
	s_mov_b32 s19, -1
	s_cselect_b32 s20, -1, 0
	s_wait_dscnt 0x0
	v_cmp_gt_u32_e64 s0, s37, v7
	s_or_b32 s21, s20, s0
	s_mov_b32 s20, -1
	s_and_saveexec_b32 s0, s21
	s_cbranch_execz .LBB111_457
; %bb.467:                              ;   in Loop: Header=BB111_458 Depth=1
	v_dual_sub_nc_u32 v11, s37, v7 :: v_dual_bitop2_b32 v9, vcc_lo, v10 bitop3:0x40
	s_mov_b32 s21, -1
	s_delay_alu instid0(VALU_DEP_1) | instskip(NEXT) | instid1(VALU_DEP_1)
	v_bcnt_u32_b32 v9, v9, 0
	v_bcnt_u32_b32 v9, 0, v9
	s_delay_alu instid0(VALU_DEP_1)
	v_cmp_gt_u32_e32 vcc_lo, v11, v9
	s_and_b32 s22, s18, vcc_lo
	s_mov_b32 s18, -1
	s_and_saveexec_b32 s20, s22
	s_cbranch_execz .LBB111_471
; %bb.468:                              ;   in Loop: Header=BB111_458 Depth=1
	v_add_nc_u32_e32 v9, v7, v9
	s_mov_b32 s21, 0
	s_mov_b32 s18, exec_lo
	s_delay_alu instid0(VALU_DEP_1)
	v_cmpx_gt_u32_e64 s37, v9
	s_cbranch_execz .LBB111_470
; %bb.469:                              ;   in Loop: Header=BB111_458 Depth=1
	v_mul_lo_u32 v11, v9, s16
	v_mul_lo_u32 v9, v9, s17
	s_mov_b32 s21, exec_lo
	s_wait_loadcnt 0x0
	global_store_b16 v11, v8, s[6:7] scale_offset
	global_store_b64 v9, v[0:1], s[8:9] scale_offset
.LBB111_470:                            ;   in Loop: Header=BB111_458 Depth=1
	s_wait_xcnt 0x0
	s_or_b32 exec_lo, exec_lo, s18
	s_delay_alu instid0(SALU_CYCLE_1)
	s_xor_b32 s18, exec_lo, -1
	s_or_not1_b32 s21, s21, exec_lo
.LBB111_471:                            ;   in Loop: Header=BB111_458 Depth=1
	s_or_b32 exec_lo, exec_lo, s20
	s_and_saveexec_b32 s20, s21
	s_cbranch_execz .LBB111_456
; %bb.472:                              ;   in Loop: Header=BB111_458 Depth=1
	v_cmp_le_u32_e32 vcc_lo, s5, v5
	v_add_nc_u32_e32 v2, s50, v2
	s_or_b32 s18, s18, exec_lo
	s_or_not1_b32 s19, vcc_lo, exec_lo
	s_branch .LBB111_456
.LBB111_473:
	s_or_b32 s8, s8, exec_lo
	s_trap 2
	s_branch .LBB111_433
.LBB111_474:
	s_or_b32 exec_lo, exec_lo, s10
	s_mov_b32 s0, 0
	s_and_saveexec_b32 s2, s11
	s_delay_alu instid0(SALU_CYCLE_1)
	s_xor_b32 s2, exec_lo, s2
	s_cbranch_execnz .LBB111_480
.LBB111_475:
	s_or_b32 exec_lo, exec_lo, s2
	s_delay_alu instid0(SALU_CYCLE_1)
	s_and_b32 s0, s0, exec_lo
.LBB111_476:
	s_or_b32 exec_lo, exec_lo, s3
	s_delay_alu instid0(SALU_CYCLE_1) | instskip(SKIP_3) | instid1(SALU_CYCLE_1)
	s_and_b32 s11, s0, exec_lo
	s_and_not1_b32 s1, s1, exec_lo
	s_or_b32 exec_lo, exec_lo, s4
	s_and_saveexec_b32 s0, s1
	s_xor_b32 s0, exec_lo, s0
	s_cbranch_execz .LBB111_427
.LBB111_477:
	s_or_b32 s11, s11, exec_lo
	s_trap 2
	s_branch .LBB111_427
.LBB111_478:
	s_or_b32 s8, s8, exec_lo
	s_trap 2
	s_branch .LBB111_431
.LBB111_479:
	s_or_b32 s8, s8, exec_lo
	s_trap 2
	s_branch .LBB111_429
.LBB111_480:
	s_mov_b32 s0, exec_lo
	s_trap 2
	s_branch .LBB111_475
	.section	.rodata,"a",@progbits
	.p2align	6, 0x0
	.amdhsa_kernel _ZN2at6native6sbtopk10gatherTopKIN3c108BFloat16EjLi2ELb0EEEvNS_4cuda6detail10TensorInfoIKT_T0_EESA_SA_bSA_SA_NS7_IS8_SA_EESA_NS7_IlSA_EESA_PS8_
		.amdhsa_group_segment_fixed_size 4112
		.amdhsa_private_segment_fixed_size 0
		.amdhsa_kernarg_size 952
		.amdhsa_user_sgpr_count 2
		.amdhsa_user_sgpr_dispatch_ptr 0
		.amdhsa_user_sgpr_queue_ptr 0
		.amdhsa_user_sgpr_kernarg_segment_ptr 1
		.amdhsa_user_sgpr_dispatch_id 0
		.amdhsa_user_sgpr_kernarg_preload_length 0
		.amdhsa_user_sgpr_kernarg_preload_offset 0
		.amdhsa_user_sgpr_private_segment_size 0
		.amdhsa_wavefront_size32 1
		.amdhsa_uses_dynamic_stack 0
		.amdhsa_enable_private_segment 0
		.amdhsa_system_sgpr_workgroup_id_x 1
		.amdhsa_system_sgpr_workgroup_id_y 1
		.amdhsa_system_sgpr_workgroup_id_z 1
		.amdhsa_system_sgpr_workgroup_info 0
		.amdhsa_system_vgpr_workitem_id 0
		.amdhsa_next_free_vgpr 72
		.amdhsa_next_free_sgpr 105
		.amdhsa_named_barrier_count 0
		.amdhsa_reserve_vcc 1
		.amdhsa_float_round_mode_32 0
		.amdhsa_float_round_mode_16_64 0
		.amdhsa_float_denorm_mode_32 3
		.amdhsa_float_denorm_mode_16_64 3
		.amdhsa_fp16_overflow 0
		.amdhsa_memory_ordered 1
		.amdhsa_forward_progress 1
		.amdhsa_inst_pref_size 142
		.amdhsa_round_robin_scheduling 0
		.amdhsa_exception_fp_ieee_invalid_op 0
		.amdhsa_exception_fp_denorm_src 0
		.amdhsa_exception_fp_ieee_div_zero 0
		.amdhsa_exception_fp_ieee_overflow 0
		.amdhsa_exception_fp_ieee_underflow 0
		.amdhsa_exception_fp_ieee_inexact 0
		.amdhsa_exception_int_div_zero 0
	.end_amdhsa_kernel
	.section	.text._ZN2at6native6sbtopk10gatherTopKIN3c108BFloat16EjLi2ELb0EEEvNS_4cuda6detail10TensorInfoIKT_T0_EESA_SA_bSA_SA_NS7_IS8_SA_EESA_NS7_IlSA_EESA_PS8_,"axG",@progbits,_ZN2at6native6sbtopk10gatherTopKIN3c108BFloat16EjLi2ELb0EEEvNS_4cuda6detail10TensorInfoIKT_T0_EESA_SA_bSA_SA_NS7_IS8_SA_EESA_NS7_IlSA_EESA_PS8_,comdat
.Lfunc_end111:
	.size	_ZN2at6native6sbtopk10gatherTopKIN3c108BFloat16EjLi2ELb0EEEvNS_4cuda6detail10TensorInfoIKT_T0_EESA_SA_bSA_SA_NS7_IS8_SA_EESA_NS7_IlSA_EESA_PS8_, .Lfunc_end111-_ZN2at6native6sbtopk10gatherTopKIN3c108BFloat16EjLi2ELb0EEEvNS_4cuda6detail10TensorInfoIKT_T0_EESA_SA_bSA_SA_NS7_IS8_SA_EESA_NS7_IlSA_EESA_PS8_
                                        ; -- End function
	.set _ZN2at6native6sbtopk10gatherTopKIN3c108BFloat16EjLi2ELb0EEEvNS_4cuda6detail10TensorInfoIKT_T0_EESA_SA_bSA_SA_NS7_IS8_SA_EESA_NS7_IlSA_EESA_PS8_.num_vgpr, 72
	.set _ZN2at6native6sbtopk10gatherTopKIN3c108BFloat16EjLi2ELb0EEEvNS_4cuda6detail10TensorInfoIKT_T0_EESA_SA_bSA_SA_NS7_IS8_SA_EESA_NS7_IlSA_EESA_PS8_.num_agpr, 0
	.set _ZN2at6native6sbtopk10gatherTopKIN3c108BFloat16EjLi2ELb0EEEvNS_4cuda6detail10TensorInfoIKT_T0_EESA_SA_bSA_SA_NS7_IS8_SA_EESA_NS7_IlSA_EESA_PS8_.numbered_sgpr, 105
	.set _ZN2at6native6sbtopk10gatherTopKIN3c108BFloat16EjLi2ELb0EEEvNS_4cuda6detail10TensorInfoIKT_T0_EESA_SA_bSA_SA_NS7_IS8_SA_EESA_NS7_IlSA_EESA_PS8_.num_named_barrier, 0
	.set _ZN2at6native6sbtopk10gatherTopKIN3c108BFloat16EjLi2ELb0EEEvNS_4cuda6detail10TensorInfoIKT_T0_EESA_SA_bSA_SA_NS7_IS8_SA_EESA_NS7_IlSA_EESA_PS8_.private_seg_size, 0
	.set _ZN2at6native6sbtopk10gatherTopKIN3c108BFloat16EjLi2ELb0EEEvNS_4cuda6detail10TensorInfoIKT_T0_EESA_SA_bSA_SA_NS7_IS8_SA_EESA_NS7_IlSA_EESA_PS8_.uses_vcc, 1
	.set _ZN2at6native6sbtopk10gatherTopKIN3c108BFloat16EjLi2ELb0EEEvNS_4cuda6detail10TensorInfoIKT_T0_EESA_SA_bSA_SA_NS7_IS8_SA_EESA_NS7_IlSA_EESA_PS8_.uses_flat_scratch, 0
	.set _ZN2at6native6sbtopk10gatherTopKIN3c108BFloat16EjLi2ELb0EEEvNS_4cuda6detail10TensorInfoIKT_T0_EESA_SA_bSA_SA_NS7_IS8_SA_EESA_NS7_IlSA_EESA_PS8_.has_dyn_sized_stack, 0
	.set _ZN2at6native6sbtopk10gatherTopKIN3c108BFloat16EjLi2ELb0EEEvNS_4cuda6detail10TensorInfoIKT_T0_EESA_SA_bSA_SA_NS7_IS8_SA_EESA_NS7_IlSA_EESA_PS8_.has_recursion, 0
	.set _ZN2at6native6sbtopk10gatherTopKIN3c108BFloat16EjLi2ELb0EEEvNS_4cuda6detail10TensorInfoIKT_T0_EESA_SA_bSA_SA_NS7_IS8_SA_EESA_NS7_IlSA_EESA_PS8_.has_indirect_call, 0
	.section	.AMDGPU.csdata,"",@progbits
; Kernel info:
; codeLenInByte = 18164
; TotalNumSgprs: 107
; NumVgprs: 72
; ScratchSize: 0
; MemoryBound: 0
; FloatMode: 240
; IeeeMode: 1
; LDSByteSize: 4112 bytes/workgroup (compile time only)
; SGPRBlocks: 0
; VGPRBlocks: 4
; NumSGPRsForWavesPerEU: 107
; NumVGPRsForWavesPerEU: 72
; NamedBarCnt: 0
; Occupancy: 12
; WaveLimiterHint : 1
; COMPUTE_PGM_RSRC2:SCRATCH_EN: 0
; COMPUTE_PGM_RSRC2:USER_SGPR: 2
; COMPUTE_PGM_RSRC2:TRAP_HANDLER: 0
; COMPUTE_PGM_RSRC2:TGID_X_EN: 1
; COMPUTE_PGM_RSRC2:TGID_Y_EN: 1
; COMPUTE_PGM_RSRC2:TGID_Z_EN: 1
; COMPUTE_PGM_RSRC2:TIDIG_COMP_CNT: 0
	.section	.text._ZN2at6native6mbtopk23computeBlockDigitCountsIN3c108BFloat16EjjLi3EEEvNS_4cuda6detail10TensorInfoIKT_T0_EEjPjjSA_iijT1_PSD_Ps,"axG",@progbits,_ZN2at6native6mbtopk23computeBlockDigitCountsIN3c108BFloat16EjjLi3EEEvNS_4cuda6detail10TensorInfoIKT_T0_EEjPjjSA_iijT1_PSD_Ps,comdat
	.protected	_ZN2at6native6mbtopk23computeBlockDigitCountsIN3c108BFloat16EjjLi3EEEvNS_4cuda6detail10TensorInfoIKT_T0_EEjPjjSA_iijT1_PSD_Ps ; -- Begin function _ZN2at6native6mbtopk23computeBlockDigitCountsIN3c108BFloat16EjjLi3EEEvNS_4cuda6detail10TensorInfoIKT_T0_EEjPjjSA_iijT1_PSD_Ps
	.globl	_ZN2at6native6mbtopk23computeBlockDigitCountsIN3c108BFloat16EjjLi3EEEvNS_4cuda6detail10TensorInfoIKT_T0_EEjPjjSA_iijT1_PSD_Ps
	.p2align	8
	.type	_ZN2at6native6mbtopk23computeBlockDigitCountsIN3c108BFloat16EjjLi3EEEvNS_4cuda6detail10TensorInfoIKT_T0_EEjPjjSA_iijT1_PSD_Ps,@function
_ZN2at6native6mbtopk23computeBlockDigitCountsIN3c108BFloat16EjjLi3EEEvNS_4cuda6detail10TensorInfoIKT_T0_EEjPjjSA_iijT1_PSD_Ps: ; @_ZN2at6native6mbtopk23computeBlockDigitCountsIN3c108BFloat16EjjLi3EEEvNS_4cuda6detail10TensorInfoIKT_T0_EEjPjjSA_iijT1_PSD_Ps
; %bb.0:
	s_load_b64 s[2:3], s[0:1], 0xf8
	s_bfe_u32 s4, ttmp6, 0x40010
	s_and_b32 s10, ttmp7, 0xffff
	s_add_co_i32 s4, s4, 1
	s_bfe_u32 s5, ttmp6, 0x40004
	s_mul_i32 s4, s10, s4
	s_load_b64 s[8:9], s[0:1], 0x110
	s_add_co_i32 s11, s5, s4
	s_bfe_u32 s6, ttmp6, 0x4000c
	s_bfe_u32 s7, ttmp6, 0x40014
	s_add_co_i32 s6, s6, 1
	s_and_b32 s5, ttmp6, 15
	s_mul_i32 s6, ttmp9, s6
	s_add_co_i32 s7, s7, 1
	s_add_co_i32 s12, s5, s6
	s_bfe_u32 s6, ttmp6, 0x40008
	s_mov_b32 s15, 0
	s_wait_kmcnt 0x0
	s_cvt_f32_u32 s4, s2
	s_delay_alu instid0(SALU_CYCLE_3) | instskip(SKIP_1) | instid1(SALU_CYCLE_1)
	v_rcp_iflag_f32_e32 v1, s4
	s_lshr_b32 s4, ttmp7, 16
	s_mul_i32 s5, s4, s7
	s_getreg_b32 s7, hwreg(HW_REG_IB_STS2, 6, 4)
	s_add_co_i32 s6, s6, s5
	s_cmp_eq_u32 s7, 0
	v_nop
	v_readfirstlane_b32 s13, v1
	s_cselect_b32 s14, s4, s6
	s_load_b128 s[4:7], s[0:1], 0xe8
	s_mul_i32 s9, s9, s14
	s_cselect_b32 s12, ttmp9, s12
	s_mul_f32 s13, s13, 0x4f7ffffe
	s_cselect_b32 s10, s10, s11
	s_sub_co_i32 s11, 0, s2
	s_add_co_i32 s9, s9, s10
	s_cvt_u32_f32 s13, s13
	s_mul_i32 s18, s9, s8
	s_delay_alu instid0(SALU_CYCLE_1) | instskip(NEXT) | instid1(SALU_CYCLE_1)
	s_add_co_i32 s18, s18, s12
	s_mul_i32 s11, s11, s13
	s_delay_alu instid0(SALU_CYCLE_1) | instskip(NEXT) | instid1(SALU_CYCLE_1)
	s_mul_hi_u32 s8, s13, s11
	s_add_co_i32 s13, s13, s8
	s_delay_alu instid0(SALU_CYCLE_1) | instskip(NEXT) | instid1(SALU_CYCLE_1)
	s_mul_hi_u32 s8, s18, s13
	s_mul_i32 s9, s8, s2
	s_add_co_i32 s10, s8, 1
	s_sub_co_i32 s9, s18, s9
	s_delay_alu instid0(SALU_CYCLE_1)
	s_sub_co_i32 s11, s9, s2
	s_cmp_ge_u32 s9, s2
	s_cselect_b32 s8, s10, s8
	s_cselect_b32 s9, s11, s9
	s_add_co_i32 s10, s8, 1
	s_cmp_ge_u32 s9, s2
	s_cselect_b32 s21, s10, s8
	s_wait_kmcnt 0x0
	s_cmp_ge_u32 s21, s4
	s_cbranch_scc1 .LBB112_27
; %bb.1:
	s_load_b64 s[16:17], s[0:1], 0xc
	v_cmp_gt_u32_e32 vcc_lo, 0x100, v0
	s_wait_kmcnt 0x0
	s_cvt_f32_u32 s4, s17
	s_sub_co_i32 s8, 0, s17
	s_cvt_f32_u32 s9, s16
	s_delay_alu instid0(SALU_CYCLE_1) | instskip(SKIP_1) | instid1(TRANS32_DEP_1)
	v_rcp_iflag_f32_e32 v1, s4
	v_nop
	v_readfirstlane_b32 s4, v1
	v_rcp_iflag_f32_e32 v1, s9
	s_mul_f32 s4, s4, 0x4f7ffffe
	v_nop
	s_delay_alu instid0(TRANS32_DEP_1) | instskip(NEXT) | instid1(SALU_CYCLE_1)
	v_readfirstlane_b32 s22, v1
	s_cvt_u32_f32 s4, s4
	v_lshlrev_b32_e32 v1, 2, v0
	s_delay_alu instid0(SALU_CYCLE_2) | instskip(NEXT) | instid1(SALU_CYCLE_1)
	s_mul_i32 s8, s8, s4
	s_mul_hi_u32 s8, s4, s8
	s_delay_alu instid0(SALU_CYCLE_1) | instskip(NEXT) | instid1(SALU_CYCLE_1)
	s_add_co_i32 s4, s4, s8
	s_mul_hi_u32 s4, s21, s4
	s_delay_alu instid0(SALU_CYCLE_1) | instskip(SKIP_2) | instid1(SALU_CYCLE_1)
	s_mul_i32 s8, s4, s17
	s_add_co_i32 s9, s4, 1
	s_sub_co_i32 s8, s21, s8
	s_sub_co_i32 s10, s8, s17
	s_cmp_ge_u32 s8, s17
	s_cselect_b32 s4, s9, s4
	s_cselect_b32 s8, s10, s8
	s_add_co_i32 s9, s4, 1
	s_cmp_ge_u32 s8, s17
	s_cselect_b32 s14, s9, s4
	s_and_saveexec_b32 s4, vcc_lo
; %bb.2:
	v_mov_b32_e32 v2, 0
	ds_store_b32 v1, v2
; %bb.3:
	s_or_b32 exec_lo, exec_lo, s4
	s_clause 0x1
	s_load_b32 s4, s[0:1], 0xd8
	s_load_b128 s[8:11], s[0:1], 0x100
	s_mul_i32 s12, s21, s2
	s_mov_b32 s13, 0
	s_sub_co_i32 s20, s18, s12
	s_wait_dscnt 0x0
	s_mul_i32 s12, s7, s20
	s_add_co_i32 s20, s20, 1
	s_lshl_b32 s19, s12, 8
	s_barrier_signal -1
	s_barrier_wait -1
	s_wait_kmcnt 0x0
	s_sub_co_i32 s12, s4, s19
	s_delay_alu instid0(SALU_CYCLE_1) | instskip(NEXT) | instid1(SALU_CYCLE_1)
	s_add_nc_u64 s[24:25], s[12:13], 0xff
	s_lshr_b64 s[24:25], s[24:25], 8
	s_cmp_lt_u32 s20, s2
	s_cselect_b32 s20, s7, s24
	s_delay_alu instid0(SALU_CYCLE_1)
	s_cmp_lt_i32 s20, 1
	s_cbranch_scc1 .LBB112_25
; %bb.4:
	s_mul_f32 s2, s22, 0x4f7ffffe
	s_sub_co_i32 s7, 0, s16
	s_mov_b32 s23, s15
	s_clause 0x1
	s_load_b96 s[24:26], s[0:1], 0x6c
	s_load_b64 s[28:29], s[0:1], 0x0
	s_cvt_u32_f32 s2, s2
	s_wait_xcnt 0x0
	s_mul_i32 s0, s14, s17
	s_delay_alu instid0(SALU_CYCLE_1) | instskip(SKIP_1) | instid1(SALU_CYCLE_1)
	s_sub_co_i32 s0, s21, s0
	s_mul_i32 s7, s7, s2
	s_mul_hi_u32 s7, s2, s7
	s_delay_alu instid0(SALU_CYCLE_1) | instskip(NEXT) | instid1(SALU_CYCLE_1)
	s_add_co_i32 s22, s2, s7
	s_mul_u64 s[22:23], s[14:15], s[22:23]
	s_delay_alu instid0(SALU_CYCLE_1)
	s_mul_i32 s1, s23, s16
	s_add_co_i32 s7, s23, 1
	s_sub_co_i32 s2, s14, s1
	s_load_b32 s1, s[8:9], s21 offset:0x0 scale_offset
	s_sub_co_i32 s12, s2, s16
	s_cmp_ge_u32 s2, s16
	s_wait_kmcnt 0x0
	s_mul_i32 s0, s0, s26
	s_cselect_b32 s7, s7, s23
	s_cselect_b32 s2, s12, s2
	s_add_co_i32 s8, s7, 1
	s_cmp_ge_u32 s2, s16
	s_cselect_b32 s2, s8, s7
	s_delay_alu instid0(SALU_CYCLE_1) | instskip(SKIP_2) | instid1(SALU_CYCLE_1)
	s_mul_i32 s7, s2, s16
	s_mul_i32 s2, s2, s24
	s_sub_co_i32 s7, s14, s7
	s_mul_i32 s7, s7, s25
	s_delay_alu instid0(SALU_CYCLE_1) | instskip(NEXT) | instid1(SALU_CYCLE_1)
	s_add_co_i32 s0, s7, s0
	s_add_co_i32 s12, s0, s2
	s_and_b32 s2, s6, 0xff
	s_lshl_b64 s[8:9], s[12:13], 1
	s_cmp_lt_u32 s20, 4
	s_add_nc_u64 s[6:7], s[28:29], s[8:9]
	s_cbranch_scc1 .LBB112_19
; %bb.5:
	v_dual_mov_b32 v7, 1 :: v_dual_add_nc_u32 v6, s19, v0
	v_mov_b32_e32 v8, 0x8000
	s_and_b32 s13, s20, 0x7ffffffc
	s_lshl_b32 s8, s5, 10
	s_delay_alu instid0(VALU_DEP_2)
	v_add_nc_u32_e32 v2, 0x300, v6
	v_add_nc_u32_e32 v4, 0x200, v6
	;; [unrolled: 1-line block ×3, first 2 shown]
	v_mul_lo_u32 v6, s5, v6
	s_mov_b32 s9, 0
	v_mul_lo_u32 v3, s5, v2
	v_mul_lo_u32 v4, s5, v4
	;; [unrolled: 1-line block ×3, first 2 shown]
	s_mov_b32 s12, 0
	s_branch .LBB112_7
.LBB112_6:                              ;   in Loop: Header=BB112_7 Depth=1
	s_or_b32 exec_lo, exec_lo, s14
	v_add_nc_u32_e32 v2, 0x400, v2
	s_add_co_i32 s12, s12, 4
	s_add_co_i32 s9, s9, s8
	s_cmp_eq_u32 s13, s12
	s_cbranch_scc1 .LBB112_19
.LBB112_7:                              ; =>This Inner Loop Header: Depth=1
	v_add_nc_u32_e32 v9, 0xfffffd00, v2
	s_mov_b32 s14, exec_lo
	s_delay_alu instid0(VALU_DEP_1)
	v_cmpx_gt_u32_e64 s4, v9
	s_cbranch_execz .LBB112_10
; %bb.8:                                ;   in Loop: Header=BB112_7 Depth=1
	v_add_nc_u32_e32 v9, s9, v6
	global_load_u16 v9, v9, s[6:7] scale_offset
	s_wait_loadcnt 0x0
	v_cmp_lt_i16_e64 s0, -1, v9
	v_and_b32_e32 v10, 0xffff, v9
	s_delay_alu instid0(VALU_DEP_2) | instskip(SKIP_1) | instid1(VALU_DEP_1)
	v_cndmask_b32_e64 v11, 0xffff, v8, s0
	s_wait_xcnt 0x0
	v_dual_lshlrev_b32 v9, 16, v9 :: v_dual_bitop2_b32 v10, v11, v10 bitop3:0x14
	s_delay_alu instid0(VALU_DEP_1) | instskip(NEXT) | instid1(VALU_DEP_1)
	v_cmp_o_f32_e64 s0, v9, v9
	v_cndmask_b32_e64 v9, 0xffff, v10, s0
	s_delay_alu instid0(VALU_DEP_1) | instskip(NEXT) | instid1(VALU_DEP_1)
	v_bitop3_b32 v10, v9, s3, s1 bitop3:0x48
	v_cmp_eq_u32_e64 s0, 0, v10
	s_and_b32 exec_lo, exec_lo, s0
; %bb.9:                                ;   in Loop: Header=BB112_7 Depth=1
	v_bfe_u32 v9, v9, s2, 8
	s_delay_alu instid0(VALU_DEP_1)
	v_lshlrev_b32_e32 v9, 2, v9
	ds_add_u32 v9, v7
.LBB112_10:                             ;   in Loop: Header=BB112_7 Depth=1
	s_or_b32 exec_lo, exec_lo, s14
	v_add_nc_u32_e32 v9, 0xfffffe00, v2
	s_mov_b32 s14, exec_lo
	s_delay_alu instid0(VALU_DEP_1)
	v_cmpx_gt_u32_e64 s4, v9
	s_cbranch_execz .LBB112_13
; %bb.11:                               ;   in Loop: Header=BB112_7 Depth=1
	v_add_nc_u32_e32 v9, s9, v5
	global_load_u16 v9, v9, s[6:7] scale_offset
	s_wait_loadcnt 0x0
	v_cmp_lt_i16_e64 s0, -1, v9
	v_and_b32_e32 v10, 0xffff, v9
	v_lshlrev_b32_e32 v9, 16, v9
	s_delay_alu instid0(VALU_DEP_3) | instskip(NEXT) | instid1(VALU_DEP_2)
	v_cndmask_b32_e64 v11, 0xffff, v8, s0
	v_cmp_o_f32_e64 s0, v9, v9
	s_delay_alu instid0(VALU_DEP_2) | instskip(NEXT) | instid1(VALU_DEP_1)
	v_xor_b32_e32 v10, v11, v10
	v_cndmask_b32_e64 v9, 0xffff, v10, s0
	s_delay_alu instid0(VALU_DEP_1) | instskip(NEXT) | instid1(VALU_DEP_1)
	v_bitop3_b32 v10, v9, s3, s1 bitop3:0x48
	v_cmp_eq_u32_e64 s0, 0, v10
	s_and_b32 exec_lo, exec_lo, s0
; %bb.12:                               ;   in Loop: Header=BB112_7 Depth=1
	v_bfe_u32 v9, v9, s2, 8
	s_delay_alu instid0(VALU_DEP_1)
	v_lshlrev_b32_e32 v9, 2, v9
	ds_add_u32 v9, v7
.LBB112_13:                             ;   in Loop: Header=BB112_7 Depth=1
	s_or_b32 exec_lo, exec_lo, s14
	v_add_nc_u32_e32 v9, 0xffffff00, v2
	s_mov_b32 s14, exec_lo
	s_delay_alu instid0(VALU_DEP_1)
	v_cmpx_gt_u32_e64 s4, v9
	s_cbranch_execz .LBB112_16
; %bb.14:                               ;   in Loop: Header=BB112_7 Depth=1
	v_add_nc_u32_e32 v9, s9, v4
	global_load_u16 v9, v9, s[6:7] scale_offset
	s_wait_loadcnt 0x0
	v_cmp_lt_i16_e64 s0, -1, v9
	v_and_b32_e32 v10, 0xffff, v9
	v_lshlrev_b32_e32 v9, 16, v9
	s_delay_alu instid0(VALU_DEP_3) | instskip(NEXT) | instid1(VALU_DEP_2)
	v_cndmask_b32_e64 v11, 0xffff, v8, s0
	v_cmp_o_f32_e64 s0, v9, v9
	s_delay_alu instid0(VALU_DEP_2) | instskip(NEXT) | instid1(VALU_DEP_1)
	v_xor_b32_e32 v10, v11, v10
	v_cndmask_b32_e64 v9, 0xffff, v10, s0
	s_delay_alu instid0(VALU_DEP_1) | instskip(NEXT) | instid1(VALU_DEP_1)
	v_bitop3_b32 v10, v9, s3, s1 bitop3:0x48
	v_cmp_eq_u32_e64 s0, 0, v10
	s_and_b32 exec_lo, exec_lo, s0
; %bb.15:                               ;   in Loop: Header=BB112_7 Depth=1
	v_bfe_u32 v9, v9, s2, 8
	s_delay_alu instid0(VALU_DEP_1)
	v_lshlrev_b32_e32 v9, 2, v9
	ds_add_u32 v9, v7
.LBB112_16:                             ;   in Loop: Header=BB112_7 Depth=1
	s_or_b32 exec_lo, exec_lo, s14
	s_delay_alu instid0(SALU_CYCLE_1)
	s_mov_b32 s14, exec_lo
	v_cmpx_gt_u32_e64 s4, v2
	s_cbranch_execz .LBB112_6
; %bb.17:                               ;   in Loop: Header=BB112_7 Depth=1
	v_add_nc_u32_e32 v9, s9, v3
	global_load_u16 v9, v9, s[6:7] scale_offset
	s_wait_loadcnt 0x0
	v_cmp_lt_i16_e64 s0, -1, v9
	v_and_b32_e32 v10, 0xffff, v9
	v_lshlrev_b32_e32 v9, 16, v9
	s_delay_alu instid0(VALU_DEP_3) | instskip(NEXT) | instid1(VALU_DEP_2)
	v_cndmask_b32_e64 v11, 0xffff, v8, s0
	v_cmp_o_f32_e64 s0, v9, v9
	s_delay_alu instid0(VALU_DEP_2) | instskip(NEXT) | instid1(VALU_DEP_1)
	v_xor_b32_e32 v10, v11, v10
	v_cndmask_b32_e64 v9, 0xffff, v10, s0
	s_delay_alu instid0(VALU_DEP_1) | instskip(NEXT) | instid1(VALU_DEP_1)
	v_bitop3_b32 v10, v9, s3, s1 bitop3:0x48
	v_cmp_eq_u32_e64 s0, 0, v10
	s_and_b32 exec_lo, exec_lo, s0
	s_cbranch_execz .LBB112_6
; %bb.18:                               ;   in Loop: Header=BB112_7 Depth=1
	v_bfe_u32 v9, v9, s2, 8
	s_delay_alu instid0(VALU_DEP_1)
	v_lshlrev_b32_e32 v9, 2, v9
	ds_add_u32 v9, v7
	s_branch .LBB112_6
.LBB112_19:
	s_and_b32 s8, s20, 3
	s_delay_alu instid0(SALU_CYCLE_1)
	s_cmp_eq_u32 s8, 0
	s_cbranch_scc1 .LBB112_25
; %bb.20:
	s_lshl_b32 s0, s13, 8
	v_dual_mov_b32 v4, 1 :: v_dual_mov_b32 v5, 0x8000
	v_add3_u32 v2, s0, s19, v0
	s_delay_alu instid0(VALU_DEP_1)
	v_mul_lo_u32 v3, s5, v2
	s_lshl_b32 s5, s5, 8
	s_branch .LBB112_22
.LBB112_21:                             ;   in Loop: Header=BB112_22 Depth=1
	s_or_b32 exec_lo, exec_lo, s9
	s_delay_alu instid0(VALU_DEP_2) | instskip(SKIP_2) | instid1(SALU_CYCLE_1)
	v_add_nc_u32_e32 v3, s5, v3
	v_add_nc_u32_e32 v2, 0x100, v2
	s_add_co_i32 s8, s8, -1
	s_cmp_lg_u32 s8, 0
	s_cbranch_scc0 .LBB112_25
.LBB112_22:                             ; =>This Inner Loop Header: Depth=1
	s_mov_b32 s9, exec_lo
	v_cmpx_gt_u32_e64 s4, v2
	s_cbranch_execz .LBB112_21
; %bb.23:                               ;   in Loop: Header=BB112_22 Depth=1
	global_load_u16 v6, v3, s[6:7] scale_offset
	s_wait_loadcnt 0x0
	v_cmp_lt_i16_e64 s0, -1, v6
	v_and_b32_e32 v7, 0xffff, v6
	s_delay_alu instid0(VALU_DEP_2) | instskip(NEXT) | instid1(VALU_DEP_1)
	v_cndmask_b32_e64 v8, 0xffff, v5, s0
	v_dual_lshlrev_b32 v6, 16, v6 :: v_dual_bitop2_b32 v7, v8, v7 bitop3:0x14
	s_delay_alu instid0(VALU_DEP_1) | instskip(NEXT) | instid1(VALU_DEP_1)
	v_cmp_o_f32_e64 s0, v6, v6
	v_cndmask_b32_e64 v6, 0xffff, v7, s0
	s_delay_alu instid0(VALU_DEP_1) | instskip(NEXT) | instid1(VALU_DEP_1)
	v_bitop3_b32 v7, v6, s3, s1 bitop3:0x48
	v_cmp_eq_u32_e64 s0, 0, v7
	s_and_b32 exec_lo, exec_lo, s0
	s_cbranch_execz .LBB112_21
; %bb.24:                               ;   in Loop: Header=BB112_22 Depth=1
	v_bfe_u32 v6, v6, s2, 8
	s_delay_alu instid0(VALU_DEP_1)
	v_lshlrev_b32_e32 v6, 2, v6
	ds_add_u32 v6, v4
	s_branch .LBB112_21
.LBB112_25:
	s_wait_dscnt 0x0
	s_barrier_signal -1
	s_barrier_wait -1
	s_and_saveexec_b32 s0, vcc_lo
	s_cbranch_execz .LBB112_27
; %bb.26:
	ds_load_b32 v1, v1
	v_lshl_or_b32 v0, s18, 8, v0
	s_wait_dscnt 0x0
	global_store_b16 v0, v1, s[10:11] scale_offset
.LBB112_27:
	s_endpgm
	.section	.rodata,"a",@progbits
	.p2align	6, 0x0
	.amdhsa_kernel _ZN2at6native6mbtopk23computeBlockDigitCountsIN3c108BFloat16EjjLi3EEEvNS_4cuda6detail10TensorInfoIKT_T0_EEjPjjSA_iijT1_PSD_Ps
		.amdhsa_group_segment_fixed_size 1024
		.amdhsa_private_segment_fixed_size 0
		.amdhsa_kernarg_size 528
		.amdhsa_user_sgpr_count 2
		.amdhsa_user_sgpr_dispatch_ptr 0
		.amdhsa_user_sgpr_queue_ptr 0
		.amdhsa_user_sgpr_kernarg_segment_ptr 1
		.amdhsa_user_sgpr_dispatch_id 0
		.amdhsa_user_sgpr_kernarg_preload_length 0
		.amdhsa_user_sgpr_kernarg_preload_offset 0
		.amdhsa_user_sgpr_private_segment_size 0
		.amdhsa_wavefront_size32 1
		.amdhsa_uses_dynamic_stack 0
		.amdhsa_enable_private_segment 0
		.amdhsa_system_sgpr_workgroup_id_x 1
		.amdhsa_system_sgpr_workgroup_id_y 1
		.amdhsa_system_sgpr_workgroup_id_z 1
		.amdhsa_system_sgpr_workgroup_info 0
		.amdhsa_system_vgpr_workitem_id 0
		.amdhsa_next_free_vgpr 12
		.amdhsa_next_free_sgpr 30
		.amdhsa_named_barrier_count 0
		.amdhsa_reserve_vcc 1
		.amdhsa_float_round_mode_32 0
		.amdhsa_float_round_mode_16_64 0
		.amdhsa_float_denorm_mode_32 3
		.amdhsa_float_denorm_mode_16_64 3
		.amdhsa_fp16_overflow 0
		.amdhsa_memory_ordered 1
		.amdhsa_forward_progress 1
		.amdhsa_inst_pref_size 15
		.amdhsa_round_robin_scheduling 0
		.amdhsa_exception_fp_ieee_invalid_op 0
		.amdhsa_exception_fp_denorm_src 0
		.amdhsa_exception_fp_ieee_div_zero 0
		.amdhsa_exception_fp_ieee_overflow 0
		.amdhsa_exception_fp_ieee_underflow 0
		.amdhsa_exception_fp_ieee_inexact 0
		.amdhsa_exception_int_div_zero 0
	.end_amdhsa_kernel
	.section	.text._ZN2at6native6mbtopk23computeBlockDigitCountsIN3c108BFloat16EjjLi3EEEvNS_4cuda6detail10TensorInfoIKT_T0_EEjPjjSA_iijT1_PSD_Ps,"axG",@progbits,_ZN2at6native6mbtopk23computeBlockDigitCountsIN3c108BFloat16EjjLi3EEEvNS_4cuda6detail10TensorInfoIKT_T0_EEjPjjSA_iijT1_PSD_Ps,comdat
.Lfunc_end112:
	.size	_ZN2at6native6mbtopk23computeBlockDigitCountsIN3c108BFloat16EjjLi3EEEvNS_4cuda6detail10TensorInfoIKT_T0_EEjPjjSA_iijT1_PSD_Ps, .Lfunc_end112-_ZN2at6native6mbtopk23computeBlockDigitCountsIN3c108BFloat16EjjLi3EEEvNS_4cuda6detail10TensorInfoIKT_T0_EEjPjjSA_iijT1_PSD_Ps
                                        ; -- End function
	.set _ZN2at6native6mbtopk23computeBlockDigitCountsIN3c108BFloat16EjjLi3EEEvNS_4cuda6detail10TensorInfoIKT_T0_EEjPjjSA_iijT1_PSD_Ps.num_vgpr, 12
	.set _ZN2at6native6mbtopk23computeBlockDigitCountsIN3c108BFloat16EjjLi3EEEvNS_4cuda6detail10TensorInfoIKT_T0_EEjPjjSA_iijT1_PSD_Ps.num_agpr, 0
	.set _ZN2at6native6mbtopk23computeBlockDigitCountsIN3c108BFloat16EjjLi3EEEvNS_4cuda6detail10TensorInfoIKT_T0_EEjPjjSA_iijT1_PSD_Ps.numbered_sgpr, 30
	.set _ZN2at6native6mbtopk23computeBlockDigitCountsIN3c108BFloat16EjjLi3EEEvNS_4cuda6detail10TensorInfoIKT_T0_EEjPjjSA_iijT1_PSD_Ps.num_named_barrier, 0
	.set _ZN2at6native6mbtopk23computeBlockDigitCountsIN3c108BFloat16EjjLi3EEEvNS_4cuda6detail10TensorInfoIKT_T0_EEjPjjSA_iijT1_PSD_Ps.private_seg_size, 0
	.set _ZN2at6native6mbtopk23computeBlockDigitCountsIN3c108BFloat16EjjLi3EEEvNS_4cuda6detail10TensorInfoIKT_T0_EEjPjjSA_iijT1_PSD_Ps.uses_vcc, 1
	.set _ZN2at6native6mbtopk23computeBlockDigitCountsIN3c108BFloat16EjjLi3EEEvNS_4cuda6detail10TensorInfoIKT_T0_EEjPjjSA_iijT1_PSD_Ps.uses_flat_scratch, 0
	.set _ZN2at6native6mbtopk23computeBlockDigitCountsIN3c108BFloat16EjjLi3EEEvNS_4cuda6detail10TensorInfoIKT_T0_EEjPjjSA_iijT1_PSD_Ps.has_dyn_sized_stack, 0
	.set _ZN2at6native6mbtopk23computeBlockDigitCountsIN3c108BFloat16EjjLi3EEEvNS_4cuda6detail10TensorInfoIKT_T0_EEjPjjSA_iijT1_PSD_Ps.has_recursion, 0
	.set _ZN2at6native6mbtopk23computeBlockDigitCountsIN3c108BFloat16EjjLi3EEEvNS_4cuda6detail10TensorInfoIKT_T0_EEjPjjSA_iijT1_PSD_Ps.has_indirect_call, 0
	.section	.AMDGPU.csdata,"",@progbits
; Kernel info:
; codeLenInByte = 1832
; TotalNumSgprs: 32
; NumVgprs: 12
; ScratchSize: 0
; MemoryBound: 0
; FloatMode: 240
; IeeeMode: 1
; LDSByteSize: 1024 bytes/workgroup (compile time only)
; SGPRBlocks: 0
; VGPRBlocks: 0
; NumSGPRsForWavesPerEU: 32
; NumVGPRsForWavesPerEU: 12
; NamedBarCnt: 0
; Occupancy: 16
; WaveLimiterHint : 1
; COMPUTE_PGM_RSRC2:SCRATCH_EN: 0
; COMPUTE_PGM_RSRC2:USER_SGPR: 2
; COMPUTE_PGM_RSRC2:TRAP_HANDLER: 0
; COMPUTE_PGM_RSRC2:TGID_X_EN: 1
; COMPUTE_PGM_RSRC2:TGID_Y_EN: 1
; COMPUTE_PGM_RSRC2:TGID_Z_EN: 1
; COMPUTE_PGM_RSRC2:TIDIG_COMP_CNT: 0
	.section	.text._ZN2at6native6mbtopk10gatherTopKIN3c108BFloat16EjLi3EEEvNS_4cuda6detail10TensorInfoIKT_T0_EESA_SA_bjSA_NS7_IS8_SA_EESA_NS7_IlSA_EESA_jjPS8_PjSF_j,"axG",@progbits,_ZN2at6native6mbtopk10gatherTopKIN3c108BFloat16EjLi3EEEvNS_4cuda6detail10TensorInfoIKT_T0_EESA_SA_bjSA_NS7_IS8_SA_EESA_NS7_IlSA_EESA_jjPS8_PjSF_j,comdat
	.protected	_ZN2at6native6mbtopk10gatherTopKIN3c108BFloat16EjLi3EEEvNS_4cuda6detail10TensorInfoIKT_T0_EESA_SA_bjSA_NS7_IS8_SA_EESA_NS7_IlSA_EESA_jjPS8_PjSF_j ; -- Begin function _ZN2at6native6mbtopk10gatherTopKIN3c108BFloat16EjLi3EEEvNS_4cuda6detail10TensorInfoIKT_T0_EESA_SA_bjSA_NS7_IS8_SA_EESA_NS7_IlSA_EESA_jjPS8_PjSF_j
	.globl	_ZN2at6native6mbtopk10gatherTopKIN3c108BFloat16EjLi3EEEvNS_4cuda6detail10TensorInfoIKT_T0_EESA_SA_bjSA_NS7_IS8_SA_EESA_NS7_IlSA_EESA_jjPS8_PjSF_j
	.p2align	8
	.type	_ZN2at6native6mbtopk10gatherTopKIN3c108BFloat16EjLi3EEEvNS_4cuda6detail10TensorInfoIKT_T0_EESA_SA_bjSA_NS7_IS8_SA_EESA_NS7_IlSA_EESA_jjPS8_PjSF_j,@function
_ZN2at6native6mbtopk10gatherTopKIN3c108BFloat16EjLi3EEEvNS_4cuda6detail10TensorInfoIKT_T0_EESA_SA_bjSA_NS7_IS8_SA_EESA_NS7_IlSA_EESA_jjPS8_PjSF_j: ; @_ZN2at6native6mbtopk10gatherTopKIN3c108BFloat16EjLi3EEEvNS_4cuda6detail10TensorInfoIKT_T0_EESA_SA_bjSA_NS7_IS8_SA_EESA_NS7_IlSA_EESA_jjPS8_PjSF_j
; %bb.0:
	s_bfe_u32 s2, ttmp6, 0x40010
	s_and_b32 s4, ttmp7, 0xffff
	s_add_co_i32 s5, s2, 1
	s_clause 0x1
	s_load_b32 s6, s[0:1], 0x2d0
	s_load_b64 s[2:3], s[0:1], 0x2d8
	s_bfe_u32 s8, ttmp6, 0x4000c
	s_mul_i32 s5, s4, s5
	s_bfe_u32 s7, ttmp6, 0x40004
	s_add_co_i32 s8, s8, 1
	s_bfe_u32 s9, ttmp6, 0x40014
	s_add_co_i32 s7, s7, s5
	s_and_b32 s5, ttmp6, 15
	s_mul_i32 s8, ttmp9, s8
	s_lshr_b32 s10, ttmp7, 16
	s_add_co_i32 s9, s9, 1
	s_add_co_i32 s5, s5, s8
	s_mul_i32 s8, s10, s9
	s_bfe_u32 s9, ttmp6, 0x40008
	s_getreg_b32 s11, hwreg(HW_REG_IB_STS2, 6, 4)
	s_add_co_i32 s9, s9, s8
	s_cmp_eq_u32 s11, 0
	s_mov_b32 s25, 0
	s_cselect_b32 s8, s10, s9
	s_cselect_b32 s4, s4, s7
	s_wait_kmcnt 0x0
	s_mul_i32 s3, s3, s8
	s_cselect_b32 s5, ttmp9, s5
	s_add_co_i32 s3, s3, s4
	s_delay_alu instid0(SALU_CYCLE_1) | instskip(NEXT) | instid1(SALU_CYCLE_1)
	s_mul_i32 s2, s3, s2
	s_add_co_i32 s2, s2, s5
	s_delay_alu instid0(SALU_CYCLE_1)
	s_cmp_ge_u32 s2, s6
	s_cbranch_scc1 .LBB113_40
; %bb.1:
	s_clause 0x1
	s_load_b96 s[12:14], s[0:1], 0x2a8
	s_load_b128 s[4:7], s[0:1], 0x2b8
	s_mov_b32 s31, s25
	s_mov_b32 s39, s25
	;; [unrolled: 1-line block ×4, first 2 shown]
	s_wait_kmcnt 0x0
	s_cvt_f32_u32 s3, s14
	s_sub_co_i32 s8, 0, s14
	s_delay_alu instid0(SALU_CYCLE_2) | instskip(SKIP_1) | instid1(TRANS32_DEP_1)
	v_rcp_iflag_f32_e32 v1, s3
	v_nop
	v_readfirstlane_b32 s3, v1
	s_mul_f32 s3, s3, 0x4f7ffffe
	s_delay_alu instid0(SALU_CYCLE_3) | instskip(NEXT) | instid1(SALU_CYCLE_3)
	s_cvt_u32_f32 s3, s3
	s_mul_i32 s8, s8, s3
	s_delay_alu instid0(SALU_CYCLE_1) | instskip(NEXT) | instid1(SALU_CYCLE_1)
	s_mul_hi_u32 s8, s3, s8
	s_add_co_i32 s3, s3, s8
	s_delay_alu instid0(SALU_CYCLE_1) | instskip(NEXT) | instid1(SALU_CYCLE_1)
	s_mul_hi_u32 s3, s2, s3
	s_mul_i32 s8, s3, s14
	s_add_co_i32 s9, s3, 1
	s_sub_co_i32 s8, s2, s8
	s_delay_alu instid0(SALU_CYCLE_1)
	s_sub_co_i32 s10, s8, s14
	s_cmp_ge_u32 s8, s14
	s_cselect_b32 s3, s9, s3
	s_cselect_b32 s8, s10, s8
	s_add_co_i32 s9, s3, 1
	s_cmp_ge_u32 s8, s14
	s_cselect_b32 s15, s9, s3
	s_delay_alu instid0(SALU_CYCLE_1) | instskip(SKIP_1) | instid1(SALU_CYCLE_1)
	v_mov_b32_e32 v1, s15
	s_mul_i32 s16, s15, s14
	s_sub_co_i32 s52, s2, s16
	global_load_u16 v1, v1, s[4:5] scale_offset
	s_clause 0x2
	s_load_b64 s[34:35], s[0:1], 0xc
	s_load_b64 s[28:29], s[0:1], 0xfc
	;; [unrolled: 1-line block ×3, first 2 shown]
	s_mov_b32 s5, s25
	s_wait_kmcnt 0x0
	s_cvt_f32_u32 s3, s35
	s_cvt_f32_u32 s8, s28
	;; [unrolled: 1-line block ×4, first 2 shown]
	v_rcp_iflag_f32_e32 v2, s3
	s_cvt_f32_u32 s3, s34
	v_rcp_iflag_f32_e32 v4, s8
	s_sub_co_i32 s8, 0, s35
	v_rcp_iflag_f32_e32 v3, s4
	v_rcp_iflag_f32_e32 v5, s10
	s_cvt_f32_u32 s11, s26
	v_readfirstlane_b32 s9, v2
	v_rcp_iflag_f32_e32 v2, s3
	v_readfirstlane_b32 s10, v4
	v_rcp_iflag_f32_e32 v6, s11
	s_mul_f32 s3, s9, 0x4f7ffffe
	v_readfirstlane_b32 s9, v3
	v_readfirstlane_b32 s11, v5
	s_delay_alu instid0(TRANS32_DEP_2) | instskip(SKIP_3) | instid1(SALU_CYCLE_1)
	v_readfirstlane_b32 s4, v2
	s_cvt_u32_f32 s3, s3
	s_mul_f32 s9, s9, 0x4f7ffffe
	s_mul_f32 s11, s11, 0x4f7ffffe
	s_mul_i32 s8, s8, s3
	s_mul_f32 s4, s4, 0x4f7ffffe
	s_mul_hi_u32 s8, s3, s8
	s_delay_alu instid0(SALU_CYCLE_1) | instskip(NEXT) | instid1(SALU_CYCLE_1)
	s_add_co_i32 s3, s3, s8
	s_cvt_u32_f32 s4, s4
	s_mul_hi_u32 s3, s15, s3
	s_delay_alu instid0(SALU_CYCLE_1) | instskip(NEXT) | instid1(SALU_CYCLE_1)
	s_mul_i32 s8, s3, s35
	s_sub_co_i32 s2, s15, s8
	s_add_co_i32 s8, s3, 1
	s_sub_co_i32 s17, s2, s35
	s_cmp_ge_u32 s2, s35
	s_cselect_b32 s3, s8, s3
	s_cselect_b32 s2, s17, s2
	s_add_co_i32 s8, s3, 1
	s_cmp_ge_u32 s2, s35
	s_cvt_u32_f32 s2, s9
	s_cselect_b32 s24, s8, s3
	s_sub_co_i32 s3, 0, s29
	s_sub_co_i32 s9, 0, s34
	s_mul_i32 s3, s3, s2
	s_mul_i32 s9, s9, s4
	s_mul_hi_u32 s3, s2, s3
	s_mul_f32 s8, s10, 0x4f7ffffe
	s_add_co_i32 s2, s2, s3
	s_mul_hi_u32 s3, s4, s9
	s_mul_hi_u32 s2, s15, s2
	s_add_co_i32 s4, s4, s3
	s_mul_i32 s9, s2, s29
	s_cvt_u32_f32 s8, s8
	s_sub_co_i32 s3, s15, s9
	s_add_co_i32 s9, s2, 1
	s_sub_co_i32 s10, s3, s29
	s_cmp_ge_u32 s3, s29
	s_cselect_b32 s2, s9, s2
	s_cselect_b32 s3, s10, s3
	s_add_co_i32 s9, s2, 1
	s_cmp_ge_u32 s3, s29
	s_cvt_u32_f32 s3, s11
	s_cselect_b32 s30, s9, s2
	s_sub_co_i32 s2, 0, s27
	s_sub_co_i32 s10, 0, s28
	s_mul_i32 s2, s2, s3
	s_mul_i32 s10, s10, s8
	s_mul_hi_u32 s2, s3, s2
	v_readfirstlane_b32 s9, v6
	s_add_co_i32 s3, s3, s2
	s_delay_alu instid0(SALU_CYCLE_1)
	s_mul_hi_u32 s2, s15, s3
	s_mul_hi_u32 s3, s8, s10
	s_mul_i32 s10, s2, s27
	s_add_co_i32 s38, s8, s3
	s_sub_co_i32 s3, s15, s10
	s_add_co_i32 s8, s2, 1
	s_sub_co_i32 s10, s3, s27
	s_cmp_ge_u32 s3, s27
	s_mul_f32 s9, s9, 0x4f7ffffe
	s_cselect_b32 s2, s8, s2
	s_cselect_b32 s3, s10, s3
	s_add_co_i32 s8, s2, 1
	s_cmp_ge_u32 s3, s27
	s_cvt_u32_f32 s9, s9
	s_cselect_b32 s36, s8, s2
	s_sub_co_i32 s2, 0, s26
	s_delay_alu instid0(SALU_CYCLE_1)
	s_mul_i32 s3, s2, s9
	v_cmp_ne_u32_e64 s2, 0, v0
	s_mul_hi_u32 s8, s9, s3
	v_cmp_eq_u32_e64 s3, 0, v0
	s_add_co_i32 s40, s9, s8
	s_wait_loadcnt 0x0
	v_readfirstlane_b32 s33, v1
	s_and_saveexec_b32 s44, s3
	s_cbranch_execz .LBB113_17
; %bb.2:
	s_load_b64 s[20:21], s[0:1], 0x2c8
	s_mov_b32 s17, 0
	s_delay_alu instid0(SALU_CYCLE_1)
	s_lshl_b64 s[22:23], s[16:17], 2
	s_cmp_lt_u32 s14, 4
	s_cbranch_scc1 .LBB113_14
; %bb.3:
	s_mov_b64 s[18:19], 0
	s_mov_b32 s16, 0
.LBB113_4:                              ; =>This Inner Loop Header: Depth=1
	s_add_nc_u64 s[42:43], s[6:7], s[22:23]
	s_cmp_ge_u32 s16, s52
	s_load_b128 s[8:11], s[42:43], 0x0
	s_wait_kmcnt 0x0
	s_add_nc_u64 s[42:43], s[20:21], s[22:23]
	s_cbranch_scc0 .LBB113_11
; %bb.5:                                ;   in Loop: Header=BB113_4 Depth=1
	s_add_co_i32 s45, s16, 1
	s_delay_alu instid0(SALU_CYCLE_1)
	s_cmp_ge_u32 s45, s52
	s_cbranch_scc0 .LBB113_12
.LBB113_6:                              ;   in Loop: Header=BB113_4 Depth=1
	s_add_co_i32 s45, s45, 1
	s_delay_alu instid0(SALU_CYCLE_1)
	s_cmp_ge_u32 s45, s52
	s_cbranch_scc0 .LBB113_13
.LBB113_7:                              ;   in Loop: Header=BB113_4 Depth=1
	s_add_co_i32 s45, s45, 1
	s_delay_alu instid0(SALU_CYCLE_1)
	s_cmp_ge_u32 s45, s52
	s_cbranch_scc1 .LBB113_9
.LBB113_8:                              ;   in Loop: Header=BB113_4 Depth=1
	s_load_b32 s42, s[42:43], 0xc
	s_add_co_i32 s19, s11, s19
	s_wait_kmcnt 0x0
	s_add_co_i32 s18, s42, s18
.LBB113_9:                              ;   in Loop: Header=BB113_4 Depth=1
	s_add_co_i32 s8, s8, s17
	s_add_nc_u64 s[6:7], s[6:7], 16
	s_add_co_i32 s8, s8, s9
	s_add_co_i32 s9, s45, 4
	;; [unrolled: 1-line block ×3, first 2 shown]
	s_add_nc_u64 s[20:21], s[20:21], 16
	s_add_co_i32 s17, s8, s11
	s_add_co_i32 s8, s45, 1
	s_cmp_ge_u32 s9, s14
	s_cbranch_scc1 .LBB113_15
; %bb.10:                               ;   in Loop: Header=BB113_4 Depth=1
	s_mov_b32 s16, s8
	s_branch .LBB113_4
.LBB113_11:                             ;   in Loop: Header=BB113_4 Depth=1
	s_load_b32 s45, s[42:43], 0x0
	s_add_co_i32 s19, s8, s19
	s_wait_kmcnt 0x0
	s_add_co_i32 s18, s45, s18
	s_add_co_i32 s45, s16, 1
	s_delay_alu instid0(SALU_CYCLE_1)
	s_cmp_ge_u32 s45, s52
	s_cbranch_scc1 .LBB113_6
.LBB113_12:                             ;   in Loop: Header=BB113_4 Depth=1
	s_load_b32 s46, s[42:43], 0x4
	s_add_co_i32 s19, s9, s19
	s_wait_kmcnt 0x0
	s_add_co_i32 s18, s46, s18
	s_add_co_i32 s45, s45, 1
	s_delay_alu instid0(SALU_CYCLE_1)
	s_cmp_ge_u32 s45, s52
	s_cbranch_scc1 .LBB113_7
.LBB113_13:                             ;   in Loop: Header=BB113_4 Depth=1
	s_load_b32 s46, s[42:43], 0x8
	s_add_co_i32 s19, s10, s19
	s_wait_kmcnt 0x0
	s_add_co_i32 s18, s46, s18
	s_add_co_i32 s45, s45, 1
	s_delay_alu instid0(SALU_CYCLE_1)
	s_cmp_ge_u32 s45, s52
	s_cbranch_scc0 .LBB113_8
	s_branch .LBB113_9
.LBB113_14:
	s_mov_b64 s[18:19], 0
	s_add_nc_u64 s[6:7], s[6:7], s[22:23]
	s_wait_kmcnt 0x0
	s_add_nc_u64 s[8:9], s[20:21], s[22:23]
	s_mov_b32 s10, 0
	s_delay_alu instid0(SALU_CYCLE_1)
	s_cmp_ge_u32 s10, s14
	s_cbranch_scc0 .LBB113_38
	s_branch .LBB113_16
.LBB113_15:
	s_add_co_i32 s10, s16, 4
	s_add_nc_u64 s[8:9], s[20:21], s[22:23]
	s_add_nc_u64 s[6:7], s[6:7], s[22:23]
	s_cmp_ge_u32 s10, s14
	s_cbranch_scc0 .LBB113_38
.LBB113_16:
	v_dual_mov_b32 v2, s18 :: v_dual_mov_b32 v3, s17
	v_dual_mov_b32 v4, s19 :: v_dual_mov_b32 v1, 0
	ds_store_b96 v1, v[2:4] offset:1056
.LBB113_17:
	s_or_b32 exec_lo, exec_lo, s44
	s_mul_u64 s[6:7], s[36:37], s[40:41]
	s_mul_u64 s[50:51], s[24:25], s[4:5]
	s_clause 0x6
	s_load_b96 s[4:6], s[0:1], 0xd8
	s_load_b96 s[8:10], s[0:1], 0x23c
	s_load_b64 s[42:43], s[0:1], 0x1d0
	s_load_b96 s[16:18], s[0:1], 0x15c
	s_load_b64 s[44:45], s[0:1], 0xf0
	s_load_b96 s[20:22], s[0:1], 0x6c
	s_load_b64 s[46:47], s[0:1], 0x0
	s_mul_i32 s11, s13, s52
	s_mul_u64 s[48:49], s[30:31], s[38:39]
	s_lshl_b32 s19, s11, 8
	s_mov_b32 s39, 0
	s_add_co_i32 s52, s52, 1
	s_wait_dscnt 0x0
	s_barrier_signal -1
	s_barrier_wait -1
	s_wait_kmcnt 0x0
	s_sub_co_i32 s38, s4, s19
	s_delay_alu instid0(SALU_CYCLE_1) | instskip(NEXT) | instid1(SALU_CYCLE_1)
	s_add_nc_u64 s[40:41], s[38:39], 0xff
	s_lshr_b64 s[40:41], s[40:41], 8
	s_cmp_lt_u32 s52, s14
	s_cselect_b32 s13, s13, s40
	s_delay_alu instid0(SALU_CYCLE_1)
	s_cmp_eq_u32 s13, 0
	s_cbranch_scc1 .LBB113_40
; %bb.18:
	s_mul_i32 s14, s51, s34
	s_mul_i32 s11, s24, s35
	s_sub_co_i32 s14, s24, s14
	s_sub_co_i32 s11, s15, s11
	s_add_co_i32 s23, s51, 1
	s_sub_co_i32 s25, s14, s34
	s_cmp_ge_u32 s14, s34
	s_mul_i32 s11, s11, s22
	s_cselect_b32 s23, s23, s51
	s_cselect_b32 s14, s25, s14
	s_add_co_i32 s25, s23, 1
	s_cmp_ge_u32 s14, s34
	s_mul_i32 s14, s30, s29
	s_cselect_b32 s23, s25, s23
	s_mul_i32 s25, s49, s28
	s_mul_i32 s29, s23, s34
	;; [unrolled: 1-line block ×3, first 2 shown]
	s_sub_co_i32 s22, s24, s29
	s_sub_co_i32 s20, s30, s25
	s_mul_i32 s21, s22, s21
	s_sub_co_i32 s14, s15, s14
	s_add_co_i32 s11, s21, s11
	s_sub_co_i32 s21, s20, s28
	s_add_co_i32 s38, s11, s23
	s_add_co_i32 s11, s49, 1
	s_cmp_ge_u32 s20, s28
	s_mul_i32 s14, s14, s18
	s_cselect_b32 s11, s11, s49
	s_cselect_b32 s20, s21, s20
	s_add_co_i32 s21, s11, 1
	s_cmp_ge_u32 s20, s28
	s_mul_i32 s22, s7, s26
	s_cselect_b32 s11, s21, s11
	s_mul_i32 s20, s36, s27
	s_mul_i32 s21, s11, s28
	;; [unrolled: 1-line block ×3, first 2 shown]
	s_sub_co_i32 s21, s30, s21
	s_sub_co_i32 s15, s15, s20
	s_mul_i32 s17, s21, s17
	s_add_co_i32 s16, s7, 1
	s_add_co_i32 s14, s17, s14
	v_dual_mov_b32 v7, 0 :: v_dual_lshrrev_b32 v1, 3, v0
	s_add_co_i32 s14, s14, s11
	s_sub_co_i32 s11, s36, s22
	s_mul_i32 s15, s15, s10
	s_sub_co_i32 s17, s11, s26
	s_cmp_ge_u32 s11, s26
	ds_load_b96 v[2:4], v7 offset:1056
	s_cselect_b32 s7, s16, s7
	s_cselect_b32 s11, s17, s11
	s_add_co_i32 s16, s7, 1
	s_cmp_ge_u32 s11, s26
	s_load_b32 s18, s[0:1], 0xe8
	s_cselect_b32 s7, s16, s7
	v_dual_add_nc_u32 v5, -1, v0 :: v_dual_bitop2_b32 v6, 28, v1 bitop3:0x40
	s_mul_i32 s11, s7, s26
	s_mul_i32 s7, s7, s8
	s_sub_co_i32 s11, s36, s11
	s_delay_alu instid0(VALU_DEP_1)
	v_lshrrev_b32_e32 v8, 3, v5
	s_mul_i32 s9, s11, s9
	v_and_b32_e32 v9, 0xfc, v0
	s_add_co_i32 s10, s9, s15
	s_lshl_b64 s[8:9], s[38:39], 1
	s_add_co_i32 s38, s10, s7
	s_mov_b32 s15, s39
	s_sext_i32_i16 s7, s33
	s_lshl_b64 s[10:11], s[14:15], 1
	s_lshl_b64 s[16:17], s[38:39], 3
	s_and_b32 s14, 0xffff, s33
	s_cmp_gt_i32 s7, -1
	s_mov_b32 s7, 0x8000
	s_wait_dscnt 0x0
	v_add_nc_u32_e32 v1, v2, v3
	s_cselect_b32 s7, s7, 0xffff
	s_lshl_b32 s15, s33, 16
	s_xor_b32 s7, s7, s14
	s_cmp_o_f32 s15, s15
	s_load_b32 s15, s[0:1], 0x1c8
	v_lshl_add_u32 v2, v0, 2, v6
	v_dual_add_nc_u32 v6, s19, v0 :: v_dual_lshlrev_b32 v10, 5, v0
	s_wait_xcnt 0x0
	v_cmp_gt_u32_e64 s0, 32, v0
	v_and_b32_e32 v8, 0x1ffffffc, v8
	v_mbcnt_lo_u32_b32 v3, -1, 0
	s_wait_kmcnt 0x0
	v_mul_lo_u32 v0, s18, v6
	v_mov_b32_e32 v12, 0x8000
	s_cselect_b32 s14, s7, 0xffff
	v_lshl_add_u32 v5, v5, 2, v8
	v_dual_add_nc_u32 v8, v9, v10 :: v_dual_bitop2_b32 v9, 15, v3 bitop3:0x40
	v_bfe_i32 v10, v3, 4, 1
	v_add_nc_u32_e32 v11, -1, v3
	s_bitcmp1_b32 s6, 0
	s_add_nc_u64 s[8:9], s[46:47], s[8:9]
	s_add_nc_u64 s[10:11], s[44:45], s[10:11]
	;; [unrolled: 1-line block ×3, first 2 shown]
	s_cselect_b32 s1, -1, 0
	s_lshl_b32 s16, s18, 8
                                        ; implicit-def: $vgpr13
	s_branch .LBB113_21
.LBB113_19:                             ;   in Loop: Header=BB113_21 Depth=1
	s_wait_xcnt 0x0
	s_or_b32 exec_lo, exec_lo, s17
	v_add_nc_u32_e32 v1, v16, v1
.LBB113_20:                             ;   in Loop: Header=BB113_21 Depth=1
	v_add_nc_u32_e32 v4, v15, v4
	v_add_nc_u32_e32 v0, s16, v0
	;; [unrolled: 1-line block ×3, first 2 shown]
	s_add_co_i32 s13, s13, -1
	s_delay_alu instid0(SALU_CYCLE_1)
	s_cmp_lg_u32 s13, 0
	s_cbranch_scc0 .LBB113_40
.LBB113_21:                             ; =>This Inner Loop Header: Depth=1
	v_dual_mov_b32 v16, 0 :: v_dual_mov_b32 v14, 0
	s_mov_b32 s17, exec_lo
	v_cmpx_gt_u32_e64 s4, v6
	s_cbranch_execz .LBB113_23
; %bb.22:                               ;   in Loop: Header=BB113_21 Depth=1
	global_load_u16 v13, v0, s[8:9] scale_offset
	s_wait_loadcnt 0x0
	v_cmp_lt_i16_e32 vcc_lo, -1, v13
	v_and_b32_e32 v14, 0xffff, v13
	v_dual_cndmask_b32 v15, 0xffff, v12 :: v_dual_lshlrev_b32 v16, 16, v13
	s_delay_alu instid0(VALU_DEP_1) | instskip(NEXT) | instid1(VALU_DEP_2)
	v_cmp_o_f32_e32 vcc_lo, v16, v16
	v_xor_b32_e32 v14, v15, v14
	s_delay_alu instid0(VALU_DEP_1) | instskip(NEXT) | instid1(VALU_DEP_1)
	v_cndmask_b32_e32 v14, 0xffff, v14, vcc_lo
	v_cmp_lt_u32_e32 vcc_lo, s14, v14
	v_cndmask_b32_e64 v15, 0, 1, vcc_lo
	v_cmp_gt_u32_e32 vcc_lo, s14, v14
	v_cndmask_b32_e64 v16, 0, 1, vcc_lo
	v_cmp_eq_u32_e32 vcc_lo, s14, v14
	s_delay_alu instid0(VALU_DEP_2) | instskip(SKIP_1) | instid1(VALU_DEP_2)
	v_cndmask_b32_e64 v15, v16, v15, s1
	v_cndmask_b32_e64 v14, 0, 1, vcc_lo
	v_and_b32_e32 v16, 1, v15
.LBB113_23:                             ;   in Loop: Header=BB113_21 Depth=1
	s_wait_xcnt 0x0
	s_or_b32 exec_lo, exec_lo, s17
	ds_store_b32 v2, v16
	s_wait_dscnt 0x0
	s_barrier_signal -1
	s_barrier_wait -1
	s_and_saveexec_b32 s17, s0
	s_cbranch_execz .LBB113_25
; %bb.24:                               ;   in Loop: Header=BB113_21 Depth=1
	ds_load_2addr_b32 v[18:19], v8 offset1:1
	ds_load_2addr_b32 v[20:21], v8 offset0:2 offset1:3
	ds_load_2addr_b32 v[22:23], v8 offset0:4 offset1:5
	;; [unrolled: 1-line block ×3, first 2 shown]
	v_cmp_ne_u32_e32 vcc_lo, 0, v9
	; wave barrier
	s_wait_dscnt 0x3
	v_add_nc_u32_e32 v15, v19, v18
	s_wait_dscnt 0x2
	s_delay_alu instid0(VALU_DEP_1) | instskip(SKIP_1) | instid1(VALU_DEP_1)
	v_add3_u32 v15, v15, v20, v21
	s_wait_dscnt 0x1
	v_add3_u32 v15, v15, v22, v23
	s_wait_dscnt 0x0
	s_delay_alu instid0(VALU_DEP_1) | instskip(NEXT) | instid1(VALU_DEP_1)
	v_add3_u32 v15, v15, v24, v25
	v_mov_b32_dpp v17, v15 row_shr:1 row_mask:0xf bank_mask:0xf
	s_delay_alu instid0(VALU_DEP_1) | instskip(SKIP_1) | instid1(VALU_DEP_2)
	v_cndmask_b32_e32 v17, 0, v17, vcc_lo
	v_cmp_lt_u32_e32 vcc_lo, 1, v9
	v_add_nc_u32_e32 v15, v17, v15
	s_delay_alu instid0(VALU_DEP_1) | instskip(NEXT) | instid1(VALU_DEP_1)
	v_mov_b32_dpp v17, v15 row_shr:2 row_mask:0xf bank_mask:0xf
	v_cndmask_b32_e32 v17, 0, v17, vcc_lo
	v_cmp_lt_u32_e32 vcc_lo, 3, v9
	s_delay_alu instid0(VALU_DEP_2) | instskip(NEXT) | instid1(VALU_DEP_1)
	v_add_nc_u32_e32 v15, v15, v17
	v_mov_b32_dpp v17, v15 row_shr:4 row_mask:0xf bank_mask:0xf
	s_delay_alu instid0(VALU_DEP_1) | instskip(SKIP_1) | instid1(VALU_DEP_2)
	v_cndmask_b32_e32 v17, 0, v17, vcc_lo
	v_cmp_lt_u32_e32 vcc_lo, 7, v9
	v_add_nc_u32_e32 v15, v15, v17
	s_delay_alu instid0(VALU_DEP_1) | instskip(NEXT) | instid1(VALU_DEP_1)
	v_mov_b32_dpp v17, v15 row_shr:8 row_mask:0xf bank_mask:0xf
	v_cndmask_b32_e32 v17, 0, v17, vcc_lo
	v_cmp_gt_i32_e32 vcc_lo, 0, v11
	s_delay_alu instid0(VALU_DEP_2) | instskip(SKIP_4) | instid1(VALU_DEP_1)
	v_add_nc_u32_e32 v15, v15, v17
	v_cndmask_b32_e32 v19, v11, v3, vcc_lo
	ds_swizzle_b32 v17, v15 offset:swizzle(BROADCAST,32,15)
	s_wait_dscnt 0x0
	v_dual_lshlrev_b32 v19, 2, v19 :: v_dual_bitop2_b32 v17, v10, v17 bitop3:0x40
	v_add_nc_u32_e32 v15, v15, v17
	ds_bpermute_b32 v15, v19, v15
	s_wait_dscnt 0x0
	v_add_nc_u32_e32 v15, v15, v18
	s_delay_alu instid0(VALU_DEP_1)
	v_cndmask_b32_e64 v15, v15, v16, s3
	ds_store_b32 v8, v15
	; wave barrier
	ds_load_2addr_b32 v[18:19], v8 offset0:1 offset1:2
	ds_load_2addr_b32 v[20:21], v8 offset0:3 offset1:4
	;; [unrolled: 1-line block ×3, first 2 shown]
	ds_load_b32 v17, v8 offset:28
	s_wait_dscnt 0x3
	v_add_nc_u32_e32 v15, v18, v15
	s_delay_alu instid0(VALU_DEP_1) | instskip(SKIP_1) | instid1(VALU_DEP_1)
	v_add_nc_u32_e32 v18, v19, v15
	s_wait_dscnt 0x2
	v_add_nc_u32_e32 v19, v20, v18
	s_delay_alu instid0(VALU_DEP_1) | instskip(SKIP_1) | instid1(VALU_DEP_1)
	v_add_nc_u32_e32 v20, v21, v19
	;; [unrolled: 4-line block ×3, first 2 shown]
	s_wait_dscnt 0x0
	v_add_nc_u32_e32 v17, v17, v22
	ds_store_2addr_b32 v8, v15, v18 offset0:1 offset1:2
	ds_store_2addr_b32 v8, v19, v20 offset0:3 offset1:4
	;; [unrolled: 1-line block ×3, first 2 shown]
	ds_store_b32 v8, v17 offset:28
.LBB113_25:                             ;   in Loop: Header=BB113_21 Depth=1
	s_or_b32 exec_lo, exec_lo, s17
	v_mov_b32_e32 v17, 0
	s_wait_dscnt 0x0
	s_barrier_signal -1
	s_barrier_wait -1
	s_and_saveexec_b32 s17, s2
; %bb.26:                               ;   in Loop: Header=BB113_21 Depth=1
	ds_load_b32 v17, v5
; %bb.27:                               ;   in Loop: Header=BB113_21 Depth=1
	s_or_b32 exec_lo, exec_lo, s17
	ds_load_b32 v15, v7 offset:1048
	s_mov_b32 s17, exec_lo
	s_wait_dscnt 0x0
	s_barrier_signal -1
	s_barrier_wait -1
	v_cmpx_ne_u32_e32 0, v16
	s_cbranch_execz .LBB113_29
; %bb.28:                               ;   in Loop: Header=BB113_21 Depth=1
	v_add_nc_u32_e32 v16, v17, v4
	s_delay_alu instid0(VALU_DEP_1)
	v_mul_lo_u32 v17, v16, s15
	v_mul_lo_u32 v16, v16, s12
	global_store_b16 v17, v13, s[10:11] scale_offset
	global_store_b64 v16, v[6:7], s[6:7] scale_offset
.LBB113_29:                             ;   in Loop: Header=BB113_21 Depth=1
	s_wait_xcnt 0x0
	s_or_b32 exec_lo, exec_lo, s17
	v_cmp_le_u32_e32 vcc_lo, s5, v1
	s_cbranch_vccnz .LBB113_20
; %bb.30:                               ;   in Loop: Header=BB113_21 Depth=1
	ds_store_b32 v2, v14
	s_wait_storecnt_dscnt 0x0
	s_barrier_signal -1
	s_barrier_wait -1
	s_and_saveexec_b32 s17, s0
	s_cbranch_execz .LBB113_32
; %bb.31:                               ;   in Loop: Header=BB113_21 Depth=1
	ds_load_2addr_b32 v[16:17], v8 offset1:1
	ds_load_2addr_b32 v[18:19], v8 offset0:2 offset1:3
	ds_load_2addr_b32 v[20:21], v8 offset0:4 offset1:5
	;; [unrolled: 1-line block ×3, first 2 shown]
	v_cmp_ne_u32_e32 vcc_lo, 0, v9
	; wave barrier
	s_wait_dscnt 0x3
	v_add_nc_u32_e32 v17, v17, v16
	s_wait_dscnt 0x2
	s_delay_alu instid0(VALU_DEP_1) | instskip(SKIP_1) | instid1(VALU_DEP_1)
	v_add3_u32 v17, v17, v18, v19
	s_wait_dscnt 0x1
	v_add3_u32 v17, v17, v20, v21
	s_wait_dscnt 0x0
	s_delay_alu instid0(VALU_DEP_1) | instskip(NEXT) | instid1(VALU_DEP_1)
	v_add3_u32 v17, v17, v22, v23
	v_mov_b32_dpp v18, v17 row_shr:1 row_mask:0xf bank_mask:0xf
	s_delay_alu instid0(VALU_DEP_1) | instskip(SKIP_1) | instid1(VALU_DEP_2)
	v_cndmask_b32_e32 v18, 0, v18, vcc_lo
	v_cmp_lt_u32_e32 vcc_lo, 1, v9
	v_add_nc_u32_e32 v17, v18, v17
	s_delay_alu instid0(VALU_DEP_1) | instskip(NEXT) | instid1(VALU_DEP_1)
	v_mov_b32_dpp v18, v17 row_shr:2 row_mask:0xf bank_mask:0xf
	v_cndmask_b32_e32 v18, 0, v18, vcc_lo
	v_cmp_lt_u32_e32 vcc_lo, 3, v9
	s_delay_alu instid0(VALU_DEP_2) | instskip(NEXT) | instid1(VALU_DEP_1)
	v_add_nc_u32_e32 v17, v17, v18
	v_mov_b32_dpp v18, v17 row_shr:4 row_mask:0xf bank_mask:0xf
	s_delay_alu instid0(VALU_DEP_1) | instskip(SKIP_1) | instid1(VALU_DEP_2)
	v_cndmask_b32_e32 v18, 0, v18, vcc_lo
	v_cmp_lt_u32_e32 vcc_lo, 7, v9
	v_add_nc_u32_e32 v17, v17, v18
	s_delay_alu instid0(VALU_DEP_1) | instskip(NEXT) | instid1(VALU_DEP_1)
	v_mov_b32_dpp v18, v17 row_shr:8 row_mask:0xf bank_mask:0xf
	v_cndmask_b32_e32 v18, 0, v18, vcc_lo
	v_cmp_gt_i32_e32 vcc_lo, 0, v11
	s_delay_alu instid0(VALU_DEP_2) | instskip(SKIP_3) | instid1(VALU_DEP_1)
	v_dual_add_nc_u32 v17, v17, v18 :: v_dual_cndmask_b32 v19, v11, v3, vcc_lo
	ds_swizzle_b32 v18, v17 offset:swizzle(BROADCAST,32,15)
	s_wait_dscnt 0x0
	v_dual_lshlrev_b32 v19, 2, v19 :: v_dual_bitop2_b32 v18, v10, v18 bitop3:0x40
	v_add_nc_u32_e32 v17, v17, v18
	ds_bpermute_b32 v17, v19, v17
	s_wait_dscnt 0x0
	v_add_nc_u32_e32 v16, v17, v16
	s_delay_alu instid0(VALU_DEP_1)
	v_cndmask_b32_e64 v22, v16, v14, s3
	ds_store_b32 v8, v22
	; wave barrier
	ds_load_2addr_b32 v[16:17], v8 offset0:1 offset1:2
	ds_load_2addr_b32 v[18:19], v8 offset0:3 offset1:4
	;; [unrolled: 1-line block ×3, first 2 shown]
	ds_load_b32 v23, v8 offset:28
	s_wait_dscnt 0x3
	v_add_nc_u32_e32 v16, v16, v22
	s_delay_alu instid0(VALU_DEP_1) | instskip(SKIP_1) | instid1(VALU_DEP_1)
	v_add_nc_u32_e32 v17, v17, v16
	s_wait_dscnt 0x2
	v_add_nc_u32_e32 v18, v18, v17
	s_delay_alu instid0(VALU_DEP_1) | instskip(SKIP_1) | instid1(VALU_DEP_1)
	v_add_nc_u32_e32 v19, v19, v18
	;; [unrolled: 4-line block ×3, first 2 shown]
	s_wait_dscnt 0x0
	v_add_nc_u32_e32 v22, v23, v21
	ds_store_2addr_b32 v8, v16, v17 offset0:1 offset1:2
	ds_store_2addr_b32 v8, v18, v19 offset0:3 offset1:4
	ds_store_2addr_b32 v8, v20, v21 offset0:5 offset1:6
	ds_store_b32 v8, v22 offset:28
.LBB113_32:                             ;   in Loop: Header=BB113_21 Depth=1
	s_or_b32 exec_lo, exec_lo, s17
	v_mov_b32_e32 v17, 0
	s_wait_dscnt 0x0
	s_barrier_signal -1
	s_barrier_wait -1
	s_and_saveexec_b32 s17, s2
; %bb.33:                               ;   in Loop: Header=BB113_21 Depth=1
	ds_load_b32 v17, v5
; %bb.34:                               ;   in Loop: Header=BB113_21 Depth=1
	s_or_b32 exec_lo, exec_lo, s17
	ds_load_b32 v16, v7 offset:1048
	s_mov_b32 s17, exec_lo
	s_wait_dscnt 0x0
	s_barrier_signal -1
	s_barrier_wait -1
	v_cmpx_ne_u32_e32 0, v14
	s_cbranch_execz .LBB113_19
; %bb.35:                               ;   in Loop: Header=BB113_21 Depth=1
	v_add_nc_u32_e32 v14, v17, v1
	s_delay_alu instid0(VALU_DEP_1)
	v_cmp_gt_u32_e32 vcc_lo, s5, v14
	s_and_b32 exec_lo, exec_lo, vcc_lo
	s_cbranch_execz .LBB113_19
; %bb.36:                               ;   in Loop: Header=BB113_21 Depth=1
	v_mul_lo_u32 v17, v14, s15
	v_mul_lo_u32 v14, v14, s12
	global_store_b16 v17, v13, s[10:11] scale_offset
	global_store_b64 v14, v[6:7], s[6:7] scale_offset
	s_branch .LBB113_19
.LBB113_37:                             ;   in Loop: Header=BB113_38 Depth=1
	s_add_co_i32 s10, s10, 1
	s_wait_kmcnt 0x0
	s_add_co_i32 s17, s11, s17
	s_add_nc_u64 s[6:7], s[6:7], 4
	s_cmp_lt_u32 s10, s14
	s_add_nc_u64 s[8:9], s[8:9], 4
	s_cbranch_scc0 .LBB113_16
.LBB113_38:                             ; =>This Inner Loop Header: Depth=1
	s_load_b32 s11, s[6:7], 0x0
	s_cmp_ge_u32 s10, s52
	s_cbranch_scc1 .LBB113_37
; %bb.39:                               ;   in Loop: Header=BB113_38 Depth=1
	s_load_b32 s16, s[8:9], 0x0
	s_wait_kmcnt 0x0
	s_add_co_i32 s19, s11, s19
	s_add_co_i32 s18, s16, s18
	s_branch .LBB113_37
.LBB113_40:
	s_endpgm
	.section	.rodata,"a",@progbits
	.p2align	6, 0x0
	.amdhsa_kernel _ZN2at6native6mbtopk10gatherTopKIN3c108BFloat16EjLi3EEEvNS_4cuda6detail10TensorInfoIKT_T0_EESA_SA_bjSA_NS7_IS8_SA_EESA_NS7_IlSA_EESA_jjPS8_PjSF_j
		.amdhsa_group_segment_fixed_size 1068
		.amdhsa_private_segment_fixed_size 0
		.amdhsa_kernarg_size 984
		.amdhsa_user_sgpr_count 2
		.amdhsa_user_sgpr_dispatch_ptr 0
		.amdhsa_user_sgpr_queue_ptr 0
		.amdhsa_user_sgpr_kernarg_segment_ptr 1
		.amdhsa_user_sgpr_dispatch_id 0
		.amdhsa_user_sgpr_kernarg_preload_length 0
		.amdhsa_user_sgpr_kernarg_preload_offset 0
		.amdhsa_user_sgpr_private_segment_size 0
		.amdhsa_wavefront_size32 1
		.amdhsa_uses_dynamic_stack 0
		.amdhsa_enable_private_segment 0
		.amdhsa_system_sgpr_workgroup_id_x 1
		.amdhsa_system_sgpr_workgroup_id_y 1
		.amdhsa_system_sgpr_workgroup_id_z 1
		.amdhsa_system_sgpr_workgroup_info 0
		.amdhsa_system_vgpr_workitem_id 0
		.amdhsa_next_free_vgpr 26
		.amdhsa_next_free_sgpr 53
		.amdhsa_named_barrier_count 0
		.amdhsa_reserve_vcc 1
		.amdhsa_float_round_mode_32 0
		.amdhsa_float_round_mode_16_64 0
		.amdhsa_float_denorm_mode_32 3
		.amdhsa_float_denorm_mode_16_64 3
		.amdhsa_fp16_overflow 0
		.amdhsa_memory_ordered 1
		.amdhsa_forward_progress 1
		.amdhsa_inst_pref_size 25
		.amdhsa_round_robin_scheduling 0
		.amdhsa_exception_fp_ieee_invalid_op 0
		.amdhsa_exception_fp_denorm_src 0
		.amdhsa_exception_fp_ieee_div_zero 0
		.amdhsa_exception_fp_ieee_overflow 0
		.amdhsa_exception_fp_ieee_underflow 0
		.amdhsa_exception_fp_ieee_inexact 0
		.amdhsa_exception_int_div_zero 0
	.end_amdhsa_kernel
	.section	.text._ZN2at6native6mbtopk10gatherTopKIN3c108BFloat16EjLi3EEEvNS_4cuda6detail10TensorInfoIKT_T0_EESA_SA_bjSA_NS7_IS8_SA_EESA_NS7_IlSA_EESA_jjPS8_PjSF_j,"axG",@progbits,_ZN2at6native6mbtopk10gatherTopKIN3c108BFloat16EjLi3EEEvNS_4cuda6detail10TensorInfoIKT_T0_EESA_SA_bjSA_NS7_IS8_SA_EESA_NS7_IlSA_EESA_jjPS8_PjSF_j,comdat
.Lfunc_end113:
	.size	_ZN2at6native6mbtopk10gatherTopKIN3c108BFloat16EjLi3EEEvNS_4cuda6detail10TensorInfoIKT_T0_EESA_SA_bjSA_NS7_IS8_SA_EESA_NS7_IlSA_EESA_jjPS8_PjSF_j, .Lfunc_end113-_ZN2at6native6mbtopk10gatherTopKIN3c108BFloat16EjLi3EEEvNS_4cuda6detail10TensorInfoIKT_T0_EESA_SA_bjSA_NS7_IS8_SA_EESA_NS7_IlSA_EESA_jjPS8_PjSF_j
                                        ; -- End function
	.set _ZN2at6native6mbtopk10gatherTopKIN3c108BFloat16EjLi3EEEvNS_4cuda6detail10TensorInfoIKT_T0_EESA_SA_bjSA_NS7_IS8_SA_EESA_NS7_IlSA_EESA_jjPS8_PjSF_j.num_vgpr, 26
	.set _ZN2at6native6mbtopk10gatherTopKIN3c108BFloat16EjLi3EEEvNS_4cuda6detail10TensorInfoIKT_T0_EESA_SA_bjSA_NS7_IS8_SA_EESA_NS7_IlSA_EESA_jjPS8_PjSF_j.num_agpr, 0
	.set _ZN2at6native6mbtopk10gatherTopKIN3c108BFloat16EjLi3EEEvNS_4cuda6detail10TensorInfoIKT_T0_EESA_SA_bjSA_NS7_IS8_SA_EESA_NS7_IlSA_EESA_jjPS8_PjSF_j.numbered_sgpr, 53
	.set _ZN2at6native6mbtopk10gatherTopKIN3c108BFloat16EjLi3EEEvNS_4cuda6detail10TensorInfoIKT_T0_EESA_SA_bjSA_NS7_IS8_SA_EESA_NS7_IlSA_EESA_jjPS8_PjSF_j.num_named_barrier, 0
	.set _ZN2at6native6mbtopk10gatherTopKIN3c108BFloat16EjLi3EEEvNS_4cuda6detail10TensorInfoIKT_T0_EESA_SA_bjSA_NS7_IS8_SA_EESA_NS7_IlSA_EESA_jjPS8_PjSF_j.private_seg_size, 0
	.set _ZN2at6native6mbtopk10gatherTopKIN3c108BFloat16EjLi3EEEvNS_4cuda6detail10TensorInfoIKT_T0_EESA_SA_bjSA_NS7_IS8_SA_EESA_NS7_IlSA_EESA_jjPS8_PjSF_j.uses_vcc, 1
	.set _ZN2at6native6mbtopk10gatherTopKIN3c108BFloat16EjLi3EEEvNS_4cuda6detail10TensorInfoIKT_T0_EESA_SA_bjSA_NS7_IS8_SA_EESA_NS7_IlSA_EESA_jjPS8_PjSF_j.uses_flat_scratch, 0
	.set _ZN2at6native6mbtopk10gatherTopKIN3c108BFloat16EjLi3EEEvNS_4cuda6detail10TensorInfoIKT_T0_EESA_SA_bjSA_NS7_IS8_SA_EESA_NS7_IlSA_EESA_jjPS8_PjSF_j.has_dyn_sized_stack, 0
	.set _ZN2at6native6mbtopk10gatherTopKIN3c108BFloat16EjLi3EEEvNS_4cuda6detail10TensorInfoIKT_T0_EESA_SA_bjSA_NS7_IS8_SA_EESA_NS7_IlSA_EESA_jjPS8_PjSF_j.has_recursion, 0
	.set _ZN2at6native6mbtopk10gatherTopKIN3c108BFloat16EjLi3EEEvNS_4cuda6detail10TensorInfoIKT_T0_EESA_SA_bjSA_NS7_IS8_SA_EESA_NS7_IlSA_EESA_jjPS8_PjSF_j.has_indirect_call, 0
	.section	.AMDGPU.csdata,"",@progbits
; Kernel info:
; codeLenInByte = 3176
; TotalNumSgprs: 55
; NumVgprs: 26
; ScratchSize: 0
; MemoryBound: 0
; FloatMode: 240
; IeeeMode: 1
; LDSByteSize: 1068 bytes/workgroup (compile time only)
; SGPRBlocks: 0
; VGPRBlocks: 1
; NumSGPRsForWavesPerEU: 55
; NumVGPRsForWavesPerEU: 26
; NamedBarCnt: 0
; Occupancy: 16
; WaveLimiterHint : 1
; COMPUTE_PGM_RSRC2:SCRATCH_EN: 0
; COMPUTE_PGM_RSRC2:USER_SGPR: 2
; COMPUTE_PGM_RSRC2:TRAP_HANDLER: 0
; COMPUTE_PGM_RSRC2:TGID_X_EN: 1
; COMPUTE_PGM_RSRC2:TGID_Y_EN: 1
; COMPUTE_PGM_RSRC2:TGID_Z_EN: 1
; COMPUTE_PGM_RSRC2:TIDIG_COMP_CNT: 0
	.section	.text._ZN2at6native6sbtopk10gatherTopKIN3c108BFloat16EjLi3ELb0EEEvNS_4cuda6detail10TensorInfoIKT_T0_EESA_SA_bSA_SA_NS7_IS8_SA_EESA_NS7_IlSA_EESA_PS8_,"axG",@progbits,_ZN2at6native6sbtopk10gatherTopKIN3c108BFloat16EjLi3ELb0EEEvNS_4cuda6detail10TensorInfoIKT_T0_EESA_SA_bSA_SA_NS7_IS8_SA_EESA_NS7_IlSA_EESA_PS8_,comdat
	.protected	_ZN2at6native6sbtopk10gatherTopKIN3c108BFloat16EjLi3ELb0EEEvNS_4cuda6detail10TensorInfoIKT_T0_EESA_SA_bSA_SA_NS7_IS8_SA_EESA_NS7_IlSA_EESA_PS8_ ; -- Begin function _ZN2at6native6sbtopk10gatherTopKIN3c108BFloat16EjLi3ELb0EEEvNS_4cuda6detail10TensorInfoIKT_T0_EESA_SA_bSA_SA_NS7_IS8_SA_EESA_NS7_IlSA_EESA_PS8_
	.globl	_ZN2at6native6sbtopk10gatherTopKIN3c108BFloat16EjLi3ELb0EEEvNS_4cuda6detail10TensorInfoIKT_T0_EESA_SA_bSA_SA_NS7_IS8_SA_EESA_NS7_IlSA_EESA_PS8_
	.p2align	8
	.type	_ZN2at6native6sbtopk10gatherTopKIN3c108BFloat16EjLi3ELb0EEEvNS_4cuda6detail10TensorInfoIKT_T0_EESA_SA_bSA_SA_NS7_IS8_SA_EESA_NS7_IlSA_EESA_PS8_,@function
_ZN2at6native6sbtopk10gatherTopKIN3c108BFloat16EjLi3ELb0EEEvNS_4cuda6detail10TensorInfoIKT_T0_EESA_SA_bSA_SA_NS7_IS8_SA_EESA_NS7_IlSA_EESA_PS8_: ; @_ZN2at6native6sbtopk10gatherTopKIN3c108BFloat16EjLi3ELb0EEEvNS_4cuda6detail10TensorInfoIKT_T0_EESA_SA_bSA_SA_NS7_IS8_SA_EESA_NS7_IlSA_EESA_PS8_
; %bb.0:
	s_clause 0x1
	s_load_b128 s[36:39], s[0:1], 0xd8
	s_load_b64 s[12:13], s[0:1], 0x2b8
	s_bfe_u32 s2, ttmp6, 0x40010
	s_and_b32 s3, ttmp7, 0xffff
	s_add_co_i32 s2, s2, 1
	s_bfe_u32 s5, ttmp6, 0x4000c
	s_mul_i32 s2, s3, s2
	s_bfe_u32 s4, ttmp6, 0x40004
	s_add_co_i32 s5, s5, 1
	s_bfe_u32 s6, ttmp6, 0x40014
	s_add_co_i32 s4, s4, s2
	s_and_b32 s2, ttmp6, 15
	s_mul_i32 s5, ttmp9, s5
	s_lshr_b32 s7, ttmp7, 16
	s_add_co_i32 s6, s6, 1
	s_add_co_i32 s2, s2, s5
	s_mul_i32 s5, s7, s6
	s_bfe_u32 s6, ttmp6, 0x40008
	s_getreg_b32 s8, hwreg(HW_REG_IB_STS2, 6, 4)
	s_add_co_i32 s6, s6, s5
	s_cmp_eq_u32 s8, 0
	s_mov_b32 s51, 0
	s_cselect_b32 s5, s7, s6
	s_cselect_b32 s3, s3, s4
	s_wait_kmcnt 0x0
	s_mul_i32 s5, s13, s5
	s_cselect_b32 s11, ttmp9, s2
	s_add_co_i32 s2, s5, s3
	s_delay_alu instid0(SALU_CYCLE_1) | instskip(NEXT) | instid1(SALU_CYCLE_1)
	s_mul_i32 s72, s2, s12
	s_add_co_i32 s72, s72, s11
	s_delay_alu instid0(SALU_CYCLE_1)
	s_cmp_ge_u32 s72, s39
	s_cbranch_scc1 .LBB114_414
; %bb.1:
	s_clause 0x5
	s_load_b64 s[18:19], s[0:1], 0xc
	s_load_b64 s[52:53], s[0:1], 0xfc
	;; [unrolled: 1-line block ×4, first 2 shown]
	s_load_b32 s43, s[0:1], 0xe8
	s_load_b96 s[8:10], s[0:1], 0x6c
	s_add_nc_u64 s[16:17], s[0:1], 0x2b8
	s_mov_b32 s55, s51
	s_wait_kmcnt 0x0
	s_cvt_f32_u32 s2, s19
	s_cvt_f32_u32 s3, s53
	s_delay_alu instid0(SALU_CYCLE_2) | instskip(SKIP_1) | instid1(SALU_CYCLE_1)
	v_rcp_iflag_f32_e32 v1, s2
	s_sub_co_i32 s2, 0, s19
	v_rcp_iflag_f32_e32 v4, s3
	s_cvt_f32_u32 s3, s49
	s_delay_alu instid0(SALU_CYCLE_3) | instskip(NEXT) | instid1(TRANS32_DEP_3)
	v_rcp_iflag_f32_e32 v5, s3
	v_mul_f32_e32 v1, 0x4f7ffffe, v1
	s_delay_alu instid0(TRANS32_DEP_2) | instskip(SKIP_2) | instid1(TRANS32_DEP_1)
	v_readfirstlane_b32 s4, v4
	s_sub_co_i32 s3, 0, s18
	v_cvt_u32_f32_e32 v1, v1
	v_readfirstlane_b32 s5, v5
	s_delay_alu instid0(VALU_DEP_2) | instskip(SKIP_2) | instid1(SALU_CYCLE_2)
	v_mul_lo_u32 v2, s2, v1
	s_cvt_f32_u32 s2, s18
	s_mul_f32 s5, s5, 0x4f7ffffe
	v_rcp_iflag_f32_e32 v3, s2
	s_cvt_f32_u32 s2, s52
	s_delay_alu instid0(SALU_CYCLE_1) | instskip(NEXT) | instid1(SALU_CYCLE_2)
	s_cvt_u32_f32 s5, s5
	v_rcp_iflag_f32_e32 v4, s2
	s_delay_alu instid0(VALU_DEP_1) | instskip(SKIP_2) | instid1(TRANS32_DEP_1)
	v_mul_hi_u32 v2, v1, v2
	v_mov_b32_e32 v17, 0
	s_mul_f32 s2, s4, 0x4f7ffffe
	v_readfirstlane_b32 s4, v4
	s_delay_alu instid0(SALU_CYCLE_2) | instskip(SKIP_2) | instid1(VALU_DEP_1)
	s_cvt_u32_f32 s2, s2
	s_mul_f32 s4, s4, 0x4f7ffffe
	v_dual_mul_f32 v2, 0x4f7ffffe, v3 :: v_dual_add_nc_u32 v1, v1, v2
	v_mul_hi_u32 v1, s72, v1
	s_delay_alu instid0(VALU_DEP_2) | instskip(NEXT) | instid1(VALU_DEP_1)
	v_cvt_u32_f32_e32 v2, v2
	v_mul_lo_u32 v4, s3, v2
	s_sub_co_i32 s3, 0, s53
	s_delay_alu instid0(SALU_CYCLE_1) | instskip(NEXT) | instid1(VALU_DEP_3)
	s_mul_i32 s3, s3, s2
	v_mul_lo_u32 v5, v1, s19
	v_mov_b32_e32 v3, v17
	s_mul_hi_u32 s3, s2, s3
	s_delay_alu instid0(SALU_CYCLE_1) | instskip(SKIP_1) | instid1(VALU_DEP_3)
	s_add_co_i32 s2, s2, s3
	s_cvt_u32_f32 s3, s4
	v_mul_hi_u32 v4, v2, v4
	s_mul_hi_u32 s2, s72, s2
	s_delay_alu instid0(SALU_CYCLE_1) | instskip(SKIP_1) | instid1(VALU_DEP_3)
	s_mul_i32 s4, s2, s53
	s_add_co_i32 s6, s2, 1
	v_sub_nc_u32_e32 v5, s72, v5
	s_sub_co_i32 s4, s72, s4
	s_delay_alu instid0(SALU_CYCLE_1) | instskip(SKIP_1) | instid1(VALU_DEP_1)
	s_sub_co_i32 s7, s4, s53
	s_cmp_ge_u32 s4, s53
	v_subrev_nc_u32_e32 v7, s19, v5
	v_cmp_le_u32_e32 vcc_lo, s19, v5
	s_delay_alu instid0(VALU_DEP_4) | instskip(SKIP_3) | instid1(VALU_DEP_2)
	v_dual_add_nc_u32 v6, 1, v1 :: v_dual_add_nc_u32 v2, v2, v4
	s_cselect_b32 s2, s6, s2
	s_cselect_b32 s4, s7, s4
	v_cndmask_b32_e32 v5, v5, v7, vcc_lo
	v_cndmask_b32_e32 v1, v1, v6, vcc_lo
	s_add_co_i32 s6, s2, 1
	s_cmp_ge_u32 s4, s53
	s_delay_alu instid0(VALU_DEP_2) | instskip(NEXT) | instid1(VALU_DEP_2)
	v_cmp_le_u32_e32 vcc_lo, s19, v5
	v_add_nc_u32_e32 v6, 1, v1
	s_cselect_b32 s50, s6, s2
	s_sub_co_i32 s2, 0, s49
	s_cvt_f32_u32 s6, s48
	s_mul_i32 s2, s2, s5
	v_cndmask_b32_e32 v16, v1, v6, vcc_lo
	s_mul_hi_u32 s2, s5, s2
	v_rcp_iflag_f32_e32 v1, s6
	s_sub_co_i32 s4, 0, s52
	s_add_co_i32 s5, s5, s2
	v_mul_u64_e32 v[2:3], v[16:17], v[2:3]
	s_mul_i32 s4, s4, s3
	s_mul_hi_u32 s5, s72, s5
	s_mul_hi_u32 s2, s3, s4
	s_mul_i32 s4, s5, s49
	s_add_co_i32 s2, s3, s2
	s_sub_co_i32 s3, s72, s4
	v_readfirstlane_b32 s6, v1
	s_add_co_i32 s4, s5, 1
	s_sub_co_i32 s7, s3, s49
	s_cmp_ge_u32 s3, s49
	s_cselect_b32 s4, s4, s5
	s_mul_f32 s5, s6, 0x4f7ffffe
	s_cselect_b32 s3, s7, s3
	s_add_co_i32 s6, s4, 1
	s_cmp_ge_u32 s3, s49
	s_cvt_u32_f32 s7, s5
	s_cselect_b32 s54, s6, s4
	s_sub_co_i32 s3, 0, s48
	v_cmp_eq_u32_e64 s5, 0, v0
	s_mul_i32 s4, s3, s7
	s_mov_b32 s3, s51
	s_mul_hi_u32 s4, s7, s4
	s_delay_alu instid0(SALU_CYCLE_1)
	s_add_co_i32 s6, s7, s4
	s_mov_b32 s7, s51
	s_and_saveexec_b32 s4, s5
; %bb.2:
	v_dual_mov_b32 v4, 0 :: v_dual_mov_b32 v5, s36
	s_delay_alu instid0(VALU_DEP_1)
	v_mov_b32_e32 v6, v4
	ds_store_b96 v4, v[4:6] offset:4096
; %bb.3:
	s_or_b32 exec_lo, exec_lo, s4
	v_mul_lo_u32 v1, v3, s18
	v_add_nc_u32_e32 v4, 1, v3
	s_mul_u64 s[60:61], s[50:51], s[2:3]
	v_mul_lo_u32 v2, v16, s19
	s_wait_dscnt 0x0
	s_barrier_signal -1
	s_barrier_wait -1
	s_load_b32 s13, s[16:17], 0xc
	v_mbcnt_lo_u32_b32 v11, -1, 0
	s_mul_u64 s[34:35], s[54:55], s[6:7]
	s_delay_alu instid0(VALU_DEP_4)
	v_sub_nc_u32_e32 v1, v16, v1
	s_bitcmp1_b32 s38, 0
	v_lshlrev_b32_e32 v22, 1, v0
	v_cmp_gt_i32_e64 s7, 4, v11
	s_cselect_b32 s4, -1, 0
	v_subrev_nc_u32_e32 v5, s18, v1
	v_cmp_le_u32_e32 vcc_lo, s18, v1
	v_add_max_u32_e64 v6, v0, 2, s36
	s_load_b96 s[20:22], s[0:1], 0x23c
	s_xor_b32 s55, s4, -1
                                        ; implicit-def: $vgpr71 : SGPR spill to VGPR lane
	v_mul_lo_u32 v18, s43, v0
	v_dual_cndmask_b32 v3, v3, v4 :: v_dual_cndmask_b32 v4, v1, v5
	v_cmp_gt_u32_e32 vcc_lo, 32, v0
	v_cmp_gt_u32_e64 s3, s36, v0
	s_delay_alu instid0(VALU_DEP_3) | instskip(NEXT) | instid1(VALU_DEP_4)
	v_dual_lshlrev_b32 v1, 2, v0 :: v_dual_add_nc_u32 v5, 1, v3
	v_cmp_le_u32_e64 s2, s18, v4
	s_wait_kmcnt 0x0
	s_and_b32 s47, s13, 0xffff
	s_and_b32 s60, vcc_lo, s7
	v_mov_b32_e32 v19, v17
	s_lshl_b32 s73, s47, 2
	v_dual_cndmask_b32 v4, v3, v5, s2 :: v_dual_lshrrev_b32 v5, 1, v0
	s_cmp_gt_u32 s36, 0x600
	s_cvt_f32_u32 s7, s73
	s_cselect_b32 s74, -1, 0
	s_delay_alu instid0(VALU_DEP_1)
	v_mul_lo_u32 v3, v4, s18
	v_sub_nc_u32_e32 v2, s72, v2
	s_movk_i32 s18, 0x1f0
	s_cmp_gt_u32 s47, 31
	v_and_or_b32 v24, v5, s18, 0xc00
	s_cselect_b32 s75, -1, 0
	s_add_co_i32 s76, s47, -1
	v_writelane_b32 v71, s20, 0
	s_add_co_i32 s18, s76, s36
	s_cmp_lt_u32 s11, s12
	v_mad_u32 v30, s43, v1, s43
	v_sub_nc_u32_e32 v3, v16, v3
	v_mul_lo_u32 v7, v2, s10
	s_cselect_b32 s38, 12, 18
	s_bfe_u32 s77, s13, 0xb0005
	v_writelane_b32 v71, s21, 1
	v_mul_lo_u32 v8, v3, s9
	v_lshlrev_b64_e64 v[2:3], v11, -1
	v_mul_lo_u32 v3, v4, s8
	v_xad_u32 v4, v0, -1, v6
	s_add_co_i32 s8, s77, -2
	v_writelane_b32 v71, s22, 2
	s_lshr_b32 s9, s8, 1
	s_load_b64 s[20:21], s[0:1], 0x1d0
	s_add_co_i32 s9, s9, 1
	v_add_nc_u32_e32 v6, -4, v4
	s_cmp_gt_u32 s47, 63
	v_add_nc_u32_e32 v5, v8, v7
	s_cselect_b32 s78, -1, 0
	s_and_b32 s79, s77, 0x7fe
	s_and_b32 s80, s9, 7
	s_cmp_gt_u32 s8, 13
	v_dual_add_nc_u32 v16, v5, v3 :: v_dual_lshrrev_b32 v7, 2, v6
	v_rcp_iflag_f32_e32 v5, s7
	s_cselect_b32 s81, -1, 0
	s_and_b32 s82, s9, -8
	s_cmp_lg_u32 s80, 0
	v_not_b32_e32 v10, v2
	v_lshlrev_b64_e32 v[2:3], 1, v[16:17]
	s_cselect_b32 s83, -1, 0
	v_readfirstlane_b32 s7, v5
	s_cmp_lg_u32 s79, s77
	s_cvt_f32_u32 s9, s47
	s_cselect_b32 s84, -1, 0
	s_wait_kmcnt 0x0
	v_writelane_b32 v71, s20, 3
	s_mul_f32 s7, s7, 0x4f7ffffe
	v_add_nc_u64_e32 v[12:13], s[14:15], v[2:3]
	v_rcp_iflag_f32_e32 v3, s9
	v_add_nc_u32_e32 v2, 1, v7
	s_cvt_u32_f32 s8, s7
	s_sub_co_i32 s7, 0, s73
	v_writelane_b32 v71, s21, 4
	s_load_b64 s[20:21], s[0:1], 0xf0
	s_mul_i32 s7, s7, s8
	v_readfirstlane_b32 s9, v3
	s_mul_hi_u32 s10, s8, s7
	v_lshl_add_u64 v[14:15], v[18:19], 1, v[12:13]
	s_add_co_i32 s62, s8, s10
	v_and_b32_e32 v19, -4, v4
	s_mul_hi_u32 s8, s36, s62
	s_mul_f32 s9, s9, 0x4f7ffffe
	s_mul_i32 s8, s8, s73
	s_delay_alu instid0(VALU_DEP_1)
	v_dual_add_nc_u32 v25, v0, v19 :: v_dual_bitop2_b32 v3, 3, v2 bitop3:0x40
	s_sub_co_i32 s8, s36, s8
	s_cvt_u32_f32 s9, s9
	s_sub_co_i32 s10, s8, s73
	s_cmp_ge_u32 s8, s73
	v_and_b32_e32 v27, 0x7ffffffc, v2
	s_cselect_b32 s8, s10, s8
	v_add3_u32 v2, s47, s36, v0
	s_sub_co_i32 s10, s8, s73
	s_cmp_ge_u32 s8, s73
	v_cmp_lt_u32_e64 s7, 31, v4
	s_cselect_b32 s14, s10, s8
	s_sub_co_i32 s10, 0, s47
	s_sub_co_i32 s88, s36, s14
	s_mul_i32 s10, s10, s9
	v_dual_add_nc_u32 v26, s88, v0 :: v_dual_lshlrev_b32 v29, 3, v3
	s_mul_hi_u32 s10, s9, s10
	v_subrev_nc_u32_e32 v2, s14, v2
	s_add_co_i32 s64, s9, s10
	v_cmp_ne_u32_e64 s9, 0, v3
	s_mul_hi_u32 s10, s18, s64
	v_mul_lo_u32 v16, v26, s43
	s_mul_i32 s10, s10, s47
	v_dual_lshlrev_b32 v33, 2, v18 :: v_dual_bitop2_b32 v3, 2, v1 bitop3:0x54
	s_sub_co_i32 s11, s18, s10
	v_cmp_ne_u32_e64 s10, v4, v19
	s_sub_co_i32 s12, s11, s47
	s_cmp_ge_u32 s11, s47
	v_dual_lshlrev_b32 v35, 3, v0 :: v_dual_bitop2_b32 v4, 3, v1 bitop3:0x54
	s_cselect_b32 s13, s12, s11
	v_mul_lo_u32 v31, s43, v3
	s_sub_co_i32 s15, s13, s47
	s_cmp_ge_u32 s13, s47
	v_mul_lo_u32 v32, s43, v4
	v_mul_lo_u32 v34, s43, v2
	s_cselect_b32 s13, s15, s13
	s_wait_kmcnt 0x0
	v_writelane_b32 v71, s20, 5
	s_sub_co_i32 s89, s18, s13
	v_cmp_gt_u32_e64 s6, 2, v0
	v_cmp_eq_u32_e64 s2, 0, v11
	v_dual_mov_b32 v40, s37 :: v_dual_add_nc_u32 v23, 0xc00, v22
	v_cmp_lt_u32_e64 s8, 11, v6
	v_cmp_gt_u32_e64 s11, s88, v1
	v_cmp_gt_u32_e64 s12, s36, v26
	v_lshl_add_u64 v[20:21], v[16:17], 1, v[12:13]
	v_cmp_gt_u32_e64 s13, s89, v0
	v_lshl_or_b32 v36, v11, 2, 0xc00
	v_dual_mov_b32 v37, 0x8000 :: v_dual_mov_b32 v28, 0
	v_dual_mov_b32 v39, 0 :: v_dual_mov_b32 v38, 0
	s_mov_b32 s39, 0
	s_mul_i32 s51, s43, s47
	s_mov_b32 s85, s43
	s_mov_b32 s86, s43
	;; [unrolled: 1-line block ×5, first 2 shown]
	s_lshl_b32 s90, s51, 2
	s_lshl_b32 s91, s47, 3
	;; [unrolled: 1-line block ×3, first 2 shown]
	s_mov_b32 s93, 14
	s_add_nc_u64 s[66:67], s[16:17], s[38:39]
	s_movk_i32 s95, 0x3f80
	s_mov_b32 s94, 0
	s_mov_b32 s97, 0
	v_writelane_b32 v71, s21, 6
                                        ; implicit-def: $sgpr96
                                        ; implicit-def: $sgpr100
                                        ; implicit-def: $sgpr99
                                        ; implicit-def: $sgpr101
                                        ; implicit-def: $sgpr98
                                        ; implicit-def: $vcc_hi
                                        ; implicit-def: $sgpr44
                                        ; implicit-def: $sgpr102
                                        ; implicit-def: $sgpr104
                                        ; implicit-def: $sgpr103
	s_branch .LBB114_6
.LBB114_4:                              ;   in Loop: Header=BB114_6 Depth=1
	s_or_b32 exec_lo, exec_lo, s17
	v_mov_b32_e32 v40, v5
	s_and_not1_b32 s17, s103, exec_lo
	s_and_b32 s16, s16, exec_lo
	s_and_not1_b32 s104, s104, exec_lo
	s_or_b32 s103, s17, s16
	s_and_not1_b32 s102, s102, exec_lo
	s_and_not1_b32 s44, s44, exec_lo
	s_and_not1_b32 vcc_hi, vcc_hi, exec_lo
	s_or_not1_b32 s17, s15, exec_lo
.LBB114_5:                              ;   in Loop: Header=BB114_6 Depth=1
	s_or_b32 exec_lo, exec_lo, s14
	s_delay_alu instid0(SALU_CYCLE_1) | instskip(NEXT) | instid1(SALU_CYCLE_1)
	s_and_b32 s14, exec_lo, s17
	s_or_b32 s94, s14, s94
	s_and_not1_b32 s14, s98, exec_lo
	s_and_b32 s15, s103, exec_lo
	s_and_not1_b32 s16, s101, exec_lo
	s_or_b32 s98, s14, s15
	s_and_b32 s14, s104, exec_lo
	s_and_not1_b32 s15, s99, exec_lo
	s_and_b32 s17, s102, exec_lo
	s_or_b32 s101, s16, s14
	s_or_b32 s99, s15, s17
	s_and_not1_b32 s14, s100, exec_lo
	s_and_b32 s15, s44, exec_lo
	s_and_not1_b32 s16, s96, exec_lo
	s_and_b32 s17, vcc_hi, exec_lo
	s_or_b32 s100, s14, s15
	s_or_b32 s96, s16, s17
	s_and_not1_b32 exec_lo, exec_lo, s94
	s_cbranch_execz .LBB114_410
.LBB114_6:                              ; =>This Loop Header: Depth=1
                                        ;     Child Loop BB114_11 Depth 2
                                        ;     Child Loop BB114_32 Depth 2
	;; [unrolled: 1-line block ×27, first 2 shown]
	ds_load_b64 v[2:3], v17 offset:4096
	s_wait_dscnt 0x0
	v_readfirstlane_b32 s38, v2
	s_cmp_lg_u32 s38, 0
	s_cbranch_scc1 .LBB114_51
; %bb.7:                                ;   in Loop: Header=BB114_6 Depth=1
	s_and_b32 vcc_lo, exec_lo, s74
	s_cbranch_vccz .LBB114_19
; %bb.8:                                ;   in Loop: Header=BB114_6 Depth=1
	v_cmp_gt_u32_e32 vcc_lo, 0x601, v3
	s_mov_b32 s16, 0
	s_mov_b32 s14, 0
	s_cbranch_vccz .LBB114_20
; %bb.9:                                ;   in Loop: Header=BB114_6 Depth=1
	global_load_u16 v3, v[14:15], off
	s_load_u16 s17, s[66:67], 0x0
	s_mov_b32 s18, 0
	s_wait_kmcnt 0x0
	v_dual_mov_b32 v4, v0 :: v_dual_add_nc_u32 v2, s17, v0
	s_mul_i32 s19, s43, s17
	s_delay_alu instid0(VALU_DEP_1)
	v_mul_lo_u32 v2, s43, v2
	s_branch .LBB114_11
.LBB114_10:                             ;   in Loop: Header=BB114_11 Depth=2
	s_or_b32 exec_lo, exec_lo, s15
	v_dual_mov_b32 v3, v5 :: v_dual_add_nc_u32 v2, s19, v2
	s_and_not1_b32 exec_lo, exec_lo, s18
	s_cbranch_execz .LBB114_26
.LBB114_11:                             ;   Parent Loop BB114_6 Depth=1
                                        ; =>  This Inner Loop Header: Depth=2
	s_wait_dscnt 0x0
	v_dual_add_nc_u32 v4, s17, v4 :: v_dual_mov_b32 v6, 0
	v_mov_b32_e32 v5, 0
	s_mov_b32 s15, exec_lo
	s_delay_alu instid0(VALU_DEP_2)
	v_cmp_le_u32_e32 vcc_lo, s36, v4
	v_cmpx_gt_u32_e64 s36, v4
	s_cbranch_execz .LBB114_13
; %bb.12:                               ;   in Loop: Header=BB114_11 Depth=2
	v_readfirstlane_b32 s20, v12
	v_readfirstlane_b32 s21, v13
	global_load_u16 v5, v2, s[20:21] scale_offset
.LBB114_13:                             ;   in Loop: Header=BB114_11 Depth=2
	s_wait_xcnt 0x0
	s_or_b32 exec_lo, exec_lo, s15
	s_wait_loadcnt 0x0
	v_cmp_lt_i16_e64 s14, -1, v3
	v_and_b32_e32 v7, 0xffff, v3
	v_lshlrev_b32_e32 v9, 16, v3
	s_delay_alu instid0(VALU_DEP_3) | instskip(NEXT) | instid1(VALU_DEP_2)
	v_cndmask_b32_e64 v8, 0xffff, v37, s14
	v_cmp_o_f32_e64 s14, v9, v9
	s_delay_alu instid0(VALU_DEP_2) | instskip(NEXT) | instid1(VALU_DEP_1)
	v_xor_b32_e32 v7, v8, v7
	v_cndmask_b32_e64 v7, 0xffff, v7, s14
	s_delay_alu instid0(VALU_DEP_1) | instskip(NEXT) | instid1(VALU_DEP_1)
	v_and_b32_e32 v7, v7, v38
	v_cmp_eq_u32_e64 s14, v7, v28
	s_cmp_lg_u32 s14, 0
	s_cselect_b32 s15, -1, 0
	s_delay_alu instid0(SALU_CYCLE_1) | instskip(NEXT) | instid1(SALU_CYCLE_1)
	s_and_b32 s15, s2, s15
	s_and_saveexec_b32 s20, s15
	s_cbranch_execz .LBB114_17
; %bb.14:                               ;   in Loop: Header=BB114_11 Depth=2
	s_mov_b32 s23, exec_lo
	s_bcnt1_i32_b32 s21, s14
	v_mbcnt_lo_u32_b32 v6, s23, 0
	s_mov_b32 s22, exec_lo
                                        ; implicit-def: $vgpr7
	s_delay_alu instid0(VALU_DEP_1)
	v_cmpx_eq_u32_e32 0, v6
; %bb.15:                               ;   in Loop: Header=BB114_11 Depth=2
	s_bcnt1_i32_b32 s15, s23
	s_delay_alu instid0(SALU_CYCLE_1) | instskip(NEXT) | instid1(SALU_CYCLE_1)
	s_mul_i32 s15, s21, s15
	v_mov_b32_e32 v7, s15
	ds_add_rtn_u32 v7, v17, v7 offset:4104
; %bb.16:                               ;   in Loop: Header=BB114_11 Depth=2
	s_or_b32 exec_lo, exec_lo, s22
	s_wait_dscnt 0x0
	v_readfirstlane_b32 s15, v7
	s_delay_alu instid0(VALU_DEP_1)
	v_mad_u32_u24 v6, s21, v6, s15
.LBB114_17:                             ;   in Loop: Header=BB114_11 Depth=2
	s_or_b32 exec_lo, exec_lo, s20
	ds_bpermute_b32 v6, v17, v6
	s_and_b32 s15, exec_lo, vcc_lo
	s_delay_alu instid0(SALU_CYCLE_1)
	s_or_b32 s18, s15, s18
	s_and_saveexec_b32 s15, s14
	s_cbranch_execz .LBB114_10
; %bb.18:                               ;   in Loop: Header=BB114_11 Depth=2
	v_and_b32_e32 v7, s14, v10
	s_delay_alu instid0(VALU_DEP_1) | instskip(NEXT) | instid1(VALU_DEP_1)
	v_bcnt_u32_b32 v7, v7, 0
	v_lshlrev_b32_e32 v7, 1, v7
	s_wait_dscnt 0x0
	s_delay_alu instid0(VALU_DEP_1)
	v_lshl_add_u32 v6, v6, 1, v7
	ds_store_b16 v6, v3
	s_branch .LBB114_10
.LBB114_19:                             ;   in Loop: Header=BB114_6 Depth=1
	s_mov_b32 s16, -1
	s_mov_b32 s14, 0
.LBB114_20:                             ;   in Loop: Header=BB114_6 Depth=1
	s_and_b32 vcc_lo, exec_lo, s16
	s_cbranch_vccz .LBB114_49
.LBB114_21:                             ;   in Loop: Header=BB114_6 Depth=1
	s_and_saveexec_b32 s15, s3
	s_cbranch_execz .LBB114_46
; %bb.22:                               ;   in Loop: Header=BB114_6 Depth=1
	global_load_u16 v16, v[14:15], off
	s_load_u16 s17, s[66:67], 0x0
	s_mov_b32 s16, exec_lo
	s_wait_kmcnt 0x0
	v_dual_mov_b32 v4, v0 :: v_dual_add_nc_u32 v2, s17, v0
	s_delay_alu instid0(VALU_DEP_1)
	v_cmpx_gt_u32_e64 s36, v2
	s_cbranch_execz .LBB114_45
; %bb.23:                               ;   in Loop: Header=BB114_6 Depth=1
	s_mov_b32 s14, 0
	s_mul_i32 s18, s43, s17
                                        ; implicit-def: $vgpr4
                                        ; implicit-def: $vgpr3
                                        ; implicit-def: $vgpr5
	s_and_saveexec_b32 s19, s7
	s_delay_alu instid0(SALU_CYCLE_1)
	s_xor_b32 s19, exec_lo, s19
	s_cbranch_execnz .LBB114_29
; %bb.24:                               ;   in Loop: Header=BB114_6 Depth=1
	s_and_not1_saveexec_b32 s19, s19
	s_cbranch_execnz .LBB114_40
.LBB114_25:                             ;   in Loop: Header=BB114_6 Depth=1
	s_or_b32 exec_lo, exec_lo, s19
	s_and_saveexec_b32 s18, s14
	s_cbranch_execnz .LBB114_41
	s_branch .LBB114_44
.LBB114_26:                             ;   in Loop: Header=BB114_6 Depth=1
	s_or_b32 exec_lo, exec_lo, s18
	s_wait_dscnt 0x0
	s_barrier_signal -1
	s_barrier_wait -1
	s_and_saveexec_b32 s14, s5
	s_cbranch_execz .LBB114_28
; %bb.27:                               ;   in Loop: Header=BB114_6 Depth=1
	ds_load_b32 v2, v17 offset:4104
	s_wait_dscnt 0x0
	ds_store_b32 v17, v2 offset:4096
.LBB114_28:                             ;   in Loop: Header=BB114_6 Depth=1
	s_or_b32 exec_lo, exec_lo, s14
	s_wait_dscnt 0x0
	s_barrier_signal -1
	s_mov_b32 s14, -1
	s_barrier_wait -1
	s_and_b32 vcc_lo, exec_lo, s16
	s_cbranch_vccnz .LBB114_21
	s_branch .LBB114_49
.LBB114_29:                             ;   in Loop: Header=BB114_6 Depth=1
	s_cvt_f32_u32 s14, s17
	v_add_max_u32_e64 v3, v2, s17, s36
	s_delay_alu instid0(SALU_CYCLE_2) | instskip(SKIP_1) | instid1(VALU_DEP_1)
	v_rcp_iflag_f32_e32 v4, s14
	s_lshl_b32 s14, s17, 1
	v_sub_nc_u32_e32 v3, v3, v0
	s_delay_alu instid0(VALU_DEP_1) | instskip(NEXT) | instid1(TRANS32_DEP_1)
	v_cmp_ne_u32_e32 vcc_lo, s14, v3
	v_readfirstlane_b32 s20, v4
	v_cndmask_b32_e64 v4, 0, 1, vcc_lo
	s_mul_f32 s20, s20, 0x4f7ffffe
	s_delay_alu instid0(VALU_DEP_1) | instskip(NEXT) | instid1(SALU_CYCLE_2)
	v_or_b32_e32 v4, s14, v4
	s_cvt_u32_f32 s14, s20
	s_sub_co_i32 s20, 0, s17
	s_delay_alu instid0(SALU_CYCLE_2) | instskip(NEXT) | instid1(VALU_DEP_1)
	s_mul_i32 s20, s20, s14
	v_sub_nc_u32_e32 v3, v3, v4
	s_mul_hi_u32 s20, s14, s20
	s_delay_alu instid0(SALU_CYCLE_1)
	s_add_co_i32 s14, s14, s20
	s_delay_alu instid0(VALU_DEP_1) | instid1(SALU_CYCLE_1)
	v_mul_hi_u32 v4, v3, s14
	s_delay_alu instid0(VALU_DEP_1) | instskip(NEXT) | instid1(VALU_DEP_1)
	v_mul_lo_u32 v5, v4, s17
	v_dual_sub_nc_u32 v3, v3, v5 :: v_dual_add_nc_u32 v5, 1, v4
	s_delay_alu instid0(VALU_DEP_1) | instskip(SKIP_1) | instid1(VALU_DEP_1)
	v_subrev_nc_u32_e32 v6, s17, v3
	v_cmp_le_u32_e64 s14, s17, v3
	v_dual_cndmask_b32 v4, v4, v5, s14 :: v_dual_cndmask_b32 v3, v3, v6, s14
	s_delay_alu instid0(VALU_DEP_1) | instskip(NEXT) | instid1(VALU_DEP_2)
	v_add_nc_u32_e32 v5, 1, v4
	v_cmp_le_u32_e64 s14, s17, v3
	s_delay_alu instid0(VALU_DEP_1) | instskip(SKIP_2) | instid1(VALU_DEP_2)
	v_cndmask_b32_e64 v3, v4, v5, s14
	v_mul_lo_u32 v4, s43, v2
	s_abs_i32 s14, s18
	v_add_co_ci_u32_e64 v3, null, 0, v3, vcc_lo
	s_delay_alu instid0(VALU_DEP_1) | instskip(SKIP_2) | instid1(SALU_CYCLE_1)
	v_mul_hi_u32 v5, s14, v3
	v_mul_lo_u32 v3, s14, v3
	s_not_b32 s14, s18
	s_ashr_i32 s14, s14, 31
	s_cmp_eq_u32 s17, 1
	s_delay_alu instid0(VALU_DEP_4) | instskip(SKIP_1) | instid1(VALU_DEP_3)
	v_xor_b32_e32 v4, s14, v4
	s_cselect_b32 s20, -1, 0
	v_cmp_eq_u32_e32 vcc_lo, 0, v5
	s_delay_alu instid0(VALU_DEP_2) | instskip(SKIP_2) | instid1(SALU_CYCLE_1)
	v_cmp_le_u32_e64 s14, v3, v4
	v_mov_b32_e32 v3, v0
                                        ; implicit-def: $vgpr4
	s_and_b32 s20, vcc_lo, s20
	s_and_b32 s21, s20, s14
	s_mov_b32 s20, -1
	s_and_saveexec_b32 s14, s21
	s_cbranch_execz .LBB114_39
; %bb.30:                               ;   in Loop: Header=BB114_6 Depth=1
	v_dual_add_nc_u32 v5, 3, v2 :: v_dual_add_nc_u32 v4, 2, v2
	s_wait_loadcnt 0x0
	v_dual_add_nc_u32 v3, 1, v2 :: v_dual_lshlrev_b32 v41, 16, v16
	v_mov_b32_e32 v44, 0
                                        ; implicit-def: $vgpr16
	s_delay_alu instid0(VALU_DEP_3) | instskip(NEXT) | instid1(VALU_DEP_3)
	v_mov_b64_e32 v[8:9], v[4:5]
	v_mov_b64_e32 v[6:7], v[2:3]
	s_and_saveexec_b32 s20, s8
	s_cbranch_execz .LBB114_34
; %bb.31:                               ;   in Loop: Header=BB114_6 Depth=1
	v_mov_b64_e32 v[8:9], v[4:5]
	v_mov_b64_e32 v[6:7], v[2:3]
	v_dual_mov_b32 v42, v27 :: v_dual_mov_b32 v43, v22
	s_mov_b32 s21, 0
	s_mov_b32 s22, 0
.LBB114_32:                             ;   Parent Loop BB114_6 Depth=1
                                        ; =>  This Inner Loop Header: Depth=2
	s_delay_alu instid0(VALU_DEP_2) | instskip(SKIP_1) | instid1(VALU_DEP_4)
	v_mul_lo_u32 v16, v6, s43
	v_dual_mov_b32 v5, v17 :: v_dual_add_nc_u32 v3, 4, v6
	v_dual_add_nc_u32 v48, 4, v7 :: v_dual_add_nc_u32 v50, 4, v8
	v_mul_lo_u32 v46, v7, s85
	v_dual_mov_b32 v47, v17 :: v_dual_mov_b32 v45, v17
	s_delay_alu instid0(VALU_DEP_3)
	v_mul_lo_u32 v48, v48, s85
	v_dual_mov_b32 v49, v17 :: v_dual_add_nc_u32 v52, 4, v9
	v_lshl_add_u64 v[66:67], v[16:17], 1, v[12:13]
	v_mul_lo_u32 v16, v3, s43
	v_dual_add_nc_u32 v68, 8, v6 :: v_dual_add_nc_u32 v54, 8, v7
	v_dual_add_nc_u32 v60, 12, v7 :: v_dual_add_nc_u32 v62, 12, v8
	v_lshl_add_u64 v[46:47], v[46:47], 1, v[12:13]
	s_clause 0x1
	global_load_u16 v3, v[66:67], off
	global_load_u16 v70, v[46:47], off
	s_wait_xcnt 0x0
	v_lshl_add_u64 v[46:47], v[48:49], 1, v[12:13]
	v_lshl_add_u64 v[48:49], v[16:17], 1, v[12:13]
	v_mul_lo_u32 v16, v68, s43
	v_mul_lo_u32 v44, v8, s86
	v_dual_add_nc_u32 v56, 8, v8 :: v_dual_add_nc_u32 v58, 8, v9
	v_dual_mov_b32 v59, v17 :: v_dual_add_nc_u32 v69, 12, v6
	v_mul_lo_u32 v4, v9, s87
	v_dual_mov_b32 v61, v17 :: v_dual_add_nc_u32 v64, 12, v9
	v_mul_lo_u32 v62, v62, s86
	v_mul_lo_u32 v50, v50, s86
	;; [unrolled: 1-line block ×7, first 2 shown]
	v_lshl_add_u64 v[66:67], v[16:17], 1, v[12:13]
	v_mul_lo_u32 v16, v69, s43
	v_mul_lo_u32 v64, v64, s87
	v_dual_mov_b32 v63, v17 :: v_dual_mov_b32 v65, v17
	v_dual_mov_b32 v51, v17 :: v_dual_mov_b32 v53, v17
	;; [unrolled: 1-line block ×3, first 2 shown]
	v_lshl_add_u64 v[44:45], v[44:45], 1, v[12:13]
	v_lshl_add_u64 v[4:5], v[4:5], 1, v[12:13]
	;; [unrolled: 1-line block ×9, first 2 shown]
	s_clause 0x8
	global_load_u16 v45, v[44:45], off
	global_load_u16 v68, v[4:5], off
	;; [unrolled: 1-line block ×9, first 2 shown]
	v_lshl_add_u64 v[4:5], v[16:17], 1, v[12:13]
	v_lshl_add_u64 v[64:65], v[64:65], 1, v[12:13]
	s_clause 0x4
	global_load_u16 v56, v[62:63], off
	global_load_u16 v48, v[48:49], off
	;; [unrolled: 1-line block ×5, first 2 shown]
	s_add_co_i32 s22, s22, 16
	s_delay_alu instid0(SALU_CYCLE_1) | instskip(SKIP_2) | instid1(VALU_DEP_3)
	v_dual_add_nc_u32 v42, -4, v42 :: v_dual_mov_b32 v44, s22
	v_dual_add_nc_u32 v9, 16, v9 :: v_dual_add_nc_u32 v8, 16, v8
	v_dual_add_nc_u32 v7, 16, v7 :: v_dual_add_nc_u32 v6, 16, v6
	v_cmp_eq_u32_e32 vcc_lo, 0, v42
	s_or_b32 s21, vcc_lo, s21
	s_wait_loadcnt 0xf
	v_alignbit_b32 v46, v3, v41, 16
	s_wait_loadcnt 0xd
	v_perm_b32 v47, v45, v70, 0x5040100
	s_wait_loadcnt 0xa
	s_wait_xcnt 0x3
	v_perm_b32 v49, v50, v69, 0x5040100
	s_wait_loadcnt 0x7
	v_perm_b32 v51, v53, v51, 0x5040100
	s_wait_loadcnt 0x3
	v_perm_b32 v48, v48, v68, 0x5040100
	v_perm_b32 v53, v56, v55, 0x5040100
	s_wait_loadcnt 0x2
	v_perm_b32 v50, v57, v52, 0x5040100
	s_wait_loadcnt 0x1
	;; [unrolled: 2-line block ×3, first 2 shown]
	v_perm_b32 v41, v16, v56, 0x5040100
	ds_store_b128 v43, v[46:49]
	ds_store_b128 v43, v[50:53] offset:16
	v_add_nc_u32_e32 v43, 32, v43
	s_wait_xcnt 0x0
	s_and_not1_b32 exec_lo, exec_lo, s21
	s_cbranch_execnz .LBB114_32
; %bb.33:                               ;   in Loop: Header=BB114_6 Depth=1
	s_or_b32 exec_lo, exec_lo, s21
.LBB114_34:                             ;   in Loop: Header=BB114_6 Depth=1
	s_delay_alu instid0(SALU_CYCLE_1)
	s_or_b32 exec_lo, exec_lo, s20
	s_and_saveexec_b32 s20, s9
	s_cbranch_execz .LBB114_38
; %bb.35:                               ;   in Loop: Header=BB114_6 Depth=1
	v_lshl_add_u32 v3, v44, 1, v22
	v_mov_b32_e32 v4, v29
	s_mov_b32 s21, 0
.LBB114_36:                             ;   Parent Loop BB114_6 Depth=1
                                        ; =>  This Inner Loop Header: Depth=2
	v_mul_lo_u32 v42, v7, s85
	v_mul_lo_u32 v44, v8, s86
	;; [unrolled: 1-line block ×4, first 2 shown]
	v_dual_mov_b32 v43, v17 :: v_dual_mov_b32 v45, v17
	v_dual_mov_b32 v47, v17 :: v_dual_add_nc_u32 v9, 4, v9
	v_dual_add_nc_u32 v4, -8, v4 :: v_dual_add_nc_u32 v6, 4, v6
	v_dual_add_nc_u32 v8, 4, v8 :: v_dual_add_nc_u32 v7, 4, v7
	s_delay_alu instid0(VALU_DEP_4)
	v_lshl_add_u64 v[42:43], v[42:43], 1, v[12:13]
	v_lshl_add_u64 v[44:45], v[44:45], 1, v[12:13]
	;; [unrolled: 1-line block ×4, first 2 shown]
	s_clause 0x3
	global_load_u16 v5, v[42:43], off
	global_load_u16 v44, v[44:45], off
	;; [unrolled: 1-line block ×4, first 2 shown]
	v_cmp_eq_u32_e32 vcc_lo, 0, v4
	s_or_b32 s21, vcc_lo, s21
	s_wait_loadcnt 0x2
	v_perm_b32 v43, v44, v5, 0x5040100
	s_wait_loadcnt 0x1
	v_alignbit_b32 v42, v42, v41, 16
	s_wait_loadcnt 0x0
	v_perm_b32 v41, v16, v44, 0x5040100
	ds_store_b64 v3, v[42:43]
	v_add_nc_u32_e32 v3, 8, v3
	s_and_not1_b32 exec_lo, exec_lo, s21
	s_cbranch_execnz .LBB114_36
; %bb.37:                               ;   in Loop: Header=BB114_6 Depth=1
	s_or_b32 exec_lo, exec_lo, s21
.LBB114_38:                             ;   in Loop: Header=BB114_6 Depth=1
	s_delay_alu instid0(SALU_CYCLE_1) | instskip(SKIP_2) | instid1(VALU_DEP_1)
	s_or_b32 exec_lo, exec_lo, s20
	v_dual_mov_b32 v3, v25 :: v_dual_add_nc_u32 v2, v2, v19
	s_or_not1_b32 s20, s10, exec_lo
	v_add_nc_u32_e32 v4, -1, v2
.LBB114_39:                             ;   in Loop: Header=BB114_6 Depth=1
	s_or_b32 exec_lo, exec_lo, s14
	v_mov_b32_e32 v5, s18
	s_and_b32 s14, s20, exec_lo
	s_and_not1_saveexec_b32 s19, s19
	s_cbranch_execz .LBB114_25
.LBB114_40:                             ;   in Loop: Header=BB114_6 Depth=1
	v_dual_mov_b32 v5, s18 :: v_dual_mov_b32 v3, v0
	s_or_b32 s14, s14, exec_lo
	s_or_b32 exec_lo, exec_lo, s19
	s_and_saveexec_b32 s18, s14
	s_cbranch_execz .LBB114_44
.LBB114_41:                             ;   in Loop: Header=BB114_6 Depth=1
	v_mul_lo_u32 v4, s43, v2
	s_mov_b32 s19, 0
	s_sub_co_i32 s14, 0, s17
.LBB114_42:                             ;   Parent Loop BB114_6 Depth=1
                                        ; =>  This Inner Loop Header: Depth=2
	v_readfirstlane_b32 s20, v12
	v_readfirstlane_b32 s21, v13
	s_wait_loadcnt 0x0
	v_dual_mov_b32 v6, v16 :: v_dual_mov_b32 v7, v2
	v_lshlrev_b32_e32 v8, 1, v3
	global_load_u16 v16, v4, s[20:21] scale_offset
	s_wait_xcnt 0x0
	v_dual_add_nc_u32 v4, v4, v5 :: v_dual_add_nc_u32 v2, s17, v7
	v_mov_b32_e32 v3, v7
	ds_store_b16 v8, v6
	v_cmp_le_u32_e32 vcc_lo, s36, v2
	s_or_b32 s19, vcc_lo, s19
	s_delay_alu instid0(SALU_CYCLE_1)
	s_and_not1_b32 exec_lo, exec_lo, s19
	s_cbranch_execnz .LBB114_42
; %bb.43:                               ;   in Loop: Header=BB114_6 Depth=1
	s_or_b32 exec_lo, exec_lo, s19
	v_add_nc_u32_e32 v4, s14, v2
.LBB114_44:                             ;   in Loop: Header=BB114_6 Depth=1
	s_or_b32 exec_lo, exec_lo, s18
.LBB114_45:                             ;   in Loop: Header=BB114_6 Depth=1
	s_delay_alu instid0(SALU_CYCLE_1) | instskip(NEXT) | instid1(VALU_DEP_1)
	s_or_b32 exec_lo, exec_lo, s16
	v_lshlrev_b32_e32 v2, 1, v4
	s_wait_loadcnt 0x0
	ds_store_b16 v2, v16
.LBB114_46:                             ;   in Loop: Header=BB114_6 Depth=1
	s_or_b32 exec_lo, exec_lo, s15
	s_wait_dscnt 0x0
	s_barrier_signal -1
	s_barrier_wait -1
	s_and_saveexec_b32 s14, s5
; %bb.47:                               ;   in Loop: Header=BB114_6 Depth=1
	v_mov_b32_e32 v2, s36
	ds_store_b32 v17, v2 offset:4096
; %bb.48:                               ;   in Loop: Header=BB114_6 Depth=1
	s_or_b32 exec_lo, exec_lo, s14
	s_mov_b32 s14, -1
	s_wait_dscnt 0x0
	s_barrier_signal -1
	s_barrier_wait -1
.LBB114_49:                             ;   in Loop: Header=BB114_6 Depth=1
	s_and_b32 vcc_lo, exec_lo, s14
	s_mov_b32 s38, 0
	s_cbranch_vccz .LBB114_51
; %bb.50:                               ;   in Loop: Header=BB114_6 Depth=1
	ds_load_b32 v2, v17 offset:4096
	s_wait_dscnt 0x0
	v_readfirstlane_b32 s38, v2
.LBB114_51:                             ;   in Loop: Header=BB114_6 Depth=1
	s_delay_alu instid0(VALU_DEP_1)
	s_cmp_lt_i32 s38, 1
	s_mov_b32 s14, -1
                                        ; implicit-def: $vgpr4_vgpr5
	s_cbranch_scc1 .LBB114_64
; %bb.52:                               ;   in Loop: Header=BB114_6 Depth=1
	s_and_b32 vcc_lo, exec_lo, s14
	s_cbranch_vccnz .LBB114_75
.LBB114_53:                             ;   in Loop: Header=BB114_6 Depth=1
	s_lshl_b32 s16, s97, 7
	s_and_saveexec_b32 s14, s2
.LBB114_54:                             ;   in Loop: Header=BB114_6 Depth=1
	v_lshl_add_u32 v6, s16, 2, v24
	ds_store_b128 v6, v[2:5]
.LBB114_55:                             ;   in Loop: Header=BB114_6 Depth=1
	s_or_b32 exec_lo, exec_lo, s14
	s_wait_dscnt 0x0
	s_barrier_signal -1
	s_barrier_wait -1
	s_and_saveexec_b32 s17, s60
	s_cbranch_execz .LBB114_88
; %bb.56:                               ;   in Loop: Header=BB114_6 Depth=1
	v_dual_add_nc_u32 v4, s16, v11 :: v_dual_mov_b32 v2, 0
	s_and_not1_b32 vcc_lo, exec_lo, s75
	s_cbranch_vccnz .LBB114_87
; %bb.57:                               ;   in Loop: Header=BB114_6 Depth=1
	s_and_not1_b32 vcc_lo, exec_lo, s78
	s_cbranch_vccnz .LBB114_84
; %bb.58:                               ;   in Loop: Header=BB114_6 Depth=1
	v_lshl_add_u32 v5, v4, 2, 0xc00
	s_and_not1_b32 vcc_lo, exec_lo, s81
	s_cbranch_vccnz .LBB114_112
; %bb.59:                               ;   in Loop: Header=BB114_6 Depth=1
	v_dual_mov_b32 v2, 0 :: v_dual_mov_b32 v3, 0
	s_mov_b32 s15, 1
	s_mov_b32 s14, 0
	;; [unrolled: 1-line block ×3, first 2 shown]
.LBB114_60:                             ;   Parent Loop BB114_6 Depth=1
                                        ; =>  This Inner Loop Header: Depth=2
	v_lshl_add_u32 v16, s15, 4, v5
	v_lshl_add_u32 v41, s14, 4, v5
	s_add_co_i32 s18, s18, -8
	s_add_co_i32 s15, s15, 16
	s_add_co_i32 s14, s14, 16
	ds_load_2addr_b32 v[6:7], v16 offset1:8
	ds_load_2addr_b32 v[8:9], v41 offset1:8
	ds_load_2addr_b32 v[42:43], v16 offset0:16 offset1:24
	ds_load_2addr_b32 v[44:45], v41 offset0:16 offset1:24
	;; [unrolled: 1-line block ×6, first 2 shown]
	s_cmp_lg_u32 s18, 0
	s_wait_dscnt 0x7
	v_add3_u32 v3, v6, v3, v7
	s_wait_dscnt 0x6
	v_add3_u32 v2, v8, v2, v9
	s_wait_dscnt 0x5
	s_delay_alu instid0(VALU_DEP_2) | instskip(SKIP_1) | instid1(VALU_DEP_2)
	v_add3_u32 v3, v42, v3, v43
	s_wait_dscnt 0x4
	v_add3_u32 v2, v44, v2, v45
	s_wait_dscnt 0x3
	s_delay_alu instid0(VALU_DEP_2) | instskip(SKIP_1) | instid1(VALU_DEP_2)
	;; [unrolled: 5-line block ×3, first 2 shown]
	v_add3_u32 v3, v50, v3, v51
	s_wait_dscnt 0x0
	v_add3_u32 v2, v52, v2, v53
	s_cbranch_scc1 .LBB114_60
; %bb.61:                               ;   in Loop: Header=BB114_6 Depth=1
	s_and_not1_b32 vcc_lo, exec_lo, s83
	s_mov_b32 s18, s80
	s_cbranch_vccnz .LBB114_63
.LBB114_62:                             ;   Parent Loop BB114_6 Depth=1
                                        ; =>  This Inner Loop Header: Depth=2
	v_lshl_add_u32 v6, s15, 4, v5
	v_lshl_add_u32 v7, s14, 4, v5
	s_add_co_i32 s18, s18, -1
	s_add_co_i32 s15, s15, 2
	s_add_co_i32 s14, s14, 2
	ds_load_b32 v6, v6
	ds_load_b32 v7, v7
	s_cmp_lg_u32 s18, 0
	s_wait_dscnt 0x0
	v_dual_add_nc_u32 v3, v6, v3 :: v_dual_add_nc_u32 v2, v7, v2
	s_cbranch_scc1 .LBB114_62
.LBB114_63:                             ;   in Loop: Header=BB114_6 Depth=1
	s_delay_alu instid0(VALU_DEP_1) | instskip(SKIP_2) | instid1(SALU_CYCLE_1)
	v_add_nc_u32_e32 v2, v2, v3
	s_mov_b32 s14, s79
	s_mov_b32 s15, s84
	s_and_b32 vcc_lo, exec_lo, s15
	s_cbranch_vccnz .LBB114_85
	s_branch .LBB114_87
.LBB114_64:                             ;   in Loop: Header=BB114_6 Depth=1
	v_mov_b64_e32 v[4:5], 0
	v_mov_b64_e32 v[2:3], 0
	s_and_saveexec_b32 s45, s11
	s_cbranch_execz .LBB114_68
; %bb.65:                               ;   in Loop: Header=BB114_6 Depth=1
	v_mov_b32_e32 v6, v1
	s_mov_b32 s46, 0
	s_mov_b32 s56, 0
	;; [unrolled: 1-line block ×6, first 2 shown]
.LBB114_66:                             ;   Parent Loop BB114_6 Depth=1
                                        ; =>  This Inner Loop Header: Depth=2
	v_dual_add_nc_u32 v2, s56, v33 :: v_dual_add_nc_u32 v3, s56, v30
	v_readfirstlane_b32 s14, v12
	v_readfirstlane_b32 s15, v13
	v_dual_add_nc_u32 v4, s56, v31 :: v_dual_add_nc_u32 v5, s56, v32
	s_clause 0x3
	global_load_u16 v2, v2, s[14:15] scale_offset
	global_load_u16 v3, v3, s[14:15] scale_offset
	;; [unrolled: 1-line block ×4, first 2 shown]
	v_add_nc_u32_e32 v6, s73, v6
	s_add_co_i32 s56, s56, s90
	s_wait_loadcnt 0x3
	s_wait_xcnt 0x0
	v_cmp_lt_i16_e64 s14, -1, v2
	v_and_b32_e32 v7, 0xffff, v2
	s_wait_loadcnt 0x1
	v_dual_lshlrev_b32 v8, 16, v2 :: v_dual_lshlrev_b32 v42, 16, v4
	v_and_b32_e32 v9, 0xffff, v3
	v_cndmask_b32_e64 v2, 0xffff, v37, s14
	v_cmp_lt_i16_e64 s14, -1, v3
	v_lshlrev_b32_e32 v16, 16, v3
	v_and_b32_e32 v41, 0xffff, v4
	s_wait_loadcnt 0x0
	v_dual_lshlrev_b32 v44, 16, v5 :: v_dual_bitop2_b32 v2, v2, v7 bitop3:0x14
	v_cndmask_b32_e64 v3, 0xffff, v37, s14
	v_cmp_lt_i16_e64 s14, -1, v4
	v_cmp_o_f32_e64 s17, v8, v8
	v_and_b32_e32 v43, 0xffff, v5
	v_cmp_o_f32_e64 s15, v42, v42
	v_xor_b32_e32 v3, v3, v9
	v_cndmask_b32_e64 v4, 0xffff, v37, s14
	v_cmp_lt_i16_e64 s14, -1, v5
	v_cndmask_b32_e64 v2, 0xffff, v2, s17
	v_cmp_o_f32_e64 s16, v44, v44
	v_cmp_le_u32_e32 vcc_lo, s88, v6
	v_xor_b32_e32 v4, v4, v41
	v_cndmask_b32_e64 v5, 0xffff, v37, s14
	v_cmp_o_f32_e64 s14, v16, v16
	v_and_b32_e32 v7, v2, v38
	v_bfe_u32 v2, v2, s93, 2
	v_cndmask_b32_e64 v4, 0xffff, v4, s15
	v_xor_b32_e32 v5, v5, v43
	v_cndmask_b32_e64 v3, 0xffff, v3, s14
	v_cmp_eq_u32_e64 s14, v7, v28
	v_cmp_eq_u32_e64 s18, 0, v2
	v_and_b32_e32 v9, v4, v38
	v_cndmask_b32_e64 v5, 0xffff, v5, s16
	v_and_b32_e32 v8, v3, v38
	v_bfe_u32 v3, v3, s93, 2
	v_bfe_u32 v4, v4, s93, 2
	v_cmp_eq_u32_e64 s16, v9, v28
	v_and_b32_e32 v16, v5, v38
	v_bfe_u32 v5, v5, s93, 2
	v_cmp_eq_u32_e64 s15, v8, v28
	v_cmp_eq_u32_e64 s19, 0, v3
	;; [unrolled: 1-line block ×3, first 2 shown]
	s_and_b32 s18, s14, s18
	v_cmp_eq_u32_e64 s17, v16, v28
	v_cmp_eq_u32_e64 s21, 0, v5
	;; [unrolled: 1-line block ×5, first 2 shown]
	v_cndmask_b32_e64 v2, 0, 1, s18
	s_and_b32 s18, s15, s19
	v_cmp_eq_u32_e64 s23, 1, v3
	v_cmp_eq_u32_e64 s27, 2, v3
	v_cmp_eq_u32_e64 s31, 3, v3
	v_cndmask_b32_e64 v3, 0, 1, s18
	s_and_b32 s18, s16, s20
	v_cmp_eq_u32_e64 s24, 1, v4
	v_cmp_eq_u32_e64 s28, 2, v4
	v_cmp_eq_u32_e64 s33, 3, v4
	v_cndmask_b32_e64 v4, 0, 1, s18
	s_and_b32 s18, s17, s21
	v_cmp_eq_u32_e64 s25, 1, v5
	v_cmp_eq_u32_e64 s29, 2, v5
	v_cmp_eq_u32_e64 s34, 3, v5
	v_cndmask_b32_e64 v5, 0, 1, s18
	s_and_b32 s18, s14, s22
	s_delay_alu instid0(SALU_CYCLE_1) | instskip(SKIP_1) | instid1(SALU_CYCLE_1)
	v_cndmask_b32_e64 v7, 0, 1, s18
	s_and_b32 s18, s15, s23
	v_cndmask_b32_e64 v8, 0, 1, s18
	s_and_b32 s18, s16, s24
	s_delay_alu instid0(SALU_CYCLE_1) | instskip(SKIP_1) | instid1(VALU_DEP_2)
	v_cndmask_b32_e64 v9, 0, 1, s18
	s_and_b32 s18, s17, s25
	v_cmp_ne_u32_e64 s19, 0, v8
	v_cndmask_b32_e64 v16, 0, 1, s18
	s_and_b32 s18, s14, s26
	s_and_b32 s14, s14, s30
	v_cndmask_b32_e64 v41, 0, 1, s18
	s_and_b32 s18, s15, s27
	v_cndmask_b32_e64 v45, 0, 1, s14
	;; [unrolled: 2-line block ×7, first 2 shown]
	v_cndmask_b32_e64 v48, 0, 1, s14
	v_cmp_ne_u32_e64 s14, 0, v2
	v_cmp_ne_u32_e64 s18, 0, v7
	;; [unrolled: 1-line block ×11, first 2 shown]
	s_bcnt1_i32_b32 s14, s14
	s_bcnt1_i32_b32 s18, s18
	s_bcnt1_i32_b32 s22, s22
	s_bcnt1_i32_b32 s26, s26
	v_cmp_ne_u32_e64 s17, 0, v5
	v_cmp_ne_u32_e64 s21, 0, v16
	;; [unrolled: 1-line block ×4, first 2 shown]
	s_bcnt1_i32_b32 s15, s15
	s_bcnt1_i32_b32 s19, s19
	s_bcnt1_i32_b32 s23, s23
	s_bcnt1_i32_b32 s27, s27
	s_add_co_i32 s14, s14, s68
	s_add_co_i32 s18, s18, s69
	s_add_co_i32 s22, s22, s70
	s_add_co_i32 s26, s26, s71
	s_bcnt1_i32_b32 s16, s16
	s_bcnt1_i32_b32 s20, s20
	s_bcnt1_i32_b32 s24, s24
	s_bcnt1_i32_b32 s28, s28
	s_add_co_i32 s18, s18, s19
	s_add_co_i32 s14, s14, s15
	s_add_co_i32 s15, s26, s27
	s_add_co_i32 s19, s22, s23
	;; [unrolled: 8-line block ×3, first 2 shown]
	s_add_co_i32 s69, s16, s21
	s_add_co_i32 s68, s14, s17
	;; [unrolled: 1-line block ×4, first 2 shown]
	v_mov_b64_e32 v[2:3], s[68:69]
	v_mov_b64_e32 v[4:5], s[70:71]
	s_or_b32 s46, vcc_lo, s46
	s_delay_alu instid0(SALU_CYCLE_1)
	s_and_not1_b32 exec_lo, exec_lo, s46
	s_cbranch_execnz .LBB114_66
; %bb.67:                               ;   in Loop: Header=BB114_6 Depth=1
	s_or_b32 exec_lo, exec_lo, s46
.LBB114_68:                             ;   in Loop: Header=BB114_6 Depth=1
	s_delay_alu instid0(SALU_CYCLE_1)
	s_or_b32 exec_lo, exec_lo, s45
	s_and_saveexec_b32 s18, s12
	s_cbranch_execz .LBB114_74
; %bb.69:                               ;   in Loop: Header=BB114_6 Depth=1
	global_load_u16 v9, v[20:21], off
	v_dual_mov_b32 v6, v34 :: v_dual_mov_b32 v7, v26
	s_mov_b32 s19, 0
	s_branch .LBB114_71
.LBB114_70:                             ;   in Loop: Header=BB114_71 Depth=2
	s_wait_xcnt 0x0
	s_or_b32 exec_lo, exec_lo, s15
	s_wait_loadcnt 0x0
	v_cmp_lt_i16_e64 s14, -1, v9
	v_and_b32_e32 v16, 0xffff, v9
	s_and_b32 s15, exec_lo, vcc_lo
	s_delay_alu instid0(SALU_CYCLE_1) | instskip(SKIP_1) | instid1(VALU_DEP_1)
	s_or_b32 s19, s15, s19
	v_cndmask_b32_e64 v41, 0xffff, v37, s14
	v_dual_lshlrev_b32 v9, 16, v9 :: v_dual_bitop2_b32 v16, v41, v16 bitop3:0x14
	s_delay_alu instid0(VALU_DEP_1) | instskip(NEXT) | instid1(VALU_DEP_1)
	v_cmp_o_f32_e64 s14, v9, v9
	v_cndmask_b32_e64 v9, 0xffff, v16, s14
	s_delay_alu instid0(VALU_DEP_1) | instskip(SKIP_1) | instid1(VALU_DEP_2)
	v_and_b32_e32 v16, v9, v38
	v_bfe_u32 v9, v9, s93, 2
	v_cmp_eq_u32_e32 vcc_lo, v16, v28
	s_delay_alu instid0(VALU_DEP_2) | instskip(SKIP_4) | instid1(SALU_CYCLE_1)
	v_cmp_eq_u32_e64 s14, 0, v9
	v_cmp_eq_u32_e64 s15, 1, v9
	;; [unrolled: 1-line block ×4, first 2 shown]
	s_and_b32 s14, vcc_lo, s14
	v_cndmask_b32_e64 v9, 0, 1, s14
	s_and_b32 s14, vcc_lo, s15
	s_delay_alu instid0(SALU_CYCLE_1) | instskip(SKIP_1) | instid1(SALU_CYCLE_1)
	v_cndmask_b32_e64 v16, 0, 1, s14
	s_and_b32 s14, vcc_lo, s16
	v_cndmask_b32_e64 v41, 0, 1, s14
	s_and_b32 s14, vcc_lo, s17
	v_cmp_ne_u32_e32 vcc_lo, 0, v9
	v_cndmask_b32_e64 v42, 0, 1, s14
	v_cmp_ne_u32_e64 s14, 0, v16
	v_cmp_ne_u32_e64 s15, 0, v41
	v_mov_b32_e32 v9, v8
	s_bcnt1_i32_b32 s17, vcc_lo
	v_cmp_ne_u32_e64 s16, 0, v42
	s_bcnt1_i32_b32 s14, s14
	s_bcnt1_i32_b32 s15, s15
	v_dual_add_nc_u32 v3, s14, v3 :: v_dual_add_nc_u32 v2, s17, v2
	v_add_nc_u32_e32 v4, s15, v4
	s_bcnt1_i32_b32 s16, s16
	s_delay_alu instid0(SALU_CYCLE_1)
	v_dual_add_nc_u32 v6, s51, v6 :: v_dual_add_nc_u32 v5, s16, v5
	s_and_not1_b32 exec_lo, exec_lo, s19
	s_cbranch_execz .LBB114_73
.LBB114_71:                             ;   Parent Loop BB114_6 Depth=1
                                        ; =>  This Inner Loop Header: Depth=2
	s_delay_alu instid0(VALU_DEP_1) | instskip(SKIP_1) | instid1(VALU_DEP_1)
	v_dual_mov_b32 v8, 0 :: v_dual_add_nc_u32 v7, s47, v7
	s_mov_b32 s15, exec_lo
	v_cmp_le_u32_e32 vcc_lo, s36, v7
	s_wait_xcnt 0x0
	v_cmpx_gt_u32_e64 s36, v7
	s_cbranch_execz .LBB114_70
; %bb.72:                               ;   in Loop: Header=BB114_71 Depth=2
	v_readfirstlane_b32 s16, v12
	v_readfirstlane_b32 s17, v13
	global_load_u16 v8, v6, s[16:17] scale_offset
	s_branch .LBB114_70
.LBB114_73:                             ;   in Loop: Header=BB114_6 Depth=1
	s_or_b32 exec_lo, exec_lo, s19
.LBB114_74:                             ;   in Loop: Header=BB114_6 Depth=1
	s_delay_alu instid0(SALU_CYCLE_1)
	s_or_b32 exec_lo, exec_lo, s18
	s_branch .LBB114_53
.LBB114_75:                             ;   in Loop: Header=BB114_6 Depth=1
	s_mul_u64 s[14:15], s[38:39], s[62:63]
	v_mov_b64_e32 v[4:5], 0
	s_mul_i32 s14, s15, s73
	v_mov_b64_e32 v[2:3], 0
	s_sub_co_i32 s14, s38, s14
	s_mov_b32 s46, exec_lo
	s_sub_co_i32 s15, s14, s73
	s_cmp_ge_u32 s14, s73
	s_cselect_b32 s14, s15, s14
	s_delay_alu instid0(SALU_CYCLE_1) | instskip(SKIP_2) | instid1(SALU_CYCLE_1)
	s_sub_co_i32 s15, s14, s73
	s_cmp_ge_u32 s14, s73
	s_cselect_b32 s14, s15, s14
	s_sub_co_i32 s45, s38, s14
	s_delay_alu instid0(SALU_CYCLE_1)
	v_cmpx_gt_u32_e64 s45, v1
	s_cbranch_execz .LBB114_79
; %bb.76:                               ;   in Loop: Header=BB114_6 Depth=1
	v_dual_mov_b32 v6, v35 :: v_dual_mov_b32 v7, v1
	s_mov_b32 s56, 0
	s_mov_b32 s68, 0
	;; [unrolled: 1-line block ×5, first 2 shown]
.LBB114_77:                             ;   Parent Loop BB114_6 Depth=1
                                        ; =>  This Inner Loop Header: Depth=2
	ds_load_b64 v[2:3], v6
	v_dual_add_nc_u32 v7, s73, v7 :: v_dual_add_nc_u32 v6, s91, v6
	s_delay_alu instid0(VALU_DEP_1) | instskip(SKIP_4) | instid1(VALU_DEP_3)
	v_cmp_le_u32_e32 vcc_lo, s45, v7
	s_wait_dscnt 0x0
	v_cmp_lt_i16_e64 s14, -1, v2
	v_dual_lshrrev_b32 v4, 16, v2 :: v_dual_lshrrev_b32 v5, 16, v3
	v_dual_lshlrev_b32 v8, 16, v2 :: v_dual_lshlrev_b32 v16, 16, v3
	v_cndmask_b32_e64 v42, 0xffff, v37, s14
	v_cmp_lt_i16_e64 s14, -1, v3
	v_and_b32_e32 v9, 0xffff0000, v2
	s_delay_alu instid0(VALU_DEP_4) | instskip(SKIP_4) | instid1(VALU_DEP_3)
	v_cmp_o_f32_e64 s15, v8, v8
	v_and_b32_e32 v41, 0xffff0000, v3
	v_bitop3_b32 v2, v42, v2, 0xffff bitop3:0x78
	v_cndmask_b32_e64 v43, 0xffff, v37, s14
	v_cmp_lt_i16_e64 s14, -1, v4
	v_cndmask_b32_e64 v2, 0xffff, v2, s15
	s_delay_alu instid0(VALU_DEP_3) | instskip(NEXT) | instid1(VALU_DEP_3)
	v_bitop3_b32 v3, v43, v3, 0xffff bitop3:0x78
	v_cndmask_b32_e64 v44, 0xffff, v37, s14
	v_cmp_lt_i16_e64 s14, -1, v5
	v_cmp_o_f32_e64 s15, v41, v41
	v_and_b32_e32 v8, v2, v38
	v_bfe_u32 v2, v2, s93, 2
	v_xor_b32_e32 v4, v44, v4
	v_cndmask_b32_e64 v42, 0xffff, v37, s14
	v_cmp_o_f32_e64 s14, v16, v16
	s_delay_alu instid0(VALU_DEP_4) | instskip(SKIP_1) | instid1(VALU_DEP_4)
	v_cmp_eq_u32_e64 s16, 0, v2
	v_cmp_eq_u32_e64 s18, 1, v2
	v_xor_b32_e32 v5, v42, v5
	s_delay_alu instid0(VALU_DEP_4)
	v_cndmask_b32_e64 v3, 0xffff, v3, s14
	v_cmp_o_f32_e64 s14, v9, v9
	v_cmp_eq_u32_e64 s20, 2, v2
	v_cmp_eq_u32_e64 s22, 3, v2
	v_cndmask_b32_e64 v5, 0xffff, v5, s15
	v_and_b32_e32 v9, v3, v38
	v_bfe_u32 v3, v3, s93, 2
	v_cndmask_b32_e64 v4, 0xffff, v4, s14
	v_cmp_eq_u32_e64 s14, v8, v28
	s_delay_alu instid0(VALU_DEP_4) | instskip(NEXT) | instid1(VALU_DEP_4)
	v_cmp_eq_u32_e64 s15, v9, v28
	v_cmp_eq_u32_e64 s17, 0, v3
	s_delay_alu instid0(VALU_DEP_4)
	v_and_b32_e32 v8, v4, v38
	s_and_b32 s16, s14, s16
	v_bfe_u32 v4, v4, s93, 2
	v_cmp_eq_u32_e64 s19, 1, v3
	v_cndmask_b32_e64 v2, 0, 1, s16
	s_and_b32 s16, s15, s17
	v_and_b32_e32 v9, v5, v38
	v_bfe_u32 v5, v5, s93, 2
	v_cmp_eq_u32_e64 s21, 2, v3
	v_cmp_eq_u32_e64 s23, 3, v3
	v_cndmask_b32_e64 v3, 0, 1, s16
	s_and_b32 s16, s14, s18
	v_cmp_eq_u32_e64 s26, 0, v4
	v_cmp_eq_u32_e64 s28, 1, v4
	v_cmp_eq_u32_e64 s30, 2, v4
	v_cmp_eq_u32_e64 s33, 3, v4
	v_cndmask_b32_e64 v4, 0, 1, s16
	s_and_b32 s16, s15, s19
	v_cmp_eq_u32_e64 s27, 0, v5
	v_cmp_eq_u32_e64 s29, 1, v5
	;; [unrolled: 6-line block ×3, first 2 shown]
	v_cndmask_b32_e64 v8, 0, 1, s16
	s_and_b32 s16, s15, s21
	s_and_b32 s14, s14, s22
	v_cndmask_b32_e64 v9, 0, 1, s16
	v_cndmask_b32_e64 v16, 0, 1, s14
	s_and_b32 s14, s15, s23
	s_and_b32 s15, s24, s26
	;; [unrolled: 1-line block ×8, first 2 shown]
	v_cndmask_b32_e64 v41, 0, 1, s14
	v_cmp_ne_u32_e64 s14, 0, v2
	v_cndmask_b32_e64 v2, 0, 1, s15
	v_cmp_ne_u32_e64 s15, 0, v3
	v_cndmask_b32_e64 v3, 0, 1, s16
	v_cmp_ne_u32_e64 s16, 0, v4
	v_cndmask_b32_e64 v4, 0, 1, s17
	v_cmp_ne_u32_e64 s17, 0, v5
	v_cndmask_b32_e64 v5, 0, 1, s18
	v_cmp_ne_u32_e64 s18, 0, v8
	v_cndmask_b32_e64 v8, 0, 1, s19
	v_cmp_ne_u32_e64 s19, 0, v9
	v_cndmask_b32_e64 v9, 0, 1, s20
	v_cmp_ne_u32_e64 s20, 0, v16
	v_cndmask_b32_e64 v16, 0, 1, s21
	s_and_b32 s22, s25, s34
	v_cmp_ne_u32_e64 s21, 0, v41
	v_cndmask_b32_e64 v41, 0, 1, s22
	s_bcnt1_i32_b32 s22, s14
	v_cmp_ne_u32_e64 s14, 0, v2
	s_bcnt1_i32_b32 s24, s16
	v_cmp_ne_u32_e64 s16, 0, v4
	;; [unrolled: 2-line block ×8, first 2 shown]
	s_add_co_i32 s22, s22, s68
	s_add_co_i32 s24, s24, s69
	;; [unrolled: 1-line block ×4, first 2 shown]
	s_bcnt1_i32_b32 s14, s14
	s_bcnt1_i32_b32 s16, s16
	;; [unrolled: 1-line block ×4, first 2 shown]
	s_add_co_i32 s16, s24, s16
	s_add_co_i32 s14, s22, s14
	;; [unrolled: 1-line block ×4, first 2 shown]
	s_bcnt1_i32_b32 s15, s15
	s_bcnt1_i32_b32 s17, s17
	;; [unrolled: 1-line block ×4, first 2 shown]
	s_add_co_i32 s14, s14, s23
	s_add_co_i32 s16, s16, s25
	s_add_co_i32 s18, s18, s27
	s_add_co_i32 s20, s20, s29
	s_add_co_i32 s69, s16, s17
	s_add_co_i32 s68, s14, s15
	s_add_co_i32 s71, s20, s21
	s_add_co_i32 s70, s18, s19
	v_mov_b64_e32 v[2:3], s[68:69]
	v_mov_b64_e32 v[4:5], s[70:71]
	s_or_b32 s56, vcc_lo, s56
	s_delay_alu instid0(SALU_CYCLE_1)
	s_and_not1_b32 exec_lo, exec_lo, s56
	s_cbranch_execnz .LBB114_77
; %bb.78:                               ;   in Loop: Header=BB114_6 Depth=1
	s_or_b32 exec_lo, exec_lo, s56
.LBB114_79:                             ;   in Loop: Header=BB114_6 Depth=1
	s_delay_alu instid0(SALU_CYCLE_1) | instskip(SKIP_2) | instid1(VALU_DEP_1)
	s_or_b32 exec_lo, exec_lo, s46
	v_add_nc_u32_e32 v6, s45, v0
	s_mov_b32 s19, exec_lo
	v_cmpx_gt_u32_e64 s38, v6
	s_cbranch_execz .LBB114_83
; %bb.80:                               ;   in Loop: Header=BB114_6 Depth=1
	v_lshlrev_b32_e32 v7, 1, v6
	s_mov_b32 s20, 0
.LBB114_81:                             ;   Parent Loop BB114_6 Depth=1
                                        ; =>  This Inner Loop Header: Depth=2
	ds_load_u16 v8, v7
	v_dual_add_nc_u32 v6, s47, v6 :: v_dual_add_nc_u32 v7, s92, v7
	s_delay_alu instid0(VALU_DEP_1) | instskip(SKIP_3) | instid1(VALU_DEP_2)
	v_cmp_le_u32_e32 vcc_lo, s38, v6
	s_wait_dscnt 0x0
	v_cmp_lt_i16_e64 s14, -1, v8
	v_and_b32_e32 v9, 0xffff, v8
	v_cndmask_b32_e64 v16, 0xffff, v37, s14
	s_delay_alu instid0(VALU_DEP_1) | instskip(NEXT) | instid1(VALU_DEP_1)
	v_dual_lshlrev_b32 v8, 16, v8 :: v_dual_bitop2_b32 v9, v16, v9 bitop3:0x14
	v_cmp_o_f32_e64 s14, v8, v8
	s_delay_alu instid0(VALU_DEP_1) | instskip(NEXT) | instid1(VALU_DEP_1)
	v_cndmask_b32_e64 v8, 0xffff, v9, s14
	v_and_b32_e32 v9, v8, v38
	v_bfe_u32 v8, v8, s93, 2
	s_delay_alu instid0(VALU_DEP_2) | instskip(NEXT) | instid1(VALU_DEP_2)
	v_cmp_eq_u32_e64 s14, v9, v28
	v_cmp_eq_u32_e64 s15, 0, v8
	;; [unrolled: 1-line block ×5, first 2 shown]
	s_and_b32 s15, s14, s15
	s_delay_alu instid0(SALU_CYCLE_1) | instskip(SKIP_1) | instid1(SALU_CYCLE_1)
	v_cndmask_b32_e64 v8, 0, 1, s15
	s_and_b32 s15, s14, s16
	v_cndmask_b32_e64 v9, 0, 1, s15
	s_and_b32 s15, s14, s17
	s_and_b32 s14, s14, s18
	v_cndmask_b32_e64 v16, 0, 1, s15
	v_cndmask_b32_e64 v41, 0, 1, s14
	v_cmp_ne_u32_e64 s14, 0, v8
	v_cmp_ne_u32_e64 s15, 0, v9
	s_delay_alu instid0(VALU_DEP_4) | instskip(NEXT) | instid1(VALU_DEP_4)
	v_cmp_ne_u32_e64 s16, 0, v16
	v_cmp_ne_u32_e64 s17, 0, v41
	s_bcnt1_i32_b32 s14, s14
	s_bcnt1_i32_b32 s15, s15
	;; [unrolled: 1-line block ×4, first 2 shown]
	v_dual_add_nc_u32 v3, s15, v3 :: v_dual_add_nc_u32 v2, s14, v2
	v_dual_add_nc_u32 v5, s17, v5 :: v_dual_add_nc_u32 v4, s16, v4
	s_or_b32 s20, vcc_lo, s20
	s_delay_alu instid0(SALU_CYCLE_1)
	s_and_not1_b32 exec_lo, exec_lo, s20
	s_cbranch_execnz .LBB114_81
; %bb.82:                               ;   in Loop: Header=BB114_6 Depth=1
	s_or_b32 exec_lo, exec_lo, s20
.LBB114_83:                             ;   in Loop: Header=BB114_6 Depth=1
	s_delay_alu instid0(SALU_CYCLE_1)
	s_or_b32 exec_lo, exec_lo, s19
	s_lshl_b32 s16, s97, 7
	s_and_saveexec_b32 s14, s2
	s_cbranch_execnz .LBB114_54
	s_branch .LBB114_55
.LBB114_84:                             ;   in Loop: Header=BB114_6 Depth=1
	v_mov_b32_e32 v2, 0
	s_mov_b32 s14, 0
	s_cbranch_execz .LBB114_87
.LBB114_85:                             ;   in Loop: Header=BB114_6 Depth=1
	s_lshl_b32 s15, s97, 9
	s_lshl_b32 s18, s14, 4
	s_sub_co_i32 s14, s77, s14
	v_add3_u32 v3, s15, s18, v36
.LBB114_86:                             ;   Parent Loop BB114_6 Depth=1
                                        ; =>  This Inner Loop Header: Depth=2
	ds_load_b32 v5, v3
	v_add_nc_u32_e32 v3, 16, v3
	s_add_co_i32 s14, s14, -1
	s_delay_alu instid0(SALU_CYCLE_1)
	s_cmp_eq_u32 s14, 0
	s_wait_dscnt 0x0
	v_add_nc_u32_e32 v2, v5, v2
	s_cbranch_scc0 .LBB114_86
.LBB114_87:                             ;   in Loop: Header=BB114_6 Depth=1
	s_delay_alu instid0(VALU_DEP_1)
	v_lshlrev_b32_e32 v3, 2, v4
	ds_store_b32 v3, v2 offset:3072
.LBB114_88:                             ;   in Loop: Header=BB114_6 Depth=1
	s_or_b32 exec_lo, exec_lo, s17
	s_lshl_b32 s14, s16, 2
	s_wait_dscnt 0x0
	v_mov_b32_e32 v2, s14
	s_barrier_signal -1
	s_barrier_wait -1
	v_cmp_eq_u32_e64 s14, 1, v40
	ds_load_b128 v[2:5], v2 offset:3072
	s_lshl_b32 s18, 3, s93
	s_mov_b32 s26, -1
	s_not_b32 s19, s18
	s_mov_b32 s16, 0
	s_and_not1_b32 vcc_lo, exec_lo, s55
	s_mov_b32 s23, 0
	s_mov_b32 s15, 0
                                        ; implicit-def: $sgpr24
                                        ; implicit-def: $sgpr25
                                        ; implicit-def: $vgpr6
	s_wait_dscnt 0x0
	v_readfirstlane_b32 s17, v2
	v_readfirstlane_b32 s20, v3
	;; [unrolled: 1-line block ×4, first 2 shown]
                                        ; implicit-def: $vgpr5
                                        ; implicit-def: $vgpr2
                                        ; implicit-def: $vgpr3
                                        ; implicit-def: $vgpr4
	s_cbranch_vccnz .LBB114_247
; %bb.89:                               ;   in Loop: Header=BB114_6 Depth=1
	s_cmp_eq_u32 s17, 1
	v_dual_mov_b32 v3, v28 :: v_dual_mov_b32 v4, v38
	v_mov_b32_e32 v6, v39
	s_cselect_b32 s15, -1, 0
	s_mov_b32 s29, -1
	s_and_b32 s28, s15, s14
                                        ; implicit-def: $sgpr25
                                        ; implicit-def: $sgpr24
	s_delay_alu instid0(SALU_CYCLE_1)
	s_and_saveexec_b32 s15, s28
	s_cbranch_execz .LBB114_116
; %bb.90:                               ;   in Loop: Header=BB114_6 Depth=1
	ds_load_b32 v2, v17 offset:4096
	s_wait_dscnt 0x0
	s_barrier_signal -1
	s_barrier_wait -1
	v_readfirstlane_b32 s26, v2
	s_and_saveexec_b32 s23, s6
; %bb.91:                               ;   in Loop: Header=BB114_6 Depth=1
	ds_store_b16 v23, v17
; %bb.92:                               ;   in Loop: Header=BB114_6 Depth=1
	s_or_b32 exec_lo, exec_lo, s23
	v_and_b32_e32 v3, s19, v28
	v_or_b32_e32 v4, s18, v38
	s_mov_b32 s24, -1
	s_mov_b32 s25, 0
	s_cmp_eq_u32 s26, 0
	s_mov_b32 s23, 0
	s_mov_b32 s27, -1
	s_wait_dscnt 0x0
	s_barrier_signal -1
	s_barrier_wait -1
                                        ; implicit-def: $vgpr6
	s_cbranch_scc1 .LBB114_103
; %bb.93:                               ;   in Loop: Header=BB114_6 Depth=1
	s_add_co_i32 s38, s26, s76
	s_mov_b32 s29, exec_lo
	s_mul_u64 s[30:31], s[38:39], s[64:65]
                                        ; implicit-def: $vgpr6
	s_delay_alu instid0(SALU_CYCLE_1) | instskip(NEXT) | instid1(SALU_CYCLE_1)
	s_mul_i32 s23, s31, s47
	s_sub_co_i32 s23, s38, s23
	s_delay_alu instid0(SALU_CYCLE_1) | instskip(SKIP_2) | instid1(SALU_CYCLE_1)
	s_sub_co_i32 s27, s23, s47
	s_cmp_ge_u32 s23, s47
	s_cselect_b32 s23, s27, s23
	s_sub_co_i32 s27, s23, s47
	s_cmp_ge_u32 s23, s47
	s_cselect_b32 s23, s27, s23
	s_mov_b32 s27, 0
	s_sub_co_i32 s30, s38, s23
	s_mov_b32 s23, 0
	v_cmpx_gt_u32_e64 s30, v0
	s_cbranch_execz .LBB114_102
; %bb.94:                               ;   in Loop: Header=BB114_6 Depth=1
	v_dual_mov_b32 v2, v22 :: v_dual_mov_b32 v5, v0
                                        ; implicit-def: $sgpr31
	s_branch .LBB114_97
.LBB114_95:                             ;   in Loop: Header=BB114_97 Depth=2
	s_or_b32 exec_lo, exec_lo, s33
	s_wait_dscnt 0x0
	s_barrier_signal -1
	s_barrier_wait -1
	ds_load_b32 v6, v17 offset:3072
	s_mov_b32 s33, -1
	s_mov_b32 s34, -1
	s_wait_dscnt 0x0
	s_barrier_signal -1
	s_barrier_wait -1
	v_and_b32_e32 v7, 0x7fff, v6
	s_delay_alu instid0(VALU_DEP_1)
	v_cmp_ne_u32_e32 vcc_lo, 0, v7
	s_cbranch_vccz .LBB114_100
.LBB114_96:                             ;   in Loop: Header=BB114_97 Depth=2
	s_and_b32 s33, exec_lo, s33
	s_delay_alu instid0(SALU_CYCLE_1) | instskip(SKIP_2) | instid1(SALU_CYCLE_1)
	s_or_b32 s23, s33, s23
	s_and_not1_b32 s31, s31, exec_lo
	s_and_b32 s33, s34, exec_lo
	s_or_b32 s31, s31, s33
	s_and_not1_b32 exec_lo, exec_lo, s23
	s_cbranch_execz .LBB114_101
.LBB114_97:                             ;   Parent Loop BB114_6 Depth=1
                                        ; =>  This Inner Loop Header: Depth=2
	s_mov_b32 s33, exec_lo
	s_delay_alu instid0(VALU_DEP_1)
	v_cmpx_gt_u32_e64 s26, v5
	s_cbranch_execz .LBB114_95
; %bb.98:                               ;   in Loop: Header=BB114_97 Depth=2
	ds_load_u16 v6, v2
	s_wait_dscnt 0x0
	v_cmp_lt_i16_e32 vcc_lo, -1, v6
	v_and_b32_e32 v7, 0xffff, v6
	v_dual_cndmask_b32 v8, 0xffff, v37 :: v_dual_lshlrev_b32 v9, 16, v6
	s_delay_alu instid0(VALU_DEP_1) | instskip(NEXT) | instid1(VALU_DEP_2)
	v_cmp_o_f32_e32 vcc_lo, v9, v9
	v_xor_b32_e32 v7, v8, v7
	s_delay_alu instid0(VALU_DEP_1) | instskip(NEXT) | instid1(VALU_DEP_1)
	v_cndmask_b32_e32 v7, 0xffff, v7, vcc_lo
	v_and_b32_e32 v7, v7, v4
	s_delay_alu instid0(VALU_DEP_1)
	v_cmp_eq_u32_e32 vcc_lo, v7, v3
	s_and_b32 exec_lo, exec_lo, vcc_lo
	s_cbranch_execz .LBB114_95
; %bb.99:                               ;   in Loop: Header=BB114_97 Depth=2
	v_perm_b32 v6, v6, s95, 0x5040100
	ds_store_b32 v17, v6 offset:3072
	s_branch .LBB114_95
.LBB114_100:                            ;   in Loop: Header=BB114_97 Depth=2
	v_dual_add_nc_u32 v5, s47, v5 :: v_dual_add_nc_u32 v2, s92, v2
	s_mov_b32 s34, 0
	s_delay_alu instid0(VALU_DEP_1)
	v_cmp_le_u32_e32 vcc_lo, s30, v5
	s_or_not1_b32 s33, vcc_lo, exec_lo
	s_branch .LBB114_96
.LBB114_101:                            ;   in Loop: Header=BB114_6 Depth=1
	s_or_b32 exec_lo, exec_lo, s23
	v_lshrrev_b32_e32 v6, 16, v6
	s_and_b32 s23, s31, exec_lo
.LBB114_102:                            ;   in Loop: Header=BB114_6 Depth=1
	s_or_b32 exec_lo, exec_lo, s29
.LBB114_103:                            ;   in Loop: Header=BB114_6 Depth=1
	s_delay_alu instid0(SALU_CYCLE_1)
	s_and_b32 vcc_lo, exec_lo, s27
	s_cbranch_vccz .LBB114_115
; %bb.104:                              ;   in Loop: Header=BB114_6 Depth=1
                                        ; implicit-def: $vgpr6
	s_and_saveexec_b32 s24, s13
	s_cbranch_execz .LBB114_114
; %bb.105:                              ;   in Loop: Header=BB114_6 Depth=1
	v_dual_mov_b32 v2, v18 :: v_dual_mov_b32 v5, v0
	s_mov_b32 s25, 0
                                        ; implicit-def: $sgpr26
	s_branch .LBB114_108
.LBB114_106:                            ;   in Loop: Header=BB114_108 Depth=2
	s_or_b32 exec_lo, exec_lo, s27
	s_wait_dscnt 0x0
	s_barrier_signal -1
	s_barrier_wait -1
	ds_load_b32 v6, v17 offset:3072
	s_mov_b32 s27, -1
	s_mov_b32 s29, -1
	s_wait_dscnt 0x0
	s_barrier_signal -1
	s_barrier_wait -1
	v_and_b32_e32 v7, 0x7fff, v6
	s_delay_alu instid0(VALU_DEP_1)
	v_cmp_ne_u32_e32 vcc_lo, 0, v7
	s_cbranch_vccz .LBB114_111
.LBB114_107:                            ;   in Loop: Header=BB114_108 Depth=2
	s_and_b32 s27, exec_lo, s27
	s_delay_alu instid0(SALU_CYCLE_1) | instskip(SKIP_2) | instid1(SALU_CYCLE_1)
	s_or_b32 s25, s27, s25
	s_and_not1_b32 s26, s26, exec_lo
	s_and_b32 s27, s29, exec_lo
	s_or_b32 s26, s26, s27
	s_and_not1_b32 exec_lo, exec_lo, s25
	s_cbranch_execz .LBB114_113
.LBB114_108:                            ;   Parent Loop BB114_6 Depth=1
                                        ; =>  This Inner Loop Header: Depth=2
	s_mov_b32 s27, exec_lo
	s_delay_alu instid0(VALU_DEP_1)
	v_cmpx_gt_u32_e64 s36, v5
	s_cbranch_execz .LBB114_106
; %bb.109:                              ;   in Loop: Header=BB114_108 Depth=2
	v_readfirstlane_b32 s30, v12
	v_readfirstlane_b32 s31, v13
	global_load_u16 v6, v2, s[30:31] scale_offset
	s_wait_loadcnt 0x0
	v_cmp_lt_i16_e32 vcc_lo, -1, v6
	v_and_b32_e32 v7, 0xffff, v6
	v_dual_cndmask_b32 v8, 0xffff, v37 :: v_dual_lshlrev_b32 v9, 16, v6
	s_delay_alu instid0(VALU_DEP_1) | instskip(NEXT) | instid1(VALU_DEP_2)
	v_cmp_o_f32_e32 vcc_lo, v9, v9
	v_xor_b32_e32 v7, v8, v7
	s_delay_alu instid0(VALU_DEP_1) | instskip(NEXT) | instid1(VALU_DEP_1)
	v_cndmask_b32_e32 v7, 0xffff, v7, vcc_lo
	v_and_b32_e32 v7, v7, v4
	s_delay_alu instid0(VALU_DEP_1)
	v_cmp_eq_u32_e32 vcc_lo, v7, v3
	s_and_b32 exec_lo, exec_lo, vcc_lo
	s_cbranch_execz .LBB114_106
; %bb.110:                              ;   in Loop: Header=BB114_108 Depth=2
	v_perm_b32 v6, v6, s95, 0x5040100
	ds_store_b32 v17, v6 offset:3072
	s_branch .LBB114_106
.LBB114_111:                            ;   in Loop: Header=BB114_108 Depth=2
	v_dual_add_nc_u32 v5, s47, v5 :: v_dual_add_nc_u32 v2, s51, v2
	s_mov_b32 s29, 0
	s_delay_alu instid0(VALU_DEP_1)
	v_cmp_le_u32_e32 vcc_lo, s89, v5
	s_or_not1_b32 s27, vcc_lo, exec_lo
	s_branch .LBB114_107
.LBB114_112:                            ;   in Loop: Header=BB114_6 Depth=1
	s_mov_b64 s[14:15], 0x100000000
	v_mov_b64_e32 v[2:3], 0
	s_and_not1_b32 vcc_lo, exec_lo, s83
	s_mov_b32 s18, s80
	s_cbranch_vccz .LBB114_62
	s_branch .LBB114_63
.LBB114_113:                            ;   in Loop: Header=BB114_6 Depth=1
	s_or_b32 exec_lo, exec_lo, s25
	v_lshrrev_b32_e32 v6, 16, v6
	s_and_not1_b32 s23, s23, exec_lo
	s_and_b32 s25, s26, exec_lo
	s_delay_alu instid0(SALU_CYCLE_1)
	s_or_b32 s23, s23, s25
.LBB114_114:                            ;   in Loop: Header=BB114_6 Depth=1
	s_or_b32 exec_lo, exec_lo, s24
	s_mov_b32 s24, 0
	s_mov_b32 s25, -1
.LBB114_115:                            ;   in Loop: Header=BB114_6 Depth=1
	s_or_not1_b32 s29, s23, exec_lo
.LBB114_116:                            ;   in Loop: Header=BB114_6 Depth=1
	s_or_b32 exec_lo, exec_lo, s15
	s_mov_b32 s26, 0
	s_mov_b32 s23, 0
	;; [unrolled: 1-line block ×3, first 2 shown]
                                        ; implicit-def: $vgpr5
                                        ; implicit-def: $vgpr2
	s_and_saveexec_b32 s27, s29
	s_cbranch_execz .LBB114_246
; %bb.117:                              ;   in Loop: Header=BB114_6 Depth=1
	v_dual_mov_b32 v5, 1 :: v_dual_mov_b32 v2, 1
	s_xor_b32 s23, s28, -1
	s_mov_b32 s30, 0
	s_and_saveexec_b32 s15, s23
	s_cbranch_execz .LBB114_126
; %bb.118:                              ;   in Loop: Header=BB114_6 Depth=1
	s_mov_b32 s23, exec_lo
	v_cmpx_ge_u32_e64 s17, v40
	s_xor_b32 s23, exec_lo, s23
	s_cbranch_execz .LBB114_123
; %bb.119:                              ;   in Loop: Header=BB114_6 Depth=1
	ds_load_b32 v2, v17 offset:4096
	v_and_b32_e32 v3, s19, v3
	v_or_b32_e32 v4, s18, v4
	s_wait_dscnt 0x0
	v_cmp_ne_u32_e32 vcc_lo, 0, v2
	s_cbranch_vccnz .LBB114_123
; %bb.120:                              ;   in Loop: Header=BB114_6 Depth=1
	s_and_saveexec_b32 s28, s5
; %bb.121:                              ;   in Loop: Header=BB114_6 Depth=1
	v_mov_b32_e32 v2, s17
	ds_store_b32 v17, v2 offset:4100
; %bb.122:                              ;   in Loop: Header=BB114_6 Depth=1
	s_or_b32 exec_lo, exec_lo, s28
	s_wait_dscnt 0x0
	s_barrier_signal -1
	s_barrier_wait -1
.LBB114_123:                            ;   in Loop: Header=BB114_6 Depth=1
	s_or_saveexec_b32 s23, s23
	v_dual_mov_b32 v2, 8 :: v_dual_mov_b32 v5, v40
	s_mov_b32 s28, 0
	s_xor_b32 exec_lo, exec_lo, s23
; %bb.124:                              ;   in Loop: Header=BB114_6 Depth=1
	v_subrev_nc_u32_e32 v5, s17, v40
	v_mov_b32_e32 v2, 0
	s_mov_b32 s28, exec_lo
; %bb.125:                              ;   in Loop: Header=BB114_6 Depth=1
	s_or_b32 exec_lo, exec_lo, s23
	s_delay_alu instid0(SALU_CYCLE_1)
	s_and_b32 s30, s28, exec_lo
.LBB114_126:                            ;   in Loop: Header=BB114_6 Depth=1
	s_or_b32 exec_lo, exec_lo, s15
	s_mov_b32 s29, -1
                                        ; implicit-def: $sgpr23
                                        ; implicit-def: $sgpr28
	s_and_saveexec_b32 s15, s30
	s_delay_alu instid0(SALU_CYCLE_1)
	s_xor_b32 s15, exec_lo, s15
	s_cbranch_execz .LBB114_243
; %bb.127:                              ;   in Loop: Header=BB114_6 Depth=1
	v_cmp_eq_u32_e32 vcc_lo, 1, v5
	s_cmp_eq_u32 s20, 1
	s_mov_b32 s31, -1
	s_cselect_b32 s23, -1, 0
                                        ; implicit-def: $sgpr28
	s_delay_alu instid0(SALU_CYCLE_1) | instskip(NEXT) | instid1(SALU_CYCLE_1)
	s_and_b32 s30, s23, vcc_lo
                                        ; implicit-def: $sgpr23
	s_and_saveexec_b32 s29, s30
	s_cbranch_execz .LBB114_153
; %bb.128:                              ;   in Loop: Header=BB114_6 Depth=1
	ds_load_b32 v6, v17 offset:4096
	s_wait_dscnt 0x0
	s_barrier_signal -1
	s_barrier_wait -1
	v_readfirstlane_b32 s33, v6
	s_and_saveexec_b32 s23, s6
; %bb.129:                              ;   in Loop: Header=BB114_6 Depth=1
	ds_store_b16 v23, v17
; %bb.130:                              ;   in Loop: Header=BB114_6 Depth=1
	s_or_b32 exec_lo, exec_lo, s23
	s_lshl_b32 s23, 1, s93
	v_or_b32_e32 v4, s18, v4
	v_and_or_b32 v3, v3, s19, s23
	s_mov_b32 s23, -1
	s_mov_b32 s28, 0
	s_cmp_eq_u32 s33, 0
	s_mov_b32 s31, 0
	s_mov_b32 s34, -1
	s_wait_dscnt 0x0
	s_barrier_signal -1
	s_barrier_wait -1
                                        ; implicit-def: $vgpr6
	s_cbranch_scc1 .LBB114_141
; %bb.131:                              ;   in Loop: Header=BB114_6 Depth=1
	s_add_co_i32 s38, s33, s76
                                        ; implicit-def: $vgpr6
	s_delay_alu instid0(SALU_CYCLE_1) | instskip(NEXT) | instid1(SALU_CYCLE_1)
	s_mul_u64 s[40:41], s[38:39], s[64:65]
	s_mul_i32 s31, s41, s47
	s_delay_alu instid0(SALU_CYCLE_1) | instskip(NEXT) | instid1(SALU_CYCLE_1)
	s_sub_co_i32 s31, s38, s31
	s_sub_co_i32 s34, s31, s47
	s_cmp_ge_u32 s31, s47
	s_cselect_b32 s31, s34, s31
	s_delay_alu instid0(SALU_CYCLE_1)
	s_sub_co_i32 s34, s31, s47
	s_cmp_ge_u32 s31, s47
	s_cselect_b32 s31, s34, s31
	s_mov_b32 s34, 0
	s_sub_co_i32 s45, s38, s31
	s_mov_b32 s31, 0
	s_mov_b32 s38, exec_lo
	v_cmpx_gt_u32_e64 s45, v0
	s_cbranch_execz .LBB114_140
; %bb.132:                              ;   in Loop: Header=BB114_6 Depth=1
	v_dual_mov_b32 v6, v22 :: v_dual_mov_b32 v7, v0
                                        ; implicit-def: $sgpr46
	s_branch .LBB114_135
.LBB114_133:                            ;   in Loop: Header=BB114_135 Depth=2
	s_or_b32 exec_lo, exec_lo, s40
	s_wait_dscnt 0x0
	s_barrier_signal -1
	s_barrier_wait -1
	ds_load_b32 v8, v17 offset:3072
	s_mov_b32 s40, -1
	s_mov_b32 s41, -1
	s_wait_dscnt 0x0
	s_barrier_signal -1
	s_barrier_wait -1
	v_and_b32_e32 v9, 0x7fff, v8
	s_delay_alu instid0(VALU_DEP_1)
	v_cmp_ne_u32_e32 vcc_lo, 0, v9
	s_cbranch_vccz .LBB114_138
.LBB114_134:                            ;   in Loop: Header=BB114_135 Depth=2
	s_and_b32 s40, exec_lo, s40
	s_delay_alu instid0(SALU_CYCLE_1) | instskip(SKIP_2) | instid1(SALU_CYCLE_1)
	s_or_b32 s31, s40, s31
	s_and_not1_b32 s40, s46, exec_lo
	s_and_b32 s41, s41, exec_lo
	s_or_b32 s46, s40, s41
	s_and_not1_b32 exec_lo, exec_lo, s31
	s_cbranch_execz .LBB114_139
.LBB114_135:                            ;   Parent Loop BB114_6 Depth=1
                                        ; =>  This Inner Loop Header: Depth=2
	s_mov_b32 s40, exec_lo
	s_delay_alu instid0(VALU_DEP_1)
	v_cmpx_gt_u32_e64 s33, v7
	s_cbranch_execz .LBB114_133
; %bb.136:                              ;   in Loop: Header=BB114_135 Depth=2
	ds_load_u16 v8, v6
	s_wait_dscnt 0x0
	v_cmp_lt_i16_e32 vcc_lo, -1, v8
	v_and_b32_e32 v9, 0xffff, v8
	v_dual_cndmask_b32 v16, 0xffff, v37 :: v_dual_lshlrev_b32 v41, 16, v8
	s_delay_alu instid0(VALU_DEP_1) | instskip(NEXT) | instid1(VALU_DEP_2)
	v_cmp_o_f32_e32 vcc_lo, v41, v41
	v_xor_b32_e32 v9, v16, v9
	s_delay_alu instid0(VALU_DEP_1) | instskip(NEXT) | instid1(VALU_DEP_1)
	v_cndmask_b32_e32 v9, 0xffff, v9, vcc_lo
	v_and_b32_e32 v9, v9, v4
	s_delay_alu instid0(VALU_DEP_1)
	v_cmp_eq_u32_e32 vcc_lo, v9, v3
	s_and_b32 exec_lo, exec_lo, vcc_lo
	s_cbranch_execz .LBB114_133
; %bb.137:                              ;   in Loop: Header=BB114_135 Depth=2
	v_perm_b32 v8, v8, s95, 0x5040100
	ds_store_b32 v17, v8 offset:3072
	s_branch .LBB114_133
.LBB114_138:                            ;   in Loop: Header=BB114_135 Depth=2
	v_dual_add_nc_u32 v7, s47, v7 :: v_dual_add_nc_u32 v6, s92, v6
	s_mov_b32 s41, 0
	s_delay_alu instid0(VALU_DEP_1)
	v_cmp_le_u32_e32 vcc_lo, s45, v7
	s_or_not1_b32 s40, vcc_lo, exec_lo
	s_branch .LBB114_134
.LBB114_139:                            ;   in Loop: Header=BB114_6 Depth=1
	s_or_b32 exec_lo, exec_lo, s31
	v_lshrrev_b32_e32 v6, 16, v8
	s_and_b32 s31, s46, exec_lo
.LBB114_140:                            ;   in Loop: Header=BB114_6 Depth=1
	s_or_b32 exec_lo, exec_lo, s38
.LBB114_141:                            ;   in Loop: Header=BB114_6 Depth=1
	s_delay_alu instid0(SALU_CYCLE_1)
	s_and_b32 vcc_lo, exec_lo, s34
	s_cbranch_vccz .LBB114_152
; %bb.142:                              ;   in Loop: Header=BB114_6 Depth=1
                                        ; implicit-def: $vgpr6
	s_and_saveexec_b32 s23, s13
	s_cbranch_execz .LBB114_151
; %bb.143:                              ;   in Loop: Header=BB114_6 Depth=1
	v_dual_mov_b32 v6, v18 :: v_dual_mov_b32 v7, v0
	s_mov_b32 s28, 0
                                        ; implicit-def: $sgpr33
	s_branch .LBB114_146
.LBB114_144:                            ;   in Loop: Header=BB114_146 Depth=2
	s_or_b32 exec_lo, exec_lo, s34
	s_wait_dscnt 0x0
	s_barrier_signal -1
	s_barrier_wait -1
	ds_load_b32 v8, v17 offset:3072
	s_mov_b32 s34, -1
	s_mov_b32 s38, -1
	s_wait_dscnt 0x0
	s_barrier_signal -1
	s_barrier_wait -1
	v_and_b32_e32 v9, 0x7fff, v8
	s_delay_alu instid0(VALU_DEP_1)
	v_cmp_eq_u32_e32 vcc_lo, 0, v9
	s_cbranch_vccnz .LBB114_149
.LBB114_145:                            ;   in Loop: Header=BB114_146 Depth=2
	s_and_b32 s34, exec_lo, s34
	s_delay_alu instid0(SALU_CYCLE_1) | instskip(SKIP_2) | instid1(SALU_CYCLE_1)
	s_or_b32 s28, s34, s28
	s_and_not1_b32 s33, s33, exec_lo
	s_and_b32 s34, s38, exec_lo
	s_or_b32 s33, s33, s34
	s_and_not1_b32 exec_lo, exec_lo, s28
	s_cbranch_execz .LBB114_150
.LBB114_146:                            ;   Parent Loop BB114_6 Depth=1
                                        ; =>  This Inner Loop Header: Depth=2
	s_mov_b32 s34, exec_lo
	s_delay_alu instid0(VALU_DEP_1)
	v_cmpx_gt_u32_e64 s36, v7
	s_cbranch_execz .LBB114_144
; %bb.147:                              ;   in Loop: Header=BB114_146 Depth=2
	v_readfirstlane_b32 s40, v12
	v_readfirstlane_b32 s41, v13
	global_load_u16 v8, v6, s[40:41] scale_offset
	s_wait_loadcnt 0x0
	v_cmp_lt_i16_e32 vcc_lo, -1, v8
	v_and_b32_e32 v9, 0xffff, v8
	v_dual_cndmask_b32 v16, 0xffff, v37 :: v_dual_lshlrev_b32 v41, 16, v8
	s_delay_alu instid0(VALU_DEP_1) | instskip(NEXT) | instid1(VALU_DEP_2)
	v_cmp_o_f32_e32 vcc_lo, v41, v41
	v_xor_b32_e32 v9, v16, v9
	s_delay_alu instid0(VALU_DEP_1) | instskip(NEXT) | instid1(VALU_DEP_1)
	v_cndmask_b32_e32 v9, 0xffff, v9, vcc_lo
	v_and_b32_e32 v9, v9, v4
	s_delay_alu instid0(VALU_DEP_1)
	v_cmp_eq_u32_e32 vcc_lo, v9, v3
	s_and_b32 exec_lo, exec_lo, vcc_lo
	s_cbranch_execz .LBB114_144
; %bb.148:                              ;   in Loop: Header=BB114_146 Depth=2
	v_perm_b32 v8, v8, s95, 0x5040100
	ds_store_b32 v17, v8 offset:3072
	s_branch .LBB114_144
.LBB114_149:                            ;   in Loop: Header=BB114_146 Depth=2
	v_dual_add_nc_u32 v7, s47, v7 :: v_dual_add_nc_u32 v6, s51, v6
	s_mov_b32 s38, 0
	s_delay_alu instid0(VALU_DEP_1)
	v_cmp_le_u32_e32 vcc_lo, s89, v7
	s_or_not1_b32 s34, vcc_lo, exec_lo
	s_branch .LBB114_145
.LBB114_150:                            ;   in Loop: Header=BB114_6 Depth=1
	s_or_b32 exec_lo, exec_lo, s28
	v_lshrrev_b32_e32 v6, 16, v8
	s_and_not1_b32 s28, s31, exec_lo
	s_and_b32 s31, s33, exec_lo
	s_delay_alu instid0(SALU_CYCLE_1)
	s_or_b32 s31, s28, s31
.LBB114_151:                            ;   in Loop: Header=BB114_6 Depth=1
	s_or_b32 exec_lo, exec_lo, s23
	s_mov_b32 s23, 0
	s_mov_b32 s28, -1
.LBB114_152:                            ;   in Loop: Header=BB114_6 Depth=1
	s_or_not1_b32 s31, s31, exec_lo
.LBB114_153:                            ;   in Loop: Header=BB114_6 Depth=1
	s_or_b32 exec_lo, exec_lo, s29
	s_mov_b32 s33, 0
	s_and_saveexec_b32 s29, s31
	s_cbranch_execz .LBB114_242
; %bb.154:                              ;   in Loop: Header=BB114_6 Depth=1
	v_dual_mov_b32 v7, 1 :: v_dual_mov_b32 v2, 1
	s_xor_b32 s31, s30, -1
	s_mov_b32 s38, 0
	s_and_saveexec_b32 s30, s31
	s_cbranch_execz .LBB114_163
; %bb.155:                              ;   in Loop: Header=BB114_6 Depth=1
	s_mov_b32 s31, exec_lo
	v_cmpx_ge_u32_e64 s20, v5
	s_xor_b32 s31, exec_lo, s31
	s_cbranch_execz .LBB114_160
; %bb.156:                              ;   in Loop: Header=BB114_6 Depth=1
	ds_load_b32 v2, v17 offset:4096
	s_lshl_b32 s33, 1, s93
	v_or_b32_e32 v4, s18, v4
	v_and_or_b32 v3, v3, s19, s33
	s_wait_dscnt 0x0
	v_cmp_ne_u32_e32 vcc_lo, 0, v2
	s_cbranch_vccnz .LBB114_160
; %bb.157:                              ;   in Loop: Header=BB114_6 Depth=1
	s_and_saveexec_b32 s33, s5
; %bb.158:                              ;   in Loop: Header=BB114_6 Depth=1
	v_mov_b32_e32 v2, s20
	ds_store_b32 v17, v2 offset:4100
; %bb.159:                              ;   in Loop: Header=BB114_6 Depth=1
	s_or_b32 exec_lo, exec_lo, s33
	s_wait_dscnt 0x0
	s_barrier_signal -1
	s_barrier_wait -1
.LBB114_160:                            ;   in Loop: Header=BB114_6 Depth=1
	s_or_saveexec_b32 s31, s31
	v_mov_b32_e32 v2, 8
	s_mov_b32 s33, 0
	s_xor_b32 exec_lo, exec_lo, s31
; %bb.161:                              ;   in Loop: Header=BB114_6 Depth=1
	v_subrev_nc_u32_e32 v5, s20, v5
	v_mov_b32_e32 v2, 0
	s_mov_b32 s33, exec_lo
; %bb.162:                              ;   in Loop: Header=BB114_6 Depth=1
	s_or_b32 exec_lo, exec_lo, s31
	s_delay_alu instid0(VALU_DEP_2)
	v_mov_b32_e32 v7, v5
	s_and_b32 s38, s33, exec_lo
.LBB114_163:                            ;   in Loop: Header=BB114_6 Depth=1
	s_or_b32 exec_lo, exec_lo, s30
	s_mov_b32 s34, -1
                                        ; implicit-def: $sgpr31
                                        ; implicit-def: $sgpr33
	s_and_saveexec_b32 s30, s38
	s_cbranch_execz .LBB114_241
; %bb.164:                              ;   in Loop: Header=BB114_6 Depth=1
	v_cmp_eq_u32_e32 vcc_lo, 1, v7
	s_cmp_eq_u32 s21, 1
	s_mov_b32 s38, -1
	s_cselect_b32 s31, -1, 0
                                        ; implicit-def: $sgpr33
	s_delay_alu instid0(SALU_CYCLE_1) | instskip(NEXT) | instid1(SALU_CYCLE_1)
	s_and_b32 s45, s31, vcc_lo
                                        ; implicit-def: $sgpr31
	s_and_saveexec_b32 s34, s45
	s_cbranch_execz .LBB114_190
; %bb.165:                              ;   in Loop: Header=BB114_6 Depth=1
	ds_load_b32 v5, v17 offset:4096
	s_wait_dscnt 0x0
	s_barrier_signal -1
	s_barrier_wait -1
	v_readfirstlane_b32 s46, v5
	s_and_saveexec_b32 s31, s6
; %bb.166:                              ;   in Loop: Header=BB114_6 Depth=1
	ds_store_b16 v23, v17
; %bb.167:                              ;   in Loop: Header=BB114_6 Depth=1
	s_or_b32 exec_lo, exec_lo, s31
	s_lshl_b32 s31, 2, s93
	v_or_b32_e32 v4, s18, v4
	v_and_or_b32 v3, v3, s19, s31
	s_mov_b32 s31, -1
	s_mov_b32 s33, 0
	s_cmp_eq_u32 s46, 0
	s_mov_b32 s38, 0
	s_mov_b32 s56, -1
	s_wait_dscnt 0x0
	s_barrier_signal -1
	s_barrier_wait -1
                                        ; implicit-def: $vgpr6
	s_cbranch_scc1 .LBB114_178
; %bb.168:                              ;   in Loop: Header=BB114_6 Depth=1
	s_add_co_i32 s38, s46, s76
	s_mov_b32 s56, 0
	s_mul_u64 s[40:41], s[38:39], s[64:65]
	s_mov_b32 s57, exec_lo
	s_mul_i32 s40, s41, s47
                                        ; implicit-def: $vgpr6
	s_delay_alu instid0(SALU_CYCLE_1) | instskip(NEXT) | instid1(SALU_CYCLE_1)
	s_sub_co_i32 s40, s38, s40
	s_sub_co_i32 s41, s40, s47
	s_cmp_ge_u32 s40, s47
	s_cselect_b32 s40, s41, s40
	s_delay_alu instid0(SALU_CYCLE_1) | instskip(SKIP_2) | instid1(SALU_CYCLE_1)
	s_sub_co_i32 s41, s40, s47
	s_cmp_ge_u32 s40, s47
	s_cselect_b32 s40, s41, s40
	s_sub_co_i32 s68, s38, s40
	s_mov_b32 s38, 0
	v_cmpx_gt_u32_e64 s68, v0
	s_cbranch_execz .LBB114_177
; %bb.169:                              ;   in Loop: Header=BB114_6 Depth=1
	v_dual_mov_b32 v5, v22 :: v_dual_mov_b32 v6, v0
                                        ; implicit-def: $sgpr58
	s_branch .LBB114_172
.LBB114_170:                            ;   in Loop: Header=BB114_172 Depth=2
	s_or_b32 exec_lo, exec_lo, s59
	s_wait_dscnt 0x0
	s_barrier_signal -1
	s_barrier_wait -1
	ds_load_b32 v8, v17 offset:3072
	s_mov_b32 s40, -1
	s_mov_b32 s41, -1
	s_wait_dscnt 0x0
	s_barrier_signal -1
	s_barrier_wait -1
	v_and_b32_e32 v9, 0x7fff, v8
	s_delay_alu instid0(VALU_DEP_1)
	v_cmp_ne_u32_e32 vcc_lo, 0, v9
	s_cbranch_vccz .LBB114_175
.LBB114_171:                            ;   in Loop: Header=BB114_172 Depth=2
	s_and_b32 s40, exec_lo, s40
	s_delay_alu instid0(SALU_CYCLE_1) | instskip(SKIP_2) | instid1(SALU_CYCLE_1)
	s_or_b32 s38, s40, s38
	s_and_not1_b32 s40, s58, exec_lo
	s_and_b32 s41, s41, exec_lo
	s_or_b32 s58, s40, s41
	s_and_not1_b32 exec_lo, exec_lo, s38
	s_cbranch_execz .LBB114_176
.LBB114_172:                            ;   Parent Loop BB114_6 Depth=1
                                        ; =>  This Inner Loop Header: Depth=2
	s_mov_b32 s59, exec_lo
	s_delay_alu instid0(VALU_DEP_1)
	v_cmpx_gt_u32_e64 s46, v6
	s_cbranch_execz .LBB114_170
; %bb.173:                              ;   in Loop: Header=BB114_172 Depth=2
	ds_load_u16 v8, v5
	s_wait_dscnt 0x0
	v_cmp_lt_i16_e32 vcc_lo, -1, v8
	v_and_b32_e32 v9, 0xffff, v8
	v_dual_cndmask_b32 v16, 0xffff, v37 :: v_dual_lshlrev_b32 v41, 16, v8
	s_delay_alu instid0(VALU_DEP_1) | instskip(NEXT) | instid1(VALU_DEP_2)
	v_cmp_o_f32_e32 vcc_lo, v41, v41
	v_xor_b32_e32 v9, v16, v9
	s_delay_alu instid0(VALU_DEP_1) | instskip(NEXT) | instid1(VALU_DEP_1)
	v_cndmask_b32_e32 v9, 0xffff, v9, vcc_lo
	v_and_b32_e32 v9, v9, v4
	s_delay_alu instid0(VALU_DEP_1)
	v_cmp_eq_u32_e32 vcc_lo, v9, v3
	s_and_b32 exec_lo, exec_lo, vcc_lo
	s_cbranch_execz .LBB114_170
; %bb.174:                              ;   in Loop: Header=BB114_172 Depth=2
	v_perm_b32 v8, v8, s95, 0x5040100
	ds_store_b32 v17, v8 offset:3072
	s_branch .LBB114_170
.LBB114_175:                            ;   in Loop: Header=BB114_172 Depth=2
	v_dual_add_nc_u32 v6, s47, v6 :: v_dual_add_nc_u32 v5, s92, v5
	s_mov_b32 s41, 0
	s_delay_alu instid0(VALU_DEP_1)
	v_cmp_le_u32_e32 vcc_lo, s68, v6
	s_or_not1_b32 s40, vcc_lo, exec_lo
	s_branch .LBB114_171
.LBB114_176:                            ;   in Loop: Header=BB114_6 Depth=1
	s_or_b32 exec_lo, exec_lo, s38
	v_lshrrev_b32_e32 v6, 16, v8
	s_and_b32 s38, s58, exec_lo
.LBB114_177:                            ;   in Loop: Header=BB114_6 Depth=1
	s_or_b32 exec_lo, exec_lo, s57
.LBB114_178:                            ;   in Loop: Header=BB114_6 Depth=1
	s_delay_alu instid0(SALU_CYCLE_1)
	s_and_b32 vcc_lo, exec_lo, s56
	s_cbranch_vccz .LBB114_189
; %bb.179:                              ;   in Loop: Header=BB114_6 Depth=1
                                        ; implicit-def: $vgpr6
	s_and_saveexec_b32 s31, s13
	s_cbranch_execz .LBB114_188
; %bb.180:                              ;   in Loop: Header=BB114_6 Depth=1
	v_dual_mov_b32 v5, v18 :: v_dual_mov_b32 v6, v0
	s_mov_b32 s33, 0
                                        ; implicit-def: $sgpr46
	s_branch .LBB114_183
.LBB114_181:                            ;   in Loop: Header=BB114_183 Depth=2
	s_or_b32 exec_lo, exec_lo, s56
	s_wait_dscnt 0x0
	s_barrier_signal -1
	s_barrier_wait -1
	ds_load_b32 v8, v17 offset:3072
	s_mov_b32 s40, -1
	s_mov_b32 s41, -1
	s_wait_dscnt 0x0
	s_barrier_signal -1
	s_barrier_wait -1
	v_and_b32_e32 v9, 0x7fff, v8
	s_delay_alu instid0(VALU_DEP_1)
	v_cmp_eq_u32_e32 vcc_lo, 0, v9
	s_cbranch_vccnz .LBB114_186
.LBB114_182:                            ;   in Loop: Header=BB114_183 Depth=2
	s_and_b32 s40, exec_lo, s40
	s_delay_alu instid0(SALU_CYCLE_1) | instskip(SKIP_2) | instid1(SALU_CYCLE_1)
	s_or_b32 s33, s40, s33
	s_and_not1_b32 s40, s46, exec_lo
	s_and_b32 s41, s41, exec_lo
	s_or_b32 s46, s40, s41
	s_and_not1_b32 exec_lo, exec_lo, s33
	s_cbranch_execz .LBB114_187
.LBB114_183:                            ;   Parent Loop BB114_6 Depth=1
                                        ; =>  This Inner Loop Header: Depth=2
	s_mov_b32 s56, exec_lo
	s_delay_alu instid0(VALU_DEP_1)
	v_cmpx_gt_u32_e64 s36, v6
	s_cbranch_execz .LBB114_181
; %bb.184:                              ;   in Loop: Header=BB114_183 Depth=2
	v_readfirstlane_b32 s40, v12
	v_readfirstlane_b32 s41, v13
	global_load_u16 v8, v5, s[40:41] scale_offset
	s_wait_loadcnt 0x0
	v_cmp_lt_i16_e32 vcc_lo, -1, v8
	v_and_b32_e32 v9, 0xffff, v8
	v_dual_cndmask_b32 v16, 0xffff, v37 :: v_dual_lshlrev_b32 v41, 16, v8
	s_delay_alu instid0(VALU_DEP_1) | instskip(NEXT) | instid1(VALU_DEP_2)
	v_cmp_o_f32_e32 vcc_lo, v41, v41
	v_xor_b32_e32 v9, v16, v9
	s_delay_alu instid0(VALU_DEP_1) | instskip(NEXT) | instid1(VALU_DEP_1)
	v_cndmask_b32_e32 v9, 0xffff, v9, vcc_lo
	v_and_b32_e32 v9, v9, v4
	s_delay_alu instid0(VALU_DEP_1)
	v_cmp_eq_u32_e32 vcc_lo, v9, v3
	s_and_b32 exec_lo, exec_lo, vcc_lo
	s_cbranch_execz .LBB114_181
; %bb.185:                              ;   in Loop: Header=BB114_183 Depth=2
	v_perm_b32 v8, v8, s95, 0x5040100
	ds_store_b32 v17, v8 offset:3072
	s_branch .LBB114_181
.LBB114_186:                            ;   in Loop: Header=BB114_183 Depth=2
	v_dual_add_nc_u32 v6, s47, v6 :: v_dual_add_nc_u32 v5, s51, v5
	s_mov_b32 s41, 0
	s_delay_alu instid0(VALU_DEP_1)
	v_cmp_le_u32_e32 vcc_lo, s89, v6
	s_or_not1_b32 s40, vcc_lo, exec_lo
	s_branch .LBB114_182
.LBB114_187:                            ;   in Loop: Header=BB114_6 Depth=1
	s_or_b32 exec_lo, exec_lo, s33
	v_lshrrev_b32_e32 v6, 16, v8
	s_and_not1_b32 s33, s38, exec_lo
	s_and_b32 s38, s46, exec_lo
	s_delay_alu instid0(SALU_CYCLE_1)
	s_or_b32 s38, s33, s38
.LBB114_188:                            ;   in Loop: Header=BB114_6 Depth=1
	s_or_b32 exec_lo, exec_lo, s31
	s_mov_b32 s31, 0
	s_mov_b32 s33, -1
.LBB114_189:                            ;   in Loop: Header=BB114_6 Depth=1
	s_or_not1_b32 s38, s38, exec_lo
.LBB114_190:                            ;   in Loop: Header=BB114_6 Depth=1
	s_or_b32 exec_lo, exec_lo, s34
	s_mov_b32 s46, 0
	s_and_saveexec_b32 s34, s38
	s_cbranch_execz .LBB114_240
; %bb.191:                              ;   in Loop: Header=BB114_6 Depth=1
	v_dual_mov_b32 v5, 1 :: v_dual_mov_b32 v2, 1
	s_xor_b32 s41, s45, -1
	s_mov_b32 s40, 0
	s_and_saveexec_b32 s38, s41
	s_cbranch_execz .LBB114_200
; %bb.192:                              ;   in Loop: Header=BB114_6 Depth=1
	s_mov_b32 s40, exec_lo
	v_cmpx_ge_u32_e64 s21, v7
	s_xor_b32 s45, exec_lo, s40
	s_cbranch_execz .LBB114_197
; %bb.193:                              ;   in Loop: Header=BB114_6 Depth=1
	ds_load_b32 v2, v17 offset:4096
	s_lshl_b32 s40, 2, s93
	v_or_b32_e32 v4, s18, v4
	v_and_or_b32 v3, v3, s19, s40
	s_wait_dscnt 0x0
	v_cmp_ne_u32_e32 vcc_lo, 0, v2
	s_cbranch_vccnz .LBB114_197
; %bb.194:                              ;   in Loop: Header=BB114_6 Depth=1
	s_and_saveexec_b32 s40, s5
; %bb.195:                              ;   in Loop: Header=BB114_6 Depth=1
	v_mov_b32_e32 v2, s21
	ds_store_b32 v17, v2 offset:4100
; %bb.196:                              ;   in Loop: Header=BB114_6 Depth=1
	s_or_b32 exec_lo, exec_lo, s40
	s_wait_dscnt 0x0
	s_barrier_signal -1
	s_barrier_wait -1
.LBB114_197:                            ;   in Loop: Header=BB114_6 Depth=1
	s_or_saveexec_b32 s45, s45
	v_mov_b32_e32 v2, 8
	s_mov_b32 s40, 0
	s_xor_b32 exec_lo, exec_lo, s45
; %bb.198:                              ;   in Loop: Header=BB114_6 Depth=1
	v_subrev_nc_u32_e32 v7, s21, v7
	v_mov_b32_e32 v2, 0
	s_mov_b32 s40, exec_lo
; %bb.199:                              ;   in Loop: Header=BB114_6 Depth=1
	s_or_b32 exec_lo, exec_lo, s45
	s_delay_alu instid0(VALU_DEP_2)
	v_mov_b32_e32 v5, v7
	s_and_b32 s40, s40, exec_lo
.LBB114_200:                            ;   in Loop: Header=BB114_6 Depth=1
	s_or_b32 exec_lo, exec_lo, s38
	s_mov_b32 s38, -1
                                        ; implicit-def: $sgpr57
                                        ; implicit-def: $sgpr56
	s_and_saveexec_b32 s45, s40
	s_cbranch_execz .LBB114_239
; %bb.201:                              ;   in Loop: Header=BB114_6 Depth=1
	v_cmp_eq_u32_e32 vcc_lo, 1, v5
	s_cmp_eq_u32 s22, 1
	s_mov_b32 s58, -1
	s_cselect_b32 s38, -1, 0
                                        ; implicit-def: $sgpr57
                                        ; implicit-def: $sgpr56
	s_delay_alu instid0(SALU_CYCLE_1) | instskip(NEXT) | instid1(SALU_CYCLE_1)
	s_and_b32 s46, s38, vcc_lo
	s_and_saveexec_b32 s68, s46
	s_cbranch_execz .LBB114_227
; %bb.202:                              ;   in Loop: Header=BB114_6 Depth=1
	ds_load_b32 v6, v17 offset:4096
	s_wait_dscnt 0x0
	s_barrier_signal -1
	s_barrier_wait -1
	v_readfirstlane_b32 s69, v6
	s_and_saveexec_b32 s38, s6
; %bb.203:                              ;   in Loop: Header=BB114_6 Depth=1
	ds_store_b16 v23, v17
; %bb.204:                              ;   in Loop: Header=BB114_6 Depth=1
	s_or_b32 exec_lo, exec_lo, s38
	v_or_b32_e32 v3, s18, v3
	v_or_b32_e32 v4, s18, v4
	s_mov_b32 s56, -1
	s_mov_b32 s57, 0
	s_cmp_eq_u32 s69, 0
	s_mov_b32 s38, 0
	s_mov_b32 s70, -1
	s_wait_dscnt 0x0
	s_barrier_signal -1
	s_barrier_wait -1
                                        ; implicit-def: $vgpr6
	s_cbranch_scc1 .LBB114_215
; %bb.205:                              ;   in Loop: Header=BB114_6 Depth=1
	s_add_co_i32 s38, s69, s76
	s_mov_b32 s70, 0
	s_mul_u64 s[40:41], s[38:39], s[64:65]
	s_mov_b32 s71, exec_lo
	s_mul_i32 s40, s41, s47
                                        ; implicit-def: $vgpr6
	s_delay_alu instid0(SALU_CYCLE_1) | instskip(NEXT) | instid1(SALU_CYCLE_1)
	s_sub_co_i32 s40, s38, s40
	s_sub_co_i32 s41, s40, s47
	s_cmp_ge_u32 s40, s47
	s_cselect_b32 s40, s41, s40
	s_delay_alu instid0(SALU_CYCLE_1) | instskip(SKIP_2) | instid1(SALU_CYCLE_1)
	s_sub_co_i32 s41, s40, s47
	s_cmp_ge_u32 s40, s47
	s_cselect_b32 s40, s41, s40
	s_sub_co_i32 s58, s38, s40
	s_mov_b32 s38, 0
	v_cmpx_gt_u32_e64 s58, v0
	s_cbranch_execz .LBB114_214
; %bb.206:                              ;   in Loop: Header=BB114_6 Depth=1
	v_dual_mov_b32 v6, v22 :: v_dual_mov_b32 v7, v0
                                        ; implicit-def: $sgpr59
	s_branch .LBB114_209
.LBB114_207:                            ;   in Loop: Header=BB114_209 Depth=2
	s_or_b32 exec_lo, exec_lo, s40
	s_wait_dscnt 0x0
	s_barrier_signal -1
	s_barrier_wait -1
	ds_load_b32 v8, v17 offset:3072
	s_mov_b32 s40, -1
	s_mov_b32 s41, -1
	s_wait_dscnt 0x0
	s_barrier_signal -1
	s_barrier_wait -1
	v_and_b32_e32 v9, 0x7fff, v8
	s_delay_alu instid0(VALU_DEP_1)
	v_cmp_ne_u32_e32 vcc_lo, 0, v9
	s_cbranch_vccz .LBB114_212
.LBB114_208:                            ;   in Loop: Header=BB114_209 Depth=2
	s_and_b32 s40, exec_lo, s40
	s_delay_alu instid0(SALU_CYCLE_1) | instskip(SKIP_2) | instid1(SALU_CYCLE_1)
	s_or_b32 s38, s40, s38
	s_and_not1_b32 s40, s59, exec_lo
	s_and_b32 s41, s41, exec_lo
	s_or_b32 s59, s40, s41
	s_and_not1_b32 exec_lo, exec_lo, s38
	s_cbranch_execz .LBB114_213
.LBB114_209:                            ;   Parent Loop BB114_6 Depth=1
                                        ; =>  This Inner Loop Header: Depth=2
	s_mov_b32 s40, exec_lo
	s_delay_alu instid0(VALU_DEP_1)
	v_cmpx_gt_u32_e64 s69, v7
	s_cbranch_execz .LBB114_207
; %bb.210:                              ;   in Loop: Header=BB114_209 Depth=2
	ds_load_u16 v8, v6
	s_wait_dscnt 0x0
	v_cmp_lt_i16_e32 vcc_lo, -1, v8
	v_and_b32_e32 v9, 0xffff, v8
	v_dual_cndmask_b32 v16, 0xffff, v37 :: v_dual_lshlrev_b32 v41, 16, v8
	s_delay_alu instid0(VALU_DEP_1) | instskip(NEXT) | instid1(VALU_DEP_2)
	v_cmp_o_f32_e32 vcc_lo, v41, v41
	v_xor_b32_e32 v9, v16, v9
	s_delay_alu instid0(VALU_DEP_1) | instskip(NEXT) | instid1(VALU_DEP_1)
	v_cndmask_b32_e32 v9, 0xffff, v9, vcc_lo
	v_and_b32_e32 v9, v9, v4
	s_delay_alu instid0(VALU_DEP_1)
	v_cmp_eq_u32_e32 vcc_lo, v9, v3
	s_and_b32 exec_lo, exec_lo, vcc_lo
	s_cbranch_execz .LBB114_207
; %bb.211:                              ;   in Loop: Header=BB114_209 Depth=2
	v_perm_b32 v8, v8, s95, 0x5040100
	ds_store_b32 v17, v8 offset:3072
	s_branch .LBB114_207
.LBB114_212:                            ;   in Loop: Header=BB114_209 Depth=2
	v_dual_add_nc_u32 v7, s47, v7 :: v_dual_add_nc_u32 v6, s92, v6
	s_mov_b32 s41, 0
	s_delay_alu instid0(VALU_DEP_1)
	v_cmp_le_u32_e32 vcc_lo, s58, v7
	s_or_not1_b32 s40, vcc_lo, exec_lo
	s_branch .LBB114_208
.LBB114_213:                            ;   in Loop: Header=BB114_6 Depth=1
	s_or_b32 exec_lo, exec_lo, s38
	v_lshrrev_b32_e32 v6, 16, v8
	s_and_b32 s38, s59, exec_lo
.LBB114_214:                            ;   in Loop: Header=BB114_6 Depth=1
	s_or_b32 exec_lo, exec_lo, s71
.LBB114_215:                            ;   in Loop: Header=BB114_6 Depth=1
	s_delay_alu instid0(SALU_CYCLE_1)
	s_and_b32 vcc_lo, exec_lo, s70
	s_cbranch_vccz .LBB114_226
; %bb.216:                              ;   in Loop: Header=BB114_6 Depth=1
                                        ; implicit-def: $vgpr6
	s_and_saveexec_b32 s56, s13
	s_cbranch_execz .LBB114_225
; %bb.217:                              ;   in Loop: Header=BB114_6 Depth=1
	v_dual_mov_b32 v6, v18 :: v_dual_mov_b32 v7, v0
	s_mov_b32 s57, 0
                                        ; implicit-def: $sgpr58
	s_branch .LBB114_220
.LBB114_218:                            ;   in Loop: Header=BB114_220 Depth=2
	s_or_b32 exec_lo, exec_lo, s59
	s_wait_dscnt 0x0
	s_barrier_signal -1
	s_barrier_wait -1
	ds_load_b32 v8, v17 offset:3072
	s_mov_b32 s40, -1
	s_mov_b32 s41, -1
	s_wait_dscnt 0x0
	s_barrier_signal -1
	s_barrier_wait -1
	v_and_b32_e32 v9, 0x7fff, v8
	s_delay_alu instid0(VALU_DEP_1)
	v_cmp_eq_u32_e32 vcc_lo, 0, v9
	s_cbranch_vccnz .LBB114_223
.LBB114_219:                            ;   in Loop: Header=BB114_220 Depth=2
	s_and_b32 s40, exec_lo, s40
	s_delay_alu instid0(SALU_CYCLE_1) | instskip(SKIP_2) | instid1(SALU_CYCLE_1)
	s_or_b32 s57, s40, s57
	s_and_not1_b32 s40, s58, exec_lo
	s_and_b32 s41, s41, exec_lo
	s_or_b32 s58, s40, s41
	s_and_not1_b32 exec_lo, exec_lo, s57
	s_cbranch_execz .LBB114_224
.LBB114_220:                            ;   Parent Loop BB114_6 Depth=1
                                        ; =>  This Inner Loop Header: Depth=2
	s_mov_b32 s59, exec_lo
	s_delay_alu instid0(VALU_DEP_1)
	v_cmpx_gt_u32_e64 s36, v7
	s_cbranch_execz .LBB114_218
; %bb.221:                              ;   in Loop: Header=BB114_220 Depth=2
	v_readfirstlane_b32 s40, v12
	v_readfirstlane_b32 s41, v13
	global_load_u16 v8, v6, s[40:41] scale_offset
	s_wait_loadcnt 0x0
	v_cmp_lt_i16_e32 vcc_lo, -1, v8
	v_and_b32_e32 v9, 0xffff, v8
	v_dual_cndmask_b32 v16, 0xffff, v37 :: v_dual_lshlrev_b32 v41, 16, v8
	s_delay_alu instid0(VALU_DEP_1) | instskip(NEXT) | instid1(VALU_DEP_2)
	v_cmp_o_f32_e32 vcc_lo, v41, v41
	v_xor_b32_e32 v9, v16, v9
	s_delay_alu instid0(VALU_DEP_1) | instskip(NEXT) | instid1(VALU_DEP_1)
	v_cndmask_b32_e32 v9, 0xffff, v9, vcc_lo
	v_and_b32_e32 v9, v9, v4
	s_delay_alu instid0(VALU_DEP_1)
	v_cmp_eq_u32_e32 vcc_lo, v9, v3
	s_and_b32 exec_lo, exec_lo, vcc_lo
	s_cbranch_execz .LBB114_218
; %bb.222:                              ;   in Loop: Header=BB114_220 Depth=2
	v_perm_b32 v8, v8, s95, 0x5040100
	ds_store_b32 v17, v8 offset:3072
	s_branch .LBB114_218
.LBB114_223:                            ;   in Loop: Header=BB114_220 Depth=2
	v_dual_add_nc_u32 v7, s47, v7 :: v_dual_add_nc_u32 v6, s51, v6
	s_mov_b32 s41, 0
	s_delay_alu instid0(VALU_DEP_1)
	v_cmp_le_u32_e32 vcc_lo, s89, v7
	s_or_not1_b32 s40, vcc_lo, exec_lo
	s_branch .LBB114_219
.LBB114_224:                            ;   in Loop: Header=BB114_6 Depth=1
	s_or_b32 exec_lo, exec_lo, s57
	v_lshrrev_b32_e32 v6, 16, v8
	s_and_not1_b32 s38, s38, exec_lo
	s_and_b32 s40, s58, exec_lo
	s_delay_alu instid0(SALU_CYCLE_1)
	s_or_b32 s38, s38, s40
.LBB114_225:                            ;   in Loop: Header=BB114_6 Depth=1
	s_or_b32 exec_lo, exec_lo, s56
	s_mov_b32 s56, 0
	s_mov_b32 s57, -1
.LBB114_226:                            ;   in Loop: Header=BB114_6 Depth=1
	s_or_not1_b32 s58, s38, exec_lo
.LBB114_227:                            ;   in Loop: Header=BB114_6 Depth=1
	s_or_b32 exec_lo, exec_lo, s68
	s_mov_b32 s40, 0
	s_and_saveexec_b32 s38, s58
	s_cbranch_execz .LBB114_238
; %bb.228:                              ;   in Loop: Header=BB114_6 Depth=1
	v_dual_mov_b32 v2, 1 :: v_dual_mov_b32 v7, 1
	s_xor_b32 s40, s46, -1
	s_delay_alu instid0(SALU_CYCLE_1)
	s_and_saveexec_b32 s46, s40
	s_cbranch_execz .LBB114_237
; %bb.229:                              ;   in Loop: Header=BB114_6 Depth=1
	s_mov_b32 s40, exec_lo
	v_cmpx_ge_u32_e64 s22, v5
	s_xor_b32 s58, exec_lo, s40
	s_cbranch_execz .LBB114_234
; %bb.230:                              ;   in Loop: Header=BB114_6 Depth=1
	ds_load_b32 v2, v17 offset:4096
	v_or_b32_e32 v3, s18, v3
	v_or_b32_e32 v4, s18, v4
	s_wait_dscnt 0x0
	v_cmp_ne_u32_e32 vcc_lo, 0, v2
	s_cbranch_vccnz .LBB114_234
; %bb.231:                              ;   in Loop: Header=BB114_6 Depth=1
	s_and_saveexec_b32 s40, s5
; %bb.232:                              ;   in Loop: Header=BB114_6 Depth=1
	v_mov_b32_e32 v2, s22
	ds_store_b32 v17, v2 offset:4100
; %bb.233:                              ;   in Loop: Header=BB114_6 Depth=1
	s_or_b32 exec_lo, exec_lo, s40
	s_wait_dscnt 0x0
	s_barrier_signal -1
	s_barrier_wait -1
.LBB114_234:                            ;   in Loop: Header=BB114_6 Depth=1
	s_and_not1_saveexec_b32 s40, s58
; %bb.235:                              ;   in Loop: Header=BB114_6 Depth=1
	v_subrev_nc_u32_e32 v5, s22, v5
; %bb.236:                              ;   in Loop: Header=BB114_6 Depth=1
	s_or_b32 exec_lo, exec_lo, s40
	s_delay_alu instid0(VALU_DEP_1)
	v_dual_mov_b32 v2, 8 :: v_dual_mov_b32 v7, v5
.LBB114_237:                            ;   in Loop: Header=BB114_6 Depth=1
	s_or_b32 exec_lo, exec_lo, s46
	s_delay_alu instid0(VALU_DEP_1)
	v_mov_b32_e32 v5, v7
	s_mov_b32 s40, exec_lo
.LBB114_238:                            ;   in Loop: Header=BB114_6 Depth=1
	s_or_b32 exec_lo, exec_lo, s38
	s_delay_alu instid0(SALU_CYCLE_1)
	s_or_not1_b32 s38, s40, exec_lo
.LBB114_239:                            ;   in Loop: Header=BB114_6 Depth=1
	s_or_b32 exec_lo, exec_lo, s45
	v_mov_b32_e32 v7, v5
	s_and_not1_b32 s33, s33, exec_lo
	s_and_b32 s40, s57, exec_lo
	s_and_not1_b32 s31, s31, exec_lo
	s_and_b32 s41, s56, exec_lo
	s_or_b32 s33, s33, s40
	s_or_b32 s31, s31, s41
	s_and_b32 s46, s38, exec_lo
.LBB114_240:                            ;   in Loop: Header=BB114_6 Depth=1
	s_or_b32 exec_lo, exec_lo, s34
	s_delay_alu instid0(SALU_CYCLE_1)
	s_or_not1_b32 s34, s46, exec_lo
.LBB114_241:                            ;   in Loop: Header=BB114_6 Depth=1
	s_or_b32 exec_lo, exec_lo, s30
	v_mov_b32_e32 v5, v7
	s_and_not1_b32 s28, s28, exec_lo
	s_and_b32 s30, s33, exec_lo
	s_and_not1_b32 s23, s23, exec_lo
	s_and_b32 s31, s31, exec_lo
	s_or_b32 s28, s28, s30
	s_or_b32 s23, s23, s31
	s_and_b32 s33, s34, exec_lo
.LBB114_242:                            ;   in Loop: Header=BB114_6 Depth=1
	s_or_b32 exec_lo, exec_lo, s29
	s_delay_alu instid0(SALU_CYCLE_1)
	s_or_not1_b32 s29, s33, exec_lo
.LBB114_243:                            ;   in Loop: Header=BB114_6 Depth=1
	s_or_b32 exec_lo, exec_lo, s15
	s_mov_b32 s30, 0
	s_mov_b32 s31, 0
	s_and_saveexec_b32 s15, s29
	s_delay_alu instid0(SALU_CYCLE_1)
	s_xor_b32 s29, exec_lo, s15
; %bb.244:                              ;   in Loop: Header=BB114_6 Depth=1
	v_cmp_ne_u32_e32 vcc_lo, 8, v2
	v_cmp_eq_u32_e64 s15, 8, v2
	s_and_b32 s31, vcc_lo, exec_lo
	s_and_b32 s30, s15, exec_lo
; %bb.245:                              ;   in Loop: Header=BB114_6 Depth=1
	s_or_b32 exec_lo, exec_lo, s29
	s_delay_alu instid0(SALU_CYCLE_1)
	s_and_not1_b32 s15, s25, exec_lo
	s_and_b32 s25, s28, exec_lo
	s_and_not1_b32 s24, s24, exec_lo
	s_and_b32 s23, s23, exec_lo
	s_or_b32 s25, s15, s25
	s_or_b32 s24, s24, s23
	s_and_b32 s15, s31, exec_lo
	s_and_b32 s23, s30, exec_lo
.LBB114_246:                            ;   in Loop: Header=BB114_6 Depth=1
	s_or_b32 exec_lo, exec_lo, s27
.LBB114_247:                            ;   in Loop: Header=BB114_6 Depth=1
	s_delay_alu instid0(SALU_CYCLE_1)
	s_and_b32 vcc_lo, exec_lo, s26
	s_cbranch_vccz .LBB114_260
; %bb.248:                              ;   in Loop: Header=BB114_6 Depth=1
	s_cmp_eq_u32 s22, 1
	s_mov_b32 s25, -1
	s_cselect_b32 s16, -1, 0
                                        ; implicit-def: $sgpr26
	s_delay_alu instid0(SALU_CYCLE_1) | instskip(NEXT) | instid1(SALU_CYCLE_1)
	s_and_b32 s14, s16, s14
                                        ; implicit-def: $sgpr16
	s_and_saveexec_b32 s24, s14
	s_cbranch_execz .LBB114_275
; %bb.249:                              ;   in Loop: Header=BB114_6 Depth=1
	ds_load_b32 v2, v17 offset:4096
	s_wait_dscnt 0x0
	s_barrier_signal -1
	s_barrier_wait -1
	v_readfirstlane_b32 s27, v2
	s_and_saveexec_b32 s16, s6
; %bb.250:                              ;   in Loop: Header=BB114_6 Depth=1
	ds_store_b16 v23, v17
; %bb.251:                              ;   in Loop: Header=BB114_6 Depth=1
	s_or_b32 exec_lo, exec_lo, s16
	v_or_b32_e32 v28, s18, v28
	v_or_b32_e32 v38, s18, v38
	s_mov_b32 s16, -1
	s_mov_b32 s26, 0
	s_cmp_eq_u32 s27, 0
	s_mov_b32 s25, 0
	s_mov_b32 s28, -1
	s_wait_dscnt 0x0
	s_barrier_signal -1
	s_barrier_wait -1
                                        ; implicit-def: $vgpr39
	s_cbranch_scc1 .LBB114_263
; %bb.252:                              ;   in Loop: Header=BB114_6 Depth=1
	s_add_co_i32 s38, s27, s76
                                        ; implicit-def: $vgpr39
	s_delay_alu instid0(SALU_CYCLE_1) | instskip(NEXT) | instid1(SALU_CYCLE_1)
	s_mul_u64 s[28:29], s[38:39], s[64:65]
	s_mul_i32 s25, s29, s47
	s_mov_b32 s29, exec_lo
	s_sub_co_i32 s25, s38, s25
	s_delay_alu instid0(SALU_CYCLE_1) | instskip(SKIP_2) | instid1(SALU_CYCLE_1)
	s_sub_co_i32 s28, s25, s47
	s_cmp_ge_u32 s25, s47
	s_cselect_b32 s25, s28, s25
	s_sub_co_i32 s28, s25, s47
	s_cmp_ge_u32 s25, s47
	s_cselect_b32 s25, s28, s25
	s_mov_b32 s28, 0
	s_sub_co_i32 s30, s38, s25
	s_mov_b32 s25, 0
	v_cmpx_gt_u32_e64 s30, v0
	s_cbranch_execz .LBB114_262
; %bb.253:                              ;   in Loop: Header=BB114_6 Depth=1
	v_dual_mov_b32 v2, v22 :: v_dual_mov_b32 v3, v0
                                        ; implicit-def: $sgpr31
	s_branch .LBB114_256
.LBB114_254:                            ;   in Loop: Header=BB114_256 Depth=2
	s_or_b32 exec_lo, exec_lo, s33
	s_wait_dscnt 0x0
	s_barrier_signal -1
	s_barrier_wait -1
	ds_load_b32 v4, v17 offset:3072
	s_mov_b32 s33, -1
	s_mov_b32 s34, -1
	s_wait_dscnt 0x0
	s_barrier_signal -1
	s_barrier_wait -1
	v_and_b32_e32 v5, 0x7fff, v4
	s_delay_alu instid0(VALU_DEP_1)
	v_cmp_ne_u32_e32 vcc_lo, 0, v5
	s_cbranch_vccz .LBB114_259
.LBB114_255:                            ;   in Loop: Header=BB114_256 Depth=2
	s_and_b32 s33, exec_lo, s33
	s_delay_alu instid0(SALU_CYCLE_1) | instskip(SKIP_2) | instid1(SALU_CYCLE_1)
	s_or_b32 s25, s33, s25
	s_and_not1_b32 s31, s31, exec_lo
	s_and_b32 s33, s34, exec_lo
	s_or_b32 s31, s31, s33
	s_and_not1_b32 exec_lo, exec_lo, s25
	s_cbranch_execz .LBB114_261
.LBB114_256:                            ;   Parent Loop BB114_6 Depth=1
                                        ; =>  This Inner Loop Header: Depth=2
	s_mov_b32 s33, exec_lo
	s_delay_alu instid0(VALU_DEP_1)
	v_cmpx_gt_u32_e64 s27, v3
	s_cbranch_execz .LBB114_254
; %bb.257:                              ;   in Loop: Header=BB114_256 Depth=2
	ds_load_u16 v4, v2
	s_wait_dscnt 0x0
	v_cmp_lt_i16_e32 vcc_lo, -1, v4
	v_and_b32_e32 v5, 0xffff, v4
	v_dual_cndmask_b32 v6, 0xffff, v37 :: v_dual_lshlrev_b32 v7, 16, v4
	s_delay_alu instid0(VALU_DEP_1) | instskip(NEXT) | instid1(VALU_DEP_2)
	v_cmp_o_f32_e32 vcc_lo, v7, v7
	v_xor_b32_e32 v5, v6, v5
	s_delay_alu instid0(VALU_DEP_1) | instskip(NEXT) | instid1(VALU_DEP_1)
	v_cndmask_b32_e32 v5, 0xffff, v5, vcc_lo
	v_and_b32_e32 v5, v5, v38
	s_delay_alu instid0(VALU_DEP_1)
	v_cmp_eq_u32_e32 vcc_lo, v5, v28
	s_and_b32 exec_lo, exec_lo, vcc_lo
	s_cbranch_execz .LBB114_254
; %bb.258:                              ;   in Loop: Header=BB114_256 Depth=2
	v_perm_b32 v4, v4, s95, 0x5040100
	ds_store_b32 v17, v4 offset:3072
	s_branch .LBB114_254
.LBB114_259:                            ;   in Loop: Header=BB114_256 Depth=2
	v_dual_add_nc_u32 v3, s47, v3 :: v_dual_add_nc_u32 v2, s92, v2
	s_mov_b32 s34, 0
	s_delay_alu instid0(VALU_DEP_1)
	v_cmp_le_u32_e32 vcc_lo, s30, v3
	s_or_not1_b32 s33, vcc_lo, exec_lo
	s_branch .LBB114_255
.LBB114_260:                            ;   in Loop: Header=BB114_6 Depth=1
	v_dual_mov_b32 v28, v3 :: v_dual_mov_b32 v38, v4
	v_mov_b32_e32 v39, v6
	s_mov_b32 s26, 0
	s_and_saveexec_b32 s14, s23
	s_cbranch_execnz .LBB114_406
	s_branch .LBB114_407
.LBB114_261:                            ;   in Loop: Header=BB114_6 Depth=1
	s_or_b32 exec_lo, exec_lo, s25
	v_lshrrev_b32_e32 v39, 16, v4
	s_and_b32 s25, s31, exec_lo
.LBB114_262:                            ;   in Loop: Header=BB114_6 Depth=1
	s_or_b32 exec_lo, exec_lo, s29
.LBB114_263:                            ;   in Loop: Header=BB114_6 Depth=1
	s_delay_alu instid0(SALU_CYCLE_1)
	s_and_b32 vcc_lo, exec_lo, s28
	s_cbranch_vccz .LBB114_274
; %bb.264:                              ;   in Loop: Header=BB114_6 Depth=1
                                        ; implicit-def: $vgpr39
	s_and_saveexec_b32 s16, s13
	s_cbranch_execz .LBB114_273
; %bb.265:                              ;   in Loop: Header=BB114_6 Depth=1
	v_dual_mov_b32 v2, v18 :: v_dual_mov_b32 v3, v0
	s_mov_b32 s26, 0
                                        ; implicit-def: $sgpr27
	s_branch .LBB114_268
.LBB114_266:                            ;   in Loop: Header=BB114_268 Depth=2
	s_or_b32 exec_lo, exec_lo, s28
	s_wait_dscnt 0x0
	s_barrier_signal -1
	s_barrier_wait -1
	ds_load_b32 v4, v17 offset:3072
	s_mov_b32 s28, -1
	s_mov_b32 s29, -1
	s_wait_dscnt 0x0
	s_barrier_signal -1
	s_barrier_wait -1
	v_and_b32_e32 v5, 0x7fff, v4
	s_delay_alu instid0(VALU_DEP_1)
	v_cmp_ne_u32_e32 vcc_lo, 0, v5
	s_cbranch_vccz .LBB114_271
.LBB114_267:                            ;   in Loop: Header=BB114_268 Depth=2
	s_and_b32 s28, exec_lo, s28
	s_delay_alu instid0(SALU_CYCLE_1) | instskip(SKIP_2) | instid1(SALU_CYCLE_1)
	s_or_b32 s26, s28, s26
	s_and_not1_b32 s27, s27, exec_lo
	s_and_b32 s28, s29, exec_lo
	s_or_b32 s27, s27, s28
	s_and_not1_b32 exec_lo, exec_lo, s26
	s_cbranch_execz .LBB114_272
.LBB114_268:                            ;   Parent Loop BB114_6 Depth=1
                                        ; =>  This Inner Loop Header: Depth=2
	s_mov_b32 s28, exec_lo
	s_delay_alu instid0(VALU_DEP_1)
	v_cmpx_gt_u32_e64 s36, v3
	s_cbranch_execz .LBB114_266
; %bb.269:                              ;   in Loop: Header=BB114_268 Depth=2
	v_readfirstlane_b32 s30, v12
	v_readfirstlane_b32 s31, v13
	global_load_u16 v4, v2, s[30:31] scale_offset
	s_wait_loadcnt 0x0
	v_cmp_lt_i16_e32 vcc_lo, -1, v4
	v_and_b32_e32 v5, 0xffff, v4
	v_dual_cndmask_b32 v6, 0xffff, v37 :: v_dual_lshlrev_b32 v7, 16, v4
	s_delay_alu instid0(VALU_DEP_1) | instskip(NEXT) | instid1(VALU_DEP_2)
	v_cmp_o_f32_e32 vcc_lo, v7, v7
	v_xor_b32_e32 v5, v6, v5
	s_delay_alu instid0(VALU_DEP_1) | instskip(NEXT) | instid1(VALU_DEP_1)
	v_cndmask_b32_e32 v5, 0xffff, v5, vcc_lo
	v_and_b32_e32 v5, v5, v38
	s_delay_alu instid0(VALU_DEP_1)
	v_cmp_eq_u32_e32 vcc_lo, v5, v28
	s_and_b32 exec_lo, exec_lo, vcc_lo
	s_cbranch_execz .LBB114_266
; %bb.270:                              ;   in Loop: Header=BB114_268 Depth=2
	v_perm_b32 v4, v4, s95, 0x5040100
	ds_store_b32 v17, v4 offset:3072
	s_branch .LBB114_266
.LBB114_271:                            ;   in Loop: Header=BB114_268 Depth=2
	v_dual_add_nc_u32 v3, s47, v3 :: v_dual_add_nc_u32 v2, s51, v2
	s_mov_b32 s29, 0
	s_delay_alu instid0(VALU_DEP_1)
	v_cmp_le_u32_e32 vcc_lo, s89, v3
	s_or_not1_b32 s28, vcc_lo, exec_lo
	s_branch .LBB114_267
.LBB114_272:                            ;   in Loop: Header=BB114_6 Depth=1
	s_or_b32 exec_lo, exec_lo, s26
	v_lshrrev_b32_e32 v39, 16, v4
	s_and_not1_b32 s25, s25, exec_lo
	s_and_b32 s26, s27, exec_lo
	s_delay_alu instid0(SALU_CYCLE_1)
	s_or_b32 s25, s25, s26
.LBB114_273:                            ;   in Loop: Header=BB114_6 Depth=1
	s_or_b32 exec_lo, exec_lo, s16
	s_mov_b32 s16, 0
	s_mov_b32 s26, -1
.LBB114_274:                            ;   in Loop: Header=BB114_6 Depth=1
	s_or_not1_b32 s25, s25, exec_lo
.LBB114_275:                            ;   in Loop: Header=BB114_6 Depth=1
	s_or_b32 exec_lo, exec_lo, s24
                                        ; implicit-def: $vgpr5
                                        ; implicit-def: $vgpr2
	s_and_saveexec_b32 s24, s25
	s_cbranch_execz .LBB114_405
; %bb.276:                              ;   in Loop: Header=BB114_6 Depth=1
	v_dual_mov_b32 v5, 1 :: v_dual_mov_b32 v2, 1
	s_xor_b32 s25, s14, -1
	s_mov_b32 s28, 0
	s_and_saveexec_b32 s14, s25
	s_cbranch_execz .LBB114_285
; %bb.277:                              ;   in Loop: Header=BB114_6 Depth=1
	s_mov_b32 s25, exec_lo
	v_cmpx_ge_u32_e64 s22, v40
	s_xor_b32 s25, exec_lo, s25
	s_cbranch_execz .LBB114_282
; %bb.278:                              ;   in Loop: Header=BB114_6 Depth=1
	ds_load_b32 v2, v17 offset:4096
	v_or_b32_e32 v28, s18, v28
	v_or_b32_e32 v38, s18, v38
	s_wait_dscnt 0x0
	v_cmp_ne_u32_e32 vcc_lo, 0, v2
	s_cbranch_vccnz .LBB114_282
; %bb.279:                              ;   in Loop: Header=BB114_6 Depth=1
	s_and_saveexec_b32 s27, s5
; %bb.280:                              ;   in Loop: Header=BB114_6 Depth=1
	v_mov_b32_e32 v2, s22
	ds_store_b32 v17, v2 offset:4100
; %bb.281:                              ;   in Loop: Header=BB114_6 Depth=1
	s_or_b32 exec_lo, exec_lo, s27
	s_wait_dscnt 0x0
	s_barrier_signal -1
	s_barrier_wait -1
.LBB114_282:                            ;   in Loop: Header=BB114_6 Depth=1
	s_or_saveexec_b32 s25, s25
	v_mov_b32_e32 v2, 5
	s_mov_b32 s27, 0
	s_xor_b32 exec_lo, exec_lo, s25
; %bb.283:                              ;   in Loop: Header=BB114_6 Depth=1
	v_subrev_nc_u32_e32 v40, s22, v40
	v_mov_b32_e32 v2, 0
	s_mov_b32 s27, exec_lo
; %bb.284:                              ;   in Loop: Header=BB114_6 Depth=1
	s_or_b32 exec_lo, exec_lo, s25
	s_delay_alu instid0(VALU_DEP_2)
	v_mov_b32_e32 v5, v40
	s_and_b32 s28, s27, exec_lo
.LBB114_285:                            ;   in Loop: Header=BB114_6 Depth=1
	s_or_b32 exec_lo, exec_lo, s14
	s_mov_b32 s27, -1
                                        ; implicit-def: $sgpr22
                                        ; implicit-def: $sgpr25
	s_and_saveexec_b32 s14, s28
	s_delay_alu instid0(SALU_CYCLE_1)
	s_xor_b32 s14, exec_lo, s14
	s_cbranch_execz .LBB114_402
; %bb.286:                              ;   in Loop: Header=BB114_6 Depth=1
	v_cmp_eq_u32_e32 vcc_lo, 1, v5
	s_cmp_eq_u32 s21, 1
	s_mov_b32 s29, -1
	s_cselect_b32 s22, -1, 0
                                        ; implicit-def: $sgpr25
	s_delay_alu instid0(SALU_CYCLE_1) | instskip(NEXT) | instid1(SALU_CYCLE_1)
	s_and_b32 s28, s22, vcc_lo
                                        ; implicit-def: $sgpr22
	s_and_saveexec_b32 s27, s28
	s_cbranch_execz .LBB114_312
; %bb.287:                              ;   in Loop: Header=BB114_6 Depth=1
	ds_load_b32 v3, v17 offset:4096
	s_wait_dscnt 0x0
	s_barrier_signal -1
	s_barrier_wait -1
	v_readfirstlane_b32 s30, v3
	s_and_saveexec_b32 s22, s6
; %bb.288:                              ;   in Loop: Header=BB114_6 Depth=1
	ds_store_b16 v23, v17
; %bb.289:                              ;   in Loop: Header=BB114_6 Depth=1
	s_or_b32 exec_lo, exec_lo, s22
	s_lshl_b32 s22, 2, s93
	v_or_b32_e32 v38, s18, v38
	v_and_or_b32 v28, v28, s19, s22
	s_mov_b32 s22, -1
	s_mov_b32 s25, 0
	s_cmp_eq_u32 s30, 0
	s_mov_b32 s29, 0
	s_mov_b32 s31, -1
	s_wait_dscnt 0x0
	s_barrier_signal -1
	s_barrier_wait -1
                                        ; implicit-def: $vgpr39
	s_cbranch_scc1 .LBB114_300
; %bb.290:                              ;   in Loop: Header=BB114_6 Depth=1
	s_add_co_i32 s38, s30, s76
	s_mov_b32 s33, exec_lo
	s_mul_u64 s[40:41], s[38:39], s[64:65]
                                        ; implicit-def: $vgpr39
	s_delay_alu instid0(SALU_CYCLE_1) | instskip(NEXT) | instid1(SALU_CYCLE_1)
	s_mul_i32 s29, s41, s47
	s_sub_co_i32 s29, s38, s29
	s_delay_alu instid0(SALU_CYCLE_1) | instskip(SKIP_2) | instid1(SALU_CYCLE_1)
	s_sub_co_i32 s31, s29, s47
	s_cmp_ge_u32 s29, s47
	s_cselect_b32 s29, s31, s29
	s_sub_co_i32 s31, s29, s47
	s_cmp_ge_u32 s29, s47
	s_cselect_b32 s29, s31, s29
	s_mov_b32 s31, 0
	s_sub_co_i32 s34, s38, s29
	s_mov_b32 s29, 0
	v_cmpx_gt_u32_e64 s34, v0
	s_cbranch_execz .LBB114_299
; %bb.291:                              ;   in Loop: Header=BB114_6 Depth=1
	v_dual_mov_b32 v3, v22 :: v_dual_mov_b32 v4, v0
                                        ; implicit-def: $sgpr38
	s_branch .LBB114_294
.LBB114_292:                            ;   in Loop: Header=BB114_294 Depth=2
	s_or_b32 exec_lo, exec_lo, s40
	s_wait_dscnt 0x0
	s_barrier_signal -1
	s_barrier_wait -1
	ds_load_b32 v6, v17 offset:3072
	s_mov_b32 s40, -1
	s_mov_b32 s41, -1
	s_wait_dscnt 0x0
	s_barrier_signal -1
	s_barrier_wait -1
	v_and_b32_e32 v7, 0x7fff, v6
	s_delay_alu instid0(VALU_DEP_1)
	v_cmp_ne_u32_e32 vcc_lo, 0, v7
	s_cbranch_vccz .LBB114_297
.LBB114_293:                            ;   in Loop: Header=BB114_294 Depth=2
	s_and_b32 s40, exec_lo, s40
	s_delay_alu instid0(SALU_CYCLE_1) | instskip(SKIP_2) | instid1(SALU_CYCLE_1)
	s_or_b32 s29, s40, s29
	s_and_not1_b32 s38, s38, exec_lo
	s_and_b32 s40, s41, exec_lo
	s_or_b32 s38, s38, s40
	s_and_not1_b32 exec_lo, exec_lo, s29
	s_cbranch_execz .LBB114_298
.LBB114_294:                            ;   Parent Loop BB114_6 Depth=1
                                        ; =>  This Inner Loop Header: Depth=2
	s_mov_b32 s40, exec_lo
	s_delay_alu instid0(VALU_DEP_1)
	v_cmpx_gt_u32_e64 s30, v4
	s_cbranch_execz .LBB114_292
; %bb.295:                              ;   in Loop: Header=BB114_294 Depth=2
	ds_load_u16 v6, v3
	s_wait_dscnt 0x0
	v_cmp_lt_i16_e32 vcc_lo, -1, v6
	v_and_b32_e32 v7, 0xffff, v6
	v_dual_cndmask_b32 v8, 0xffff, v37 :: v_dual_lshlrev_b32 v9, 16, v6
	s_delay_alu instid0(VALU_DEP_1) | instskip(NEXT) | instid1(VALU_DEP_2)
	v_cmp_o_f32_e32 vcc_lo, v9, v9
	v_xor_b32_e32 v7, v8, v7
	s_delay_alu instid0(VALU_DEP_1) | instskip(NEXT) | instid1(VALU_DEP_1)
	v_cndmask_b32_e32 v7, 0xffff, v7, vcc_lo
	v_and_b32_e32 v7, v7, v38
	s_delay_alu instid0(VALU_DEP_1)
	v_cmp_eq_u32_e32 vcc_lo, v7, v28
	s_and_b32 exec_lo, exec_lo, vcc_lo
	s_cbranch_execz .LBB114_292
; %bb.296:                              ;   in Loop: Header=BB114_294 Depth=2
	v_perm_b32 v6, v6, s95, 0x5040100
	ds_store_b32 v17, v6 offset:3072
	s_branch .LBB114_292
.LBB114_297:                            ;   in Loop: Header=BB114_294 Depth=2
	v_dual_add_nc_u32 v4, s47, v4 :: v_dual_add_nc_u32 v3, s92, v3
	s_mov_b32 s41, 0
	s_delay_alu instid0(VALU_DEP_1)
	v_cmp_le_u32_e32 vcc_lo, s34, v4
	s_or_not1_b32 s40, vcc_lo, exec_lo
	s_branch .LBB114_293
.LBB114_298:                            ;   in Loop: Header=BB114_6 Depth=1
	s_or_b32 exec_lo, exec_lo, s29
	v_lshrrev_b32_e32 v39, 16, v6
	s_and_b32 s29, s38, exec_lo
.LBB114_299:                            ;   in Loop: Header=BB114_6 Depth=1
	s_or_b32 exec_lo, exec_lo, s33
.LBB114_300:                            ;   in Loop: Header=BB114_6 Depth=1
	s_delay_alu instid0(SALU_CYCLE_1)
	s_and_b32 vcc_lo, exec_lo, s31
	s_cbranch_vccz .LBB114_311
; %bb.301:                              ;   in Loop: Header=BB114_6 Depth=1
                                        ; implicit-def: $vgpr39
	s_and_saveexec_b32 s22, s13
	s_cbranch_execz .LBB114_310
; %bb.302:                              ;   in Loop: Header=BB114_6 Depth=1
	v_dual_mov_b32 v3, v18 :: v_dual_mov_b32 v4, v0
	s_mov_b32 s25, 0
                                        ; implicit-def: $sgpr30
	s_branch .LBB114_305
.LBB114_303:                            ;   in Loop: Header=BB114_305 Depth=2
	s_or_b32 exec_lo, exec_lo, s31
	s_wait_dscnt 0x0
	s_barrier_signal -1
	s_barrier_wait -1
	ds_load_b32 v6, v17 offset:3072
	s_mov_b32 s31, -1
	s_mov_b32 s33, -1
	s_wait_dscnt 0x0
	s_barrier_signal -1
	s_barrier_wait -1
	v_and_b32_e32 v7, 0x7fff, v6
	s_delay_alu instid0(VALU_DEP_1)
	v_cmp_eq_u32_e32 vcc_lo, 0, v7
	s_cbranch_vccnz .LBB114_308
.LBB114_304:                            ;   in Loop: Header=BB114_305 Depth=2
	s_and_b32 s31, exec_lo, s31
	s_delay_alu instid0(SALU_CYCLE_1) | instskip(SKIP_2) | instid1(SALU_CYCLE_1)
	s_or_b32 s25, s31, s25
	s_and_not1_b32 s30, s30, exec_lo
	s_and_b32 s31, s33, exec_lo
	s_or_b32 s30, s30, s31
	s_and_not1_b32 exec_lo, exec_lo, s25
	s_cbranch_execz .LBB114_309
.LBB114_305:                            ;   Parent Loop BB114_6 Depth=1
                                        ; =>  This Inner Loop Header: Depth=2
	s_mov_b32 s31, exec_lo
	s_delay_alu instid0(VALU_DEP_1)
	v_cmpx_gt_u32_e64 s36, v4
	s_cbranch_execz .LBB114_303
; %bb.306:                              ;   in Loop: Header=BB114_305 Depth=2
	v_readfirstlane_b32 s40, v12
	v_readfirstlane_b32 s41, v13
	global_load_u16 v6, v3, s[40:41] scale_offset
	s_wait_loadcnt 0x0
	v_cmp_lt_i16_e32 vcc_lo, -1, v6
	v_and_b32_e32 v7, 0xffff, v6
	v_dual_cndmask_b32 v8, 0xffff, v37 :: v_dual_lshlrev_b32 v9, 16, v6
	s_delay_alu instid0(VALU_DEP_1) | instskip(NEXT) | instid1(VALU_DEP_2)
	v_cmp_o_f32_e32 vcc_lo, v9, v9
	v_xor_b32_e32 v7, v8, v7
	s_delay_alu instid0(VALU_DEP_1) | instskip(NEXT) | instid1(VALU_DEP_1)
	v_cndmask_b32_e32 v7, 0xffff, v7, vcc_lo
	v_and_b32_e32 v7, v7, v38
	s_delay_alu instid0(VALU_DEP_1)
	v_cmp_eq_u32_e32 vcc_lo, v7, v28
	s_and_b32 exec_lo, exec_lo, vcc_lo
	s_cbranch_execz .LBB114_303
; %bb.307:                              ;   in Loop: Header=BB114_305 Depth=2
	v_perm_b32 v6, v6, s95, 0x5040100
	ds_store_b32 v17, v6 offset:3072
	s_branch .LBB114_303
.LBB114_308:                            ;   in Loop: Header=BB114_305 Depth=2
	v_dual_add_nc_u32 v4, s47, v4 :: v_dual_add_nc_u32 v3, s51, v3
	s_mov_b32 s33, 0
	s_delay_alu instid0(VALU_DEP_1)
	v_cmp_le_u32_e32 vcc_lo, s89, v4
	s_or_not1_b32 s31, vcc_lo, exec_lo
	s_branch .LBB114_304
.LBB114_309:                            ;   in Loop: Header=BB114_6 Depth=1
	s_or_b32 exec_lo, exec_lo, s25
	v_lshrrev_b32_e32 v39, 16, v6
	s_and_not1_b32 s25, s29, exec_lo
	s_and_b32 s29, s30, exec_lo
	s_delay_alu instid0(SALU_CYCLE_1)
	s_or_b32 s29, s25, s29
.LBB114_310:                            ;   in Loop: Header=BB114_6 Depth=1
	s_or_b32 exec_lo, exec_lo, s22
	s_mov_b32 s22, 0
	s_mov_b32 s25, -1
.LBB114_311:                            ;   in Loop: Header=BB114_6 Depth=1
	s_or_not1_b32 s29, s29, exec_lo
.LBB114_312:                            ;   in Loop: Header=BB114_6 Depth=1
	s_or_b32 exec_lo, exec_lo, s27
	s_mov_b32 s30, 0
	s_and_saveexec_b32 s27, s29
	s_cbranch_execz .LBB114_401
; %bb.313:                              ;   in Loop: Header=BB114_6 Depth=1
	v_dual_mov_b32 v3, 1 :: v_dual_mov_b32 v2, 1
	s_xor_b32 s29, s28, -1
	s_mov_b32 s31, 0
	s_and_saveexec_b32 s28, s29
	s_cbranch_execz .LBB114_322
; %bb.314:                              ;   in Loop: Header=BB114_6 Depth=1
	s_mov_b32 s29, exec_lo
	v_cmpx_ge_u32_e64 s21, v5
	s_xor_b32 s29, exec_lo, s29
	s_cbranch_execz .LBB114_319
; %bb.315:                              ;   in Loop: Header=BB114_6 Depth=1
	ds_load_b32 v2, v17 offset:4096
	s_lshl_b32 s30, 2, s93
	v_or_b32_e32 v38, s18, v38
	v_and_or_b32 v28, v28, s19, s30
	s_wait_dscnt 0x0
	v_cmp_ne_u32_e32 vcc_lo, 0, v2
	s_cbranch_vccnz .LBB114_319
; %bb.316:                              ;   in Loop: Header=BB114_6 Depth=1
	s_and_saveexec_b32 s30, s5
; %bb.317:                              ;   in Loop: Header=BB114_6 Depth=1
	v_mov_b32_e32 v2, s21
	ds_store_b32 v17, v2 offset:4100
; %bb.318:                              ;   in Loop: Header=BB114_6 Depth=1
	s_or_b32 exec_lo, exec_lo, s30
	s_wait_dscnt 0x0
	s_barrier_signal -1
	s_barrier_wait -1
.LBB114_319:                            ;   in Loop: Header=BB114_6 Depth=1
	s_or_saveexec_b32 s29, s29
	v_mov_b32_e32 v2, 5
	s_mov_b32 s30, 0
	s_xor_b32 exec_lo, exec_lo, s29
; %bb.320:                              ;   in Loop: Header=BB114_6 Depth=1
	v_subrev_nc_u32_e32 v5, s21, v5
	v_mov_b32_e32 v2, 0
	s_mov_b32 s30, exec_lo
; %bb.321:                              ;   in Loop: Header=BB114_6 Depth=1
	s_or_b32 exec_lo, exec_lo, s29
	s_delay_alu instid0(VALU_DEP_2)
	v_mov_b32_e32 v3, v5
	s_and_b32 s31, s30, exec_lo
.LBB114_322:                            ;   in Loop: Header=BB114_6 Depth=1
	s_or_b32 exec_lo, exec_lo, s28
	s_mov_b32 s30, -1
                                        ; implicit-def: $sgpr28
                                        ; implicit-def: $sgpr29
	s_and_saveexec_b32 s21, s31
	s_cbranch_execz .LBB114_400
; %bb.323:                              ;   in Loop: Header=BB114_6 Depth=1
	v_cmp_eq_u32_e32 vcc_lo, 1, v3
	s_cmp_eq_u32 s20, 1
	s_mov_b32 s33, -1
	s_cselect_b32 s28, -1, 0
                                        ; implicit-def: $sgpr29
	s_delay_alu instid0(SALU_CYCLE_1) | instskip(NEXT) | instid1(SALU_CYCLE_1)
	s_and_b32 s31, s28, vcc_lo
                                        ; implicit-def: $sgpr28
	s_and_saveexec_b32 s30, s31
	s_cbranch_execz .LBB114_349
; %bb.324:                              ;   in Loop: Header=BB114_6 Depth=1
	ds_load_b32 v4, v17 offset:4096
	s_wait_dscnt 0x0
	s_barrier_signal -1
	s_barrier_wait -1
	v_readfirstlane_b32 s34, v4
	s_and_saveexec_b32 s28, s6
; %bb.325:                              ;   in Loop: Header=BB114_6 Depth=1
	ds_store_b16 v23, v17
; %bb.326:                              ;   in Loop: Header=BB114_6 Depth=1
	s_or_b32 exec_lo, exec_lo, s28
	s_lshl_b32 s28, 1, s93
	v_or_b32_e32 v38, s18, v38
	v_and_or_b32 v28, v28, s19, s28
	s_mov_b32 s28, -1
	s_mov_b32 s29, 0
	s_cmp_eq_u32 s34, 0
	s_mov_b32 s33, 0
	s_mov_b32 s38, -1
	s_wait_dscnt 0x0
	s_barrier_signal -1
	s_barrier_wait -1
                                        ; implicit-def: $vgpr39
	s_cbranch_scc1 .LBB114_337
; %bb.327:                              ;   in Loop: Header=BB114_6 Depth=1
	s_add_co_i32 s38, s34, s76
	s_mov_b32 s45, exec_lo
	s_mul_u64 s[40:41], s[38:39], s[64:65]
                                        ; implicit-def: $vgpr39
	s_delay_alu instid0(SALU_CYCLE_1) | instskip(NEXT) | instid1(SALU_CYCLE_1)
	s_mul_i32 s33, s41, s47
	s_sub_co_i32 s33, s38, s33
	s_delay_alu instid0(SALU_CYCLE_1) | instskip(SKIP_2) | instid1(SALU_CYCLE_1)
	s_sub_co_i32 s40, s33, s47
	s_cmp_ge_u32 s33, s47
	s_cselect_b32 s33, s40, s33
	s_sub_co_i32 s40, s33, s47
	s_cmp_ge_u32 s33, s47
	s_cselect_b32 s33, s40, s33
	s_delay_alu instid0(SALU_CYCLE_1)
	s_sub_co_i32 s46, s38, s33
	s_mov_b32 s38, 0
	s_mov_b32 s33, 0
	v_cmpx_gt_u32_e64 s46, v0
	s_cbranch_execz .LBB114_336
; %bb.328:                              ;   in Loop: Header=BB114_6 Depth=1
	v_dual_mov_b32 v4, v22 :: v_dual_mov_b32 v5, v0
                                        ; implicit-def: $sgpr56
	s_branch .LBB114_331
.LBB114_329:                            ;   in Loop: Header=BB114_331 Depth=2
	s_or_b32 exec_lo, exec_lo, s57
	s_wait_dscnt 0x0
	s_barrier_signal -1
	s_barrier_wait -1
	ds_load_b32 v6, v17 offset:3072
	s_mov_b32 s40, -1
	s_mov_b32 s41, -1
	s_wait_dscnt 0x0
	s_barrier_signal -1
	s_barrier_wait -1
	v_and_b32_e32 v7, 0x7fff, v6
	s_delay_alu instid0(VALU_DEP_1)
	v_cmp_ne_u32_e32 vcc_lo, 0, v7
	s_cbranch_vccz .LBB114_334
.LBB114_330:                            ;   in Loop: Header=BB114_331 Depth=2
	s_and_b32 s40, exec_lo, s40
	s_delay_alu instid0(SALU_CYCLE_1) | instskip(SKIP_2) | instid1(SALU_CYCLE_1)
	s_or_b32 s33, s40, s33
	s_and_not1_b32 s40, s56, exec_lo
	s_and_b32 s41, s41, exec_lo
	s_or_b32 s56, s40, s41
	s_and_not1_b32 exec_lo, exec_lo, s33
	s_cbranch_execz .LBB114_335
.LBB114_331:                            ;   Parent Loop BB114_6 Depth=1
                                        ; =>  This Inner Loop Header: Depth=2
	s_mov_b32 s57, exec_lo
	s_delay_alu instid0(VALU_DEP_1)
	v_cmpx_gt_u32_e64 s34, v5
	s_cbranch_execz .LBB114_329
; %bb.332:                              ;   in Loop: Header=BB114_331 Depth=2
	ds_load_u16 v6, v4
	s_wait_dscnt 0x0
	v_cmp_lt_i16_e32 vcc_lo, -1, v6
	v_and_b32_e32 v7, 0xffff, v6
	v_dual_cndmask_b32 v8, 0xffff, v37 :: v_dual_lshlrev_b32 v9, 16, v6
	s_delay_alu instid0(VALU_DEP_1) | instskip(NEXT) | instid1(VALU_DEP_2)
	v_cmp_o_f32_e32 vcc_lo, v9, v9
	v_xor_b32_e32 v7, v8, v7
	s_delay_alu instid0(VALU_DEP_1) | instskip(NEXT) | instid1(VALU_DEP_1)
	v_cndmask_b32_e32 v7, 0xffff, v7, vcc_lo
	v_and_b32_e32 v7, v7, v38
	s_delay_alu instid0(VALU_DEP_1)
	v_cmp_eq_u32_e32 vcc_lo, v7, v28
	s_and_b32 exec_lo, exec_lo, vcc_lo
	s_cbranch_execz .LBB114_329
; %bb.333:                              ;   in Loop: Header=BB114_331 Depth=2
	v_perm_b32 v6, v6, s95, 0x5040100
	ds_store_b32 v17, v6 offset:3072
	s_branch .LBB114_329
.LBB114_334:                            ;   in Loop: Header=BB114_331 Depth=2
	v_dual_add_nc_u32 v5, s47, v5 :: v_dual_add_nc_u32 v4, s92, v4
	s_mov_b32 s41, 0
	s_delay_alu instid0(VALU_DEP_1)
	v_cmp_le_u32_e32 vcc_lo, s46, v5
	s_or_not1_b32 s40, vcc_lo, exec_lo
	s_branch .LBB114_330
.LBB114_335:                            ;   in Loop: Header=BB114_6 Depth=1
	s_or_b32 exec_lo, exec_lo, s33
	v_lshrrev_b32_e32 v39, 16, v6
	s_and_b32 s33, s56, exec_lo
.LBB114_336:                            ;   in Loop: Header=BB114_6 Depth=1
	s_or_b32 exec_lo, exec_lo, s45
.LBB114_337:                            ;   in Loop: Header=BB114_6 Depth=1
	s_delay_alu instid0(SALU_CYCLE_1)
	s_and_b32 vcc_lo, exec_lo, s38
	s_cbranch_vccz .LBB114_348
; %bb.338:                              ;   in Loop: Header=BB114_6 Depth=1
                                        ; implicit-def: $vgpr39
	s_and_saveexec_b32 s28, s13
	s_cbranch_execz .LBB114_347
; %bb.339:                              ;   in Loop: Header=BB114_6 Depth=1
	v_dual_mov_b32 v4, v18 :: v_dual_mov_b32 v5, v0
	s_mov_b32 s29, 0
                                        ; implicit-def: $sgpr34
	s_branch .LBB114_342
.LBB114_340:                            ;   in Loop: Header=BB114_342 Depth=2
	s_or_b32 exec_lo, exec_lo, s38
	s_wait_dscnt 0x0
	s_barrier_signal -1
	s_barrier_wait -1
	ds_load_b32 v6, v17 offset:3072
	s_mov_b32 s38, -1
	s_mov_b32 s40, -1
	s_wait_dscnt 0x0
	s_barrier_signal -1
	s_barrier_wait -1
	v_and_b32_e32 v7, 0x7fff, v6
	s_delay_alu instid0(VALU_DEP_1)
	v_cmp_eq_u32_e32 vcc_lo, 0, v7
	s_cbranch_vccnz .LBB114_345
.LBB114_341:                            ;   in Loop: Header=BB114_342 Depth=2
	s_and_b32 s38, exec_lo, s38
	s_delay_alu instid0(SALU_CYCLE_1) | instskip(SKIP_2) | instid1(SALU_CYCLE_1)
	s_or_b32 s29, s38, s29
	s_and_not1_b32 s34, s34, exec_lo
	s_and_b32 s38, s40, exec_lo
	s_or_b32 s34, s34, s38
	s_and_not1_b32 exec_lo, exec_lo, s29
	s_cbranch_execz .LBB114_346
.LBB114_342:                            ;   Parent Loop BB114_6 Depth=1
                                        ; =>  This Inner Loop Header: Depth=2
	s_mov_b32 s38, exec_lo
	s_delay_alu instid0(VALU_DEP_1)
	v_cmpx_gt_u32_e64 s36, v5
	s_cbranch_execz .LBB114_340
; %bb.343:                              ;   in Loop: Header=BB114_342 Depth=2
	v_readfirstlane_b32 s40, v12
	v_readfirstlane_b32 s41, v13
	global_load_u16 v6, v4, s[40:41] scale_offset
	s_wait_loadcnt 0x0
	v_cmp_lt_i16_e32 vcc_lo, -1, v6
	v_and_b32_e32 v7, 0xffff, v6
	v_dual_cndmask_b32 v8, 0xffff, v37 :: v_dual_lshlrev_b32 v9, 16, v6
	s_delay_alu instid0(VALU_DEP_1) | instskip(NEXT) | instid1(VALU_DEP_2)
	v_cmp_o_f32_e32 vcc_lo, v9, v9
	v_xor_b32_e32 v7, v8, v7
	s_delay_alu instid0(VALU_DEP_1) | instskip(NEXT) | instid1(VALU_DEP_1)
	v_cndmask_b32_e32 v7, 0xffff, v7, vcc_lo
	v_and_b32_e32 v7, v7, v38
	s_delay_alu instid0(VALU_DEP_1)
	v_cmp_eq_u32_e32 vcc_lo, v7, v28
	s_and_b32 exec_lo, exec_lo, vcc_lo
	s_cbranch_execz .LBB114_340
; %bb.344:                              ;   in Loop: Header=BB114_342 Depth=2
	v_perm_b32 v6, v6, s95, 0x5040100
	ds_store_b32 v17, v6 offset:3072
	s_branch .LBB114_340
.LBB114_345:                            ;   in Loop: Header=BB114_342 Depth=2
	v_dual_add_nc_u32 v5, s47, v5 :: v_dual_add_nc_u32 v4, s51, v4
	s_mov_b32 s40, 0
	s_delay_alu instid0(VALU_DEP_1)
	v_cmp_le_u32_e32 vcc_lo, s89, v5
	s_or_not1_b32 s38, vcc_lo, exec_lo
	s_branch .LBB114_341
.LBB114_346:                            ;   in Loop: Header=BB114_6 Depth=1
	s_or_b32 exec_lo, exec_lo, s29
	v_lshrrev_b32_e32 v39, 16, v6
	s_and_not1_b32 s29, s33, exec_lo
	s_and_b32 s33, s34, exec_lo
	s_delay_alu instid0(SALU_CYCLE_1)
	s_or_b32 s33, s29, s33
.LBB114_347:                            ;   in Loop: Header=BB114_6 Depth=1
	s_or_b32 exec_lo, exec_lo, s28
	s_mov_b32 s28, 0
	s_mov_b32 s29, -1
.LBB114_348:                            ;   in Loop: Header=BB114_6 Depth=1
	s_or_not1_b32 s33, s33, exec_lo
.LBB114_349:                            ;   in Loop: Header=BB114_6 Depth=1
	s_or_b32 exec_lo, exec_lo, s30
	s_mov_b32 s34, 0
	s_and_saveexec_b32 s30, s33
	s_cbranch_execz .LBB114_399
; %bb.350:                              ;   in Loop: Header=BB114_6 Depth=1
	v_dual_mov_b32 v4, 1 :: v_dual_mov_b32 v2, 1
	s_xor_b32 s33, s31, -1
	s_mov_b32 s38, 0
	s_and_saveexec_b32 s31, s33
	s_cbranch_execz .LBB114_359
; %bb.351:                              ;   in Loop: Header=BB114_6 Depth=1
	s_mov_b32 s33, exec_lo
	v_cmpx_ge_u32_e64 s20, v3
	s_xor_b32 s33, exec_lo, s33
	s_cbranch_execz .LBB114_356
; %bb.352:                              ;   in Loop: Header=BB114_6 Depth=1
	ds_load_b32 v2, v17 offset:4096
	s_lshl_b32 s34, 1, s93
	v_or_b32_e32 v38, s18, v38
	v_and_or_b32 v28, v28, s19, s34
	s_wait_dscnt 0x0
	v_cmp_ne_u32_e32 vcc_lo, 0, v2
	s_cbranch_vccnz .LBB114_356
; %bb.353:                              ;   in Loop: Header=BB114_6 Depth=1
	s_and_saveexec_b32 s34, s5
; %bb.354:                              ;   in Loop: Header=BB114_6 Depth=1
	v_mov_b32_e32 v2, s20
	ds_store_b32 v17, v2 offset:4100
; %bb.355:                              ;   in Loop: Header=BB114_6 Depth=1
	s_or_b32 exec_lo, exec_lo, s34
	s_wait_dscnt 0x0
	s_barrier_signal -1
	s_barrier_wait -1
.LBB114_356:                            ;   in Loop: Header=BB114_6 Depth=1
	s_or_saveexec_b32 s33, s33
	v_mov_b32_e32 v2, 5
	s_mov_b32 s34, 0
	s_xor_b32 exec_lo, exec_lo, s33
; %bb.357:                              ;   in Loop: Header=BB114_6 Depth=1
	v_subrev_nc_u32_e32 v3, s20, v3
	v_mov_b32_e32 v2, 0
	s_mov_b32 s34, exec_lo
; %bb.358:                              ;   in Loop: Header=BB114_6 Depth=1
	s_or_b32 exec_lo, exec_lo, s33
	s_delay_alu instid0(VALU_DEP_2)
	v_mov_b32_e32 v4, v3
	s_and_b32 s38, s34, exec_lo
.LBB114_359:                            ;   in Loop: Header=BB114_6 Depth=1
	s_or_b32 exec_lo, exec_lo, s31
	s_mov_b32 s31, -1
                                        ; implicit-def: $sgpr34
                                        ; implicit-def: $sgpr33
	s_and_saveexec_b32 s20, s38
	s_cbranch_execz .LBB114_398
; %bb.360:                              ;   in Loop: Header=BB114_6 Depth=1
	v_cmp_eq_u32_e32 vcc_lo, 1, v4
	s_cmp_eq_u32 s17, 1
	s_mov_b32 s46, -1
	s_cselect_b32 s31, -1, 0
                                        ; implicit-def: $sgpr34
                                        ; implicit-def: $sgpr33
	s_delay_alu instid0(SALU_CYCLE_1) | instskip(NEXT) | instid1(SALU_CYCLE_1)
	s_and_b32 s31, s31, vcc_lo
	s_and_saveexec_b32 s45, s31
	s_cbranch_execz .LBB114_386
; %bb.361:                              ;   in Loop: Header=BB114_6 Depth=1
	ds_load_b32 v3, v17 offset:4096
	s_wait_dscnt 0x0
	s_barrier_signal -1
	s_barrier_wait -1
	v_readfirstlane_b32 s46, v3
	s_and_saveexec_b32 s33, s6
; %bb.362:                              ;   in Loop: Header=BB114_6 Depth=1
	ds_store_b16 v23, v17
; %bb.363:                              ;   in Loop: Header=BB114_6 Depth=1
	s_or_b32 exec_lo, exec_lo, s33
	v_and_b32_e32 v28, s19, v28
	v_or_b32_e32 v38, s18, v38
	s_mov_b32 s33, -1
	s_mov_b32 s34, 0
	s_cmp_eq_u32 s46, 0
	s_mov_b32 s38, 0
	s_mov_b32 s56, -1
	s_wait_dscnt 0x0
	s_barrier_signal -1
	s_barrier_wait -1
                                        ; implicit-def: $vgpr39
	s_cbranch_scc1 .LBB114_374
; %bb.364:                              ;   in Loop: Header=BB114_6 Depth=1
	s_add_co_i32 s38, s46, s76
	s_mov_b32 s56, 0
	s_mul_u64 s[40:41], s[38:39], s[64:65]
	s_mov_b32 s57, exec_lo
	s_mul_i32 s40, s41, s47
                                        ; implicit-def: $vgpr39
	s_delay_alu instid0(SALU_CYCLE_1) | instskip(NEXT) | instid1(SALU_CYCLE_1)
	s_sub_co_i32 s40, s38, s40
	s_sub_co_i32 s41, s40, s47
	s_cmp_ge_u32 s40, s47
	s_cselect_b32 s40, s41, s40
	s_delay_alu instid0(SALU_CYCLE_1) | instskip(SKIP_2) | instid1(SALU_CYCLE_1)
	s_sub_co_i32 s41, s40, s47
	s_cmp_ge_u32 s40, s47
	s_cselect_b32 s40, s41, s40
	s_sub_co_i32 s68, s38, s40
	s_mov_b32 s38, 0
	v_cmpx_gt_u32_e64 s68, v0
	s_cbranch_execz .LBB114_373
; %bb.365:                              ;   in Loop: Header=BB114_6 Depth=1
	v_dual_mov_b32 v3, v22 :: v_dual_mov_b32 v5, v0
                                        ; implicit-def: $sgpr58
	s_branch .LBB114_368
.LBB114_366:                            ;   in Loop: Header=BB114_368 Depth=2
	s_or_b32 exec_lo, exec_lo, s59
	s_wait_dscnt 0x0
	s_barrier_signal -1
	s_barrier_wait -1
	ds_load_b32 v6, v17 offset:3072
	s_mov_b32 s40, -1
	s_mov_b32 s41, -1
	s_wait_dscnt 0x0
	s_barrier_signal -1
	s_barrier_wait -1
	v_and_b32_e32 v7, 0x7fff, v6
	s_delay_alu instid0(VALU_DEP_1)
	v_cmp_ne_u32_e32 vcc_lo, 0, v7
	s_cbranch_vccz .LBB114_371
.LBB114_367:                            ;   in Loop: Header=BB114_368 Depth=2
	s_and_b32 s40, exec_lo, s40
	s_delay_alu instid0(SALU_CYCLE_1) | instskip(SKIP_2) | instid1(SALU_CYCLE_1)
	s_or_b32 s38, s40, s38
	s_and_not1_b32 s40, s58, exec_lo
	s_and_b32 s41, s41, exec_lo
	s_or_b32 s58, s40, s41
	s_and_not1_b32 exec_lo, exec_lo, s38
	s_cbranch_execz .LBB114_372
.LBB114_368:                            ;   Parent Loop BB114_6 Depth=1
                                        ; =>  This Inner Loop Header: Depth=2
	s_mov_b32 s59, exec_lo
	s_delay_alu instid0(VALU_DEP_1)
	v_cmpx_gt_u32_e64 s46, v5
	s_cbranch_execz .LBB114_366
; %bb.369:                              ;   in Loop: Header=BB114_368 Depth=2
	ds_load_u16 v6, v3
	s_wait_dscnt 0x0
	v_cmp_lt_i16_e32 vcc_lo, -1, v6
	v_and_b32_e32 v7, 0xffff, v6
	v_dual_cndmask_b32 v8, 0xffff, v37 :: v_dual_lshlrev_b32 v9, 16, v6
	s_delay_alu instid0(VALU_DEP_1) | instskip(NEXT) | instid1(VALU_DEP_2)
	v_cmp_o_f32_e32 vcc_lo, v9, v9
	v_xor_b32_e32 v7, v8, v7
	s_delay_alu instid0(VALU_DEP_1) | instskip(NEXT) | instid1(VALU_DEP_1)
	v_cndmask_b32_e32 v7, 0xffff, v7, vcc_lo
	v_and_b32_e32 v7, v7, v38
	s_delay_alu instid0(VALU_DEP_1)
	v_cmp_eq_u32_e32 vcc_lo, v7, v28
	s_and_b32 exec_lo, exec_lo, vcc_lo
	s_cbranch_execz .LBB114_366
; %bb.370:                              ;   in Loop: Header=BB114_368 Depth=2
	v_perm_b32 v6, v6, s95, 0x5040100
	ds_store_b32 v17, v6 offset:3072
	s_branch .LBB114_366
.LBB114_371:                            ;   in Loop: Header=BB114_368 Depth=2
	v_dual_add_nc_u32 v5, s47, v5 :: v_dual_add_nc_u32 v3, s92, v3
	s_mov_b32 s41, 0
	s_delay_alu instid0(VALU_DEP_1)
	v_cmp_le_u32_e32 vcc_lo, s68, v5
	s_or_not1_b32 s40, vcc_lo, exec_lo
	s_branch .LBB114_367
.LBB114_372:                            ;   in Loop: Header=BB114_6 Depth=1
	s_or_b32 exec_lo, exec_lo, s38
	v_lshrrev_b32_e32 v39, 16, v6
	s_and_b32 s38, s58, exec_lo
.LBB114_373:                            ;   in Loop: Header=BB114_6 Depth=1
	s_or_b32 exec_lo, exec_lo, s57
.LBB114_374:                            ;   in Loop: Header=BB114_6 Depth=1
	s_delay_alu instid0(SALU_CYCLE_1)
	s_and_b32 vcc_lo, exec_lo, s56
	s_cbranch_vccz .LBB114_385
; %bb.375:                              ;   in Loop: Header=BB114_6 Depth=1
                                        ; implicit-def: $vgpr39
	s_and_saveexec_b32 s33, s13
	s_cbranch_execz .LBB114_384
; %bb.376:                              ;   in Loop: Header=BB114_6 Depth=1
	v_dual_mov_b32 v3, v18 :: v_dual_mov_b32 v5, v0
	s_mov_b32 s34, 0
                                        ; implicit-def: $sgpr46
	s_branch .LBB114_379
.LBB114_377:                            ;   in Loop: Header=BB114_379 Depth=2
	s_or_b32 exec_lo, exec_lo, s56
	s_wait_dscnt 0x0
	s_barrier_signal -1
	s_barrier_wait -1
	ds_load_b32 v6, v17 offset:3072
	s_mov_b32 s40, -1
	s_mov_b32 s41, -1
	s_wait_dscnt 0x0
	s_barrier_signal -1
	s_barrier_wait -1
	v_and_b32_e32 v7, 0x7fff, v6
	s_delay_alu instid0(VALU_DEP_1)
	v_cmp_eq_u32_e32 vcc_lo, 0, v7
	s_cbranch_vccnz .LBB114_382
.LBB114_378:                            ;   in Loop: Header=BB114_379 Depth=2
	s_and_b32 s40, exec_lo, s40
	s_delay_alu instid0(SALU_CYCLE_1) | instskip(SKIP_2) | instid1(SALU_CYCLE_1)
	s_or_b32 s34, s40, s34
	s_and_not1_b32 s40, s46, exec_lo
	s_and_b32 s41, s41, exec_lo
	s_or_b32 s46, s40, s41
	s_and_not1_b32 exec_lo, exec_lo, s34
	s_cbranch_execz .LBB114_383
.LBB114_379:                            ;   Parent Loop BB114_6 Depth=1
                                        ; =>  This Inner Loop Header: Depth=2
	s_mov_b32 s56, exec_lo
	s_delay_alu instid0(VALU_DEP_1)
	v_cmpx_gt_u32_e64 s36, v5
	s_cbranch_execz .LBB114_377
; %bb.380:                              ;   in Loop: Header=BB114_379 Depth=2
	v_readfirstlane_b32 s40, v12
	v_readfirstlane_b32 s41, v13
	global_load_u16 v6, v3, s[40:41] scale_offset
	s_wait_loadcnt 0x0
	v_cmp_lt_i16_e32 vcc_lo, -1, v6
	v_and_b32_e32 v7, 0xffff, v6
	v_dual_cndmask_b32 v8, 0xffff, v37 :: v_dual_lshlrev_b32 v9, 16, v6
	s_delay_alu instid0(VALU_DEP_1) | instskip(NEXT) | instid1(VALU_DEP_2)
	v_cmp_o_f32_e32 vcc_lo, v9, v9
	v_xor_b32_e32 v7, v8, v7
	s_delay_alu instid0(VALU_DEP_1) | instskip(NEXT) | instid1(VALU_DEP_1)
	v_cndmask_b32_e32 v7, 0xffff, v7, vcc_lo
	v_and_b32_e32 v7, v7, v38
	s_delay_alu instid0(VALU_DEP_1)
	v_cmp_eq_u32_e32 vcc_lo, v7, v28
	s_and_b32 exec_lo, exec_lo, vcc_lo
	s_cbranch_execz .LBB114_377
; %bb.381:                              ;   in Loop: Header=BB114_379 Depth=2
	v_perm_b32 v6, v6, s95, 0x5040100
	ds_store_b32 v17, v6 offset:3072
	s_branch .LBB114_377
.LBB114_382:                            ;   in Loop: Header=BB114_379 Depth=2
	v_dual_add_nc_u32 v5, s47, v5 :: v_dual_add_nc_u32 v3, s51, v3
	s_mov_b32 s41, 0
	s_delay_alu instid0(VALU_DEP_1)
	v_cmp_le_u32_e32 vcc_lo, s89, v5
	s_or_not1_b32 s40, vcc_lo, exec_lo
	s_branch .LBB114_378
.LBB114_383:                            ;   in Loop: Header=BB114_6 Depth=1
	s_or_b32 exec_lo, exec_lo, s34
	v_lshrrev_b32_e32 v39, 16, v6
	s_and_not1_b32 s34, s38, exec_lo
	s_and_b32 s38, s46, exec_lo
	s_delay_alu instid0(SALU_CYCLE_1)
	s_or_b32 s38, s34, s38
.LBB114_384:                            ;   in Loop: Header=BB114_6 Depth=1
	s_or_b32 exec_lo, exec_lo, s33
	s_mov_b32 s33, 0
	s_mov_b32 s34, -1
.LBB114_385:                            ;   in Loop: Header=BB114_6 Depth=1
	s_or_not1_b32 s46, s38, exec_lo
.LBB114_386:                            ;   in Loop: Header=BB114_6 Depth=1
	s_or_b32 exec_lo, exec_lo, s45
	s_mov_b32 s40, 0
	s_and_saveexec_b32 s38, s46
	s_cbranch_execz .LBB114_397
; %bb.387:                              ;   in Loop: Header=BB114_6 Depth=1
	v_dual_mov_b32 v2, 1 :: v_dual_mov_b32 v3, 1
	s_xor_b32 s40, s31, -1
	s_delay_alu instid0(SALU_CYCLE_1)
	s_and_saveexec_b32 s31, s40
	s_cbranch_execz .LBB114_396
; %bb.388:                              ;   in Loop: Header=BB114_6 Depth=1
	s_mov_b32 s40, exec_lo
	v_cmpx_ge_u32_e64 s17, v4
	s_xor_b32 s45, exec_lo, s40
	s_cbranch_execz .LBB114_393
; %bb.389:                              ;   in Loop: Header=BB114_6 Depth=1
	ds_load_b32 v2, v17 offset:4096
	v_and_b32_e32 v28, s19, v28
	v_or_b32_e32 v38, s18, v38
	s_wait_dscnt 0x0
	v_cmp_ne_u32_e32 vcc_lo, 0, v2
	s_cbranch_vccnz .LBB114_393
; %bb.390:                              ;   in Loop: Header=BB114_6 Depth=1
	s_and_saveexec_b32 s18, s5
; %bb.391:                              ;   in Loop: Header=BB114_6 Depth=1
	v_mov_b32_e32 v2, s17
	ds_store_b32 v17, v2 offset:4100
; %bb.392:                              ;   in Loop: Header=BB114_6 Depth=1
	s_or_b32 exec_lo, exec_lo, s18
	s_wait_dscnt 0x0
	s_barrier_signal -1
	s_barrier_wait -1
.LBB114_393:                            ;   in Loop: Header=BB114_6 Depth=1
	s_and_not1_saveexec_b32 s18, s45
; %bb.394:                              ;   in Loop: Header=BB114_6 Depth=1
	v_subrev_nc_u32_e32 v4, s17, v4
; %bb.395:                              ;   in Loop: Header=BB114_6 Depth=1
	s_or_b32 exec_lo, exec_lo, s18
	s_delay_alu instid0(VALU_DEP_1)
	v_dual_mov_b32 v2, 5 :: v_dual_mov_b32 v3, v4
.LBB114_396:                            ;   in Loop: Header=BB114_6 Depth=1
	s_or_b32 exec_lo, exec_lo, s31
	s_delay_alu instid0(VALU_DEP_1)
	v_mov_b32_e32 v4, v3
	s_mov_b32 s40, exec_lo
.LBB114_397:                            ;   in Loop: Header=BB114_6 Depth=1
	s_or_b32 exec_lo, exec_lo, s38
	s_delay_alu instid0(SALU_CYCLE_1)
	s_or_not1_b32 s31, s40, exec_lo
.LBB114_398:                            ;   in Loop: Header=BB114_6 Depth=1
	s_or_b32 exec_lo, exec_lo, s20
	v_mov_b32_e32 v3, v4
	s_and_not1_b32 s17, s29, exec_lo
	s_and_b32 s18, s34, exec_lo
	s_and_not1_b32 s19, s28, exec_lo
	s_and_b32 s20, s33, exec_lo
	s_or_b32 s29, s17, s18
	s_or_b32 s28, s19, s20
	s_and_b32 s34, s31, exec_lo
.LBB114_399:                            ;   in Loop: Header=BB114_6 Depth=1
	s_or_b32 exec_lo, exec_lo, s30
	s_delay_alu instid0(SALU_CYCLE_1)
	s_or_not1_b32 s30, s34, exec_lo
.LBB114_400:                            ;   in Loop: Header=BB114_6 Depth=1
	s_or_b32 exec_lo, exec_lo, s21
	v_mov_b32_e32 v5, v3
	s_and_not1_b32 s17, s25, exec_lo
	s_and_b32 s18, s29, exec_lo
	s_and_not1_b32 s19, s22, exec_lo
	s_and_b32 s20, s28, exec_lo
	s_or_b32 s25, s17, s18
	s_or_b32 s22, s19, s20
	s_and_b32 s30, s30, exec_lo
.LBB114_401:                            ;   in Loop: Header=BB114_6 Depth=1
	s_or_b32 exec_lo, exec_lo, s27
	s_delay_alu instid0(SALU_CYCLE_1)
	s_or_not1_b32 s27, s30, exec_lo
.LBB114_402:                            ;   in Loop: Header=BB114_6 Depth=1
	s_or_b32 exec_lo, exec_lo, s14
	s_mov_b32 s14, s23
	s_mov_b32 s17, s15
	s_and_saveexec_b32 s18, s27
; %bb.403:                              ;   in Loop: Header=BB114_6 Depth=1
	v_cmp_ne_u32_e32 vcc_lo, 5, v2
	v_cmp_eq_u32_e64 s14, 5, v2
	s_and_not1_b32 s17, s15, exec_lo
	s_and_not1_b32 s19, s23, exec_lo
	s_and_b32 s20, vcc_lo, exec_lo
	s_and_b32 s14, s14, exec_lo
	s_or_b32 s17, s17, s20
	s_or_b32 s14, s19, s14
; %bb.404:                              ;   in Loop: Header=BB114_6 Depth=1
	s_or_b32 exec_lo, exec_lo, s18
	s_delay_alu instid0(SALU_CYCLE_1)
	s_and_not1_b32 s18, s26, exec_lo
	s_and_b32 s19, s25, exec_lo
	s_and_not1_b32 s16, s16, exec_lo
	s_and_b32 s20, s22, exec_lo
	s_or_b32 s26, s18, s19
	s_and_not1_b32 s15, s15, exec_lo
	s_and_b32 s17, s17, exec_lo
	s_and_not1_b32 s18, s23, exec_lo
	s_and_b32 s14, s14, exec_lo
	s_or_b32 s16, s16, s20
	s_or_b32 s15, s15, s17
	;; [unrolled: 1-line block ×3, first 2 shown]
.LBB114_405:                            ;   in Loop: Header=BB114_6 Depth=1
	s_or_b32 exec_lo, exec_lo, s24
	s_mov_b32 s24, 0
	s_mov_b32 s25, 0
	s_and_saveexec_b32 s14, s23
.LBB114_406:                            ;   in Loop: Header=BB114_6 Depth=1
	v_mov_b32_e32 v2, 0
	s_or_b32 s15, s15, exec_lo
.LBB114_407:                            ;   in Loop: Header=BB114_6 Depth=1
	s_or_b32 exec_lo, exec_lo, s14
	s_delay_alu instid0(SALU_CYCLE_1)
	s_and_not1_b32 s14, s104, exec_lo
	s_and_b32 s18, s26, exec_lo
	s_and_not1_b32 s19, s102, exec_lo
	s_and_b32 s16, s16, exec_lo
	v_mov_b32_e32 v40, v5
	s_or_b32 s104, s14, s18
	s_or_b32 s102, s19, s16
	s_and_not1_b32 s14, s44, exec_lo
	s_and_b32 s16, s25, exec_lo
	s_and_not1_b32 s18, vcc_hi, exec_lo
	s_and_b32 s19, s24, exec_lo
	s_mov_b32 s17, -1
	s_and_not1_b32 s103, s103, exec_lo
	s_or_b32 s44, s14, s16
	s_or_b32 vcc_hi, s18, s19
	s_and_saveexec_b32 s14, s15
	s_delay_alu instid0(SALU_CYCLE_1)
	s_xor_b32 s14, exec_lo, s14
	s_cbranch_execz .LBB114_5
; %bb.408:                              ;   in Loop: Header=BB114_6 Depth=1
	s_mov_b32 s15, -1
	s_mov_b32 s16, -1
	s_mov_b32 s17, exec_lo
	v_cmpx_eq_u32_e32 0, v2
	s_cbranch_execz .LBB114_4
; %bb.409:                              ;   in Loop: Header=BB114_6 Depth=1
	s_xor_b32 s97, s97, 1
	s_add_co_i32 s18, s93, -2
	s_cmp_eq_u32 s93, 0
	s_mov_b32 s93, s18
	s_cselect_b32 s15, -1, 0
	s_xor_b32 s16, exec_lo, -1
	s_or_not1_b32 s15, s15, exec_lo
	s_branch .LBB114_4
.LBB114_410:
	s_or_b32 exec_lo, exec_lo, s94
	s_xor_b32 s7, s101, -1
	s_xor_b32 s9, s99, -1
	;; [unrolled: 1-line block ×5, first 2 shown]
	s_mov_b32 s8, 0
	s_and_saveexec_b32 s12, s11
	s_delay_alu instid0(SALU_CYCLE_1)
	s_xor_b32 s12, exec_lo, s12
	s_cbranch_execnz .LBB114_415
; %bb.411:
	s_and_not1_saveexec_b32 s0, s12
	s_cbranch_execnz .LBB114_434
.LBB114_412:
	s_or_b32 exec_lo, exec_lo, s0
	s_and_saveexec_b32 s0, s8
.LBB114_413:
	; divergent unreachable
.LBB114_414:
	s_sendmsg sendmsg(MSG_DEALLOC_VGPRS)
	s_endpgm
.LBB114_415:
	s_and_saveexec_b32 s11, s10
	s_delay_alu instid0(SALU_CYCLE_1)
	s_xor_b32 s13, exec_lo, s11
	s_cbranch_execz .LBB114_432
; %bb.416:
	s_and_saveexec_b32 s10, s9
	s_delay_alu instid0(SALU_CYCLE_1)
	s_xor_b32 s14, exec_lo, s10
	s_cbranch_execz .LBB114_430
; %bb.417:
	;; [unrolled: 5-line block ×3, first 2 shown]
	s_and_saveexec_b32 s7, s6
	s_delay_alu instid0(SALU_CYCLE_1)
	s_xor_b32 s6, exec_lo, s7
; %bb.419:
	v_and_b32_e32 v1, 0x8000, v28
	v_mov_b32_e32 v2, 0xffff
	s_delay_alu instid0(VALU_DEP_2) | instskip(NEXT) | instid1(VALU_DEP_2)
	v_cmp_eq_u32_e32 vcc_lo, 0, v1
	v_cndmask_b32_e32 v1, 0x8000, v2, vcc_lo
	s_delay_alu instid0(VALU_DEP_1)
	v_xor_b32_e32 v39, v1, v28
; %bb.420:
	s_or_b32 exec_lo, exec_lo, s6
	s_and_saveexec_b32 s6, s5
; %bb.421:
	v_mov_b32_e32 v1, 0
	ds_store_b32 v1, v1 offset:4108
; %bb.422:
	s_or_b32 exec_lo, exec_lo, s6
	v_mov_b32_e32 v1, 0
	s_wait_dscnt 0x0
	s_barrier_signal -1
	s_barrier_wait -1
	s_and_saveexec_b32 s5, s3
	s_cbranch_execz .LBB114_424
; %bb.423:
	global_load_u16 v1, v[14:15], off
.LBB114_424:
	s_wait_xcnt 0x0
	s_or_b32 exec_lo, exec_lo, s5
	s_load_b96 s[16:18], s[0:1], 0x15c
	s_mul_i32 s7, s61, s52
	s_add_co_i32 s5, s36, 31
	s_mul_i32 s6, s50, s53
	s_sub_co_i32 s7, s50, s7
	s_and_not1_b32 s5, s5, 31
	s_sub_co_i32 s6, s72, s6
	s_add_co_i32 s8, s61, 1
	s_sub_co_i32 s9, s7, s52
	s_cmp_ge_u32 s7, s52
	v_dual_mov_b32 v5, 0x8000 :: v_dual_lshlrev_b32 v4, 16, v39
	s_cselect_b32 s8, s8, s61
	s_cselect_b32 s7, s9, s7
	s_add_co_i32 s9, s8, 1
	s_cmp_ge_u32 s7, s52
	v_cmp_lt_i16_e32 vcc_lo, -1, v39
	s_cselect_b32 s7, s9, s8
	v_readlane_b32 s20, v71, 0
	s_mul_i32 s8, s7, s52
	s_wait_kmcnt 0x0
	s_mul_i32 s6, s6, s18
	s_sub_co_i32 s8, s50, s8
	s_mul_i32 s7, s7, s16
	s_mul_i32 s8, s8, s17
	s_clause 0x1
	s_load_b32 s16, s[0:1], 0x1c8
	s_load_b32 s17, s[0:1], 0x2a8
	s_add_co_i32 s6, s8, s6
	s_add_co_i32 s8, s35, 1
	;; [unrolled: 1-line block ×3, first 2 shown]
	s_mul_i32 s7, s35, s48
	s_mul_i32 s6, s54, s49
	s_sub_co_i32 s7, s54, s7
	s_sub_co_i32 s6, s72, s6
	;; [unrolled: 1-line block ×3, first 2 shown]
	s_cmp_ge_u32 s7, s48
	v_readlane_b32 s21, v71, 1
	s_cselect_b32 s8, s8, s35
	s_cselect_b32 s7, s9, s7
	s_add_co_i32 s9, s8, 1
	s_cmp_ge_u32 s7, s48
	v_readlane_b32 s22, v71, 2
	s_cselect_b32 s7, s9, s8
	v_and_b32_e32 v2, 0xffff, v39
	s_wait_xcnt 0x0
	s_mul_i32 s0, s7, s48
	v_cndmask_b32_e32 v3, 0xffff, v5, vcc_lo
	s_sub_co_i32 s0, s54, s0
	s_mul_i32 s6, s6, s22
	s_mul_i32 s0, s0, s21
	v_readlane_b32 s8, v71, 5
	v_readlane_b32 s9, v71, 6
	s_add_co_i32 s0, s0, s6
	s_mul_i32 s7, s7, s20
	s_mov_b32 s11, 0
	v_xor_b32_e32 v2, v3, v2
	v_cmp_o_f32_e32 vcc_lo, v4, v4
	s_add_co_i32 s0, s0, s7
	s_lshl_b64 s[6:7], s[10:11], 1
	s_mov_b32 s1, s11
	s_add_nc_u64 s[6:7], s[8:9], s[6:7]
	v_readlane_b32 s8, v71, 3
	v_readlane_b32 s9, v71, 4
	v_cndmask_b32_e32 v4, 0xffff, v2, vcc_lo
	v_cmp_gt_u32_e32 vcc_lo, s5, v0
	s_lshl_b64 s[0:1], s[0:1], 3
	s_mov_b32 s18, -1
	s_add_nc_u64 s[8:9], s[8:9], s[0:1]
	s_mov_b32 s1, 0
	s_and_saveexec_b32 s10, vcc_lo
	s_cbranch_execnz .LBB114_435
; %bb.425:
	s_or_b32 exec_lo, exec_lo, s10
	s_and_saveexec_b32 s4, s18
	s_cbranch_execnz .LBB114_452
.LBB114_426:
	s_or_b32 exec_lo, exec_lo, s4
	s_and_saveexec_b32 s0, s1
	s_delay_alu instid0(SALU_CYCLE_1)
	s_xor_b32 s0, exec_lo, s0
	s_cbranch_execnz .LBB114_477
.LBB114_427:
	s_or_b32 exec_lo, exec_lo, s0
	s_delay_alu instid0(SALU_CYCLE_1)
	s_and_b32 s8, s11, exec_lo
.LBB114_428:
	s_and_not1_saveexec_b32 s0, s15
	s_cbranch_execnz .LBB114_479
.LBB114_429:
	s_or_b32 exec_lo, exec_lo, s0
	s_delay_alu instid0(SALU_CYCLE_1)
	s_and_b32 s8, s8, exec_lo
.LBB114_430:
	s_and_not1_saveexec_b32 s0, s14
	s_cbranch_execnz .LBB114_478
.LBB114_431:
	s_or_b32 exec_lo, exec_lo, s0
	s_delay_alu instid0(SALU_CYCLE_1)
	s_and_b32 s8, s8, exec_lo
.LBB114_432:
	s_and_not1_saveexec_b32 s0, s13
	s_cbranch_execnz .LBB114_473
.LBB114_433:
	s_or_b32 exec_lo, exec_lo, s0
	s_delay_alu instid0(SALU_CYCLE_1)
	s_and_b32 s8, s8, exec_lo
	s_and_not1_saveexec_b32 s0, s12
	s_cbranch_execz .LBB114_412
.LBB114_434:
	s_or_b32 s8, s8, exec_lo
	s_trap 2
	s_or_b32 exec_lo, exec_lo, s0
	s_and_saveexec_b32 s0, s8
	s_cbranch_execnz .LBB114_413
	s_branch .LBB114_414
.LBB114_435:
	v_dual_mov_b32 v3, 0 :: v_dual_add_nc_u32 v2, s47, v0
	s_mov_b32 s18, 0
                                        ; implicit-def: $sgpr19
                                        ; implicit-def: $vgpr9
	s_delay_alu instid0(VALU_DEP_1)
	v_mul_lo_u32 v6, s43, v2
	v_mov_b32_e32 v2, v0
	s_branch .LBB114_437
.LBB114_436:                            ;   in Loop: Header=BB114_437 Depth=1
	s_or_b32 exec_lo, exec_lo, s21
	s_xor_b32 s0, s20, -1
	s_and_b32 s1, exec_lo, s1
	s_wait_loadcnt 0x0
	v_dual_mov_b32 v2, v7 :: v_dual_mov_b32 v1, v8
	s_or_b32 s18, s1, s18
	s_and_not1_b32 s1, s19, exec_lo
	s_and_b32 s0, s0, exec_lo
	s_delay_alu instid0(SALU_CYCLE_1)
	s_or_b32 s19, s1, s0
	s_and_not1_b32 exec_lo, exec_lo, s18
	s_cbranch_execz .LBB114_451
.LBB114_437:                            ; =>This Inner Loop Header: Depth=1
	s_delay_alu instid0(VALU_DEP_1) | instskip(SKIP_1) | instid1(VALU_DEP_1)
	v_dual_mov_b32 v8, 0 :: v_dual_add_nc_u32 v7, s47, v2
	s_mov_b32 s1, exec_lo
	v_cmpx_gt_u32_e64 s36, v7
	s_cbranch_execz .LBB114_439
; %bb.438:                              ;   in Loop: Header=BB114_437 Depth=1
	v_readfirstlane_b32 s20, v12
	v_readfirstlane_b32 s21, v13
	global_load_u16 v8, v6, s[20:21] scale_offset
.LBB114_439:                            ;   in Loop: Header=BB114_437 Depth=1
	s_wait_xcnt 0x0
	s_or_b32 exec_lo, exec_lo, s1
	s_mov_b32 s20, 0
	s_mov_b32 s1, exec_lo
	v_cmpx_gt_u32_e64 s36, v2
	s_cbranch_execz .LBB114_441
; %bb.440:                              ;   in Loop: Header=BB114_437 Depth=1
	s_wait_loadcnt 0x0
	v_cmp_lt_i16_e64 s0, -1, v1
	v_and_b32_e32 v11, 0xffff, v1
	s_delay_alu instid0(VALU_DEP_2) | instskip(NEXT) | instid1(VALU_DEP_1)
	v_cndmask_b32_e64 v16, 0xffff, v5, s0
	v_dual_lshlrev_b32 v17, 16, v1 :: v_dual_bitop2_b32 v11, v16, v11 bitop3:0x14
	s_delay_alu instid0(VALU_DEP_1) | instskip(NEXT) | instid1(VALU_DEP_1)
	v_cmp_o_f32_e64 s0, v17, v17
	v_cndmask_b32_e64 v11, 0xffff, v11, s0
	s_delay_alu instid0(VALU_DEP_1) | instskip(NEXT) | instid1(VALU_DEP_1)
	v_cmp_gt_u32_e64 s0, v11, v4
	v_cndmask_b32_e64 v16, 0, 1, s0
	v_cmp_lt_u32_e64 s0, v11, v4
	s_delay_alu instid0(VALU_DEP_1) | instskip(NEXT) | instid1(VALU_DEP_1)
	v_cndmask_b32_e64 v11, 0, 1, s0
	v_cndmask_b32_e64 v11, v11, v16, s4
	s_delay_alu instid0(VALU_DEP_1) | instskip(NEXT) | instid1(VALU_DEP_1)
	v_and_b32_e32 v11, 1, v11
	v_cmp_eq_u32_e64 s0, 1, v11
	s_and_b32 s20, s0, exec_lo
.LBB114_441:                            ;   in Loop: Header=BB114_437 Depth=1
	s_or_b32 exec_lo, exec_lo, s1
	v_cndmask_b32_e64 v11, 0, 1, s20
	s_delay_alu instid0(VALU_DEP_1) | instskip(SKIP_2) | instid1(SALU_CYCLE_1)
	v_cmp_ne_u32_e64 s0, 0, v11
	s_cmp_lg_u32 s0, 0
	s_cselect_b32 s1, -1, 0
	s_and_b32 s1, s2, s1
	s_delay_alu instid0(SALU_CYCLE_1)
	s_and_saveexec_b32 s21, s1
	s_cbranch_execz .LBB114_445
; %bb.442:                              ;   in Loop: Header=BB114_437 Depth=1
	s_mov_b32 s24, exec_lo
	s_bcnt1_i32_b32 s22, s0
	s_wait_dscnt 0x0
	v_mbcnt_lo_u32_b32 v9, s24, 0
	s_mov_b32 s23, exec_lo
                                        ; implicit-def: $vgpr11
	s_delay_alu instid0(VALU_DEP_1)
	v_cmpx_eq_u32_e32 0, v9
; %bb.443:                              ;   in Loop: Header=BB114_437 Depth=1
	s_bcnt1_i32_b32 s1, s24
	s_delay_alu instid0(SALU_CYCLE_1) | instskip(NEXT) | instid1(SALU_CYCLE_1)
	s_mul_i32 s1, s22, s1
	v_mov_b32_e32 v11, s1
	ds_add_rtn_u32 v11, v3, v11 offset:4108
; %bb.444:                              ;   in Loop: Header=BB114_437 Depth=1
	s_or_b32 exec_lo, exec_lo, s23
	s_wait_dscnt 0x0
	v_readfirstlane_b32 s1, v11
	s_delay_alu instid0(VALU_DEP_1)
	v_mad_u32_u24 v9, s22, v9, s1
.LBB114_445:                            ;   in Loop: Header=BB114_437 Depth=1
	s_or_b32 exec_lo, exec_lo, s21
	s_wait_dscnt 0x0
	ds_bpermute_b32 v9, v3, v9
	s_mov_b32 s1, -1
	s_mov_b32 s22, -1
	s_and_saveexec_b32 s21, s20
	s_cbranch_execz .LBB114_449
; %bb.446:                              ;   in Loop: Header=BB114_437 Depth=1
	v_and_b32_e32 v11, s0, v10
	s_mov_b32 s20, 0
	s_mov_b32 s22, exec_lo
	s_wait_dscnt 0x0
	s_delay_alu instid0(VALU_DEP_1) | instskip(NEXT) | instid1(VALU_DEP_1)
	v_bcnt_u32_b32 v11, v11, v9
	v_cmpx_gt_u32_e64 s37, v11
	s_cbranch_execz .LBB114_448
; %bb.447:                              ;   in Loop: Header=BB114_437 Depth=1
	s_wait_kmcnt 0x0
	v_mul_lo_u32 v16, v11, s16
	v_mul_lo_u32 v11, v11, s17
	s_mov_b32 s20, exec_lo
	s_wait_loadcnt 0x0
	global_store_b16 v16, v1, s[6:7] scale_offset
	global_store_b64 v11, v[2:3], s[8:9] scale_offset
.LBB114_448:                            ;   in Loop: Header=BB114_437 Depth=1
	s_wait_xcnt 0x0
	s_or_b32 exec_lo, exec_lo, s22
	s_delay_alu instid0(SALU_CYCLE_1)
	s_or_not1_b32 s22, s20, exec_lo
.LBB114_449:                            ;   in Loop: Header=BB114_437 Depth=1
	s_or_b32 exec_lo, exec_lo, s21
	s_mov_b32 s20, -1
	s_and_saveexec_b32 s21, s22
	s_cbranch_execz .LBB114_436
; %bb.450:                              ;   in Loop: Header=BB114_437 Depth=1
	v_cmp_le_u32_e64 s0, s5, v7
	v_add_nc_u32_e32 v6, s51, v6
	s_xor_b32 s20, exec_lo, -1
	s_or_not1_b32 s1, s0, exec_lo
	s_branch .LBB114_436
.LBB114_451:
	s_or_b32 exec_lo, exec_lo, s18
	s_delay_alu instid0(SALU_CYCLE_1)
	s_mov_b32 s1, exec_lo
	s_or_not1_b32 s18, s19, exec_lo
	s_or_b32 exec_lo, exec_lo, s10
	s_and_saveexec_b32 s4, s18
	s_cbranch_execz .LBB114_426
.LBB114_452:
	v_mov_b32_e32 v8, 0
	s_wait_storecnt 0x0
	s_wait_loadcnt_dscnt 0x0
	s_barrier_signal -1
	s_barrier_wait -1
	s_and_saveexec_b32 s0, s3
	s_cbranch_execz .LBB114_454
; %bb.453:
	global_load_u16 v8, v[14:15], off
.LBB114_454:
	s_wait_xcnt 0x0
	s_or_b32 exec_lo, exec_lo, s0
	s_mov_b32 s0, 0
	s_and_saveexec_b32 s3, vcc_lo
	s_cbranch_execz .LBB114_476
; %bb.455:
	v_add_nc_u32_e32 v1, s47, v0
	v_mov_b32_e32 v3, 0x8000
	s_mov_b32 s10, 0
                                        ; implicit-def: $sgpr11
                                        ; implicit-def: $vgpr7
	s_delay_alu instid0(VALU_DEP_2)
	v_mul_lo_u32 v2, s43, v1
	v_mov_b32_e32 v1, 0
	s_branch .LBB114_458
.LBB114_456:                            ;   in Loop: Header=BB114_458 Depth=1
	s_or_b32 exec_lo, exec_lo, s20
	s_delay_alu instid0(SALU_CYCLE_1)
	s_or_not1_b32 s20, s18, exec_lo
	s_or_not1_b32 s19, s19, exec_lo
.LBB114_457:                            ;   in Loop: Header=BB114_458 Depth=1
	s_or_b32 exec_lo, exec_lo, s0
	s_xor_b32 s0, s20, -1
	s_and_b32 s18, exec_lo, s19
	s_wait_loadcnt 0x0
	v_dual_mov_b32 v0, v5 :: v_dual_mov_b32 v8, v6
	s_or_b32 s10, s18, s10
	s_and_not1_b32 s11, s11, exec_lo
	s_and_b32 s0, s0, exec_lo
	s_delay_alu instid0(SALU_CYCLE_1)
	s_or_b32 s11, s11, s0
	s_and_not1_b32 exec_lo, exec_lo, s10
	s_cbranch_execz .LBB114_474
.LBB114_458:                            ; =>This Inner Loop Header: Depth=1
	v_dual_mov_b32 v6, 0 :: v_dual_add_nc_u32 v5, s47, v0
	s_mov_b32 s0, exec_lo
	s_delay_alu instid0(VALU_DEP_1)
	v_cmpx_gt_u32_e64 s36, v5
	s_cbranch_execz .LBB114_460
; %bb.459:                              ;   in Loop: Header=BB114_458 Depth=1
	v_readfirstlane_b32 s18, v12
	v_readfirstlane_b32 s19, v13
	global_load_u16 v6, v2, s[18:19] scale_offset
.LBB114_460:                            ;   in Loop: Header=BB114_458 Depth=1
	s_wait_xcnt 0x0
	s_or_b32 exec_lo, exec_lo, s0
	s_mov_b32 s18, 0
	s_mov_b32 s0, exec_lo
	v_cmpx_gt_u32_e64 s36, v0
	s_cbranch_execz .LBB114_462
; %bb.461:                              ;   in Loop: Header=BB114_458 Depth=1
	s_wait_loadcnt 0x0
	v_cmp_lt_i16_e32 vcc_lo, -1, v8
	v_and_b32_e32 v9, 0xffff, v8
	v_dual_cndmask_b32 v11, 0xffff, v3 :: v_dual_lshlrev_b32 v14, 16, v8
	s_delay_alu instid0(VALU_DEP_1) | instskip(NEXT) | instid1(VALU_DEP_2)
	v_cmp_o_f32_e32 vcc_lo, v14, v14
	v_xor_b32_e32 v9, v11, v9
	s_delay_alu instid0(VALU_DEP_1) | instskip(NEXT) | instid1(VALU_DEP_1)
	v_cndmask_b32_e32 v9, 0xffff, v9, vcc_lo
	v_cmp_eq_u32_e32 vcc_lo, v9, v4
	s_and_b32 s18, vcc_lo, exec_lo
.LBB114_462:                            ;   in Loop: Header=BB114_458 Depth=1
	s_or_b32 exec_lo, exec_lo, s0
	v_cndmask_b32_e64 v9, 0, 1, s18
	s_delay_alu instid0(VALU_DEP_1) | instskip(SKIP_2) | instid1(SALU_CYCLE_1)
	v_cmp_ne_u32_e32 vcc_lo, 0, v9
	s_cmp_lg_u32 vcc_lo, 0
	s_cselect_b32 s0, -1, 0
	s_and_b32 s0, s2, s0
	s_delay_alu instid0(SALU_CYCLE_1)
	s_and_saveexec_b32 s19, s0
	s_cbranch_execz .LBB114_466
; %bb.463:                              ;   in Loop: Header=BB114_458 Depth=1
	s_mov_b32 s22, exec_lo
	s_bcnt1_i32_b32 s20, vcc_lo
	v_mbcnt_lo_u32_b32 v7, s22, 0
	s_mov_b32 s21, exec_lo
                                        ; implicit-def: $vgpr9
	s_delay_alu instid0(VALU_DEP_1)
	v_cmpx_eq_u32_e32 0, v7
; %bb.464:                              ;   in Loop: Header=BB114_458 Depth=1
	s_bcnt1_i32_b32 s0, s22
	s_delay_alu instid0(SALU_CYCLE_1) | instskip(NEXT) | instid1(SALU_CYCLE_1)
	s_mul_i32 s0, s20, s0
	v_mov_b32_e32 v9, s0
	ds_add_rtn_u32 v9, v1, v9 offset:4108
; %bb.465:                              ;   in Loop: Header=BB114_458 Depth=1
	s_or_b32 exec_lo, exec_lo, s21
	s_wait_dscnt 0x0
	v_readfirstlane_b32 s0, v9
	s_delay_alu instid0(VALU_DEP_1)
	v_mad_u32_u24 v7, s20, v7, s0
.LBB114_466:                            ;   in Loop: Header=BB114_458 Depth=1
	s_or_b32 exec_lo, exec_lo, s19
	ds_bpermute_b32 v7, v1, v7
	s_cmp_eq_u32 vcc_lo, 0
	s_mov_b32 s19, -1
	s_cselect_b32 s20, -1, 0
	s_wait_dscnt 0x0
	v_cmp_gt_u32_e64 s0, s37, v7
	s_or_b32 s21, s20, s0
	s_mov_b32 s20, -1
	s_and_saveexec_b32 s0, s21
	s_cbranch_execz .LBB114_457
; %bb.467:                              ;   in Loop: Header=BB114_458 Depth=1
	v_dual_sub_nc_u32 v11, s37, v7 :: v_dual_bitop2_b32 v9, vcc_lo, v10 bitop3:0x40
	s_mov_b32 s21, -1
	s_delay_alu instid0(VALU_DEP_1) | instskip(NEXT) | instid1(VALU_DEP_1)
	v_bcnt_u32_b32 v9, v9, 0
	v_bcnt_u32_b32 v9, 0, v9
	s_delay_alu instid0(VALU_DEP_1)
	v_cmp_gt_u32_e32 vcc_lo, v11, v9
	s_and_b32 s22, s18, vcc_lo
	s_mov_b32 s18, -1
	s_and_saveexec_b32 s20, s22
	s_cbranch_execz .LBB114_471
; %bb.468:                              ;   in Loop: Header=BB114_458 Depth=1
	v_add_nc_u32_e32 v9, v7, v9
	s_mov_b32 s21, 0
	s_mov_b32 s18, exec_lo
	s_delay_alu instid0(VALU_DEP_1)
	v_cmpx_gt_u32_e64 s37, v9
	s_cbranch_execz .LBB114_470
; %bb.469:                              ;   in Loop: Header=BB114_458 Depth=1
	s_wait_kmcnt 0x0
	v_mul_lo_u32 v11, v9, s16
	v_mul_lo_u32 v9, v9, s17
	s_mov_b32 s21, exec_lo
	s_wait_loadcnt 0x0
	global_store_b16 v11, v8, s[6:7] scale_offset
	global_store_b64 v9, v[0:1], s[8:9] scale_offset
.LBB114_470:                            ;   in Loop: Header=BB114_458 Depth=1
	s_wait_xcnt 0x0
	s_or_b32 exec_lo, exec_lo, s18
	s_delay_alu instid0(SALU_CYCLE_1)
	s_xor_b32 s18, exec_lo, -1
	s_or_not1_b32 s21, s21, exec_lo
.LBB114_471:                            ;   in Loop: Header=BB114_458 Depth=1
	s_or_b32 exec_lo, exec_lo, s20
	s_and_saveexec_b32 s20, s21
	s_cbranch_execz .LBB114_456
; %bb.472:                              ;   in Loop: Header=BB114_458 Depth=1
	v_cmp_le_u32_e32 vcc_lo, s5, v5
	v_add_nc_u32_e32 v2, s51, v2
	s_or_b32 s18, s18, exec_lo
	s_or_not1_b32 s19, vcc_lo, exec_lo
	s_branch .LBB114_456
.LBB114_473:
	s_or_b32 s8, s8, exec_lo
	s_trap 2
	s_branch .LBB114_433
.LBB114_474:
	s_or_b32 exec_lo, exec_lo, s10
	s_mov_b32 s0, 0
	s_and_saveexec_b32 s2, s11
	s_delay_alu instid0(SALU_CYCLE_1)
	s_xor_b32 s2, exec_lo, s2
	s_cbranch_execnz .LBB114_480
.LBB114_475:
	s_or_b32 exec_lo, exec_lo, s2
	s_delay_alu instid0(SALU_CYCLE_1)
	s_and_b32 s0, s0, exec_lo
.LBB114_476:
	s_or_b32 exec_lo, exec_lo, s3
	s_delay_alu instid0(SALU_CYCLE_1) | instskip(SKIP_3) | instid1(SALU_CYCLE_1)
	s_and_b32 s11, s0, exec_lo
	s_and_not1_b32 s1, s1, exec_lo
	s_or_b32 exec_lo, exec_lo, s4
	s_and_saveexec_b32 s0, s1
	s_xor_b32 s0, exec_lo, s0
	s_cbranch_execz .LBB114_427
.LBB114_477:
	s_or_b32 s11, s11, exec_lo
	s_trap 2
	s_branch .LBB114_427
.LBB114_478:
	s_or_b32 s8, s8, exec_lo
	s_trap 2
	s_branch .LBB114_431
.LBB114_479:
	s_or_b32 s8, s8, exec_lo
	s_trap 2
	s_branch .LBB114_429
.LBB114_480:
	s_mov_b32 s0, exec_lo
	s_trap 2
	s_branch .LBB114_475
	.section	.rodata,"a",@progbits
	.p2align	6, 0x0
	.amdhsa_kernel _ZN2at6native6sbtopk10gatherTopKIN3c108BFloat16EjLi3ELb0EEEvNS_4cuda6detail10TensorInfoIKT_T0_EESA_SA_bSA_SA_NS7_IS8_SA_EESA_NS7_IlSA_EESA_PS8_
		.amdhsa_group_segment_fixed_size 4112
		.amdhsa_private_segment_fixed_size 0
		.amdhsa_kernarg_size 952
		.amdhsa_user_sgpr_count 2
		.amdhsa_user_sgpr_dispatch_ptr 0
		.amdhsa_user_sgpr_queue_ptr 0
		.amdhsa_user_sgpr_kernarg_segment_ptr 1
		.amdhsa_user_sgpr_dispatch_id 0
		.amdhsa_user_sgpr_kernarg_preload_length 0
		.amdhsa_user_sgpr_kernarg_preload_offset 0
		.amdhsa_user_sgpr_private_segment_size 0
		.amdhsa_wavefront_size32 1
		.amdhsa_uses_dynamic_stack 0
		.amdhsa_enable_private_segment 0
		.amdhsa_system_sgpr_workgroup_id_x 1
		.amdhsa_system_sgpr_workgroup_id_y 1
		.amdhsa_system_sgpr_workgroup_id_z 1
		.amdhsa_system_sgpr_workgroup_info 0
		.amdhsa_system_vgpr_workitem_id 0
		.amdhsa_next_free_vgpr 72
		.amdhsa_next_free_sgpr 105
		.amdhsa_named_barrier_count 0
		.amdhsa_reserve_vcc 1
		.amdhsa_float_round_mode_32 0
		.amdhsa_float_round_mode_16_64 0
		.amdhsa_float_denorm_mode_32 3
		.amdhsa_float_denorm_mode_16_64 3
		.amdhsa_fp16_overflow 0
		.amdhsa_memory_ordered 1
		.amdhsa_forward_progress 1
		.amdhsa_inst_pref_size 146
		.amdhsa_round_robin_scheduling 0
		.amdhsa_exception_fp_ieee_invalid_op 0
		.amdhsa_exception_fp_denorm_src 0
		.amdhsa_exception_fp_ieee_div_zero 0
		.amdhsa_exception_fp_ieee_overflow 0
		.amdhsa_exception_fp_ieee_underflow 0
		.amdhsa_exception_fp_ieee_inexact 0
		.amdhsa_exception_int_div_zero 0
	.end_amdhsa_kernel
	.section	.text._ZN2at6native6sbtopk10gatherTopKIN3c108BFloat16EjLi3ELb0EEEvNS_4cuda6detail10TensorInfoIKT_T0_EESA_SA_bSA_SA_NS7_IS8_SA_EESA_NS7_IlSA_EESA_PS8_,"axG",@progbits,_ZN2at6native6sbtopk10gatherTopKIN3c108BFloat16EjLi3ELb0EEEvNS_4cuda6detail10TensorInfoIKT_T0_EESA_SA_bSA_SA_NS7_IS8_SA_EESA_NS7_IlSA_EESA_PS8_,comdat
.Lfunc_end114:
	.size	_ZN2at6native6sbtopk10gatherTopKIN3c108BFloat16EjLi3ELb0EEEvNS_4cuda6detail10TensorInfoIKT_T0_EESA_SA_bSA_SA_NS7_IS8_SA_EESA_NS7_IlSA_EESA_PS8_, .Lfunc_end114-_ZN2at6native6sbtopk10gatherTopKIN3c108BFloat16EjLi3ELb0EEEvNS_4cuda6detail10TensorInfoIKT_T0_EESA_SA_bSA_SA_NS7_IS8_SA_EESA_NS7_IlSA_EESA_PS8_
                                        ; -- End function
	.set _ZN2at6native6sbtopk10gatherTopKIN3c108BFloat16EjLi3ELb0EEEvNS_4cuda6detail10TensorInfoIKT_T0_EESA_SA_bSA_SA_NS7_IS8_SA_EESA_NS7_IlSA_EESA_PS8_.num_vgpr, 72
	.set _ZN2at6native6sbtopk10gatherTopKIN3c108BFloat16EjLi3ELb0EEEvNS_4cuda6detail10TensorInfoIKT_T0_EESA_SA_bSA_SA_NS7_IS8_SA_EESA_NS7_IlSA_EESA_PS8_.num_agpr, 0
	.set _ZN2at6native6sbtopk10gatherTopKIN3c108BFloat16EjLi3ELb0EEEvNS_4cuda6detail10TensorInfoIKT_T0_EESA_SA_bSA_SA_NS7_IS8_SA_EESA_NS7_IlSA_EESA_PS8_.numbered_sgpr, 105
	.set _ZN2at6native6sbtopk10gatherTopKIN3c108BFloat16EjLi3ELb0EEEvNS_4cuda6detail10TensorInfoIKT_T0_EESA_SA_bSA_SA_NS7_IS8_SA_EESA_NS7_IlSA_EESA_PS8_.num_named_barrier, 0
	.set _ZN2at6native6sbtopk10gatherTopKIN3c108BFloat16EjLi3ELb0EEEvNS_4cuda6detail10TensorInfoIKT_T0_EESA_SA_bSA_SA_NS7_IS8_SA_EESA_NS7_IlSA_EESA_PS8_.private_seg_size, 0
	.set _ZN2at6native6sbtopk10gatherTopKIN3c108BFloat16EjLi3ELb0EEEvNS_4cuda6detail10TensorInfoIKT_T0_EESA_SA_bSA_SA_NS7_IS8_SA_EESA_NS7_IlSA_EESA_PS8_.uses_vcc, 1
	.set _ZN2at6native6sbtopk10gatherTopKIN3c108BFloat16EjLi3ELb0EEEvNS_4cuda6detail10TensorInfoIKT_T0_EESA_SA_bSA_SA_NS7_IS8_SA_EESA_NS7_IlSA_EESA_PS8_.uses_flat_scratch, 0
	.set _ZN2at6native6sbtopk10gatherTopKIN3c108BFloat16EjLi3ELb0EEEvNS_4cuda6detail10TensorInfoIKT_T0_EESA_SA_bSA_SA_NS7_IS8_SA_EESA_NS7_IlSA_EESA_PS8_.has_dyn_sized_stack, 0
	.set _ZN2at6native6sbtopk10gatherTopKIN3c108BFloat16EjLi3ELb0EEEvNS_4cuda6detail10TensorInfoIKT_T0_EESA_SA_bSA_SA_NS7_IS8_SA_EESA_NS7_IlSA_EESA_PS8_.has_recursion, 0
	.set _ZN2at6native6sbtopk10gatherTopKIN3c108BFloat16EjLi3ELb0EEEvNS_4cuda6detail10TensorInfoIKT_T0_EESA_SA_bSA_SA_NS7_IS8_SA_EESA_NS7_IlSA_EESA_PS8_.has_indirect_call, 0
	.section	.AMDGPU.csdata,"",@progbits
; Kernel info:
; codeLenInByte = 18636
; TotalNumSgprs: 107
; NumVgprs: 72
; ScratchSize: 0
; MemoryBound: 0
; FloatMode: 240
; IeeeMode: 1
; LDSByteSize: 4112 bytes/workgroup (compile time only)
; SGPRBlocks: 0
; VGPRBlocks: 4
; NumSGPRsForWavesPerEU: 107
; NumVGPRsForWavesPerEU: 72
; NamedBarCnt: 0
; Occupancy: 12
; WaveLimiterHint : 1
; COMPUTE_PGM_RSRC2:SCRATCH_EN: 0
; COMPUTE_PGM_RSRC2:USER_SGPR: 2
; COMPUTE_PGM_RSRC2:TRAP_HANDLER: 0
; COMPUTE_PGM_RSRC2:TGID_X_EN: 1
; COMPUTE_PGM_RSRC2:TGID_Y_EN: 1
; COMPUTE_PGM_RSRC2:TGID_Z_EN: 1
; COMPUTE_PGM_RSRC2:TIDIG_COMP_CNT: 0
	.section	.text._ZN2at6native6mbtopk23computeBlockDigitCountsIN3c108BFloat16EjjLin1EEEvNS_4cuda6detail10TensorInfoIKT_T0_EEjPjjSA_iijT1_PSD_Ps,"axG",@progbits,_ZN2at6native6mbtopk23computeBlockDigitCountsIN3c108BFloat16EjjLin1EEEvNS_4cuda6detail10TensorInfoIKT_T0_EEjPjjSA_iijT1_PSD_Ps,comdat
	.protected	_ZN2at6native6mbtopk23computeBlockDigitCountsIN3c108BFloat16EjjLin1EEEvNS_4cuda6detail10TensorInfoIKT_T0_EEjPjjSA_iijT1_PSD_Ps ; -- Begin function _ZN2at6native6mbtopk23computeBlockDigitCountsIN3c108BFloat16EjjLin1EEEvNS_4cuda6detail10TensorInfoIKT_T0_EEjPjjSA_iijT1_PSD_Ps
	.globl	_ZN2at6native6mbtopk23computeBlockDigitCountsIN3c108BFloat16EjjLin1EEEvNS_4cuda6detail10TensorInfoIKT_T0_EEjPjjSA_iijT1_PSD_Ps
	.p2align	8
	.type	_ZN2at6native6mbtopk23computeBlockDigitCountsIN3c108BFloat16EjjLin1EEEvNS_4cuda6detail10TensorInfoIKT_T0_EEjPjjSA_iijT1_PSD_Ps,@function
_ZN2at6native6mbtopk23computeBlockDigitCountsIN3c108BFloat16EjjLin1EEEvNS_4cuda6detail10TensorInfoIKT_T0_EEjPjjSA_iijT1_PSD_Ps: ; @_ZN2at6native6mbtopk23computeBlockDigitCountsIN3c108BFloat16EjjLin1EEEvNS_4cuda6detail10TensorInfoIKT_T0_EEjPjjSA_iijT1_PSD_Ps
; %bb.0:
	s_load_b64 s[2:3], s[0:1], 0xf8
	s_bfe_u32 s4, ttmp6, 0x40010
	s_and_b32 s6, ttmp7, 0xffff
	s_add_co_i32 s7, s4, 1
	s_bfe_u32 s8, ttmp6, 0x40004
	s_mul_i32 s7, s6, s7
	s_load_b64 s[4:5], s[0:1], 0x110
	s_add_co_i32 s7, s8, s7
	s_bfe_u32 s9, ttmp6, 0x4000c
	s_bfe_u32 s11, ttmp6, 0x40014
	s_add_co_i32 s9, s9, 1
	s_and_b32 s10, ttmp6, 15
	s_mul_i32 s9, ttmp9, s9
	s_add_co_i32 s11, s11, 1
	s_add_co_i32 s12, s10, s9
	s_bfe_u32 s10, ttmp6, 0x40008
	s_mov_b32 s15, 0
	s_wait_kmcnt 0x0
	s_cvt_f32_u32 s8, s2
	s_delay_alu instid0(SALU_CYCLE_3) | instskip(SKIP_1) | instid1(SALU_CYCLE_1)
	v_rcp_iflag_f32_e32 v1, s8
	s_lshr_b32 s8, ttmp7, 16
	s_mul_i32 s9, s8, s11
	s_getreg_b32 s11, hwreg(HW_REG_IB_STS2, 6, 4)
	s_add_co_i32 s10, s10, s9
	s_cmp_eq_u32 s11, 0
	v_nop
	v_readfirstlane_b32 s13, v1
	s_cselect_b32 s14, s8, s10
	s_load_b128 s[8:11], s[0:1], 0xe8
	s_mul_i32 s5, s5, s14
	s_cselect_b32 s12, ttmp9, s12
	s_mul_f32 s13, s13, 0x4f7ffffe
	s_cselect_b32 s6, s6, s7
	s_sub_co_i32 s7, 0, s2
	s_add_co_i32 s5, s5, s6
	s_cvt_u32_f32 s13, s13
	s_mul_i32 s16, s5, s4
	s_delay_alu instid0(SALU_CYCLE_1) | instskip(NEXT) | instid1(SALU_CYCLE_1)
	s_add_co_i32 s16, s16, s12
	s_mul_i32 s7, s7, s13
	s_delay_alu instid0(SALU_CYCLE_1) | instskip(NEXT) | instid1(SALU_CYCLE_1)
	s_mul_hi_u32 s4, s13, s7
	s_add_co_i32 s13, s13, s4
	s_delay_alu instid0(SALU_CYCLE_1) | instskip(NEXT) | instid1(SALU_CYCLE_1)
	s_mul_hi_u32 s4, s16, s13
	s_mul_i32 s5, s4, s2
	s_add_co_i32 s6, s4, 1
	s_sub_co_i32 s5, s16, s5
	s_delay_alu instid0(SALU_CYCLE_1)
	s_sub_co_i32 s7, s5, s2
	s_cmp_ge_u32 s5, s2
	s_cselect_b32 s4, s6, s4
	s_cselect_b32 s5, s7, s5
	s_add_co_i32 s6, s4, 1
	s_cmp_ge_u32 s5, s2
	s_cselect_b32 s17, s6, s4
	s_wait_kmcnt 0x0
	s_cmp_ge_u32 s17, s8
	s_cbranch_scc1 .LBB115_30
; %bb.1:
	s_clause 0x1
	s_load_b32 s8, s[0:1], 0xd0
	s_load_b128 s[4:7], s[0:1], 0x100
	s_mov_b32 s18, s17
	s_wait_kmcnt 0x0
	s_cmp_lt_i32 s8, 2
	s_cbranch_scc1 .LBB115_4
; %bb.2:
	s_add_co_i32 s14, s8, -1
	s_add_co_i32 s8, s8, 1
	s_lshl_b64 s[12:13], s[14:15], 2
	s_mov_b32 s18, s17
	s_add_nc_u64 s[12:13], s[0:1], s[12:13]
	s_delay_alu instid0(SALU_CYCLE_1)
	s_add_nc_u64 s[12:13], s[12:13], 8
.LBB115_3:                              ; =>This Inner Loop Header: Depth=1
	s_clause 0x1
	s_load_b32 s14, s[12:13], 0x0
	s_load_b32 s19, s[12:13], 0x64
	s_mov_b32 s22, s18
	s_wait_xcnt 0x0
	s_add_nc_u64 s[12:13], s[12:13], -4
	s_wait_kmcnt 0x0
	s_cvt_f32_u32 s20, s14
	s_sub_co_i32 s21, 0, s14
	s_delay_alu instid0(SALU_CYCLE_2) | instskip(SKIP_1) | instid1(TRANS32_DEP_1)
	v_rcp_iflag_f32_e32 v1, s20
	v_nop
	v_readfirstlane_b32 s20, v1
	s_mul_f32 s20, s20, 0x4f7ffffe
	s_delay_alu instid0(SALU_CYCLE_3) | instskip(NEXT) | instid1(SALU_CYCLE_3)
	s_cvt_u32_f32 s20, s20
	s_mul_i32 s21, s21, s20
	s_delay_alu instid0(SALU_CYCLE_1) | instskip(NEXT) | instid1(SALU_CYCLE_1)
	s_mul_hi_u32 s21, s20, s21
	s_add_co_i32 s20, s20, s21
	s_delay_alu instid0(SALU_CYCLE_1) | instskip(NEXT) | instid1(SALU_CYCLE_1)
	s_mul_hi_u32 s18, s18, s20
	s_mul_i32 s20, s18, s14
	s_add_co_i32 s21, s18, 1
	s_sub_co_i32 s20, s22, s20
	s_delay_alu instid0(SALU_CYCLE_1)
	s_sub_co_i32 s23, s20, s14
	s_cmp_ge_u32 s20, s14
	s_cselect_b32 s18, s21, s18
	s_cselect_b32 s20, s23, s20
	s_add_co_i32 s21, s18, 1
	s_cmp_ge_u32 s20, s14
	s_cselect_b32 s18, s21, s18
	s_add_co_i32 s8, s8, -1
	s_mul_i32 s14, s18, s14
	s_delay_alu instid0(SALU_CYCLE_1) | instskip(NEXT) | instid1(SALU_CYCLE_1)
	s_sub_co_i32 s14, s22, s14
	s_mul_i32 s14, s19, s14
	s_delay_alu instid0(SALU_CYCLE_1)
	s_add_co_i32 s15, s14, s15
	s_cmp_gt_u32 s8, 2
	s_cbranch_scc1 .LBB115_3
.LBB115_4:
	s_load_b32 s8, s[4:5], s17 offset:0x0 scale_offset
	v_cmp_gt_u32_e32 vcc_lo, 0x100, v0
	v_lshlrev_b32_e32 v1, 2, v0
	s_wait_xcnt 0x0
	s_and_saveexec_b32 s4, vcc_lo
; %bb.5:
	v_mov_b32_e32 v2, 0
	ds_store_b32 v1, v2
; %bb.6:
	s_or_b32 exec_lo, exec_lo, s4
	s_load_b32 s14, s[0:1], 0xd8
	s_mul_i32 s17, s17, s2
	s_mov_b32 s13, 0
	s_sub_co_i32 s19, s16, s17
	s_wait_dscnt 0x0
	s_mul_i32 s4, s11, s19
	s_add_co_i32 s19, s19, 1
	s_lshl_b32 s17, s4, 8
	s_barrier_signal -1
	s_barrier_wait -1
	s_wait_kmcnt 0x0
	s_sub_co_i32 s12, s14, s17
	s_delay_alu instid0(SALU_CYCLE_1) | instskip(NEXT) | instid1(SALU_CYCLE_1)
	s_add_nc_u64 s[4:5], s[12:13], 0xff
	s_lshr_b64 s[4:5], s[4:5], 8
	s_cmp_lt_u32 s19, s2
	s_cselect_b32 s2, s11, s4
	s_delay_alu instid0(SALU_CYCLE_1)
	s_cmp_lt_i32 s2, 1
	s_cbranch_scc1 .LBB115_28
; %bb.7:
	s_clause 0x1
	s_load_b32 s11, s[0:1], 0x6c
	s_load_b64 s[4:5], s[0:1], 0x0
	s_wait_xcnt 0x0
	s_and_b32 s1, s10, 0xff
	s_wait_kmcnt 0x0
	s_mul_i32 s0, s11, s18
	s_delay_alu instid0(SALU_CYCLE_1) | instskip(NEXT) | instid1(SALU_CYCLE_1)
	s_add_co_i32 s12, s0, s15
	s_lshl_b64 s[18:19], s[12:13], 1
	s_cmp_lt_u32 s2, 4
	s_add_nc_u64 s[4:5], s[4:5], s[18:19]
	s_cbranch_scc1 .LBB115_22
; %bb.8:
	v_dual_mov_b32 v7, 1 :: v_dual_add_nc_u32 v6, s17, v0
	v_mov_b32_e32 v8, 0x8000
	s_and_b32 s13, s2, 0x7ffffffc
	s_lshl_b32 s10, s9, 10
	s_delay_alu instid0(VALU_DEP_2)
	v_add_nc_u32_e32 v2, 0x300, v6
	v_add_nc_u32_e32 v4, 0x200, v6
	;; [unrolled: 1-line block ×3, first 2 shown]
	v_mul_lo_u32 v6, s9, v6
	s_mov_b32 s11, 0
	v_mul_lo_u32 v3, s9, v2
	v_mul_lo_u32 v4, s9, v4
	;; [unrolled: 1-line block ×3, first 2 shown]
	s_mov_b32 s12, 0
	s_branch .LBB115_10
.LBB115_9:                              ;   in Loop: Header=BB115_10 Depth=1
	s_or_b32 exec_lo, exec_lo, s15
	v_add_nc_u32_e32 v2, 0x400, v2
	s_add_co_i32 s12, s12, 4
	s_add_co_i32 s11, s11, s10
	s_cmp_eq_u32 s13, s12
	s_cbranch_scc1 .LBB115_22
.LBB115_10:                             ; =>This Inner Loop Header: Depth=1
	v_add_nc_u32_e32 v9, 0xfffffd00, v2
	s_mov_b32 s15, exec_lo
	s_delay_alu instid0(VALU_DEP_1)
	v_cmpx_gt_u32_e64 s14, v9
	s_cbranch_execz .LBB115_13
; %bb.11:                               ;   in Loop: Header=BB115_10 Depth=1
	v_add_nc_u32_e32 v9, s11, v6
	global_load_u16 v9, v9, s[4:5] scale_offset
	s_wait_loadcnt 0x0
	v_cmp_lt_i16_e64 s0, -1, v9
	v_and_b32_e32 v10, 0xffff, v9
	s_delay_alu instid0(VALU_DEP_2) | instskip(SKIP_1) | instid1(VALU_DEP_1)
	v_cndmask_b32_e64 v11, 0xffff, v8, s0
	s_wait_xcnt 0x0
	v_dual_lshlrev_b32 v9, 16, v9 :: v_dual_bitop2_b32 v10, v11, v10 bitop3:0x14
	s_delay_alu instid0(VALU_DEP_1) | instskip(NEXT) | instid1(VALU_DEP_1)
	v_cmp_o_f32_e64 s0, v9, v9
	v_cndmask_b32_e64 v9, 0xffff, v10, s0
	s_delay_alu instid0(VALU_DEP_1) | instskip(NEXT) | instid1(VALU_DEP_1)
	v_bitop3_b32 v10, v9, s3, s8 bitop3:0x48
	v_cmp_eq_u32_e64 s0, 0, v10
	s_and_b32 exec_lo, exec_lo, s0
; %bb.12:                               ;   in Loop: Header=BB115_10 Depth=1
	v_bfe_u32 v9, v9, s1, 8
	s_delay_alu instid0(VALU_DEP_1)
	v_lshlrev_b32_e32 v9, 2, v9
	ds_add_u32 v9, v7
.LBB115_13:                             ;   in Loop: Header=BB115_10 Depth=1
	s_or_b32 exec_lo, exec_lo, s15
	v_add_nc_u32_e32 v9, 0xfffffe00, v2
	s_mov_b32 s15, exec_lo
	s_delay_alu instid0(VALU_DEP_1)
	v_cmpx_gt_u32_e64 s14, v9
	s_cbranch_execz .LBB115_16
; %bb.14:                               ;   in Loop: Header=BB115_10 Depth=1
	v_add_nc_u32_e32 v9, s11, v5
	global_load_u16 v9, v9, s[4:5] scale_offset
	s_wait_loadcnt 0x0
	v_cmp_lt_i16_e64 s0, -1, v9
	v_and_b32_e32 v10, 0xffff, v9
	v_lshlrev_b32_e32 v9, 16, v9
	s_delay_alu instid0(VALU_DEP_3) | instskip(NEXT) | instid1(VALU_DEP_2)
	v_cndmask_b32_e64 v11, 0xffff, v8, s0
	v_cmp_o_f32_e64 s0, v9, v9
	s_delay_alu instid0(VALU_DEP_2) | instskip(NEXT) | instid1(VALU_DEP_1)
	v_xor_b32_e32 v10, v11, v10
	v_cndmask_b32_e64 v9, 0xffff, v10, s0
	s_delay_alu instid0(VALU_DEP_1) | instskip(NEXT) | instid1(VALU_DEP_1)
	v_bitop3_b32 v10, v9, s3, s8 bitop3:0x48
	v_cmp_eq_u32_e64 s0, 0, v10
	s_and_b32 exec_lo, exec_lo, s0
; %bb.15:                               ;   in Loop: Header=BB115_10 Depth=1
	v_bfe_u32 v9, v9, s1, 8
	s_delay_alu instid0(VALU_DEP_1)
	v_lshlrev_b32_e32 v9, 2, v9
	ds_add_u32 v9, v7
.LBB115_16:                             ;   in Loop: Header=BB115_10 Depth=1
	s_or_b32 exec_lo, exec_lo, s15
	v_add_nc_u32_e32 v9, 0xffffff00, v2
	s_mov_b32 s15, exec_lo
	s_delay_alu instid0(VALU_DEP_1)
	v_cmpx_gt_u32_e64 s14, v9
	s_cbranch_execz .LBB115_19
; %bb.17:                               ;   in Loop: Header=BB115_10 Depth=1
	v_add_nc_u32_e32 v9, s11, v4
	global_load_u16 v9, v9, s[4:5] scale_offset
	s_wait_loadcnt 0x0
	v_cmp_lt_i16_e64 s0, -1, v9
	v_and_b32_e32 v10, 0xffff, v9
	v_lshlrev_b32_e32 v9, 16, v9
	s_delay_alu instid0(VALU_DEP_3) | instskip(NEXT) | instid1(VALU_DEP_2)
	v_cndmask_b32_e64 v11, 0xffff, v8, s0
	v_cmp_o_f32_e64 s0, v9, v9
	s_delay_alu instid0(VALU_DEP_2) | instskip(NEXT) | instid1(VALU_DEP_1)
	v_xor_b32_e32 v10, v11, v10
	v_cndmask_b32_e64 v9, 0xffff, v10, s0
	s_delay_alu instid0(VALU_DEP_1) | instskip(NEXT) | instid1(VALU_DEP_1)
	v_bitop3_b32 v10, v9, s3, s8 bitop3:0x48
	v_cmp_eq_u32_e64 s0, 0, v10
	s_and_b32 exec_lo, exec_lo, s0
; %bb.18:                               ;   in Loop: Header=BB115_10 Depth=1
	v_bfe_u32 v9, v9, s1, 8
	s_delay_alu instid0(VALU_DEP_1)
	v_lshlrev_b32_e32 v9, 2, v9
	ds_add_u32 v9, v7
.LBB115_19:                             ;   in Loop: Header=BB115_10 Depth=1
	s_or_b32 exec_lo, exec_lo, s15
	s_delay_alu instid0(SALU_CYCLE_1)
	s_mov_b32 s15, exec_lo
	v_cmpx_gt_u32_e64 s14, v2
	s_cbranch_execz .LBB115_9
; %bb.20:                               ;   in Loop: Header=BB115_10 Depth=1
	v_add_nc_u32_e32 v9, s11, v3
	global_load_u16 v9, v9, s[4:5] scale_offset
	s_wait_loadcnt 0x0
	v_cmp_lt_i16_e64 s0, -1, v9
	v_and_b32_e32 v10, 0xffff, v9
	v_lshlrev_b32_e32 v9, 16, v9
	s_delay_alu instid0(VALU_DEP_3) | instskip(NEXT) | instid1(VALU_DEP_2)
	v_cndmask_b32_e64 v11, 0xffff, v8, s0
	v_cmp_o_f32_e64 s0, v9, v9
	s_delay_alu instid0(VALU_DEP_2) | instskip(NEXT) | instid1(VALU_DEP_1)
	v_xor_b32_e32 v10, v11, v10
	v_cndmask_b32_e64 v9, 0xffff, v10, s0
	s_delay_alu instid0(VALU_DEP_1) | instskip(NEXT) | instid1(VALU_DEP_1)
	v_bitop3_b32 v10, v9, s3, s8 bitop3:0x48
	v_cmp_eq_u32_e64 s0, 0, v10
	s_and_b32 exec_lo, exec_lo, s0
	s_cbranch_execz .LBB115_9
; %bb.21:                               ;   in Loop: Header=BB115_10 Depth=1
	v_bfe_u32 v9, v9, s1, 8
	s_delay_alu instid0(VALU_DEP_1)
	v_lshlrev_b32_e32 v9, 2, v9
	ds_add_u32 v9, v7
	s_branch .LBB115_9
.LBB115_22:
	s_and_b32 s2, s2, 3
	s_delay_alu instid0(SALU_CYCLE_1)
	s_cmp_eq_u32 s2, 0
	s_cbranch_scc1 .LBB115_28
; %bb.23:
	s_lshl_b32 s0, s13, 8
	v_dual_mov_b32 v4, 1 :: v_dual_mov_b32 v5, 0x8000
	v_add3_u32 v2, s0, s17, v0
	s_delay_alu instid0(VALU_DEP_1)
	v_mul_lo_u32 v3, s9, v2
	s_lshl_b32 s9, s9, 8
	s_branch .LBB115_25
.LBB115_24:                             ;   in Loop: Header=BB115_25 Depth=1
	s_or_b32 exec_lo, exec_lo, s10
	s_delay_alu instid0(VALU_DEP_2) | instskip(SKIP_2) | instid1(SALU_CYCLE_1)
	v_add_nc_u32_e32 v3, s9, v3
	v_add_nc_u32_e32 v2, 0x100, v2
	s_add_co_i32 s2, s2, -1
	s_cmp_lg_u32 s2, 0
	s_cbranch_scc0 .LBB115_28
.LBB115_25:                             ; =>This Inner Loop Header: Depth=1
	s_mov_b32 s10, exec_lo
	v_cmpx_gt_u32_e64 s14, v2
	s_cbranch_execz .LBB115_24
; %bb.26:                               ;   in Loop: Header=BB115_25 Depth=1
	global_load_u16 v6, v3, s[4:5] scale_offset
	s_wait_loadcnt 0x0
	v_cmp_lt_i16_e64 s0, -1, v6
	v_and_b32_e32 v7, 0xffff, v6
	s_delay_alu instid0(VALU_DEP_2) | instskip(NEXT) | instid1(VALU_DEP_1)
	v_cndmask_b32_e64 v8, 0xffff, v5, s0
	v_dual_lshlrev_b32 v6, 16, v6 :: v_dual_bitop2_b32 v7, v8, v7 bitop3:0x14
	s_delay_alu instid0(VALU_DEP_1) | instskip(NEXT) | instid1(VALU_DEP_1)
	v_cmp_o_f32_e64 s0, v6, v6
	v_cndmask_b32_e64 v6, 0xffff, v7, s0
	s_delay_alu instid0(VALU_DEP_1) | instskip(NEXT) | instid1(VALU_DEP_1)
	v_bitop3_b32 v7, v6, s3, s8 bitop3:0x48
	v_cmp_eq_u32_e64 s0, 0, v7
	s_and_b32 exec_lo, exec_lo, s0
	s_cbranch_execz .LBB115_24
; %bb.27:                               ;   in Loop: Header=BB115_25 Depth=1
	v_bfe_u32 v6, v6, s1, 8
	s_delay_alu instid0(VALU_DEP_1)
	v_lshlrev_b32_e32 v6, 2, v6
	ds_add_u32 v6, v4
	s_branch .LBB115_24
.LBB115_28:
	s_wait_dscnt 0x0
	s_barrier_signal -1
	s_barrier_wait -1
	s_and_saveexec_b32 s0, vcc_lo
	s_cbranch_execz .LBB115_30
; %bb.29:
	ds_load_b32 v1, v1
	v_lshl_or_b32 v0, s16, 8, v0
	s_wait_dscnt 0x0
	global_store_b16 v0, v1, s[6:7] scale_offset
.LBB115_30:
	s_endpgm
	.section	.rodata,"a",@progbits
	.p2align	6, 0x0
	.amdhsa_kernel _ZN2at6native6mbtopk23computeBlockDigitCountsIN3c108BFloat16EjjLin1EEEvNS_4cuda6detail10TensorInfoIKT_T0_EEjPjjSA_iijT1_PSD_Ps
		.amdhsa_group_segment_fixed_size 1024
		.amdhsa_private_segment_fixed_size 0
		.amdhsa_kernarg_size 528
		.amdhsa_user_sgpr_count 2
		.amdhsa_user_sgpr_dispatch_ptr 0
		.amdhsa_user_sgpr_queue_ptr 0
		.amdhsa_user_sgpr_kernarg_segment_ptr 1
		.amdhsa_user_sgpr_dispatch_id 0
		.amdhsa_user_sgpr_kernarg_preload_length 0
		.amdhsa_user_sgpr_kernarg_preload_offset 0
		.amdhsa_user_sgpr_private_segment_size 0
		.amdhsa_wavefront_size32 1
		.amdhsa_uses_dynamic_stack 0
		.amdhsa_enable_private_segment 0
		.amdhsa_system_sgpr_workgroup_id_x 1
		.amdhsa_system_sgpr_workgroup_id_y 1
		.amdhsa_system_sgpr_workgroup_id_z 1
		.amdhsa_system_sgpr_workgroup_info 0
		.amdhsa_system_vgpr_workitem_id 0
		.amdhsa_next_free_vgpr 12
		.amdhsa_next_free_sgpr 24
		.amdhsa_named_barrier_count 0
		.amdhsa_reserve_vcc 1
		.amdhsa_float_round_mode_32 0
		.amdhsa_float_round_mode_16_64 0
		.amdhsa_float_denorm_mode_32 3
		.amdhsa_float_denorm_mode_16_64 3
		.amdhsa_fp16_overflow 0
		.amdhsa_memory_ordered 1
		.amdhsa_forward_progress 1
		.amdhsa_inst_pref_size 15
		.amdhsa_round_robin_scheduling 0
		.amdhsa_exception_fp_ieee_invalid_op 0
		.amdhsa_exception_fp_denorm_src 0
		.amdhsa_exception_fp_ieee_div_zero 0
		.amdhsa_exception_fp_ieee_overflow 0
		.amdhsa_exception_fp_ieee_underflow 0
		.amdhsa_exception_fp_ieee_inexact 0
		.amdhsa_exception_int_div_zero 0
	.end_amdhsa_kernel
	.section	.text._ZN2at6native6mbtopk23computeBlockDigitCountsIN3c108BFloat16EjjLin1EEEvNS_4cuda6detail10TensorInfoIKT_T0_EEjPjjSA_iijT1_PSD_Ps,"axG",@progbits,_ZN2at6native6mbtopk23computeBlockDigitCountsIN3c108BFloat16EjjLin1EEEvNS_4cuda6detail10TensorInfoIKT_T0_EEjPjjSA_iijT1_PSD_Ps,comdat
.Lfunc_end115:
	.size	_ZN2at6native6mbtopk23computeBlockDigitCountsIN3c108BFloat16EjjLin1EEEvNS_4cuda6detail10TensorInfoIKT_T0_EEjPjjSA_iijT1_PSD_Ps, .Lfunc_end115-_ZN2at6native6mbtopk23computeBlockDigitCountsIN3c108BFloat16EjjLin1EEEvNS_4cuda6detail10TensorInfoIKT_T0_EEjPjjSA_iijT1_PSD_Ps
                                        ; -- End function
	.set _ZN2at6native6mbtopk23computeBlockDigitCountsIN3c108BFloat16EjjLin1EEEvNS_4cuda6detail10TensorInfoIKT_T0_EEjPjjSA_iijT1_PSD_Ps.num_vgpr, 12
	.set _ZN2at6native6mbtopk23computeBlockDigitCountsIN3c108BFloat16EjjLin1EEEvNS_4cuda6detail10TensorInfoIKT_T0_EEjPjjSA_iijT1_PSD_Ps.num_agpr, 0
	.set _ZN2at6native6mbtopk23computeBlockDigitCountsIN3c108BFloat16EjjLin1EEEvNS_4cuda6detail10TensorInfoIKT_T0_EEjPjjSA_iijT1_PSD_Ps.numbered_sgpr, 24
	.set _ZN2at6native6mbtopk23computeBlockDigitCountsIN3c108BFloat16EjjLin1EEEvNS_4cuda6detail10TensorInfoIKT_T0_EEjPjjSA_iijT1_PSD_Ps.num_named_barrier, 0
	.set _ZN2at6native6mbtopk23computeBlockDigitCountsIN3c108BFloat16EjjLin1EEEvNS_4cuda6detail10TensorInfoIKT_T0_EEjPjjSA_iijT1_PSD_Ps.private_seg_size, 0
	.set _ZN2at6native6mbtopk23computeBlockDigitCountsIN3c108BFloat16EjjLin1EEEvNS_4cuda6detail10TensorInfoIKT_T0_EEjPjjSA_iijT1_PSD_Ps.uses_vcc, 1
	.set _ZN2at6native6mbtopk23computeBlockDigitCountsIN3c108BFloat16EjjLin1EEEvNS_4cuda6detail10TensorInfoIKT_T0_EEjPjjSA_iijT1_PSD_Ps.uses_flat_scratch, 0
	.set _ZN2at6native6mbtopk23computeBlockDigitCountsIN3c108BFloat16EjjLin1EEEvNS_4cuda6detail10TensorInfoIKT_T0_EEjPjjSA_iijT1_PSD_Ps.has_dyn_sized_stack, 0
	.set _ZN2at6native6mbtopk23computeBlockDigitCountsIN3c108BFloat16EjjLin1EEEvNS_4cuda6detail10TensorInfoIKT_T0_EEjPjjSA_iijT1_PSD_Ps.has_recursion, 0
	.set _ZN2at6native6mbtopk23computeBlockDigitCountsIN3c108BFloat16EjjLin1EEEvNS_4cuda6detail10TensorInfoIKT_T0_EEjPjjSA_iijT1_PSD_Ps.has_indirect_call, 0
	.section	.AMDGPU.csdata,"",@progbits
; Kernel info:
; codeLenInByte = 1812
; TotalNumSgprs: 26
; NumVgprs: 12
; ScratchSize: 0
; MemoryBound: 0
; FloatMode: 240
; IeeeMode: 1
; LDSByteSize: 1024 bytes/workgroup (compile time only)
; SGPRBlocks: 0
; VGPRBlocks: 0
; NumSGPRsForWavesPerEU: 26
; NumVGPRsForWavesPerEU: 12
; NamedBarCnt: 0
; Occupancy: 16
; WaveLimiterHint : 1
; COMPUTE_PGM_RSRC2:SCRATCH_EN: 0
; COMPUTE_PGM_RSRC2:USER_SGPR: 2
; COMPUTE_PGM_RSRC2:TRAP_HANDLER: 0
; COMPUTE_PGM_RSRC2:TGID_X_EN: 1
; COMPUTE_PGM_RSRC2:TGID_Y_EN: 1
; COMPUTE_PGM_RSRC2:TGID_Z_EN: 1
; COMPUTE_PGM_RSRC2:TIDIG_COMP_CNT: 0
	.section	.text._ZN2at6native6mbtopk10gatherTopKIN3c108BFloat16EjLin1EEEvNS_4cuda6detail10TensorInfoIKT_T0_EESA_SA_bjSA_NS7_IS8_SA_EESA_NS7_IlSA_EESA_jjPS8_PjSF_j,"axG",@progbits,_ZN2at6native6mbtopk10gatherTopKIN3c108BFloat16EjLin1EEEvNS_4cuda6detail10TensorInfoIKT_T0_EESA_SA_bjSA_NS7_IS8_SA_EESA_NS7_IlSA_EESA_jjPS8_PjSF_j,comdat
	.protected	_ZN2at6native6mbtopk10gatherTopKIN3c108BFloat16EjLin1EEEvNS_4cuda6detail10TensorInfoIKT_T0_EESA_SA_bjSA_NS7_IS8_SA_EESA_NS7_IlSA_EESA_jjPS8_PjSF_j ; -- Begin function _ZN2at6native6mbtopk10gatherTopKIN3c108BFloat16EjLin1EEEvNS_4cuda6detail10TensorInfoIKT_T0_EESA_SA_bjSA_NS7_IS8_SA_EESA_NS7_IlSA_EESA_jjPS8_PjSF_j
	.globl	_ZN2at6native6mbtopk10gatherTopKIN3c108BFloat16EjLin1EEEvNS_4cuda6detail10TensorInfoIKT_T0_EESA_SA_bjSA_NS7_IS8_SA_EESA_NS7_IlSA_EESA_jjPS8_PjSF_j
	.p2align	8
	.type	_ZN2at6native6mbtopk10gatherTopKIN3c108BFloat16EjLin1EEEvNS_4cuda6detail10TensorInfoIKT_T0_EESA_SA_bjSA_NS7_IS8_SA_EESA_NS7_IlSA_EESA_jjPS8_PjSF_j,@function
_ZN2at6native6mbtopk10gatherTopKIN3c108BFloat16EjLin1EEEvNS_4cuda6detail10TensorInfoIKT_T0_EESA_SA_bjSA_NS7_IS8_SA_EESA_NS7_IlSA_EESA_jjPS8_PjSF_j: ; @_ZN2at6native6mbtopk10gatherTopKIN3c108BFloat16EjLin1EEEvNS_4cuda6detail10TensorInfoIKT_T0_EESA_SA_bjSA_NS7_IS8_SA_EESA_NS7_IlSA_EESA_jjPS8_PjSF_j
; %bb.0:
	s_bfe_u32 s2, ttmp6, 0x40010
	s_and_b32 s4, ttmp7, 0xffff
	s_add_co_i32 s5, s2, 1
	s_clause 0x1
	s_load_b32 s6, s[0:1], 0x2d0
	s_load_b64 s[2:3], s[0:1], 0x2d8
	s_bfe_u32 s8, ttmp6, 0x4000c
	s_mul_i32 s5, s4, s5
	s_bfe_u32 s7, ttmp6, 0x40004
	s_add_co_i32 s8, s8, 1
	s_bfe_u32 s9, ttmp6, 0x40014
	s_add_co_i32 s7, s7, s5
	s_and_b32 s5, ttmp6, 15
	s_mul_i32 s8, ttmp9, s8
	s_lshr_b32 s10, ttmp7, 16
	s_add_co_i32 s9, s9, 1
	s_add_co_i32 s5, s5, s8
	s_mul_i32 s8, s10, s9
	s_bfe_u32 s9, ttmp6, 0x40008
	s_getreg_b32 s11, hwreg(HW_REG_IB_STS2, 6, 4)
	s_add_co_i32 s9, s9, s8
	s_cmp_eq_u32 s11, 0
	s_mov_b32 s17, 0
	s_cselect_b32 s8, s10, s9
	s_cselect_b32 s4, s4, s7
	s_wait_kmcnt 0x0
	s_mul_i32 s3, s3, s8
	s_cselect_b32 s5, ttmp9, s5
	s_add_co_i32 s3, s3, s4
	s_delay_alu instid0(SALU_CYCLE_1) | instskip(NEXT) | instid1(SALU_CYCLE_1)
	s_mul_i32 s8, s3, s2
	s_add_co_i32 s8, s8, s5
	s_delay_alu instid0(SALU_CYCLE_1)
	s_cmp_ge_u32 s8, s6
	s_cbranch_scc1 .LBB116_49
; %bb.1:
	s_clause 0x1
	s_load_b96 s[12:14], s[0:1], 0x2a8
	s_load_b32 s2, s[0:1], 0xd0
	s_wait_kmcnt 0x0
	s_cvt_f32_u32 s3, s14
	s_sub_co_i32 s4, 0, s14
	s_delay_alu instid0(SALU_CYCLE_2) | instskip(SKIP_1) | instid1(TRANS32_DEP_1)
	v_rcp_iflag_f32_e32 v1, s3
	v_nop
	v_readfirstlane_b32 s3, v1
	s_mul_f32 s3, s3, 0x4f7ffffe
	s_delay_alu instid0(SALU_CYCLE_3) | instskip(NEXT) | instid1(SALU_CYCLE_3)
	s_cvt_u32_f32 s3, s3
	s_mul_i32 s4, s4, s3
	s_delay_alu instid0(SALU_CYCLE_1) | instskip(NEXT) | instid1(SALU_CYCLE_1)
	s_mul_hi_u32 s4, s3, s4
	s_add_co_i32 s3, s3, s4
	s_delay_alu instid0(SALU_CYCLE_1) | instskip(NEXT) | instid1(SALU_CYCLE_1)
	s_mul_hi_u32 s3, s8, s3
	s_mul_i32 s4, s3, s14
	s_add_co_i32 s5, s3, 1
	s_sub_co_i32 s4, s8, s4
	s_delay_alu instid0(SALU_CYCLE_1)
	s_sub_co_i32 s6, s4, s14
	s_cmp_ge_u32 s4, s14
	s_cselect_b32 s3, s5, s3
	s_cselect_b32 s4, s6, s4
	s_add_co_i32 s5, s3, 1
	s_cmp_ge_u32 s4, s14
	s_cselect_b32 s9, s5, s3
	s_cmp_lt_i32 s2, 2
	s_mov_b32 s15, s9
	s_cbranch_scc1 .LBB116_4
; %bb.2:
	s_add_co_i32 s16, s2, -1
	s_mov_b32 s15, s9
	s_lshl_b64 s[4:5], s[16:17], 2
	s_delay_alu instid0(SALU_CYCLE_1)
	s_add_nc_u64 s[6:7], s[0:1], s[4:5]
	s_add_co_i32 s4, s2, 1
	s_add_nc_u64 s[2:3], s[6:7], 8
.LBB116_3:                              ; =>This Inner Loop Header: Depth=1
	s_clause 0x1
	s_load_b32 s5, s[2:3], 0x0
	s_load_b32 s6, s[2:3], 0x64
	s_mov_b32 s11, s15
	s_wait_xcnt 0x0
	s_add_nc_u64 s[2:3], s[2:3], -4
	s_wait_kmcnt 0x0
	s_cvt_f32_u32 s7, s5
	s_sub_co_i32 s10, 0, s5
	s_delay_alu instid0(SALU_CYCLE_2) | instskip(SKIP_1) | instid1(TRANS32_DEP_1)
	v_rcp_iflag_f32_e32 v1, s7
	v_nop
	v_readfirstlane_b32 s7, v1
	s_mul_f32 s7, s7, 0x4f7ffffe
	s_delay_alu instid0(SALU_CYCLE_3) | instskip(NEXT) | instid1(SALU_CYCLE_3)
	s_cvt_u32_f32 s7, s7
	s_mul_i32 s10, s10, s7
	s_delay_alu instid0(SALU_CYCLE_1) | instskip(NEXT) | instid1(SALU_CYCLE_1)
	s_mul_hi_u32 s10, s7, s10
	s_add_co_i32 s7, s7, s10
	s_delay_alu instid0(SALU_CYCLE_1) | instskip(NEXT) | instid1(SALU_CYCLE_1)
	s_mul_hi_u32 s7, s15, s7
	s_mul_i32 s10, s7, s5
	s_delay_alu instid0(SALU_CYCLE_1)
	s_sub_co_i32 s10, s15, s10
	s_add_co_i32 s15, s7, 1
	s_sub_co_i32 s16, s10, s5
	s_cmp_ge_u32 s10, s5
	s_cselect_b32 s7, s15, s7
	s_cselect_b32 s10, s16, s10
	s_add_co_i32 s15, s7, 1
	s_cmp_ge_u32 s10, s5
	s_cselect_b32 s15, s15, s7
	s_add_co_i32 s4, s4, -1
	s_mul_i32 s5, s15, s5
	s_delay_alu instid0(SALU_CYCLE_1) | instskip(NEXT) | instid1(SALU_CYCLE_1)
	s_sub_co_i32 s5, s11, s5
	s_mul_i32 s5, s6, s5
	s_delay_alu instid0(SALU_CYCLE_1)
	s_add_co_i32 s17, s5, s17
	s_cmp_gt_u32 s4, 2
	s_cbranch_scc1 .LBB116_3
.LBB116_4:
	s_load_b32 s4, s[0:1], 0x1c0
	s_add_nc_u64 s[2:3], s[0:1], 0xf0
	s_mov_b32 s19, 0
	s_mov_b32 s16, s9
	s_wait_kmcnt 0x0
	s_cmp_lt_i32 s4, 2
	s_cbranch_scc1 .LBB116_7
; %bb.5:
	s_add_co_i32 s18, s4, -1
	s_mov_b32 s16, s9
	s_lshl_b64 s[6:7], s[18:19], 2
	s_delay_alu instid0(SALU_CYCLE_1)
	s_add_nc_u64 s[10:11], s[2:3], s[6:7]
	s_add_co_i32 s6, s4, 1
	s_add_nc_u64 s[4:5], s[10:11], 8
.LBB116_6:                              ; =>This Inner Loop Header: Depth=1
	s_clause 0x1
	s_load_b32 s7, s[4:5], 0x0
	s_load_b32 s10, s[4:5], 0x64
	s_mov_b32 s20, s16
	s_wait_xcnt 0x0
	s_add_nc_u64 s[4:5], s[4:5], -4
	s_wait_kmcnt 0x0
	s_cvt_f32_u32 s11, s7
	s_sub_co_i32 s18, 0, s7
	s_delay_alu instid0(SALU_CYCLE_2) | instskip(SKIP_1) | instid1(TRANS32_DEP_1)
	v_rcp_iflag_f32_e32 v1, s11
	v_nop
	v_readfirstlane_b32 s11, v1
	s_mul_f32 s11, s11, 0x4f7ffffe
	s_delay_alu instid0(SALU_CYCLE_3) | instskip(NEXT) | instid1(SALU_CYCLE_3)
	s_cvt_u32_f32 s11, s11
	s_mul_i32 s18, s18, s11
	s_delay_alu instid0(SALU_CYCLE_1) | instskip(NEXT) | instid1(SALU_CYCLE_1)
	s_mul_hi_u32 s18, s11, s18
	s_add_co_i32 s11, s11, s18
	s_delay_alu instid0(SALU_CYCLE_1) | instskip(NEXT) | instid1(SALU_CYCLE_1)
	s_mul_hi_u32 s11, s16, s11
	s_mul_i32 s16, s11, s7
	s_add_co_i32 s18, s11, 1
	s_sub_co_i32 s16, s20, s16
	s_delay_alu instid0(SALU_CYCLE_1)
	s_sub_co_i32 s21, s16, s7
	s_cmp_ge_u32 s16, s7
	s_cselect_b32 s11, s18, s11
	s_cselect_b32 s16, s21, s16
	s_add_co_i32 s18, s11, 1
	s_cmp_ge_u32 s16, s7
	s_cselect_b32 s16, s18, s11
	s_add_co_i32 s6, s6, -1
	s_mul_i32 s7, s16, s7
	s_delay_alu instid0(SALU_CYCLE_1) | instskip(NEXT) | instid1(SALU_CYCLE_1)
	s_sub_co_i32 s7, s20, s7
	s_mul_i32 s7, s10, s7
	s_delay_alu instid0(SALU_CYCLE_1)
	s_add_co_i32 s19, s7, s19
	s_cmp_gt_u32 s6, 2
	s_cbranch_scc1 .LBB116_6
.LBB116_7:
	s_clause 0x1
	s_load_b32 s18, s[0:1], 0x6c
	s_load_b32 s4, s[0:1], 0x2a0
	s_mov_b32 s21, 0
	s_mov_b32 s20, s9
	s_wait_kmcnt 0x0
	s_cmp_lt_i32 s4, 2
	s_cbranch_scc1 .LBB116_10
; %bb.8:
	s_add_co_i32 s20, s4, -1
	s_add_nc_u64 s[6:7], s[0:1], 0x1d0
	s_lshl_b64 s[10:11], s[20:21], 2
	s_mov_b32 s20, s9
	s_add_nc_u64 s[10:11], s[6:7], s[10:11]
	s_add_co_i32 s6, s4, 1
	s_add_nc_u64 s[4:5], s[10:11], 8
.LBB116_9:                              ; =>This Inner Loop Header: Depth=1
	s_clause 0x1
	s_load_b32 s7, s[4:5], 0x0
	s_load_b32 s10, s[4:5], 0x64
	s_mov_b32 s23, s20
	s_wait_xcnt 0x0
	s_add_nc_u64 s[4:5], s[4:5], -4
	s_wait_kmcnt 0x0
	s_cvt_f32_u32 s11, s7
	s_sub_co_i32 s22, 0, s7
	s_delay_alu instid0(SALU_CYCLE_2) | instskip(SKIP_1) | instid1(TRANS32_DEP_1)
	v_rcp_iflag_f32_e32 v1, s11
	v_nop
	v_readfirstlane_b32 s11, v1
	s_mul_f32 s11, s11, 0x4f7ffffe
	s_delay_alu instid0(SALU_CYCLE_3) | instskip(NEXT) | instid1(SALU_CYCLE_3)
	s_cvt_u32_f32 s11, s11
	s_mul_i32 s22, s22, s11
	s_delay_alu instid0(SALU_CYCLE_1) | instskip(NEXT) | instid1(SALU_CYCLE_1)
	s_mul_hi_u32 s22, s11, s22
	s_add_co_i32 s11, s11, s22
	s_delay_alu instid0(SALU_CYCLE_1) | instskip(NEXT) | instid1(SALU_CYCLE_1)
	s_mul_hi_u32 s11, s20, s11
	s_mul_i32 s20, s11, s7
	s_add_co_i32 s22, s11, 1
	s_sub_co_i32 s20, s23, s20
	s_delay_alu instid0(SALU_CYCLE_1)
	s_sub_co_i32 s24, s20, s7
	s_cmp_ge_u32 s20, s7
	s_cselect_b32 s11, s22, s11
	s_cselect_b32 s20, s24, s20
	s_add_co_i32 s22, s11, 1
	s_cmp_ge_u32 s20, s7
	s_cselect_b32 s20, s22, s11
	s_add_co_i32 s6, s6, -1
	s_mul_i32 s7, s20, s7
	s_delay_alu instid0(SALU_CYCLE_1) | instskip(NEXT) | instid1(SALU_CYCLE_1)
	s_sub_co_i32 s7, s23, s7
	s_mul_i32 s7, s10, s7
	s_delay_alu instid0(SALU_CYCLE_1)
	s_add_co_i32 s21, s7, s21
	s_cmp_gt_u32 s6, 2
	s_cbranch_scc1 .LBB116_9
.LBB116_10:
	s_clause 0x1
	s_load_b32 s31, s[2:3], 0x6c
	s_load_b128 s[4:7], s[0:1], 0x2b8
	v_mov_b32_e32 v1, s9
	s_wait_xcnt 0x0
	v_cmp_ne_u32_e64 s2, 0, v0
	v_cmp_eq_u32_e64 s3, 0, v0
	s_wait_kmcnt 0x0
	global_load_u16 v1, v1, s[4:5] scale_offset
	s_wait_xcnt 0x0
	s_mul_i32 s4, s9, s14
	s_mov_b32 s5, 0
	s_sub_co_i32 s33, s8, s4
	s_wait_loadcnt 0x0
	v_readfirstlane_b32 s30, v1
	s_and_saveexec_b32 s34, s3
	s_cbranch_execz .LBB116_26
; %bb.11:
	s_load_b64 s[24:25], s[0:1], 0x2c8
	s_lshl_b64 s[26:27], s[4:5], 2
	s_cmp_lt_u32 s14, 4
	s_cbranch_scc1 .LBB116_23
; %bb.12:
	s_mov_b64 s[22:23], 0
	s_mov_b32 s4, 0
.LBB116_13:                             ; =>This Inner Loop Header: Depth=1
	s_add_nc_u64 s[28:29], s[6:7], s[26:27]
	s_cmp_ge_u32 s4, s33
	s_load_b128 s[8:11], s[28:29], 0x0
	s_wait_kmcnt 0x0
	s_add_nc_u64 s[28:29], s[24:25], s[26:27]
	s_cbranch_scc0 .LBB116_20
; %bb.14:                               ;   in Loop: Header=BB116_13 Depth=1
	s_add_co_i32 s35, s4, 1
	s_delay_alu instid0(SALU_CYCLE_1)
	s_cmp_ge_u32 s35, s33
	s_cbranch_scc0 .LBB116_21
.LBB116_15:                             ;   in Loop: Header=BB116_13 Depth=1
	s_add_co_i32 s35, s35, 1
	s_delay_alu instid0(SALU_CYCLE_1)
	s_cmp_ge_u32 s35, s33
	s_cbranch_scc0 .LBB116_22
.LBB116_16:                             ;   in Loop: Header=BB116_13 Depth=1
	s_add_co_i32 s35, s35, 1
	s_delay_alu instid0(SALU_CYCLE_1)
	s_cmp_ge_u32 s35, s33
	s_cbranch_scc1 .LBB116_18
.LBB116_17:                             ;   in Loop: Header=BB116_13 Depth=1
	s_load_b32 s28, s[28:29], 0xc
	s_add_co_i32 s23, s11, s23
	s_wait_kmcnt 0x0
	s_add_co_i32 s22, s28, s22
.LBB116_18:                             ;   in Loop: Header=BB116_13 Depth=1
	s_add_co_i32 s5, s8, s5
	s_add_co_i32 s8, s35, 1
	;; [unrolled: 1-line block ×5, first 2 shown]
	s_add_nc_u64 s[6:7], s[6:7], 16
	s_add_co_i32 s5, s5, s11
	s_cmp_ge_u32 s9, s14
	s_add_nc_u64 s[24:25], s[24:25], 16
	s_cbranch_scc1 .LBB116_24
; %bb.19:                               ;   in Loop: Header=BB116_13 Depth=1
	s_mov_b32 s4, s8
	s_branch .LBB116_13
.LBB116_20:                             ;   in Loop: Header=BB116_13 Depth=1
	s_load_b32 s35, s[28:29], 0x0
	s_add_co_i32 s23, s8, s23
	s_wait_kmcnt 0x0
	s_add_co_i32 s22, s35, s22
	s_add_co_i32 s35, s4, 1
	s_delay_alu instid0(SALU_CYCLE_1)
	s_cmp_ge_u32 s35, s33
	s_cbranch_scc1 .LBB116_15
.LBB116_21:                             ;   in Loop: Header=BB116_13 Depth=1
	s_load_b32 s36, s[28:29], 0x4
	s_add_co_i32 s23, s9, s23
	s_wait_kmcnt 0x0
	s_add_co_i32 s22, s36, s22
	s_add_co_i32 s35, s35, 1
	s_delay_alu instid0(SALU_CYCLE_1)
	s_cmp_ge_u32 s35, s33
	s_cbranch_scc1 .LBB116_16
.LBB116_22:                             ;   in Loop: Header=BB116_13 Depth=1
	s_load_b32 s36, s[28:29], 0x8
	s_add_co_i32 s23, s10, s23
	s_wait_kmcnt 0x0
	s_add_co_i32 s22, s36, s22
	s_add_co_i32 s35, s35, 1
	s_delay_alu instid0(SALU_CYCLE_1)
	s_cmp_ge_u32 s35, s33
	s_cbranch_scc0 .LBB116_17
	s_branch .LBB116_18
.LBB116_23:
	s_mov_b64 s[22:23], 0
	s_add_nc_u64 s[6:7], s[6:7], s[26:27]
	s_wait_kmcnt 0x0
	s_add_nc_u64 s[8:9], s[24:25], s[26:27]
	s_mov_b32 s4, 0
	s_delay_alu instid0(SALU_CYCLE_1)
	s_cmp_ge_u32 s4, s14
	s_cbranch_scc0 .LBB116_47
	s_branch .LBB116_25
.LBB116_24:
	s_add_co_i32 s4, s4, 4
	s_add_nc_u64 s[8:9], s[24:25], s[26:27]
	s_add_nc_u64 s[6:7], s[6:7], s[26:27]
	s_cmp_ge_u32 s4, s14
	s_cbranch_scc0 .LBB116_47
.LBB116_25:
	v_dual_mov_b32 v2, s22 :: v_dual_mov_b32 v3, s5
	v_dual_mov_b32 v4, s23 :: v_dual_mov_b32 v1, 0
	ds_store_b96 v1, v[2:4] offset:1056
.LBB116_26:
	s_or_b32 exec_lo, exec_lo, s34
	s_clause 0x4
	s_load_b32 s26, s[0:1], 0x23c
	s_load_b64 s[8:9], s[0:1], 0x0
	s_load_b64 s[10:11], s[0:1], 0xf0
	;; [unrolled: 1-line block ×3, first 2 shown]
	s_load_b96 s[4:6], s[0:1], 0xd8
	s_mul_i32 s7, s13, s33
	s_mov_b32 s25, 0
	s_lshl_b32 s7, s7, 8
	s_add_co_i32 s33, s33, 1
	s_wait_dscnt 0x0
	s_barrier_signal -1
	s_barrier_wait -1
	s_wait_kmcnt 0x0
	s_sub_co_i32 s24, s4, s7
	s_delay_alu instid0(SALU_CYCLE_1) | instskip(NEXT) | instid1(SALU_CYCLE_1)
	s_add_nc_u64 s[28:29], s[24:25], 0xff
	s_lshr_b64 s[28:29], s[28:29], 8
	s_cmp_lt_u32 s33, s14
	s_cselect_b32 s13, s13, s28
	s_delay_alu instid0(SALU_CYCLE_1)
	s_cmp_eq_u32 s13, 0
	s_cbranch_scc1 .LBB116_49
; %bb.27:
	v_dual_mov_b32 v7, 0 :: v_dual_lshrrev_b32 v1, 3, v0
	s_mul_i32 s15, s18, s15
	s_mul_i32 s14, s31, s16
	s_add_co_i32 s24, s15, s17
	ds_load_b96 v[2:4], v7 offset:1056
	s_add_co_i32 s14, s14, s19
	s_lshl_b64 s[18:19], s[24:25], 1
	s_mov_b32 s15, s25
	s_mov_b32 s17, s25
	s_load_b32 s25, s[0:1], 0xe8
	s_lshl_b64 s[14:15], s[14:15], 1
	v_dual_add_nc_u32 v5, -1, v0 :: v_dual_bitop2_b32 v6, 28, v1 bitop3:0x40
	s_add_nc_u64 s[10:11], s[10:11], s[14:15]
	s_load_b32 s15, s[0:1], 0x1c8
	s_mul_i32 s16, s26, s20
	s_delay_alu instid0(VALU_DEP_1)
	v_lshrrev_b32_e32 v8, 3, v5
	s_add_co_i32 s16, s16, s21
	s_sext_i32_i16 s20, s30
	s_lshl_b64 s[16:17], s[16:17], 3
	s_and_b32 s21, 0xffff, s30
	s_cmp_gt_i32 s20, -1
	s_mov_b32 s20, 0x8000
	v_and_b32_e32 v9, 0xfc, v0
	s_wait_dscnt 0x0
	v_add_nc_u32_e32 v1, v2, v3
	v_lshl_add_u32 v2, v0, 2, v6
	v_dual_add_nc_u32 v6, s7, v0 :: v_dual_lshlrev_b32 v10, 5, v0
	s_cselect_b32 s20, s20, 0xffff
	s_wait_xcnt 0x0
	v_cmp_gt_u32_e64 s0, 32, v0
	s_lshl_b32 s24, s30, 16
	s_wait_kmcnt 0x0
	v_mul_lo_u32 v0, s25, v6
	v_and_b32_e32 v8, 0x1ffffffc, v8
	v_mbcnt_lo_u32_b32 v3, -1, 0
	s_xor_b32 s20, s20, s21
	s_cmp_o_f32 s24, s24
	v_mov_b32_e32 v12, 0x8000
	v_lshl_add_u32 v5, v5, 2, v8
	v_dual_add_nc_u32 v8, v9, v10 :: v_dual_bitop2_b32 v9, 15, v3 bitop3:0x40
	v_bfe_i32 v10, v3, 4, 1
	v_add_nc_u32_e32 v11, -1, v3
	s_cselect_b32 s14, s20, 0xffff
	s_bitcmp1_b32 s6, 0
	s_add_nc_u64 s[8:9], s[8:9], s[18:19]
	s_add_nc_u64 s[6:7], s[22:23], s[16:17]
	s_cselect_b32 s1, -1, 0
	s_lshl_b32 s16, s25, 8
                                        ; implicit-def: $vgpr13
	s_branch .LBB116_30
.LBB116_28:                             ;   in Loop: Header=BB116_30 Depth=1
	s_wait_xcnt 0x0
	s_or_b32 exec_lo, exec_lo, s17
	v_add_nc_u32_e32 v1, v16, v1
.LBB116_29:                             ;   in Loop: Header=BB116_30 Depth=1
	v_add_nc_u32_e32 v4, v15, v4
	v_add_nc_u32_e32 v0, s16, v0
	;; [unrolled: 1-line block ×3, first 2 shown]
	s_add_co_i32 s13, s13, -1
	s_delay_alu instid0(SALU_CYCLE_1)
	s_cmp_lg_u32 s13, 0
	s_cbranch_scc0 .LBB116_49
.LBB116_30:                             ; =>This Inner Loop Header: Depth=1
	v_dual_mov_b32 v16, 0 :: v_dual_mov_b32 v14, 0
	s_mov_b32 s17, exec_lo
	v_cmpx_gt_u32_e64 s4, v6
	s_cbranch_execz .LBB116_32
; %bb.31:                               ;   in Loop: Header=BB116_30 Depth=1
	global_load_u16 v13, v0, s[8:9] scale_offset
	s_wait_loadcnt 0x0
	v_cmp_lt_i16_e32 vcc_lo, -1, v13
	v_and_b32_e32 v14, 0xffff, v13
	v_dual_cndmask_b32 v15, 0xffff, v12 :: v_dual_lshlrev_b32 v16, 16, v13
	s_delay_alu instid0(VALU_DEP_1) | instskip(NEXT) | instid1(VALU_DEP_2)
	v_cmp_o_f32_e32 vcc_lo, v16, v16
	v_xor_b32_e32 v14, v15, v14
	s_delay_alu instid0(VALU_DEP_1) | instskip(NEXT) | instid1(VALU_DEP_1)
	v_cndmask_b32_e32 v14, 0xffff, v14, vcc_lo
	v_cmp_lt_u32_e32 vcc_lo, s14, v14
	v_cndmask_b32_e64 v15, 0, 1, vcc_lo
	v_cmp_gt_u32_e32 vcc_lo, s14, v14
	v_cndmask_b32_e64 v16, 0, 1, vcc_lo
	v_cmp_eq_u32_e32 vcc_lo, s14, v14
	s_delay_alu instid0(VALU_DEP_2) | instskip(SKIP_1) | instid1(VALU_DEP_2)
	v_cndmask_b32_e64 v15, v16, v15, s1
	v_cndmask_b32_e64 v14, 0, 1, vcc_lo
	v_and_b32_e32 v16, 1, v15
.LBB116_32:                             ;   in Loop: Header=BB116_30 Depth=1
	s_wait_xcnt 0x0
	s_or_b32 exec_lo, exec_lo, s17
	ds_store_b32 v2, v16
	s_wait_dscnt 0x0
	s_barrier_signal -1
	s_barrier_wait -1
	s_and_saveexec_b32 s17, s0
	s_cbranch_execz .LBB116_34
; %bb.33:                               ;   in Loop: Header=BB116_30 Depth=1
	ds_load_2addr_b32 v[18:19], v8 offset1:1
	ds_load_2addr_b32 v[20:21], v8 offset0:2 offset1:3
	ds_load_2addr_b32 v[22:23], v8 offset0:4 offset1:5
	ds_load_2addr_b32 v[24:25], v8 offset0:6 offset1:7
	v_cmp_ne_u32_e32 vcc_lo, 0, v9
	; wave barrier
	s_wait_dscnt 0x3
	v_add_nc_u32_e32 v15, v19, v18
	s_wait_dscnt 0x2
	s_delay_alu instid0(VALU_DEP_1) | instskip(SKIP_1) | instid1(VALU_DEP_1)
	v_add3_u32 v15, v15, v20, v21
	s_wait_dscnt 0x1
	v_add3_u32 v15, v15, v22, v23
	s_wait_dscnt 0x0
	s_delay_alu instid0(VALU_DEP_1) | instskip(NEXT) | instid1(VALU_DEP_1)
	v_add3_u32 v15, v15, v24, v25
	v_mov_b32_dpp v17, v15 row_shr:1 row_mask:0xf bank_mask:0xf
	s_delay_alu instid0(VALU_DEP_1) | instskip(SKIP_1) | instid1(VALU_DEP_2)
	v_cndmask_b32_e32 v17, 0, v17, vcc_lo
	v_cmp_lt_u32_e32 vcc_lo, 1, v9
	v_add_nc_u32_e32 v15, v17, v15
	s_delay_alu instid0(VALU_DEP_1) | instskip(NEXT) | instid1(VALU_DEP_1)
	v_mov_b32_dpp v17, v15 row_shr:2 row_mask:0xf bank_mask:0xf
	v_cndmask_b32_e32 v17, 0, v17, vcc_lo
	v_cmp_lt_u32_e32 vcc_lo, 3, v9
	s_delay_alu instid0(VALU_DEP_2) | instskip(NEXT) | instid1(VALU_DEP_1)
	v_add_nc_u32_e32 v15, v15, v17
	v_mov_b32_dpp v17, v15 row_shr:4 row_mask:0xf bank_mask:0xf
	s_delay_alu instid0(VALU_DEP_1) | instskip(SKIP_1) | instid1(VALU_DEP_2)
	v_cndmask_b32_e32 v17, 0, v17, vcc_lo
	v_cmp_lt_u32_e32 vcc_lo, 7, v9
	v_add_nc_u32_e32 v15, v15, v17
	s_delay_alu instid0(VALU_DEP_1) | instskip(NEXT) | instid1(VALU_DEP_1)
	v_mov_b32_dpp v17, v15 row_shr:8 row_mask:0xf bank_mask:0xf
	v_cndmask_b32_e32 v17, 0, v17, vcc_lo
	v_cmp_gt_i32_e32 vcc_lo, 0, v11
	s_delay_alu instid0(VALU_DEP_2) | instskip(SKIP_4) | instid1(VALU_DEP_1)
	v_add_nc_u32_e32 v15, v15, v17
	v_cndmask_b32_e32 v19, v11, v3, vcc_lo
	ds_swizzle_b32 v17, v15 offset:swizzle(BROADCAST,32,15)
	s_wait_dscnt 0x0
	v_dual_lshlrev_b32 v19, 2, v19 :: v_dual_bitop2_b32 v17, v10, v17 bitop3:0x40
	v_add_nc_u32_e32 v15, v15, v17
	ds_bpermute_b32 v15, v19, v15
	s_wait_dscnt 0x0
	v_add_nc_u32_e32 v15, v15, v18
	s_delay_alu instid0(VALU_DEP_1)
	v_cndmask_b32_e64 v15, v15, v16, s3
	ds_store_b32 v8, v15
	; wave barrier
	ds_load_2addr_b32 v[18:19], v8 offset0:1 offset1:2
	ds_load_2addr_b32 v[20:21], v8 offset0:3 offset1:4
	;; [unrolled: 1-line block ×3, first 2 shown]
	ds_load_b32 v17, v8 offset:28
	s_wait_dscnt 0x3
	v_add_nc_u32_e32 v15, v18, v15
	s_delay_alu instid0(VALU_DEP_1) | instskip(SKIP_1) | instid1(VALU_DEP_1)
	v_add_nc_u32_e32 v18, v19, v15
	s_wait_dscnt 0x2
	v_add_nc_u32_e32 v19, v20, v18
	s_delay_alu instid0(VALU_DEP_1) | instskip(SKIP_1) | instid1(VALU_DEP_1)
	v_add_nc_u32_e32 v20, v21, v19
	;; [unrolled: 4-line block ×3, first 2 shown]
	s_wait_dscnt 0x0
	v_add_nc_u32_e32 v17, v17, v22
	ds_store_2addr_b32 v8, v15, v18 offset0:1 offset1:2
	ds_store_2addr_b32 v8, v19, v20 offset0:3 offset1:4
	;; [unrolled: 1-line block ×3, first 2 shown]
	ds_store_b32 v8, v17 offset:28
.LBB116_34:                             ;   in Loop: Header=BB116_30 Depth=1
	s_or_b32 exec_lo, exec_lo, s17
	v_mov_b32_e32 v17, 0
	s_wait_dscnt 0x0
	s_barrier_signal -1
	s_barrier_wait -1
	s_and_saveexec_b32 s17, s2
; %bb.35:                               ;   in Loop: Header=BB116_30 Depth=1
	ds_load_b32 v17, v5
; %bb.36:                               ;   in Loop: Header=BB116_30 Depth=1
	s_or_b32 exec_lo, exec_lo, s17
	ds_load_b32 v15, v7 offset:1048
	s_mov_b32 s17, exec_lo
	s_wait_dscnt 0x0
	s_barrier_signal -1
	s_barrier_wait -1
	v_cmpx_ne_u32_e32 0, v16
	s_cbranch_execz .LBB116_38
; %bb.37:                               ;   in Loop: Header=BB116_30 Depth=1
	v_add_nc_u32_e32 v16, v17, v4
	s_delay_alu instid0(VALU_DEP_1)
	v_mul_lo_u32 v17, v16, s15
	v_mul_lo_u32 v16, v16, s12
	global_store_b16 v17, v13, s[10:11] scale_offset
	global_store_b64 v16, v[6:7], s[6:7] scale_offset
.LBB116_38:                             ;   in Loop: Header=BB116_30 Depth=1
	s_wait_xcnt 0x0
	s_or_b32 exec_lo, exec_lo, s17
	v_cmp_le_u32_e32 vcc_lo, s5, v1
	s_cbranch_vccnz .LBB116_29
; %bb.39:                               ;   in Loop: Header=BB116_30 Depth=1
	ds_store_b32 v2, v14
	s_wait_storecnt_dscnt 0x0
	s_barrier_signal -1
	s_barrier_wait -1
	s_and_saveexec_b32 s17, s0
	s_cbranch_execz .LBB116_41
; %bb.40:                               ;   in Loop: Header=BB116_30 Depth=1
	ds_load_2addr_b32 v[16:17], v8 offset1:1
	ds_load_2addr_b32 v[18:19], v8 offset0:2 offset1:3
	ds_load_2addr_b32 v[20:21], v8 offset0:4 offset1:5
	;; [unrolled: 1-line block ×3, first 2 shown]
	v_cmp_ne_u32_e32 vcc_lo, 0, v9
	; wave barrier
	s_wait_dscnt 0x3
	v_add_nc_u32_e32 v17, v17, v16
	s_wait_dscnt 0x2
	s_delay_alu instid0(VALU_DEP_1) | instskip(SKIP_1) | instid1(VALU_DEP_1)
	v_add3_u32 v17, v17, v18, v19
	s_wait_dscnt 0x1
	v_add3_u32 v17, v17, v20, v21
	s_wait_dscnt 0x0
	s_delay_alu instid0(VALU_DEP_1) | instskip(NEXT) | instid1(VALU_DEP_1)
	v_add3_u32 v17, v17, v22, v23
	v_mov_b32_dpp v18, v17 row_shr:1 row_mask:0xf bank_mask:0xf
	s_delay_alu instid0(VALU_DEP_1) | instskip(SKIP_1) | instid1(VALU_DEP_2)
	v_cndmask_b32_e32 v18, 0, v18, vcc_lo
	v_cmp_lt_u32_e32 vcc_lo, 1, v9
	v_add_nc_u32_e32 v17, v18, v17
	s_delay_alu instid0(VALU_DEP_1) | instskip(NEXT) | instid1(VALU_DEP_1)
	v_mov_b32_dpp v18, v17 row_shr:2 row_mask:0xf bank_mask:0xf
	v_cndmask_b32_e32 v18, 0, v18, vcc_lo
	v_cmp_lt_u32_e32 vcc_lo, 3, v9
	s_delay_alu instid0(VALU_DEP_2) | instskip(NEXT) | instid1(VALU_DEP_1)
	v_add_nc_u32_e32 v17, v17, v18
	v_mov_b32_dpp v18, v17 row_shr:4 row_mask:0xf bank_mask:0xf
	s_delay_alu instid0(VALU_DEP_1) | instskip(SKIP_1) | instid1(VALU_DEP_2)
	v_cndmask_b32_e32 v18, 0, v18, vcc_lo
	v_cmp_lt_u32_e32 vcc_lo, 7, v9
	v_add_nc_u32_e32 v17, v17, v18
	s_delay_alu instid0(VALU_DEP_1) | instskip(NEXT) | instid1(VALU_DEP_1)
	v_mov_b32_dpp v18, v17 row_shr:8 row_mask:0xf bank_mask:0xf
	v_cndmask_b32_e32 v18, 0, v18, vcc_lo
	v_cmp_gt_i32_e32 vcc_lo, 0, v11
	s_delay_alu instid0(VALU_DEP_2) | instskip(SKIP_3) | instid1(VALU_DEP_1)
	v_dual_add_nc_u32 v17, v17, v18 :: v_dual_cndmask_b32 v19, v11, v3, vcc_lo
	ds_swizzle_b32 v18, v17 offset:swizzle(BROADCAST,32,15)
	s_wait_dscnt 0x0
	v_dual_lshlrev_b32 v19, 2, v19 :: v_dual_bitop2_b32 v18, v10, v18 bitop3:0x40
	v_add_nc_u32_e32 v17, v17, v18
	ds_bpermute_b32 v17, v19, v17
	s_wait_dscnt 0x0
	v_add_nc_u32_e32 v16, v17, v16
	s_delay_alu instid0(VALU_DEP_1)
	v_cndmask_b32_e64 v22, v16, v14, s3
	ds_store_b32 v8, v22
	; wave barrier
	ds_load_2addr_b32 v[16:17], v8 offset0:1 offset1:2
	ds_load_2addr_b32 v[18:19], v8 offset0:3 offset1:4
	;; [unrolled: 1-line block ×3, first 2 shown]
	ds_load_b32 v23, v8 offset:28
	s_wait_dscnt 0x3
	v_add_nc_u32_e32 v16, v16, v22
	s_delay_alu instid0(VALU_DEP_1) | instskip(SKIP_1) | instid1(VALU_DEP_1)
	v_add_nc_u32_e32 v17, v17, v16
	s_wait_dscnt 0x2
	v_add_nc_u32_e32 v18, v18, v17
	s_delay_alu instid0(VALU_DEP_1) | instskip(SKIP_1) | instid1(VALU_DEP_1)
	v_add_nc_u32_e32 v19, v19, v18
	s_wait_dscnt 0x1
	v_add_nc_u32_e32 v20, v20, v19
	s_delay_alu instid0(VALU_DEP_1) | instskip(SKIP_1) | instid1(VALU_DEP_1)
	v_add_nc_u32_e32 v21, v21, v20
	s_wait_dscnt 0x0
	v_add_nc_u32_e32 v22, v23, v21
	ds_store_2addr_b32 v8, v16, v17 offset0:1 offset1:2
	ds_store_2addr_b32 v8, v18, v19 offset0:3 offset1:4
	;; [unrolled: 1-line block ×3, first 2 shown]
	ds_store_b32 v8, v22 offset:28
.LBB116_41:                             ;   in Loop: Header=BB116_30 Depth=1
	s_or_b32 exec_lo, exec_lo, s17
	v_mov_b32_e32 v17, 0
	s_wait_dscnt 0x0
	s_barrier_signal -1
	s_barrier_wait -1
	s_and_saveexec_b32 s17, s2
; %bb.42:                               ;   in Loop: Header=BB116_30 Depth=1
	ds_load_b32 v17, v5
; %bb.43:                               ;   in Loop: Header=BB116_30 Depth=1
	s_or_b32 exec_lo, exec_lo, s17
	ds_load_b32 v16, v7 offset:1048
	s_mov_b32 s17, exec_lo
	s_wait_dscnt 0x0
	s_barrier_signal -1
	s_barrier_wait -1
	v_cmpx_ne_u32_e32 0, v14
	s_cbranch_execz .LBB116_28
; %bb.44:                               ;   in Loop: Header=BB116_30 Depth=1
	v_add_nc_u32_e32 v14, v17, v1
	s_delay_alu instid0(VALU_DEP_1)
	v_cmp_gt_u32_e32 vcc_lo, s5, v14
	s_and_b32 exec_lo, exec_lo, vcc_lo
	s_cbranch_execz .LBB116_28
; %bb.45:                               ;   in Loop: Header=BB116_30 Depth=1
	v_mul_lo_u32 v17, v14, s15
	v_mul_lo_u32 v14, v14, s12
	global_store_b16 v17, v13, s[10:11] scale_offset
	global_store_b64 v14, v[6:7], s[6:7] scale_offset
	s_branch .LBB116_28
.LBB116_46:                             ;   in Loop: Header=BB116_47 Depth=1
	s_add_co_i32 s4, s4, 1
	s_wait_kmcnt 0x0
	s_add_co_i32 s5, s10, s5
	s_add_nc_u64 s[6:7], s[6:7], 4
	s_cmp_lt_u32 s4, s14
	s_add_nc_u64 s[8:9], s[8:9], 4
	s_cbranch_scc0 .LBB116_25
.LBB116_47:                             ; =>This Inner Loop Header: Depth=1
	s_load_b32 s10, s[6:7], 0x0
	s_cmp_ge_u32 s4, s33
	s_cbranch_scc1 .LBB116_46
; %bb.48:                               ;   in Loop: Header=BB116_47 Depth=1
	s_load_b32 s11, s[8:9], 0x0
	s_wait_kmcnt 0x0
	s_add_co_i32 s23, s10, s23
	s_add_co_i32 s22, s11, s22
	s_branch .LBB116_46
.LBB116_49:
	s_endpgm
	.section	.rodata,"a",@progbits
	.p2align	6, 0x0
	.amdhsa_kernel _ZN2at6native6mbtopk10gatherTopKIN3c108BFloat16EjLin1EEEvNS_4cuda6detail10TensorInfoIKT_T0_EESA_SA_bjSA_NS7_IS8_SA_EESA_NS7_IlSA_EESA_jjPS8_PjSF_j
		.amdhsa_group_segment_fixed_size 1068
		.amdhsa_private_segment_fixed_size 0
		.amdhsa_kernarg_size 984
		.amdhsa_user_sgpr_count 2
		.amdhsa_user_sgpr_dispatch_ptr 0
		.amdhsa_user_sgpr_queue_ptr 0
		.amdhsa_user_sgpr_kernarg_segment_ptr 1
		.amdhsa_user_sgpr_dispatch_id 0
		.amdhsa_user_sgpr_kernarg_preload_length 0
		.amdhsa_user_sgpr_kernarg_preload_offset 0
		.amdhsa_user_sgpr_private_segment_size 0
		.amdhsa_wavefront_size32 1
		.amdhsa_uses_dynamic_stack 0
		.amdhsa_enable_private_segment 0
		.amdhsa_system_sgpr_workgroup_id_x 1
		.amdhsa_system_sgpr_workgroup_id_y 1
		.amdhsa_system_sgpr_workgroup_id_z 1
		.amdhsa_system_sgpr_workgroup_info 0
		.amdhsa_system_vgpr_workitem_id 0
		.amdhsa_next_free_vgpr 26
		.amdhsa_next_free_sgpr 37
		.amdhsa_named_barrier_count 0
		.amdhsa_reserve_vcc 1
		.amdhsa_float_round_mode_32 0
		.amdhsa_float_round_mode_16_64 0
		.amdhsa_float_denorm_mode_32 3
		.amdhsa_float_denorm_mode_16_64 3
		.amdhsa_fp16_overflow 0
		.amdhsa_memory_ordered 1
		.amdhsa_forward_progress 1
		.amdhsa_inst_pref_size 26
		.amdhsa_round_robin_scheduling 0
		.amdhsa_exception_fp_ieee_invalid_op 0
		.amdhsa_exception_fp_denorm_src 0
		.amdhsa_exception_fp_ieee_div_zero 0
		.amdhsa_exception_fp_ieee_overflow 0
		.amdhsa_exception_fp_ieee_underflow 0
		.amdhsa_exception_fp_ieee_inexact 0
		.amdhsa_exception_int_div_zero 0
	.end_amdhsa_kernel
	.section	.text._ZN2at6native6mbtopk10gatherTopKIN3c108BFloat16EjLin1EEEvNS_4cuda6detail10TensorInfoIKT_T0_EESA_SA_bjSA_NS7_IS8_SA_EESA_NS7_IlSA_EESA_jjPS8_PjSF_j,"axG",@progbits,_ZN2at6native6mbtopk10gatherTopKIN3c108BFloat16EjLin1EEEvNS_4cuda6detail10TensorInfoIKT_T0_EESA_SA_bjSA_NS7_IS8_SA_EESA_NS7_IlSA_EESA_jjPS8_PjSF_j,comdat
.Lfunc_end116:
	.size	_ZN2at6native6mbtopk10gatherTopKIN3c108BFloat16EjLin1EEEvNS_4cuda6detail10TensorInfoIKT_T0_EESA_SA_bjSA_NS7_IS8_SA_EESA_NS7_IlSA_EESA_jjPS8_PjSF_j, .Lfunc_end116-_ZN2at6native6mbtopk10gatherTopKIN3c108BFloat16EjLin1EEEvNS_4cuda6detail10TensorInfoIKT_T0_EESA_SA_bjSA_NS7_IS8_SA_EESA_NS7_IlSA_EESA_jjPS8_PjSF_j
                                        ; -- End function
	.set _ZN2at6native6mbtopk10gatherTopKIN3c108BFloat16EjLin1EEEvNS_4cuda6detail10TensorInfoIKT_T0_EESA_SA_bjSA_NS7_IS8_SA_EESA_NS7_IlSA_EESA_jjPS8_PjSF_j.num_vgpr, 26
	.set _ZN2at6native6mbtopk10gatherTopKIN3c108BFloat16EjLin1EEEvNS_4cuda6detail10TensorInfoIKT_T0_EESA_SA_bjSA_NS7_IS8_SA_EESA_NS7_IlSA_EESA_jjPS8_PjSF_j.num_agpr, 0
	.set _ZN2at6native6mbtopk10gatherTopKIN3c108BFloat16EjLin1EEEvNS_4cuda6detail10TensorInfoIKT_T0_EESA_SA_bjSA_NS7_IS8_SA_EESA_NS7_IlSA_EESA_jjPS8_PjSF_j.numbered_sgpr, 37
	.set _ZN2at6native6mbtopk10gatherTopKIN3c108BFloat16EjLin1EEEvNS_4cuda6detail10TensorInfoIKT_T0_EESA_SA_bjSA_NS7_IS8_SA_EESA_NS7_IlSA_EESA_jjPS8_PjSF_j.num_named_barrier, 0
	.set _ZN2at6native6mbtopk10gatherTopKIN3c108BFloat16EjLin1EEEvNS_4cuda6detail10TensorInfoIKT_T0_EESA_SA_bjSA_NS7_IS8_SA_EESA_NS7_IlSA_EESA_jjPS8_PjSF_j.private_seg_size, 0
	.set _ZN2at6native6mbtopk10gatherTopKIN3c108BFloat16EjLin1EEEvNS_4cuda6detail10TensorInfoIKT_T0_EESA_SA_bjSA_NS7_IS8_SA_EESA_NS7_IlSA_EESA_jjPS8_PjSF_j.uses_vcc, 1
	.set _ZN2at6native6mbtopk10gatherTopKIN3c108BFloat16EjLin1EEEvNS_4cuda6detail10TensorInfoIKT_T0_EESA_SA_bjSA_NS7_IS8_SA_EESA_NS7_IlSA_EESA_jjPS8_PjSF_j.uses_flat_scratch, 0
	.set _ZN2at6native6mbtopk10gatherTopKIN3c108BFloat16EjLin1EEEvNS_4cuda6detail10TensorInfoIKT_T0_EESA_SA_bjSA_NS7_IS8_SA_EESA_NS7_IlSA_EESA_jjPS8_PjSF_j.has_dyn_sized_stack, 0
	.set _ZN2at6native6mbtopk10gatherTopKIN3c108BFloat16EjLin1EEEvNS_4cuda6detail10TensorInfoIKT_T0_EESA_SA_bjSA_NS7_IS8_SA_EESA_NS7_IlSA_EESA_jjPS8_PjSF_j.has_recursion, 0
	.set _ZN2at6native6mbtopk10gatherTopKIN3c108BFloat16EjLin1EEEvNS_4cuda6detail10TensorInfoIKT_T0_EESA_SA_bjSA_NS7_IS8_SA_EESA_NS7_IlSA_EESA_jjPS8_PjSF_j.has_indirect_call, 0
	.section	.AMDGPU.csdata,"",@progbits
; Kernel info:
; codeLenInByte = 3244
; TotalNumSgprs: 39
; NumVgprs: 26
; ScratchSize: 0
; MemoryBound: 0
; FloatMode: 240
; IeeeMode: 1
; LDSByteSize: 1068 bytes/workgroup (compile time only)
; SGPRBlocks: 0
; VGPRBlocks: 1
; NumSGPRsForWavesPerEU: 39
; NumVGPRsForWavesPerEU: 26
; NamedBarCnt: 0
; Occupancy: 16
; WaveLimiterHint : 1
; COMPUTE_PGM_RSRC2:SCRATCH_EN: 0
; COMPUTE_PGM_RSRC2:USER_SGPR: 2
; COMPUTE_PGM_RSRC2:TRAP_HANDLER: 0
; COMPUTE_PGM_RSRC2:TGID_X_EN: 1
; COMPUTE_PGM_RSRC2:TGID_Y_EN: 1
; COMPUTE_PGM_RSRC2:TGID_Z_EN: 1
; COMPUTE_PGM_RSRC2:TIDIG_COMP_CNT: 0
	.section	.text._ZN2at6native6sbtopk10gatherTopKIN3c108BFloat16EjLin1ELb0EEEvNS_4cuda6detail10TensorInfoIKT_T0_EESA_SA_bSA_SA_NS7_IS8_SA_EESA_NS7_IlSA_EESA_PS8_,"axG",@progbits,_ZN2at6native6sbtopk10gatherTopKIN3c108BFloat16EjLin1ELb0EEEvNS_4cuda6detail10TensorInfoIKT_T0_EESA_SA_bSA_SA_NS7_IS8_SA_EESA_NS7_IlSA_EESA_PS8_,comdat
	.protected	_ZN2at6native6sbtopk10gatherTopKIN3c108BFloat16EjLin1ELb0EEEvNS_4cuda6detail10TensorInfoIKT_T0_EESA_SA_bSA_SA_NS7_IS8_SA_EESA_NS7_IlSA_EESA_PS8_ ; -- Begin function _ZN2at6native6sbtopk10gatherTopKIN3c108BFloat16EjLin1ELb0EEEvNS_4cuda6detail10TensorInfoIKT_T0_EESA_SA_bSA_SA_NS7_IS8_SA_EESA_NS7_IlSA_EESA_PS8_
	.globl	_ZN2at6native6sbtopk10gatherTopKIN3c108BFloat16EjLin1ELb0EEEvNS_4cuda6detail10TensorInfoIKT_T0_EESA_SA_bSA_SA_NS7_IS8_SA_EESA_NS7_IlSA_EESA_PS8_
	.p2align	8
	.type	_ZN2at6native6sbtopk10gatherTopKIN3c108BFloat16EjLin1ELb0EEEvNS_4cuda6detail10TensorInfoIKT_T0_EESA_SA_bSA_SA_NS7_IS8_SA_EESA_NS7_IlSA_EESA_PS8_,@function
_ZN2at6native6sbtopk10gatherTopKIN3c108BFloat16EjLin1ELb0EEEvNS_4cuda6detail10TensorInfoIKT_T0_EESA_SA_bSA_SA_NS7_IS8_SA_EESA_NS7_IlSA_EESA_PS8_: ; @_ZN2at6native6sbtopk10gatherTopKIN3c108BFloat16EjLin1ELb0EEEvNS_4cuda6detail10TensorInfoIKT_T0_EESA_SA_bSA_SA_NS7_IS8_SA_EESA_NS7_IlSA_EESA_PS8_
; %bb.0:
	s_clause 0x1
	s_load_b128 s[36:39], s[0:1], 0xd8
	s_load_b64 s[8:9], s[0:1], 0x2b8
	s_bfe_u32 s2, ttmp6, 0x40010
	s_and_b32 s3, ttmp7, 0xffff
	s_add_co_i32 s2, s2, 1
	s_bfe_u32 s5, ttmp6, 0x4000c
	s_mul_i32 s2, s3, s2
	s_bfe_u32 s4, ttmp6, 0x40004
	s_add_co_i32 s5, s5, 1
	s_bfe_u32 s6, ttmp6, 0x40014
	s_add_co_i32 s4, s4, s2
	s_and_b32 s2, ttmp6, 15
	s_mul_i32 s5, ttmp9, s5
	s_lshr_b32 s7, ttmp7, 16
	s_add_co_i32 s6, s6, 1
	s_add_co_i32 s2, s2, s5
	s_mul_i32 s5, s7, s6
	s_bfe_u32 s6, ttmp6, 0x40008
	s_getreg_b32 s10, hwreg(HW_REG_IB_STS2, 6, 4)
	s_add_co_i32 s6, s6, s5
	s_cmp_eq_u32 s10, 0
	s_cselect_b32 s5, s7, s6
	s_cselect_b32 s3, s3, s4
	s_wait_kmcnt 0x0
	s_mul_i32 s5, s9, s5
	s_cselect_b32 s9, ttmp9, s2
	s_add_co_i32 s2, s5, s3
	s_delay_alu instid0(SALU_CYCLE_1) | instskip(NEXT) | instid1(SALU_CYCLE_1)
	s_mul_i32 s2, s2, s8
	s_add_co_i32 s57, s2, s9
	s_delay_alu instid0(SALU_CYCLE_1)
	s_cmp_ge_u32 s57, s39
	s_cbranch_scc1 .LBB117_423
; %bb.1:
	s_clause 0x1
	s_load_b32 s2, s[0:1], 0xd0
	s_load_b32 s56, s[0:1], 0xe8
	v_dual_mov_b32 v2, s57 :: v_dual_mov_b32 v1, 0
	s_wait_kmcnt 0x0
	s_cmp_lt_i32 s2, 2
	s_cbranch_scc1 .LBB117_4
; %bb.2:
	s_add_co_i32 s4, s2, -1
	s_mov_b32 s5, 0
	v_dual_mov_b32 v2, s57 :: v_dual_mov_b32 v1, 0
	s_lshl_b64 s[4:5], s[4:5], 2
	s_delay_alu instid0(SALU_CYCLE_1)
	s_add_nc_u64 s[6:7], s[0:1], s[4:5]
	s_add_co_i32 s4, s2, 1
	s_add_nc_u64 s[2:3], s[6:7], 8
.LBB117_3:                              ; =>This Inner Loop Header: Depth=1
	s_clause 0x1
	s_load_b32 s5, s[2:3], 0x0
	s_load_b32 s6, s[2:3], 0x64
	s_add_co_i32 s4, s4, -1
	s_wait_xcnt 0x0
	s_add_nc_u64 s[2:3], s[2:3], -4
	s_wait_kmcnt 0x0
	s_cvt_f32_u32 s7, s5
	s_delay_alu instid0(SALU_CYCLE_3) | instskip(SKIP_3) | instid1(TRANS32_DEP_1)
	v_rcp_iflag_f32_e32 v3, s7
	s_sub_co_i32 s7, 0, s5
	s_cmp_gt_u32 s4, 2
	v_nop
	v_mul_f32_e32 v3, 0x4f7ffffe, v3
	s_delay_alu instid0(VALU_DEP_1) | instskip(NEXT) | instid1(VALU_DEP_1)
	v_cvt_u32_f32_e32 v3, v3
	v_mul_lo_u32 v4, s7, v3
	s_delay_alu instid0(VALU_DEP_1) | instskip(NEXT) | instid1(VALU_DEP_1)
	v_mul_hi_u32 v4, v3, v4
	v_dual_mov_b32 v5, v2 :: v_dual_add_nc_u32 v2, v3, v4
	s_delay_alu instid0(VALU_DEP_1) | instskip(NEXT) | instid1(VALU_DEP_1)
	v_mul_hi_u32 v2, v5, v2
	v_mul_lo_u32 v3, v2, s5
	s_delay_alu instid0(VALU_DEP_1) | instskip(NEXT) | instid1(VALU_DEP_1)
	v_dual_add_nc_u32 v4, 1, v2 :: v_dual_sub_nc_u32 v3, v5, v3
	v_cmp_le_u32_e32 vcc_lo, s5, v3
	s_delay_alu instid0(VALU_DEP_2) | instskip(SKIP_1) | instid1(VALU_DEP_2)
	v_cndmask_b32_e32 v2, v2, v4, vcc_lo
	v_subrev_nc_u32_e32 v6, s5, v3
	v_add_nc_u32_e32 v4, 1, v2
	s_delay_alu instid0(VALU_DEP_2) | instskip(NEXT) | instid1(VALU_DEP_1)
	v_cndmask_b32_e32 v3, v3, v6, vcc_lo
	v_cmp_le_u32_e32 vcc_lo, s5, v3
	s_delay_alu instid0(VALU_DEP_3) | instskip(NEXT) | instid1(VALU_DEP_1)
	v_cndmask_b32_e32 v2, v2, v4, vcc_lo
	v_mul_lo_u32 v3, v2, s5
	s_delay_alu instid0(VALU_DEP_1) | instskip(NEXT) | instid1(VALU_DEP_1)
	v_sub_nc_u32_e32 v3, v5, v3
	v_mul_lo_u32 v3, s6, v3
	s_delay_alu instid0(VALU_DEP_1)
	v_add_nc_u32_e32 v1, v3, v1
	s_cbranch_scc1 .LBB117_3
.LBB117_4:
	s_load_b32 s4, s[0:1], 0x1c0
	s_add_nc_u64 s[14:15], s[0:1], 0x2b8
	s_add_nc_u64 s[2:3], s[0:1], 0xf0
	s_mov_b32 s35, 0
	s_mov_b32 s59, s57
	s_wait_kmcnt 0x0
	s_cmp_lt_i32 s4, 2
	s_cbranch_scc1 .LBB117_7
; %bb.5:
	s_add_co_i32 s34, s4, -1
	s_mov_b32 s59, s57
	s_lshl_b64 s[6:7], s[34:35], 2
	s_delay_alu instid0(SALU_CYCLE_1)
	s_add_nc_u64 s[10:11], s[2:3], s[6:7]
	s_add_co_i32 s6, s4, 1
	s_add_nc_u64 s[4:5], s[10:11], 8
.LBB117_6:                              ; =>This Inner Loop Header: Depth=1
	s_clause 0x1
	s_load_b32 s7, s[4:5], 0x0
	s_load_b32 s10, s[4:5], 0x64
	s_mov_b32 s13, s59
	s_wait_xcnt 0x0
	s_add_nc_u64 s[4:5], s[4:5], -4
	s_wait_kmcnt 0x0
	s_cvt_f32_u32 s11, s7
	s_sub_co_i32 s12, 0, s7
	s_delay_alu instid0(SALU_CYCLE_2) | instskip(SKIP_1) | instid1(TRANS32_DEP_1)
	v_rcp_iflag_f32_e32 v3, s11
	v_nop
	v_readfirstlane_b32 s11, v3
	s_mul_f32 s11, s11, 0x4f7ffffe
	s_delay_alu instid0(SALU_CYCLE_3) | instskip(NEXT) | instid1(SALU_CYCLE_3)
	s_cvt_u32_f32 s11, s11
	s_mul_i32 s12, s12, s11
	s_delay_alu instid0(SALU_CYCLE_1) | instskip(NEXT) | instid1(SALU_CYCLE_1)
	s_mul_hi_u32 s12, s11, s12
	s_add_co_i32 s11, s11, s12
	s_delay_alu instid0(SALU_CYCLE_1) | instskip(NEXT) | instid1(SALU_CYCLE_1)
	s_mul_hi_u32 s11, s59, s11
	s_mul_i32 s12, s11, s7
	s_add_co_i32 s16, s11, 1
	s_sub_co_i32 s12, s59, s12
	s_delay_alu instid0(SALU_CYCLE_1)
	s_sub_co_i32 s17, s12, s7
	s_cmp_ge_u32 s12, s7
	s_cselect_b32 s11, s16, s11
	s_cselect_b32 s12, s17, s12
	s_add_co_i32 s16, s11, 1
	s_cmp_ge_u32 s12, s7
	s_cselect_b32 s59, s16, s11
	s_add_co_i32 s6, s6, -1
	s_mul_i32 s7, s59, s7
	s_delay_alu instid0(SALU_CYCLE_1) | instskip(NEXT) | instid1(SALU_CYCLE_1)
	s_sub_co_i32 s7, s13, s7
	s_mul_i32 s7, s10, s7
	s_delay_alu instid0(SALU_CYCLE_1)
	s_add_co_i32 s35, s7, s35
	s_cmp_gt_u32 s6, 2
	s_cbranch_scc1 .LBB117_6
.LBB117_7:
	s_clause 0x1
	s_load_b32 s10, s[0:1], 0x6c
	s_load_b32 s4, s[0:1], 0x2a0
	s_mov_b32 s41, 0
	s_wait_kmcnt 0x0
	s_cmp_lt_i32 s4, 2
	s_cbranch_scc1 .LBB117_10
; %bb.8:
	s_add_co_i32 s40, s4, -1
	s_add_nc_u64 s[6:7], s[0:1], 0x1d0
	s_lshl_b64 s[12:13], s[40:41], 2
	s_delay_alu instid0(SALU_CYCLE_1)
	s_add_nc_u64 s[12:13], s[6:7], s[12:13]
	s_add_co_i32 s6, s4, 1
	s_add_nc_u64 s[4:5], s[12:13], 8
.LBB117_9:                              ; =>This Inner Loop Header: Depth=1
	s_clause 0x1
	s_load_b32 s7, s[4:5], 0x0
	s_load_b32 s11, s[4:5], 0x64
	s_mov_b32 s16, s57
	s_wait_xcnt 0x0
	s_add_nc_u64 s[4:5], s[4:5], -4
	s_wait_kmcnt 0x0
	s_cvt_f32_u32 s12, s7
	s_sub_co_i32 s13, 0, s7
	s_delay_alu instid0(SALU_CYCLE_2) | instskip(SKIP_1) | instid1(TRANS32_DEP_1)
	v_rcp_iflag_f32_e32 v3, s12
	v_nop
	v_readfirstlane_b32 s12, v3
	s_mul_f32 s12, s12, 0x4f7ffffe
	s_delay_alu instid0(SALU_CYCLE_3) | instskip(NEXT) | instid1(SALU_CYCLE_3)
	s_cvt_u32_f32 s12, s12
	s_mul_i32 s13, s13, s12
	s_delay_alu instid0(SALU_CYCLE_1) | instskip(NEXT) | instid1(SALU_CYCLE_1)
	s_mul_hi_u32 s13, s12, s13
	s_add_co_i32 s12, s12, s13
	s_delay_alu instid0(SALU_CYCLE_1) | instskip(NEXT) | instid1(SALU_CYCLE_1)
	s_mul_hi_u32 s12, s57, s12
	s_mul_i32 s13, s12, s7
	s_add_co_i32 s17, s12, 1
	s_sub_co_i32 s13, s57, s13
	s_delay_alu instid0(SALU_CYCLE_1)
	s_sub_co_i32 s18, s13, s7
	s_cmp_ge_u32 s13, s7
	s_cselect_b32 s12, s17, s12
	s_cselect_b32 s13, s18, s13
	s_add_co_i32 s17, s12, 1
	s_cmp_ge_u32 s13, s7
	s_cselect_b32 s57, s17, s12
	s_add_co_i32 s6, s6, -1
	s_mul_i32 s7, s57, s7
	s_delay_alu instid0(SALU_CYCLE_1) | instskip(NEXT) | instid1(SALU_CYCLE_1)
	s_sub_co_i32 s7, s16, s7
	s_mul_i32 s7, s11, s7
	s_delay_alu instid0(SALU_CYCLE_1)
	s_add_co_i32 s41, s7, s41
	s_cmp_gt_u32 s6, 2
	s_cbranch_scc1 .LBB117_9
.LBB117_10:
	s_clause 0x1
	s_load_b32 s60, s[2:3], 0x6c
	s_load_b64 s[6:7], s[0:1], 0x0
	v_cmp_eq_u32_e64 s5, 0, v0
	s_mov_b32 s39, 0
	s_wait_xcnt 0x0
	s_and_saveexec_b32 s2, s5
; %bb.11:
	v_dual_mov_b32 v4, 0 :: v_dual_mov_b32 v5, s36
	s_delay_alu instid0(VALU_DEP_1)
	v_mov_b32_e32 v6, v4
	ds_store_b96 v4, v[4:6] offset:4096
; %bb.12:
	s_or_b32 exec_lo, exec_lo, s2
	v_mul_lo_u32 v2, s10, v2
	s_wait_dscnt 0x0
	s_barrier_signal -1
	s_barrier_wait -1
	s_load_b32 s10, s[14:15], 0xc
	s_clause 0x2
	s_load_b32 s61, s[0:1], 0x23c
	s_load_b64 s[42:43], s[0:1], 0xf0
	s_load_b64 s[44:45], s[0:1], 0x1d0
	v_mov_b32_e32 v17, 0
	v_mbcnt_lo_u32_b32 v13, -1, 0
	v_cmp_gt_u32_e32 vcc_lo, 32, v0
	s_bitcmp1_b32 s38, 0
	v_mul_lo_u32 v18, s56, v0
	v_add_nc_u32_e32 v16, v2, v1
	v_cmp_gt_i32_e64 s2, 4, v13
	s_cselect_b32 s4, -1, 0
	v_mov_b32_e32 v19, v17
	s_xor_b32 s62, s4, -1
	v_lshlrev_b64_e32 v[2:3], 1, v[16:17]
	s_and_b32 s63, vcc_lo, s2
	v_dual_lshlrev_b32 v1, 2, v0 :: v_dual_lshlrev_b32 v22, 1, v0
	v_cmp_eq_u32_e64 s2, 0, v13
	v_cmp_gt_u32_e64 s3, s36, v0
	s_wait_kmcnt 0x0
	s_and_b32 s40, s10, 0xffff
	v_add_nc_u64_e32 v[10:11], s[6:7], v[2:3]
	s_lshl_b32 s64, s40, 2
	v_lshlrev_b64_e64 v[2:3], v13, -1
	s_cmp_gt_u32 s36, 0x600
	s_movk_i32 s7, 0x1f0
	s_cselect_b32 s65, -1, 0
	s_cmp_gt_u32 s40, 31
	v_add_max_u32_e64 v3, v0, 2, s36
	s_cselect_b32 s66, -1, 0
	s_add_co_i32 s67, s40, -1
	v_not_b32_e32 v12, v2
	s_add_co_i32 s13, s67, s36
	v_lshrrev_b32_e32 v2, 1, v0
	s_cmp_lt_u32 s9, s8
	s_cvt_f32_u32 s9, s64
	s_cselect_b32 s38, 12, 18
	s_bfe_u32 s68, s10, 0xb0005
	v_and_or_b32 v23, v2, s7, 0xc00
	v_rcp_iflag_f32_e32 v2, s9
	s_add_co_i32 s8, s68, -2
	s_cvt_f32_u32 s9, s40
	s_lshr_b32 s10, s8, 1
	v_xad_u32 v3, v0, -1, v3
	s_add_co_i32 s10, s10, 1
	s_cmp_gt_u32 s40, 63
	v_readfirstlane_b32 s7, v2
	s_cselect_b32 s69, -1, 0
	s_and_b32 s70, s68, 0x7fe
	s_and_b32 s71, s10, 7
	s_cmp_gt_u32 s8, 13
	s_mul_f32 s7, s7, 0x4f7ffffe
	s_cselect_b32 s72, -1, 0
	s_and_b32 s73, s10, -8
	s_cmp_lg_u32 s71, 0
	s_cvt_u32_f32 s8, s7
	s_cselect_b32 s74, -1, 0
	s_cmp_lg_u32 s70, s68
	v_rcp_iflag_f32_e32 v5, s9
	s_cselect_b32 s75, -1, 0
	s_sub_co_i32 s7, 0, s64
	v_add_nc_u32_e32 v4, -4, v3
	s_mul_i32 s7, s7, s8
	v_and_b32_e32 v24, -4, v3
	s_mul_hi_u32 s10, s8, s7
	v_readfirstlane_b32 s9, v5
	s_add_co_i32 s46, s8, s10
	v_lshrrev_b32_e32 v2, 2, v4
	s_mul_hi_u32 s8, s36, s46
	v_cmp_lt_u32_e64 s7, 31, v3
	s_mul_i32 s8, s8, s64
	s_mul_f32 s9, s9, 0x4f7ffffe
	s_sub_co_i32 s8, s36, s8
	v_add_nc_u32_e32 v2, 1, v2
	s_sub_co_i32 s10, s8, s64
	s_cmp_ge_u32 s8, s64
	s_cvt_u32_f32 s9, s9
	s_cselect_b32 s8, s10, s8
	v_dual_add_nc_u32 v25, v0, v24 :: v_dual_bitop2_b32 v5, 3, v2 bitop3:0x40
	s_sub_co_i32 s10, s8, s64
	s_cmp_ge_u32 s8, s64
	v_and_b32_e32 v27, 0x7ffffffc, v2
	s_cselect_b32 s16, s10, s8
	s_sub_co_i32 s10, 0, s40
	s_sub_co_i32 s79, s36, s16
	s_mul_i32 s10, s10, s9
	v_dual_add_nc_u32 v26, s79, v0 :: v_dual_lshlrev_b32 v29, 3, v5
	s_mul_hi_u32 s10, s9, s10
	v_add3_u32 v2, s40, s36, v0
	s_add_co_i32 s48, s9, s10
	v_cmp_lt_u32_e64 s8, 11, v4
	s_mul_hi_u32 s10, s13, s48
	v_mul_lo_u32 v16, v26, s56
	s_mul_i32 s10, s10, s40
	v_dual_lshlrev_b32 v35, 3, v0 :: v_dual_bitop2_b32 v4, 3, v1 bitop3:0x54
	s_sub_co_i32 s11, s13, s10
	v_cmp_ne_u32_e64 s10, v3, v24
	s_sub_co_i32 s12, s11, s40
	s_cmp_ge_u32 s11, s40
	v_dual_lshlrev_b32 v33, 2, v18 :: v_dual_bitop2_b32 v3, 2, v1 bitop3:0x54
	v_subrev_nc_u32_e32 v2, s16, v2
	s_cselect_b32 s17, s12, s11
	v_mad_u32 v30, s56, v1, s56
	s_sub_co_i32 s18, s17, s40
	s_cmp_ge_u32 s17, s40
	v_mul_lo_u32 v31, s56, v3
	v_mul_lo_u32 v32, s56, v4
	;; [unrolled: 1-line block ×3, first 2 shown]
	s_cselect_b32 s17, s18, s17
	v_lshl_add_u64 v[14:15], v[18:19], 1, v[10:11]
	s_sub_co_i32 s80, s13, s17
	v_cmp_gt_u32_e64 s6, 2, v0
	v_dual_mov_b32 v40, s37 :: v_dual_add_nc_u32 v19, 0xc00, v22
	v_cmp_ne_u32_e64 s9, 0, v5
	v_cmp_gt_u32_e64 s11, s79, v1
	v_cmp_gt_u32_e64 s12, s36, v26
	v_lshl_add_u64 v[20:21], v[16:17], 1, v[10:11]
	v_cmp_gt_u32_e64 s13, s80, v0
	v_lshl_or_b32 v36, v13, 2, 0xc00
	v_dual_mov_b32 v37, 0x8000 :: v_dual_mov_b32 v28, 0
	v_dual_mov_b32 v39, 0 :: v_dual_mov_b32 v38, 0
	s_mul_i32 s58, s56, s40
	s_mov_b32 s76, s56
	s_mov_b32 s77, s56
	;; [unrolled: 1-line block ×5, first 2 shown]
	s_lshl_b32 s81, s58, 2
	s_lshl_b32 s82, s40, 3
	;; [unrolled: 1-line block ×3, first 2 shown]
	s_mov_b32 s84, 14
	s_add_nc_u64 s[50:51], s[14:15], s[38:39]
	s_movk_i32 s86, 0x3f80
	s_mov_b32 s85, 0
	s_mov_b32 s88, 0
                                        ; implicit-def: $sgpr87
                                        ; implicit-def: $sgpr91
                                        ; implicit-def: $sgpr90
                                        ; implicit-def: $sgpr92
                                        ; implicit-def: $sgpr89
                                        ; implicit-def: $sgpr96
                                        ; implicit-def: $sgpr97
                                        ; implicit-def: $sgpr93
                                        ; implicit-def: $sgpr95
                                        ; implicit-def: $sgpr94
	s_branch .LBB117_15
.LBB117_13:                             ;   in Loop: Header=BB117_15 Depth=1
	s_or_b32 exec_lo, exec_lo, s17
	v_mov_b32_e32 v40, v5
	s_and_not1_b32 s17, s94, exec_lo
	s_and_b32 s16, s16, exec_lo
	s_and_not1_b32 s95, s95, exec_lo
	s_or_b32 s94, s17, s16
	s_and_not1_b32 s93, s93, exec_lo
	s_and_not1_b32 s97, s97, exec_lo
	;; [unrolled: 1-line block ×3, first 2 shown]
	s_or_not1_b32 s17, s15, exec_lo
.LBB117_14:                             ;   in Loop: Header=BB117_15 Depth=1
	s_or_b32 exec_lo, exec_lo, s14
	s_delay_alu instid0(SALU_CYCLE_1) | instskip(NEXT) | instid1(SALU_CYCLE_1)
	s_and_b32 s14, exec_lo, s17
	s_or_b32 s85, s14, s85
	s_and_not1_b32 s14, s89, exec_lo
	s_and_b32 s15, s94, exec_lo
	s_and_not1_b32 s16, s92, exec_lo
	s_or_b32 s89, s14, s15
	s_and_b32 s14, s95, exec_lo
	s_and_not1_b32 s15, s90, exec_lo
	s_and_b32 s17, s93, exec_lo
	s_or_b32 s92, s16, s14
	s_or_b32 s90, s15, s17
	s_and_not1_b32 s14, s91, exec_lo
	s_and_b32 s15, s97, exec_lo
	s_and_not1_b32 s16, s87, exec_lo
	s_and_b32 s17, s96, exec_lo
	s_or_b32 s91, s14, s15
	s_or_b32 s87, s16, s17
	s_and_not1_b32 exec_lo, exec_lo, s85
	s_cbranch_execz .LBB117_419
.LBB117_15:                             ; =>This Loop Header: Depth=1
                                        ;     Child Loop BB117_20 Depth 2
                                        ;     Child Loop BB117_41 Depth 2
	;; [unrolled: 1-line block ×27, first 2 shown]
	ds_load_b64 v[2:3], v17 offset:4096
	s_wait_dscnt 0x0
	v_readfirstlane_b32 s38, v2
	s_cmp_lg_u32 s38, 0
	s_cbranch_scc1 .LBB117_60
; %bb.16:                               ;   in Loop: Header=BB117_15 Depth=1
	s_and_b32 vcc_lo, exec_lo, s65
	s_cbranch_vccz .LBB117_28
; %bb.17:                               ;   in Loop: Header=BB117_15 Depth=1
	v_cmp_gt_u32_e32 vcc_lo, 0x601, v3
	s_mov_b32 s16, 0
	s_mov_b32 s14, 0
	s_cbranch_vccz .LBB117_29
; %bb.18:                               ;   in Loop: Header=BB117_15 Depth=1
	global_load_u16 v3, v[14:15], off
	s_load_u16 s17, s[50:51], 0x0
	s_mov_b32 s18, 0
	s_wait_kmcnt 0x0
	v_dual_mov_b32 v4, v0 :: v_dual_add_nc_u32 v2, s17, v0
	s_mul_i32 s19, s56, s17
	s_delay_alu instid0(VALU_DEP_1)
	v_mul_lo_u32 v2, s56, v2
	s_branch .LBB117_20
.LBB117_19:                             ;   in Loop: Header=BB117_20 Depth=2
	s_or_b32 exec_lo, exec_lo, s15
	v_dual_mov_b32 v3, v5 :: v_dual_add_nc_u32 v2, s19, v2
	s_and_not1_b32 exec_lo, exec_lo, s18
	s_cbranch_execz .LBB117_35
.LBB117_20:                             ;   Parent Loop BB117_15 Depth=1
                                        ; =>  This Inner Loop Header: Depth=2
	s_wait_dscnt 0x0
	v_dual_add_nc_u32 v4, s17, v4 :: v_dual_mov_b32 v6, 0
	v_mov_b32_e32 v5, 0
	s_mov_b32 s15, exec_lo
	s_delay_alu instid0(VALU_DEP_2)
	v_cmp_le_u32_e32 vcc_lo, s36, v4
	v_cmpx_gt_u32_e64 s36, v4
	s_cbranch_execz .LBB117_22
; %bb.21:                               ;   in Loop: Header=BB117_20 Depth=2
	v_readfirstlane_b32 s20, v10
	v_readfirstlane_b32 s21, v11
	global_load_u16 v5, v2, s[20:21] scale_offset
.LBB117_22:                             ;   in Loop: Header=BB117_20 Depth=2
	s_wait_xcnt 0x0
	s_or_b32 exec_lo, exec_lo, s15
	s_wait_loadcnt 0x0
	v_cmp_lt_i16_e64 s14, -1, v3
	v_and_b32_e32 v7, 0xffff, v3
	v_lshlrev_b32_e32 v9, 16, v3
	s_delay_alu instid0(VALU_DEP_3) | instskip(NEXT) | instid1(VALU_DEP_2)
	v_cndmask_b32_e64 v8, 0xffff, v37, s14
	v_cmp_o_f32_e64 s14, v9, v9
	s_delay_alu instid0(VALU_DEP_2) | instskip(NEXT) | instid1(VALU_DEP_1)
	v_xor_b32_e32 v7, v8, v7
	v_cndmask_b32_e64 v7, 0xffff, v7, s14
	s_delay_alu instid0(VALU_DEP_1) | instskip(NEXT) | instid1(VALU_DEP_1)
	v_and_b32_e32 v7, v7, v38
	v_cmp_eq_u32_e64 s14, v7, v28
	s_cmp_lg_u32 s14, 0
	s_cselect_b32 s15, -1, 0
	s_delay_alu instid0(SALU_CYCLE_1) | instskip(NEXT) | instid1(SALU_CYCLE_1)
	s_and_b32 s15, s2, s15
	s_and_saveexec_b32 s20, s15
	s_cbranch_execz .LBB117_26
; %bb.23:                               ;   in Loop: Header=BB117_20 Depth=2
	s_mov_b32 s23, exec_lo
	s_bcnt1_i32_b32 s21, s14
	v_mbcnt_lo_u32_b32 v6, s23, 0
	s_mov_b32 s22, exec_lo
                                        ; implicit-def: $vgpr7
	s_delay_alu instid0(VALU_DEP_1)
	v_cmpx_eq_u32_e32 0, v6
; %bb.24:                               ;   in Loop: Header=BB117_20 Depth=2
	s_bcnt1_i32_b32 s15, s23
	s_delay_alu instid0(SALU_CYCLE_1) | instskip(NEXT) | instid1(SALU_CYCLE_1)
	s_mul_i32 s15, s21, s15
	v_mov_b32_e32 v7, s15
	ds_add_rtn_u32 v7, v17, v7 offset:4104
; %bb.25:                               ;   in Loop: Header=BB117_20 Depth=2
	s_or_b32 exec_lo, exec_lo, s22
	s_wait_dscnt 0x0
	v_readfirstlane_b32 s15, v7
	s_delay_alu instid0(VALU_DEP_1)
	v_mad_u32_u24 v6, s21, v6, s15
.LBB117_26:                             ;   in Loop: Header=BB117_20 Depth=2
	s_or_b32 exec_lo, exec_lo, s20
	ds_bpermute_b32 v6, v17, v6
	s_and_b32 s15, exec_lo, vcc_lo
	s_delay_alu instid0(SALU_CYCLE_1)
	s_or_b32 s18, s15, s18
	s_and_saveexec_b32 s15, s14
	s_cbranch_execz .LBB117_19
; %bb.27:                               ;   in Loop: Header=BB117_20 Depth=2
	v_and_b32_e32 v7, s14, v12
	s_delay_alu instid0(VALU_DEP_1) | instskip(NEXT) | instid1(VALU_DEP_1)
	v_bcnt_u32_b32 v7, v7, 0
	v_lshlrev_b32_e32 v7, 1, v7
	s_wait_dscnt 0x0
	s_delay_alu instid0(VALU_DEP_1)
	v_lshl_add_u32 v6, v6, 1, v7
	ds_store_b16 v6, v3
	s_branch .LBB117_19
.LBB117_28:                             ;   in Loop: Header=BB117_15 Depth=1
	s_mov_b32 s16, -1
	s_mov_b32 s14, 0
.LBB117_29:                             ;   in Loop: Header=BB117_15 Depth=1
	s_and_b32 vcc_lo, exec_lo, s16
	s_cbranch_vccz .LBB117_58
.LBB117_30:                             ;   in Loop: Header=BB117_15 Depth=1
	s_and_saveexec_b32 s15, s3
	s_cbranch_execz .LBB117_55
; %bb.31:                               ;   in Loop: Header=BB117_15 Depth=1
	global_load_u16 v16, v[14:15], off
	s_load_u16 s17, s[50:51], 0x0
	s_mov_b32 s16, exec_lo
	s_wait_kmcnt 0x0
	v_dual_mov_b32 v4, v0 :: v_dual_add_nc_u32 v2, s17, v0
	s_delay_alu instid0(VALU_DEP_1)
	v_cmpx_gt_u32_e64 s36, v2
	s_cbranch_execz .LBB117_54
; %bb.32:                               ;   in Loop: Header=BB117_15 Depth=1
	s_mov_b32 s14, 0
	s_mul_i32 s18, s56, s17
                                        ; implicit-def: $vgpr4
                                        ; implicit-def: $vgpr3
                                        ; implicit-def: $vgpr5
	s_and_saveexec_b32 s19, s7
	s_delay_alu instid0(SALU_CYCLE_1)
	s_xor_b32 s19, exec_lo, s19
	s_cbranch_execnz .LBB117_38
; %bb.33:                               ;   in Loop: Header=BB117_15 Depth=1
	s_and_not1_saveexec_b32 s19, s19
	s_cbranch_execnz .LBB117_49
.LBB117_34:                             ;   in Loop: Header=BB117_15 Depth=1
	s_or_b32 exec_lo, exec_lo, s19
	s_and_saveexec_b32 s18, s14
	s_cbranch_execnz .LBB117_50
	s_branch .LBB117_53
.LBB117_35:                             ;   in Loop: Header=BB117_15 Depth=1
	s_or_b32 exec_lo, exec_lo, s18
	s_wait_dscnt 0x0
	s_barrier_signal -1
	s_barrier_wait -1
	s_and_saveexec_b32 s14, s5
	s_cbranch_execz .LBB117_37
; %bb.36:                               ;   in Loop: Header=BB117_15 Depth=1
	ds_load_b32 v2, v17 offset:4104
	s_wait_dscnt 0x0
	ds_store_b32 v17, v2 offset:4096
.LBB117_37:                             ;   in Loop: Header=BB117_15 Depth=1
	s_or_b32 exec_lo, exec_lo, s14
	s_wait_dscnt 0x0
	s_barrier_signal -1
	s_mov_b32 s14, -1
	s_barrier_wait -1
	s_and_b32 vcc_lo, exec_lo, s16
	s_cbranch_vccnz .LBB117_30
	s_branch .LBB117_58
.LBB117_38:                             ;   in Loop: Header=BB117_15 Depth=1
	s_cvt_f32_u32 s14, s17
	v_add_max_u32_e64 v3, v2, s17, s36
	s_delay_alu instid0(SALU_CYCLE_2) | instskip(SKIP_1) | instid1(VALU_DEP_1)
	v_rcp_iflag_f32_e32 v4, s14
	s_lshl_b32 s14, s17, 1
	v_sub_nc_u32_e32 v3, v3, v0
	s_delay_alu instid0(VALU_DEP_1) | instskip(NEXT) | instid1(TRANS32_DEP_1)
	v_cmp_ne_u32_e32 vcc_lo, s14, v3
	v_readfirstlane_b32 s20, v4
	v_cndmask_b32_e64 v4, 0, 1, vcc_lo
	s_mul_f32 s20, s20, 0x4f7ffffe
	s_delay_alu instid0(VALU_DEP_1) | instskip(NEXT) | instid1(SALU_CYCLE_2)
	v_or_b32_e32 v4, s14, v4
	s_cvt_u32_f32 s14, s20
	s_sub_co_i32 s20, 0, s17
	s_delay_alu instid0(SALU_CYCLE_2) | instskip(NEXT) | instid1(VALU_DEP_1)
	s_mul_i32 s20, s20, s14
	v_sub_nc_u32_e32 v3, v3, v4
	s_mul_hi_u32 s20, s14, s20
	s_delay_alu instid0(SALU_CYCLE_1)
	s_add_co_i32 s14, s14, s20
	s_delay_alu instid0(VALU_DEP_1) | instid1(SALU_CYCLE_1)
	v_mul_hi_u32 v4, v3, s14
	s_delay_alu instid0(VALU_DEP_1) | instskip(NEXT) | instid1(VALU_DEP_1)
	v_mul_lo_u32 v5, v4, s17
	v_dual_sub_nc_u32 v3, v3, v5 :: v_dual_add_nc_u32 v5, 1, v4
	s_delay_alu instid0(VALU_DEP_1) | instskip(SKIP_1) | instid1(VALU_DEP_1)
	v_subrev_nc_u32_e32 v6, s17, v3
	v_cmp_le_u32_e64 s14, s17, v3
	v_dual_cndmask_b32 v4, v4, v5, s14 :: v_dual_cndmask_b32 v3, v3, v6, s14
	s_delay_alu instid0(VALU_DEP_1) | instskip(NEXT) | instid1(VALU_DEP_2)
	v_add_nc_u32_e32 v5, 1, v4
	v_cmp_le_u32_e64 s14, s17, v3
	s_delay_alu instid0(VALU_DEP_1) | instskip(SKIP_2) | instid1(VALU_DEP_2)
	v_cndmask_b32_e64 v3, v4, v5, s14
	v_mul_lo_u32 v4, s56, v2
	s_abs_i32 s14, s18
	v_add_co_ci_u32_e64 v3, null, 0, v3, vcc_lo
	s_delay_alu instid0(VALU_DEP_1) | instskip(SKIP_2) | instid1(SALU_CYCLE_1)
	v_mul_hi_u32 v5, s14, v3
	v_mul_lo_u32 v3, s14, v3
	s_not_b32 s14, s18
	s_ashr_i32 s14, s14, 31
	s_cmp_eq_u32 s17, 1
	s_delay_alu instid0(VALU_DEP_4) | instskip(SKIP_1) | instid1(VALU_DEP_3)
	v_xor_b32_e32 v4, s14, v4
	s_cselect_b32 s20, -1, 0
	v_cmp_eq_u32_e32 vcc_lo, 0, v5
	s_delay_alu instid0(VALU_DEP_2) | instskip(SKIP_2) | instid1(SALU_CYCLE_1)
	v_cmp_le_u32_e64 s14, v3, v4
	v_mov_b32_e32 v3, v0
                                        ; implicit-def: $vgpr4
	s_and_b32 s20, vcc_lo, s20
	s_and_b32 s21, s20, s14
	s_mov_b32 s20, -1
	s_and_saveexec_b32 s14, s21
	s_cbranch_execz .LBB117_48
; %bb.39:                               ;   in Loop: Header=BB117_15 Depth=1
	v_dual_add_nc_u32 v5, 3, v2 :: v_dual_add_nc_u32 v4, 2, v2
	s_wait_loadcnt 0x0
	v_dual_add_nc_u32 v3, 1, v2 :: v_dual_lshlrev_b32 v41, 16, v16
	v_mov_b32_e32 v44, 0
                                        ; implicit-def: $vgpr16
	s_delay_alu instid0(VALU_DEP_3) | instskip(NEXT) | instid1(VALU_DEP_3)
	v_mov_b64_e32 v[8:9], v[4:5]
	v_mov_b64_e32 v[6:7], v[2:3]
	s_and_saveexec_b32 s20, s8
	s_cbranch_execz .LBB117_43
; %bb.40:                               ;   in Loop: Header=BB117_15 Depth=1
	v_mov_b64_e32 v[8:9], v[4:5]
	v_mov_b64_e32 v[6:7], v[2:3]
	v_dual_mov_b32 v42, v27 :: v_dual_mov_b32 v43, v22
	s_mov_b32 s21, 0
	s_mov_b32 s22, 0
.LBB117_41:                             ;   Parent Loop BB117_15 Depth=1
                                        ; =>  This Inner Loop Header: Depth=2
	s_delay_alu instid0(VALU_DEP_2) | instskip(SKIP_1) | instid1(VALU_DEP_4)
	v_mul_lo_u32 v16, v6, s56
	v_dual_mov_b32 v5, v17 :: v_dual_add_nc_u32 v3, 4, v6
	v_dual_add_nc_u32 v48, 4, v7 :: v_dual_add_nc_u32 v50, 4, v8
	v_mul_lo_u32 v46, v7, s76
	v_dual_mov_b32 v47, v17 :: v_dual_mov_b32 v45, v17
	s_delay_alu instid0(VALU_DEP_3)
	v_mul_lo_u32 v48, v48, s76
	v_dual_mov_b32 v49, v17 :: v_dual_add_nc_u32 v52, 4, v9
	v_lshl_add_u64 v[66:67], v[16:17], 1, v[10:11]
	v_mul_lo_u32 v16, v3, s56
	v_dual_add_nc_u32 v68, 8, v6 :: v_dual_add_nc_u32 v54, 8, v7
	v_dual_add_nc_u32 v56, 8, v8 :: v_dual_add_nc_u32 v58, 8, v9
	v_lshl_add_u64 v[46:47], v[46:47], 1, v[10:11]
	s_clause 0x1
	global_load_u16 v3, v[66:67], off
	global_load_u16 v70, v[46:47], off
	s_wait_xcnt 0x0
	v_lshl_add_u64 v[46:47], v[48:49], 1, v[10:11]
	v_lshl_add_u64 v[48:49], v[16:17], 1, v[10:11]
	v_mul_lo_u32 v16, v68, s56
	v_dual_add_nc_u32 v60, 12, v7 :: v_dual_add_nc_u32 v62, 12, v8
	v_mul_lo_u32 v44, v8, s77
	v_dual_mov_b32 v59, v17 :: v_dual_add_nc_u32 v69, 12, v6
	v_mul_lo_u32 v4, v9, s78
	v_dual_mov_b32 v61, v17 :: v_dual_add_nc_u32 v64, 12, v9
	v_mul_lo_u32 v58, v58, s78
	v_mul_lo_u32 v60, v60, s76
	v_mul_lo_u32 v52, v52, s78
	v_mul_lo_u32 v50, v50, s77
	v_mul_lo_u32 v54, v54, s76
	v_mul_lo_u32 v62, v62, s77
	v_mul_lo_u32 v56, v56, s77
	v_lshl_add_u64 v[66:67], v[16:17], 1, v[10:11]
	v_mul_lo_u32 v16, v69, s56
	v_mul_lo_u32 v64, v64, s78
	v_dual_mov_b32 v51, v17 :: v_dual_mov_b32 v53, v17
	v_dual_mov_b32 v55, v17 :: v_dual_mov_b32 v57, v17
	;; [unrolled: 1-line block ×3, first 2 shown]
	v_lshl_add_u64 v[44:45], v[44:45], 1, v[10:11]
	v_lshl_add_u64 v[4:5], v[4:5], 1, v[10:11]
	;; [unrolled: 1-line block ×9, first 2 shown]
	s_clause 0x8
	global_load_u16 v45, v[44:45], off
	global_load_u16 v68, v[4:5], off
	;; [unrolled: 1-line block ×9, first 2 shown]
	v_lshl_add_u64 v[4:5], v[16:17], 1, v[10:11]
	v_lshl_add_u64 v[64:65], v[64:65], 1, v[10:11]
	s_clause 0x4
	global_load_u16 v55, v[58:59], off
	global_load_u16 v56, v[60:61], off
	;; [unrolled: 1-line block ×5, first 2 shown]
	s_add_co_i32 s22, s22, 16
	s_delay_alu instid0(SALU_CYCLE_1) | instskip(SKIP_2) | instid1(VALU_DEP_3)
	v_dual_add_nc_u32 v42, -4, v42 :: v_dual_mov_b32 v44, s22
	v_dual_add_nc_u32 v9, 16, v9 :: v_dual_add_nc_u32 v8, 16, v8
	v_dual_add_nc_u32 v7, 16, v7 :: v_dual_add_nc_u32 v6, 16, v6
	v_cmp_eq_u32_e32 vcc_lo, 0, v42
	s_or_b32 s21, vcc_lo, s21
	s_wait_loadcnt 0xf
	v_alignbit_b32 v46, v3, v41, 16
	s_wait_loadcnt 0xd
	v_perm_b32 v47, v45, v70, 0x5040100
	s_wait_loadcnt 0xb
	v_perm_b32 v48, v48, v68, 0x5040100
	s_wait_loadcnt 0x9
	v_perm_b32 v49, v50, v49, 0x5040100
	s_wait_loadcnt 0x7
	v_perm_b32 v50, v53, v52, 0x5040100
	s_wait_loadcnt 0x5
	v_perm_b32 v51, v54, v51, 0x5040100
	s_wait_loadcnt 0x2
	v_perm_b32 v53, v57, v56, 0x5040100
	s_wait_loadcnt 0x1
	v_perm_b32 v52, v4, v55, 0x5040100
	s_wait_loadcnt 0x0
	v_perm_b32 v41, v16, v57, 0x5040100
	ds_store_b128 v43, v[46:49]
	ds_store_b128 v43, v[50:53] offset:16
	v_add_nc_u32_e32 v43, 32, v43
	s_wait_xcnt 0x0
	s_and_not1_b32 exec_lo, exec_lo, s21
	s_cbranch_execnz .LBB117_41
; %bb.42:                               ;   in Loop: Header=BB117_15 Depth=1
	s_or_b32 exec_lo, exec_lo, s21
.LBB117_43:                             ;   in Loop: Header=BB117_15 Depth=1
	s_delay_alu instid0(SALU_CYCLE_1)
	s_or_b32 exec_lo, exec_lo, s20
	s_and_saveexec_b32 s20, s9
	s_cbranch_execz .LBB117_47
; %bb.44:                               ;   in Loop: Header=BB117_15 Depth=1
	v_lshl_add_u32 v3, v44, 1, v22
	v_mov_b32_e32 v4, v29
	s_mov_b32 s21, 0
.LBB117_45:                             ;   Parent Loop BB117_15 Depth=1
                                        ; =>  This Inner Loop Header: Depth=2
	v_mul_lo_u32 v42, v7, s76
	v_mul_lo_u32 v44, v8, s77
	;; [unrolled: 1-line block ×4, first 2 shown]
	v_dual_mov_b32 v43, v17 :: v_dual_mov_b32 v45, v17
	v_dual_mov_b32 v47, v17 :: v_dual_add_nc_u32 v9, 4, v9
	v_dual_add_nc_u32 v4, -8, v4 :: v_dual_add_nc_u32 v6, 4, v6
	v_dual_add_nc_u32 v8, 4, v8 :: v_dual_add_nc_u32 v7, 4, v7
	s_delay_alu instid0(VALU_DEP_4)
	v_lshl_add_u64 v[42:43], v[42:43], 1, v[10:11]
	v_lshl_add_u64 v[44:45], v[44:45], 1, v[10:11]
	;; [unrolled: 1-line block ×4, first 2 shown]
	s_clause 0x3
	global_load_u16 v5, v[42:43], off
	global_load_u16 v44, v[44:45], off
	;; [unrolled: 1-line block ×4, first 2 shown]
	v_cmp_eq_u32_e32 vcc_lo, 0, v4
	s_or_b32 s21, vcc_lo, s21
	s_wait_loadcnt 0x2
	v_perm_b32 v43, v44, v5, 0x5040100
	s_wait_loadcnt 0x1
	v_alignbit_b32 v42, v42, v41, 16
	s_wait_loadcnt 0x0
	v_perm_b32 v41, v16, v44, 0x5040100
	ds_store_b64 v3, v[42:43]
	v_add_nc_u32_e32 v3, 8, v3
	s_and_not1_b32 exec_lo, exec_lo, s21
	s_cbranch_execnz .LBB117_45
; %bb.46:                               ;   in Loop: Header=BB117_15 Depth=1
	s_or_b32 exec_lo, exec_lo, s21
.LBB117_47:                             ;   in Loop: Header=BB117_15 Depth=1
	s_delay_alu instid0(SALU_CYCLE_1) | instskip(SKIP_2) | instid1(VALU_DEP_1)
	s_or_b32 exec_lo, exec_lo, s20
	v_dual_mov_b32 v3, v25 :: v_dual_add_nc_u32 v2, v2, v24
	s_or_not1_b32 s20, s10, exec_lo
	v_add_nc_u32_e32 v4, -1, v2
.LBB117_48:                             ;   in Loop: Header=BB117_15 Depth=1
	s_or_b32 exec_lo, exec_lo, s14
	v_mov_b32_e32 v5, s18
	s_and_b32 s14, s20, exec_lo
	s_and_not1_saveexec_b32 s19, s19
	s_cbranch_execz .LBB117_34
.LBB117_49:                             ;   in Loop: Header=BB117_15 Depth=1
	v_dual_mov_b32 v5, s18 :: v_dual_mov_b32 v3, v0
	s_or_b32 s14, s14, exec_lo
	s_or_b32 exec_lo, exec_lo, s19
	s_and_saveexec_b32 s18, s14
	s_cbranch_execz .LBB117_53
.LBB117_50:                             ;   in Loop: Header=BB117_15 Depth=1
	v_mul_lo_u32 v4, s56, v2
	s_mov_b32 s19, 0
	s_sub_co_i32 s14, 0, s17
.LBB117_51:                             ;   Parent Loop BB117_15 Depth=1
                                        ; =>  This Inner Loop Header: Depth=2
	v_readfirstlane_b32 s20, v10
	v_readfirstlane_b32 s21, v11
	s_wait_loadcnt 0x0
	v_dual_mov_b32 v6, v16 :: v_dual_mov_b32 v7, v2
	v_lshlrev_b32_e32 v8, 1, v3
	global_load_u16 v16, v4, s[20:21] scale_offset
	s_wait_xcnt 0x0
	v_dual_add_nc_u32 v4, v4, v5 :: v_dual_add_nc_u32 v2, s17, v7
	v_mov_b32_e32 v3, v7
	ds_store_b16 v8, v6
	v_cmp_le_u32_e32 vcc_lo, s36, v2
	s_or_b32 s19, vcc_lo, s19
	s_delay_alu instid0(SALU_CYCLE_1)
	s_and_not1_b32 exec_lo, exec_lo, s19
	s_cbranch_execnz .LBB117_51
; %bb.52:                               ;   in Loop: Header=BB117_15 Depth=1
	s_or_b32 exec_lo, exec_lo, s19
	v_add_nc_u32_e32 v4, s14, v2
.LBB117_53:                             ;   in Loop: Header=BB117_15 Depth=1
	s_or_b32 exec_lo, exec_lo, s18
.LBB117_54:                             ;   in Loop: Header=BB117_15 Depth=1
	s_delay_alu instid0(SALU_CYCLE_1) | instskip(NEXT) | instid1(VALU_DEP_1)
	s_or_b32 exec_lo, exec_lo, s16
	v_lshlrev_b32_e32 v2, 1, v4
	s_wait_loadcnt 0x0
	ds_store_b16 v2, v16
.LBB117_55:                             ;   in Loop: Header=BB117_15 Depth=1
	s_or_b32 exec_lo, exec_lo, s15
	s_wait_dscnt 0x0
	s_barrier_signal -1
	s_barrier_wait -1
	s_and_saveexec_b32 s14, s5
; %bb.56:                               ;   in Loop: Header=BB117_15 Depth=1
	v_mov_b32_e32 v2, s36
	ds_store_b32 v17, v2 offset:4096
; %bb.57:                               ;   in Loop: Header=BB117_15 Depth=1
	s_or_b32 exec_lo, exec_lo, s14
	s_mov_b32 s14, -1
	s_wait_dscnt 0x0
	s_barrier_signal -1
	s_barrier_wait -1
.LBB117_58:                             ;   in Loop: Header=BB117_15 Depth=1
	s_and_b32 vcc_lo, exec_lo, s14
	s_mov_b32 s38, 0
	s_cbranch_vccz .LBB117_60
; %bb.59:                               ;   in Loop: Header=BB117_15 Depth=1
	ds_load_b32 v2, v17 offset:4096
	s_wait_dscnt 0x0
	v_readfirstlane_b32 s38, v2
.LBB117_60:                             ;   in Loop: Header=BB117_15 Depth=1
	s_delay_alu instid0(VALU_DEP_1)
	s_cmp_lt_i32 s38, 1
	s_mov_b32 s14, -1
                                        ; implicit-def: $vgpr4_vgpr5
	s_cbranch_scc1 .LBB117_73
; %bb.61:                               ;   in Loop: Header=BB117_15 Depth=1
	s_and_b32 vcc_lo, exec_lo, s14
	s_cbranch_vccnz .LBB117_84
.LBB117_62:                             ;   in Loop: Header=BB117_15 Depth=1
	s_lshl_b32 s16, s88, 7
	s_and_saveexec_b32 s14, s2
.LBB117_63:                             ;   in Loop: Header=BB117_15 Depth=1
	v_lshl_add_u32 v6, s16, 2, v23
	ds_store_b128 v6, v[2:5]
.LBB117_64:                             ;   in Loop: Header=BB117_15 Depth=1
	s_or_b32 exec_lo, exec_lo, s14
	s_wait_dscnt 0x0
	s_barrier_signal -1
	s_barrier_wait -1
	s_and_saveexec_b32 s17, s63
	s_cbranch_execz .LBB117_97
; %bb.65:                               ;   in Loop: Header=BB117_15 Depth=1
	v_dual_add_nc_u32 v4, s16, v13 :: v_dual_mov_b32 v2, 0
	s_and_not1_b32 vcc_lo, exec_lo, s66
	s_cbranch_vccnz .LBB117_96
; %bb.66:                               ;   in Loop: Header=BB117_15 Depth=1
	s_and_not1_b32 vcc_lo, exec_lo, s69
	s_cbranch_vccnz .LBB117_93
; %bb.67:                               ;   in Loop: Header=BB117_15 Depth=1
	v_lshl_add_u32 v5, v4, 2, 0xc00
	s_and_not1_b32 vcc_lo, exec_lo, s72
	s_cbranch_vccnz .LBB117_121
; %bb.68:                               ;   in Loop: Header=BB117_15 Depth=1
	v_dual_mov_b32 v2, 0 :: v_dual_mov_b32 v3, 0
	s_mov_b32 s15, 1
	s_mov_b32 s14, 0
	;; [unrolled: 1-line block ×3, first 2 shown]
.LBB117_69:                             ;   Parent Loop BB117_15 Depth=1
                                        ; =>  This Inner Loop Header: Depth=2
	v_lshl_add_u32 v16, s15, 4, v5
	v_lshl_add_u32 v41, s14, 4, v5
	s_add_co_i32 s18, s18, -8
	s_add_co_i32 s15, s15, 16
	s_add_co_i32 s14, s14, 16
	ds_load_2addr_b32 v[6:7], v16 offset1:8
	ds_load_2addr_b32 v[8:9], v41 offset1:8
	ds_load_2addr_b32 v[42:43], v16 offset0:16 offset1:24
	ds_load_2addr_b32 v[44:45], v41 offset0:16 offset1:24
	ds_load_2addr_b32 v[46:47], v16 offset0:32 offset1:40
	ds_load_2addr_b32 v[48:49], v41 offset0:32 offset1:40
	ds_load_2addr_b32 v[50:51], v16 offset0:48 offset1:56
	ds_load_2addr_b32 v[52:53], v41 offset0:48 offset1:56
	s_cmp_lg_u32 s18, 0
	s_wait_dscnt 0x7
	v_add3_u32 v3, v6, v3, v7
	s_wait_dscnt 0x6
	v_add3_u32 v2, v8, v2, v9
	s_wait_dscnt 0x5
	s_delay_alu instid0(VALU_DEP_2) | instskip(SKIP_1) | instid1(VALU_DEP_2)
	v_add3_u32 v3, v42, v3, v43
	s_wait_dscnt 0x4
	v_add3_u32 v2, v44, v2, v45
	s_wait_dscnt 0x3
	s_delay_alu instid0(VALU_DEP_2) | instskip(SKIP_1) | instid1(VALU_DEP_2)
	;; [unrolled: 5-line block ×3, first 2 shown]
	v_add3_u32 v3, v50, v3, v51
	s_wait_dscnt 0x0
	v_add3_u32 v2, v52, v2, v53
	s_cbranch_scc1 .LBB117_69
; %bb.70:                               ;   in Loop: Header=BB117_15 Depth=1
	s_and_not1_b32 vcc_lo, exec_lo, s74
	s_mov_b32 s18, s71
	s_cbranch_vccnz .LBB117_72
.LBB117_71:                             ;   Parent Loop BB117_15 Depth=1
                                        ; =>  This Inner Loop Header: Depth=2
	v_lshl_add_u32 v6, s15, 4, v5
	v_lshl_add_u32 v7, s14, 4, v5
	s_add_co_i32 s18, s18, -1
	s_add_co_i32 s15, s15, 2
	s_add_co_i32 s14, s14, 2
	ds_load_b32 v6, v6
	ds_load_b32 v7, v7
	s_cmp_lg_u32 s18, 0
	s_wait_dscnt 0x0
	v_dual_add_nc_u32 v3, v6, v3 :: v_dual_add_nc_u32 v2, v7, v2
	s_cbranch_scc1 .LBB117_71
.LBB117_72:                             ;   in Loop: Header=BB117_15 Depth=1
	s_delay_alu instid0(VALU_DEP_1) | instskip(SKIP_2) | instid1(SALU_CYCLE_1)
	v_add_nc_u32_e32 v2, v2, v3
	s_mov_b32 s14, s70
	s_mov_b32 s15, s75
	s_and_b32 vcc_lo, exec_lo, s15
	s_cbranch_vccnz .LBB117_94
	s_branch .LBB117_96
.LBB117_73:                             ;   in Loop: Header=BB117_15 Depth=1
	v_mov_b64_e32 v[4:5], 0
	v_mov_b64_e32 v[2:3], 0
	s_and_saveexec_b32 s98, s11
	s_cbranch_execz .LBB117_77
; %bb.74:                               ;   in Loop: Header=BB117_15 Depth=1
	v_mov_b32_e32 v6, v1
	s_mov_b32 s99, 0
	s_mov_b32 s100, 0
	;; [unrolled: 1-line block ×6, first 2 shown]
.LBB117_75:                             ;   Parent Loop BB117_15 Depth=1
                                        ; =>  This Inner Loop Header: Depth=2
	v_dual_add_nc_u32 v2, s100, v33 :: v_dual_add_nc_u32 v3, s100, v30
	v_readfirstlane_b32 s14, v10
	v_readfirstlane_b32 s15, v11
	v_dual_add_nc_u32 v4, s100, v31 :: v_dual_add_nc_u32 v5, s100, v32
	s_clause 0x3
	global_load_u16 v2, v2, s[14:15] scale_offset
	global_load_u16 v3, v3, s[14:15] scale_offset
	global_load_u16 v4, v4, s[14:15] scale_offset
	global_load_u16 v5, v5, s[14:15] scale_offset
	v_add_nc_u32_e32 v6, s64, v6
	s_add_co_i32 s100, s100, s81
	s_wait_loadcnt 0x3
	s_wait_xcnt 0x0
	v_cmp_lt_i16_e64 s14, -1, v2
	v_and_b32_e32 v7, 0xffff, v2
	v_lshlrev_b32_e32 v2, 16, v2
	s_wait_loadcnt 0x2
	v_and_b32_e32 v9, 0xffff, v3
	s_wait_loadcnt 0x1
	v_and_b32_e32 v41, 0xffff, v4
	v_cndmask_b32_e64 v8, 0xffff, v37, s14
	v_cmp_lt_i16_e64 s14, -1, v3
	v_lshlrev_b32_e32 v3, 16, v3
	s_wait_loadcnt 0x0
	v_and_b32_e32 v43, 0xffff, v5
	v_cmp_le_u32_e32 vcc_lo, s79, v6
	v_xor_b32_e32 v7, v8, v7
	v_cndmask_b32_e64 v16, 0xffff, v37, s14
	v_cmp_lt_i16_e64 s14, -1, v4
	v_lshlrev_b32_e32 v4, 16, v4
	v_cmp_o_f32_e64 s17, v2, v2
	s_delay_alu instid0(VALU_DEP_4) | instskip(NEXT) | instid1(VALU_DEP_4)
	v_xor_b32_e32 v8, v16, v9
	v_cndmask_b32_e64 v42, 0xffff, v37, s14
	v_cmp_lt_i16_e64 s14, -1, v5
	v_lshlrev_b32_e32 v5, 16, v5
	v_cmp_o_f32_e64 s15, v4, v4
	v_cndmask_b32_e64 v2, 0xffff, v7, s17
	s_delay_alu instid0(VALU_DEP_4)
	v_cndmask_b32_e64 v44, 0xffff, v37, s14
	v_cmp_o_f32_e64 s14, v3, v3
	v_xor_b32_e32 v3, v42, v41
	v_cmp_o_f32_e64 s16, v5, v5
	v_and_b32_e32 v7, v2, v38
	v_xor_b32_e32 v4, v44, v43
	v_cndmask_b32_e64 v5, 0xffff, v8, s14
	v_cndmask_b32_e64 v3, 0xffff, v3, s15
	v_bfe_u32 v2, v2, s84, 2
	v_cmp_eq_u32_e64 s14, v7, v28
	v_cndmask_b32_e64 v4, 0xffff, v4, s16
	v_and_b32_e32 v8, v5, v38
	v_bfe_u32 v5, v5, s84, 2
	v_and_b32_e32 v9, v3, v38
	v_bfe_u32 v3, v3, s84, 2
	v_cmp_eq_u32_e64 s18, 0, v2
	v_and_b32_e32 v16, v4, v38
	v_bfe_u32 v4, v4, s84, 2
	v_cmp_eq_u32_e64 s15, v8, v28
	v_cmp_eq_u32_e64 s19, 0, v5
	;; [unrolled: 1-line block ×4, first 2 shown]
	s_and_b32 s18, s14, s18
	v_cmp_eq_u32_e64 s17, v16, v28
	v_cmp_eq_u32_e64 s21, 0, v4
	;; [unrolled: 1-line block ×5, first 2 shown]
	v_cndmask_b32_e64 v2, 0, 1, s18
	s_and_b32 s18, s15, s19
	v_cmp_eq_u32_e64 s24, 1, v3
	v_cmp_eq_u32_e64 s28, 2, v3
	;; [unrolled: 1-line block ×3, first 2 shown]
	v_cndmask_b32_e64 v3, 0, 1, s18
	s_and_b32 s18, s16, s20
	v_cmp_eq_u32_e64 s23, 1, v5
	v_cmp_eq_u32_e64 s25, 1, v4
	;; [unrolled: 1-line block ×4, first 2 shown]
	v_cndmask_b32_e64 v4, 0, 1, s18
	s_and_b32 s18, s17, s21
	v_cmp_eq_u32_e64 s27, 2, v5
	v_cmp_eq_u32_e64 s31, 3, v5
	v_cndmask_b32_e64 v5, 0, 1, s18
	s_and_b32 s18, s14, s22
	s_delay_alu instid0(SALU_CYCLE_1) | instskip(SKIP_1) | instid1(SALU_CYCLE_1)
	v_cndmask_b32_e64 v7, 0, 1, s18
	s_and_b32 s18, s15, s23
	v_cndmask_b32_e64 v8, 0, 1, s18
	s_and_b32 s18, s16, s24
	s_delay_alu instid0(SALU_CYCLE_1) | instskip(SKIP_1) | instid1(VALU_DEP_2)
	v_cndmask_b32_e64 v9, 0, 1, s18
	s_and_b32 s18, s17, s25
	v_cmp_ne_u32_e64 s19, 0, v8
	v_cndmask_b32_e64 v16, 0, 1, s18
	s_and_b32 s18, s14, s26
	s_and_b32 s14, s14, s30
	v_cndmask_b32_e64 v41, 0, 1, s18
	s_and_b32 s18, s15, s27
	v_cndmask_b32_e64 v45, 0, 1, s14
	;; [unrolled: 2-line block ×7, first 2 shown]
	v_cndmask_b32_e64 v48, 0, 1, s14
	v_cmp_ne_u32_e64 s14, 0, v2
	v_cmp_ne_u32_e64 s18, 0, v7
	;; [unrolled: 1-line block ×11, first 2 shown]
	s_bcnt1_i32_b32 s14, s14
	s_bcnt1_i32_b32 s18, s18
	;; [unrolled: 1-line block ×4, first 2 shown]
	v_cmp_ne_u32_e64 s17, 0, v5
	v_cmp_ne_u32_e64 s21, 0, v16
	;; [unrolled: 1-line block ×4, first 2 shown]
	s_bcnt1_i32_b32 s15, s15
	s_bcnt1_i32_b32 s19, s19
	s_bcnt1_i32_b32 s23, s23
	s_bcnt1_i32_b32 s27, s27
	s_add_co_i32 s14, s14, s52
	s_add_co_i32 s18, s18, s53
	s_add_co_i32 s22, s22, s54
	s_add_co_i32 s26, s26, s55
	s_bcnt1_i32_b32 s16, s16
	s_bcnt1_i32_b32 s20, s20
	s_bcnt1_i32_b32 s24, s24
	s_bcnt1_i32_b32 s28, s28
	s_add_co_i32 s18, s18, s19
	s_add_co_i32 s14, s14, s15
	s_add_co_i32 s15, s26, s27
	s_add_co_i32 s19, s22, s23
	;; [unrolled: 8-line block ×3, first 2 shown]
	s_add_co_i32 s53, s16, s21
	s_add_co_i32 s52, s14, s17
	;; [unrolled: 1-line block ×4, first 2 shown]
	v_mov_b64_e32 v[2:3], s[52:53]
	v_mov_b64_e32 v[4:5], s[54:55]
	s_or_b32 s99, vcc_lo, s99
	s_delay_alu instid0(SALU_CYCLE_1)
	s_and_not1_b32 exec_lo, exec_lo, s99
	s_cbranch_execnz .LBB117_75
; %bb.76:                               ;   in Loop: Header=BB117_15 Depth=1
	s_or_b32 exec_lo, exec_lo, s99
.LBB117_77:                             ;   in Loop: Header=BB117_15 Depth=1
	s_delay_alu instid0(SALU_CYCLE_1)
	s_or_b32 exec_lo, exec_lo, s98
	s_and_saveexec_b32 s18, s12
	s_cbranch_execz .LBB117_83
; %bb.78:                               ;   in Loop: Header=BB117_15 Depth=1
	global_load_u16 v9, v[20:21], off
	v_dual_mov_b32 v6, v34 :: v_dual_mov_b32 v7, v26
	s_mov_b32 s19, 0
	s_branch .LBB117_80
.LBB117_79:                             ;   in Loop: Header=BB117_80 Depth=2
	s_wait_xcnt 0x0
	s_or_b32 exec_lo, exec_lo, s15
	s_wait_loadcnt 0x0
	v_cmp_lt_i16_e64 s14, -1, v9
	v_and_b32_e32 v16, 0xffff, v9
	s_and_b32 s15, exec_lo, vcc_lo
	s_delay_alu instid0(SALU_CYCLE_1) | instskip(SKIP_1) | instid1(VALU_DEP_1)
	s_or_b32 s19, s15, s19
	v_cndmask_b32_e64 v41, 0xffff, v37, s14
	v_dual_lshlrev_b32 v9, 16, v9 :: v_dual_bitop2_b32 v16, v41, v16 bitop3:0x14
	s_delay_alu instid0(VALU_DEP_1) | instskip(NEXT) | instid1(VALU_DEP_1)
	v_cmp_o_f32_e64 s14, v9, v9
	v_cndmask_b32_e64 v9, 0xffff, v16, s14
	s_delay_alu instid0(VALU_DEP_1) | instskip(SKIP_1) | instid1(VALU_DEP_2)
	v_and_b32_e32 v16, v9, v38
	v_bfe_u32 v9, v9, s84, 2
	v_cmp_eq_u32_e32 vcc_lo, v16, v28
	s_delay_alu instid0(VALU_DEP_2) | instskip(SKIP_4) | instid1(SALU_CYCLE_1)
	v_cmp_eq_u32_e64 s14, 0, v9
	v_cmp_eq_u32_e64 s15, 1, v9
	;; [unrolled: 1-line block ×4, first 2 shown]
	s_and_b32 s14, vcc_lo, s14
	v_cndmask_b32_e64 v9, 0, 1, s14
	s_and_b32 s14, vcc_lo, s15
	s_delay_alu instid0(SALU_CYCLE_1) | instskip(SKIP_1) | instid1(SALU_CYCLE_1)
	v_cndmask_b32_e64 v16, 0, 1, s14
	s_and_b32 s14, vcc_lo, s16
	v_cndmask_b32_e64 v41, 0, 1, s14
	s_and_b32 s14, vcc_lo, s17
	v_cmp_ne_u32_e32 vcc_lo, 0, v9
	v_cndmask_b32_e64 v42, 0, 1, s14
	v_cmp_ne_u32_e64 s14, 0, v16
	v_cmp_ne_u32_e64 s15, 0, v41
	v_mov_b32_e32 v9, v8
	s_bcnt1_i32_b32 s17, vcc_lo
	v_cmp_ne_u32_e64 s16, 0, v42
	s_bcnt1_i32_b32 s14, s14
	s_bcnt1_i32_b32 s15, s15
	v_dual_add_nc_u32 v3, s14, v3 :: v_dual_add_nc_u32 v2, s17, v2
	v_add_nc_u32_e32 v4, s15, v4
	s_bcnt1_i32_b32 s16, s16
	s_delay_alu instid0(SALU_CYCLE_1)
	v_dual_add_nc_u32 v6, s58, v6 :: v_dual_add_nc_u32 v5, s16, v5
	s_and_not1_b32 exec_lo, exec_lo, s19
	s_cbranch_execz .LBB117_82
.LBB117_80:                             ;   Parent Loop BB117_15 Depth=1
                                        ; =>  This Inner Loop Header: Depth=2
	s_delay_alu instid0(VALU_DEP_1) | instskip(SKIP_1) | instid1(VALU_DEP_1)
	v_dual_mov_b32 v8, 0 :: v_dual_add_nc_u32 v7, s40, v7
	s_mov_b32 s15, exec_lo
	v_cmp_le_u32_e32 vcc_lo, s36, v7
	s_wait_xcnt 0x0
	v_cmpx_gt_u32_e64 s36, v7
	s_cbranch_execz .LBB117_79
; %bb.81:                               ;   in Loop: Header=BB117_80 Depth=2
	v_readfirstlane_b32 s16, v10
	v_readfirstlane_b32 s17, v11
	global_load_u16 v8, v6, s[16:17] scale_offset
	s_branch .LBB117_79
.LBB117_82:                             ;   in Loop: Header=BB117_15 Depth=1
	s_or_b32 exec_lo, exec_lo, s19
.LBB117_83:                             ;   in Loop: Header=BB117_15 Depth=1
	s_delay_alu instid0(SALU_CYCLE_1)
	s_or_b32 exec_lo, exec_lo, s18
	s_branch .LBB117_62
.LBB117_84:                             ;   in Loop: Header=BB117_15 Depth=1
	s_mul_u64 s[14:15], s[38:39], s[46:47]
	v_mov_b64_e32 v[4:5], 0
	s_mul_i32 s14, s15, s64
	v_mov_b64_e32 v[2:3], 0
	s_sub_co_i32 s14, s38, s14
	s_mov_b32 s34, exec_lo
	s_sub_co_i32 s15, s14, s64
	s_cmp_ge_u32 s14, s64
	s_cselect_b32 s14, s15, s14
	s_delay_alu instid0(SALU_CYCLE_1) | instskip(SKIP_2) | instid1(SALU_CYCLE_1)
	s_sub_co_i32 s15, s14, s64
	s_cmp_ge_u32 s14, s64
	s_cselect_b32 s14, s15, s14
	s_sub_co_i32 s33, s38, s14
	s_delay_alu instid0(SALU_CYCLE_1)
	v_cmpx_gt_u32_e64 s33, v1
	s_cbranch_execz .LBB117_88
; %bb.85:                               ;   in Loop: Header=BB117_15 Depth=1
	v_dual_mov_b32 v6, v35 :: v_dual_mov_b32 v7, v1
	s_mov_b32 s52, 0
	s_mov_b32 s28, 0
	;; [unrolled: 1-line block ×5, first 2 shown]
.LBB117_86:                             ;   Parent Loop BB117_15 Depth=1
                                        ; =>  This Inner Loop Header: Depth=2
	ds_load_b64 v[2:3], v6
	v_dual_add_nc_u32 v7, s64, v7 :: v_dual_add_nc_u32 v6, s82, v6
	s_delay_alu instid0(VALU_DEP_1) | instskip(SKIP_4) | instid1(VALU_DEP_3)
	v_cmp_le_u32_e32 vcc_lo, s33, v7
	s_wait_dscnt 0x0
	v_cmp_lt_i16_e64 s14, -1, v2
	v_dual_lshrrev_b32 v4, 16, v2 :: v_dual_lshrrev_b32 v5, 16, v3
	v_dual_lshlrev_b32 v9, 16, v2 :: v_dual_lshlrev_b32 v42, 16, v3
	v_cndmask_b32_e64 v8, 0xffff, v37, s14
	v_cmp_lt_i16_e64 s14, -1, v3
	s_delay_alu instid0(VALU_DEP_4)
	v_cmp_lt_i16_e64 s15, -1, v5
	v_and_b32_e32 v16, 0xffff0000, v2
	v_and_b32_e32 v43, 0xffff0000, v3
	v_bitop3_b32 v2, v8, v2, 0xffff bitop3:0x78
	v_cndmask_b32_e64 v41, 0xffff, v37, s14
	v_cmp_lt_i16_e64 s14, -1, v4
	s_delay_alu instid0(VALU_DEP_2) | instskip(SKIP_2) | instid1(VALU_DEP_4)
	v_bitop3_b32 v3, v41, v3, 0xffff bitop3:0x78
	v_cndmask_b32_e64 v41, 0xffff, v37, s15
	v_cmp_o_f32_e64 s15, v9, v9
	v_cndmask_b32_e64 v8, 0xffff, v37, s14
	v_cmp_o_f32_e64 s14, v42, v42
	s_delay_alu instid0(VALU_DEP_4) | instskip(NEXT) | instid1(VALU_DEP_4)
	v_xor_b32_e32 v5, v41, v5
	v_cndmask_b32_e64 v2, 0xffff, v2, s15
	s_delay_alu instid0(VALU_DEP_4) | instskip(NEXT) | instid1(VALU_DEP_4)
	v_xor_b32_e32 v4, v8, v4
	v_cndmask_b32_e64 v3, 0xffff, v3, s14
	v_cmp_o_f32_e64 s15, v16, v16
	v_cmp_o_f32_e64 s14, v43, v43
	v_and_b32_e32 v8, v2, v38
	v_bfe_u32 v2, v2, s84, 2
	v_and_b32_e32 v9, v3, v38
	v_cndmask_b32_e64 v4, 0xffff, v4, s15
	v_bfe_u32 v3, v3, s84, 2
	v_cndmask_b32_e64 v5, 0xffff, v5, s14
	v_cmp_eq_u32_e64 s14, v8, v28
	v_cmp_eq_u32_e64 s16, 0, v2
	;; [unrolled: 1-line block ×4, first 2 shown]
	v_and_b32_e32 v8, v4, v38
	v_cmp_eq_u32_e64 s15, v9, v28
	v_cmp_eq_u32_e64 s17, 0, v3
	;; [unrolled: 1-line block ×4, first 2 shown]
	v_and_b32_e32 v9, v5, v38
	v_bfe_u32 v4, v4, s84, 2
	v_bfe_u32 v5, v5, s84, 2
	v_cmp_eq_u32_e64 s22, 3, v2
	s_and_b32 s16, s14, s16
	s_and_b32 s18, s14, s18
	;; [unrolled: 1-line block ×3, first 2 shown]
	v_cmp_eq_u32_e64 s24, v8, v28
	v_cndmask_b32_e64 v2, 0, 1, s16
	s_and_b32 s16, s15, s17
	v_cndmask_b32_e64 v8, 0, 1, s18
	s_and_b32 s18, s15, s19
	;; [unrolled: 2-line block ×3, first 2 shown]
	v_cmp_eq_u32_e64 s23, 3, v3
	v_cmp_eq_u32_e64 s25, v9, v28
	;; [unrolled: 1-line block ×4, first 2 shown]
	v_cndmask_b32_e64 v3, 0, 1, s16
	v_cmp_eq_u32_e64 s16, 1, v4
	v_cmp_eq_u32_e64 s17, 1, v5
	v_cndmask_b32_e64 v9, 0, 1, s18
	v_cmp_eq_u32_e64 s18, 2, v4
	v_cmp_eq_u32_e64 s19, 2, v5
	v_cndmask_b32_e64 v41, 0, 1, s20
	v_cmp_eq_u32_e64 s20, 3, v4
	s_and_b32 s14, s14, s22
	v_cmp_eq_u32_e64 s21, 3, v5
	v_cndmask_b32_e64 v4, 0, 1, s14
	s_and_b32 s14, s15, s23
	s_and_b32 s15, s24, s26
	;; [unrolled: 1-line block ×8, first 2 shown]
	v_cndmask_b32_e64 v5, 0, 1, s14
	v_cmp_ne_u32_e64 s14, 0, v2
	v_cndmask_b32_e64 v2, 0, 1, s15
	v_cmp_ne_u32_e64 s15, 0, v3
	;; [unrolled: 2-line block ×7, first 2 shown]
	v_cndmask_b32_e64 v4, 0, 1, s20
	s_and_b32 s21, s25, s21
	v_cmp_ne_u32_e64 s20, 0, v5
	v_cndmask_b32_e64 v5, 0, 1, s21
	s_bcnt1_i32_b32 s23, s14
	v_cmp_ne_u32_e64 s14, 0, v2
	v_cmp_ne_u32_e64 s21, 0, v8
	s_bcnt1_i32_b32 s26, s17
	v_cmp_ne_u32_e64 s17, 0, v16
	s_bcnt1_i32_b32 s53, s19
	;; [unrolled: 2-line block ×3, first 2 shown]
	s_bcnt1_i32_b32 s24, s15
	v_cmp_ne_u32_e64 s15, 0, v3
	s_bcnt1_i32_b32 s25, s16
	v_cmp_ne_u32_e64 s16, 0, v9
	;; [unrolled: 2-line block ×4, first 2 shown]
	s_add_co_i32 s23, s23, s28
	s_add_co_i32 s22, s22, s29
	;; [unrolled: 1-line block ×4, first 2 shown]
	s_bcnt1_i32_b32 s14, s14
	s_bcnt1_i32_b32 s21, s21
	;; [unrolled: 1-line block ×4, first 2 shown]
	s_add_co_i32 s21, s22, s21
	s_add_co_i32 s14, s23, s14
	;; [unrolled: 1-line block ×4, first 2 shown]
	s_bcnt1_i32_b32 s15, s15
	s_bcnt1_i32_b32 s16, s16
	;; [unrolled: 1-line block ×4, first 2 shown]
	s_add_co_i32 s14, s14, s24
	s_add_co_i32 s21, s21, s25
	;; [unrolled: 1-line block ×8, first 2 shown]
	v_mov_b64_e32 v[2:3], s[28:29]
	v_mov_b64_e32 v[4:5], s[30:31]
	s_or_b32 s52, vcc_lo, s52
	s_delay_alu instid0(SALU_CYCLE_1)
	s_and_not1_b32 exec_lo, exec_lo, s52
	s_cbranch_execnz .LBB117_86
; %bb.87:                               ;   in Loop: Header=BB117_15 Depth=1
	s_or_b32 exec_lo, exec_lo, s52
.LBB117_88:                             ;   in Loop: Header=BB117_15 Depth=1
	s_delay_alu instid0(SALU_CYCLE_1) | instskip(SKIP_2) | instid1(VALU_DEP_1)
	s_or_b32 exec_lo, exec_lo, s34
	v_add_nc_u32_e32 v6, s33, v0
	s_mov_b32 s19, exec_lo
	v_cmpx_gt_u32_e64 s38, v6
	s_cbranch_execz .LBB117_92
; %bb.89:                               ;   in Loop: Header=BB117_15 Depth=1
	v_lshlrev_b32_e32 v7, 1, v6
	s_mov_b32 s20, 0
.LBB117_90:                             ;   Parent Loop BB117_15 Depth=1
                                        ; =>  This Inner Loop Header: Depth=2
	ds_load_u16 v8, v7
	v_dual_add_nc_u32 v6, s40, v6 :: v_dual_add_nc_u32 v7, s83, v7
	s_delay_alu instid0(VALU_DEP_1) | instskip(SKIP_3) | instid1(VALU_DEP_2)
	v_cmp_le_u32_e32 vcc_lo, s38, v6
	s_wait_dscnt 0x0
	v_cmp_lt_i16_e64 s14, -1, v8
	v_and_b32_e32 v9, 0xffff, v8
	v_cndmask_b32_e64 v16, 0xffff, v37, s14
	s_delay_alu instid0(VALU_DEP_1) | instskip(NEXT) | instid1(VALU_DEP_1)
	v_dual_lshlrev_b32 v8, 16, v8 :: v_dual_bitop2_b32 v9, v16, v9 bitop3:0x14
	v_cmp_o_f32_e64 s14, v8, v8
	s_delay_alu instid0(VALU_DEP_1) | instskip(NEXT) | instid1(VALU_DEP_1)
	v_cndmask_b32_e64 v8, 0xffff, v9, s14
	v_and_b32_e32 v9, v8, v38
	v_bfe_u32 v8, v8, s84, 2
	s_delay_alu instid0(VALU_DEP_2) | instskip(NEXT) | instid1(VALU_DEP_2)
	v_cmp_eq_u32_e64 s14, v9, v28
	v_cmp_eq_u32_e64 s15, 0, v8
	;; [unrolled: 1-line block ×5, first 2 shown]
	s_and_b32 s15, s14, s15
	s_delay_alu instid0(SALU_CYCLE_1) | instskip(SKIP_1) | instid1(SALU_CYCLE_1)
	v_cndmask_b32_e64 v8, 0, 1, s15
	s_and_b32 s15, s14, s16
	v_cndmask_b32_e64 v9, 0, 1, s15
	s_and_b32 s15, s14, s17
	s_and_b32 s14, s14, s18
	v_cndmask_b32_e64 v16, 0, 1, s15
	v_cndmask_b32_e64 v41, 0, 1, s14
	v_cmp_ne_u32_e64 s14, 0, v8
	v_cmp_ne_u32_e64 s15, 0, v9
	s_delay_alu instid0(VALU_DEP_4) | instskip(NEXT) | instid1(VALU_DEP_4)
	v_cmp_ne_u32_e64 s16, 0, v16
	v_cmp_ne_u32_e64 s17, 0, v41
	s_bcnt1_i32_b32 s14, s14
	s_bcnt1_i32_b32 s15, s15
	;; [unrolled: 1-line block ×4, first 2 shown]
	v_dual_add_nc_u32 v3, s15, v3 :: v_dual_add_nc_u32 v2, s14, v2
	v_dual_add_nc_u32 v5, s17, v5 :: v_dual_add_nc_u32 v4, s16, v4
	s_or_b32 s20, vcc_lo, s20
	s_delay_alu instid0(SALU_CYCLE_1)
	s_and_not1_b32 exec_lo, exec_lo, s20
	s_cbranch_execnz .LBB117_90
; %bb.91:                               ;   in Loop: Header=BB117_15 Depth=1
	s_or_b32 exec_lo, exec_lo, s20
.LBB117_92:                             ;   in Loop: Header=BB117_15 Depth=1
	s_delay_alu instid0(SALU_CYCLE_1)
	s_or_b32 exec_lo, exec_lo, s19
	s_lshl_b32 s16, s88, 7
	s_and_saveexec_b32 s14, s2
	s_cbranch_execnz .LBB117_63
	s_branch .LBB117_64
.LBB117_93:                             ;   in Loop: Header=BB117_15 Depth=1
	v_mov_b32_e32 v2, 0
	s_mov_b32 s14, 0
	s_cbranch_execz .LBB117_96
.LBB117_94:                             ;   in Loop: Header=BB117_15 Depth=1
	s_lshl_b32 s15, s88, 9
	s_lshl_b32 s18, s14, 4
	s_sub_co_i32 s14, s68, s14
	v_add3_u32 v3, s15, s18, v36
.LBB117_95:                             ;   Parent Loop BB117_15 Depth=1
                                        ; =>  This Inner Loop Header: Depth=2
	ds_load_b32 v5, v3
	v_add_nc_u32_e32 v3, 16, v3
	s_add_co_i32 s14, s14, -1
	s_delay_alu instid0(SALU_CYCLE_1)
	s_cmp_eq_u32 s14, 0
	s_wait_dscnt 0x0
	v_add_nc_u32_e32 v2, v5, v2
	s_cbranch_scc0 .LBB117_95
.LBB117_96:                             ;   in Loop: Header=BB117_15 Depth=1
	s_delay_alu instid0(VALU_DEP_1)
	v_lshlrev_b32_e32 v3, 2, v4
	ds_store_b32 v3, v2 offset:3072
.LBB117_97:                             ;   in Loop: Header=BB117_15 Depth=1
	s_or_b32 exec_lo, exec_lo, s17
	s_lshl_b32 s14, s16, 2
	s_wait_dscnt 0x0
	v_mov_b32_e32 v2, s14
	s_barrier_signal -1
	s_barrier_wait -1
	v_cmp_eq_u32_e64 s14, 1, v40
	ds_load_b128 v[2:5], v2 offset:3072
	s_lshl_b32 s18, 3, s84
	s_mov_b32 s26, -1
	s_not_b32 s19, s18
	s_mov_b32 s16, 0
	s_and_not1_b32 vcc_lo, exec_lo, s62
	s_mov_b32 s23, 0
	s_mov_b32 s15, 0
                                        ; implicit-def: $sgpr24
                                        ; implicit-def: $sgpr25
                                        ; implicit-def: $vgpr6
	s_wait_dscnt 0x0
	v_readfirstlane_b32 s17, v2
	v_readfirstlane_b32 s20, v3
	;; [unrolled: 1-line block ×4, first 2 shown]
                                        ; implicit-def: $vgpr5
                                        ; implicit-def: $vgpr2
                                        ; implicit-def: $vgpr3
                                        ; implicit-def: $vgpr4
	s_cbranch_vccnz .LBB117_256
; %bb.98:                               ;   in Loop: Header=BB117_15 Depth=1
	s_cmp_eq_u32 s17, 1
	v_dual_mov_b32 v3, v28 :: v_dual_mov_b32 v4, v38
	v_mov_b32_e32 v6, v39
	s_cselect_b32 s15, -1, 0
	s_mov_b32 s29, -1
	s_and_b32 s28, s15, s14
                                        ; implicit-def: $sgpr25
                                        ; implicit-def: $sgpr24
	s_delay_alu instid0(SALU_CYCLE_1)
	s_and_saveexec_b32 s15, s28
	s_cbranch_execz .LBB117_125
; %bb.99:                               ;   in Loop: Header=BB117_15 Depth=1
	ds_load_b32 v2, v17 offset:4096
	s_wait_dscnt 0x0
	s_barrier_signal -1
	s_barrier_wait -1
	v_readfirstlane_b32 s26, v2
	s_and_saveexec_b32 s23, s6
; %bb.100:                              ;   in Loop: Header=BB117_15 Depth=1
	ds_store_b16 v19, v17
; %bb.101:                              ;   in Loop: Header=BB117_15 Depth=1
	s_or_b32 exec_lo, exec_lo, s23
	v_and_b32_e32 v3, s19, v28
	v_or_b32_e32 v4, s18, v38
	s_mov_b32 s24, -1
	s_mov_b32 s25, 0
	s_cmp_eq_u32 s26, 0
	s_mov_b32 s23, 0
	s_mov_b32 s27, -1
	s_wait_dscnt 0x0
	s_barrier_signal -1
	s_barrier_wait -1
                                        ; implicit-def: $vgpr6
	s_cbranch_scc1 .LBB117_112
; %bb.102:                              ;   in Loop: Header=BB117_15 Depth=1
	s_add_co_i32 s38, s26, s67
	s_mov_b32 s29, exec_lo
	s_mul_u64 s[30:31], s[38:39], s[48:49]
                                        ; implicit-def: $vgpr6
	s_delay_alu instid0(SALU_CYCLE_1) | instskip(NEXT) | instid1(SALU_CYCLE_1)
	s_mul_i32 s23, s31, s40
	s_sub_co_i32 s23, s38, s23
	s_delay_alu instid0(SALU_CYCLE_1) | instskip(SKIP_2) | instid1(SALU_CYCLE_1)
	s_sub_co_i32 s27, s23, s40
	s_cmp_ge_u32 s23, s40
	s_cselect_b32 s23, s27, s23
	s_sub_co_i32 s27, s23, s40
	s_cmp_ge_u32 s23, s40
	s_cselect_b32 s23, s27, s23
	s_mov_b32 s27, 0
	s_sub_co_i32 s30, s38, s23
	s_mov_b32 s23, 0
	v_cmpx_gt_u32_e64 s30, v0
	s_cbranch_execz .LBB117_111
; %bb.103:                              ;   in Loop: Header=BB117_15 Depth=1
	v_dual_mov_b32 v2, v22 :: v_dual_mov_b32 v5, v0
                                        ; implicit-def: $sgpr31
	s_branch .LBB117_106
.LBB117_104:                            ;   in Loop: Header=BB117_106 Depth=2
	s_or_b32 exec_lo, exec_lo, s33
	s_wait_dscnt 0x0
	s_barrier_signal -1
	s_barrier_wait -1
	ds_load_b32 v6, v17 offset:3072
	s_mov_b32 s33, -1
	s_mov_b32 s34, -1
	s_wait_dscnt 0x0
	s_barrier_signal -1
	s_barrier_wait -1
	v_and_b32_e32 v7, 0x7fff, v6
	s_delay_alu instid0(VALU_DEP_1)
	v_cmp_ne_u32_e32 vcc_lo, 0, v7
	s_cbranch_vccz .LBB117_109
.LBB117_105:                            ;   in Loop: Header=BB117_106 Depth=2
	s_and_b32 s33, exec_lo, s33
	s_delay_alu instid0(SALU_CYCLE_1) | instskip(SKIP_2) | instid1(SALU_CYCLE_1)
	s_or_b32 s23, s33, s23
	s_and_not1_b32 s31, s31, exec_lo
	s_and_b32 s33, s34, exec_lo
	s_or_b32 s31, s31, s33
	s_and_not1_b32 exec_lo, exec_lo, s23
	s_cbranch_execz .LBB117_110
.LBB117_106:                            ;   Parent Loop BB117_15 Depth=1
                                        ; =>  This Inner Loop Header: Depth=2
	s_mov_b32 s33, exec_lo
	s_delay_alu instid0(VALU_DEP_1)
	v_cmpx_gt_u32_e64 s26, v5
	s_cbranch_execz .LBB117_104
; %bb.107:                              ;   in Loop: Header=BB117_106 Depth=2
	ds_load_u16 v6, v2
	s_wait_dscnt 0x0
	v_cmp_lt_i16_e32 vcc_lo, -1, v6
	v_and_b32_e32 v7, 0xffff, v6
	v_dual_cndmask_b32 v8, 0xffff, v37 :: v_dual_lshlrev_b32 v9, 16, v6
	s_delay_alu instid0(VALU_DEP_1) | instskip(NEXT) | instid1(VALU_DEP_2)
	v_cmp_o_f32_e32 vcc_lo, v9, v9
	v_xor_b32_e32 v7, v8, v7
	s_delay_alu instid0(VALU_DEP_1) | instskip(NEXT) | instid1(VALU_DEP_1)
	v_cndmask_b32_e32 v7, 0xffff, v7, vcc_lo
	v_and_b32_e32 v7, v7, v4
	s_delay_alu instid0(VALU_DEP_1)
	v_cmp_eq_u32_e32 vcc_lo, v7, v3
	s_and_b32 exec_lo, exec_lo, vcc_lo
	s_cbranch_execz .LBB117_104
; %bb.108:                              ;   in Loop: Header=BB117_106 Depth=2
	v_perm_b32 v6, v6, s86, 0x5040100
	ds_store_b32 v17, v6 offset:3072
	s_branch .LBB117_104
.LBB117_109:                            ;   in Loop: Header=BB117_106 Depth=2
	v_dual_add_nc_u32 v5, s40, v5 :: v_dual_add_nc_u32 v2, s83, v2
	s_mov_b32 s34, 0
	s_delay_alu instid0(VALU_DEP_1)
	v_cmp_le_u32_e32 vcc_lo, s30, v5
	s_or_not1_b32 s33, vcc_lo, exec_lo
	s_branch .LBB117_105
.LBB117_110:                            ;   in Loop: Header=BB117_15 Depth=1
	s_or_b32 exec_lo, exec_lo, s23
	v_lshrrev_b32_e32 v6, 16, v6
	s_and_b32 s23, s31, exec_lo
.LBB117_111:                            ;   in Loop: Header=BB117_15 Depth=1
	s_or_b32 exec_lo, exec_lo, s29
.LBB117_112:                            ;   in Loop: Header=BB117_15 Depth=1
	s_delay_alu instid0(SALU_CYCLE_1)
	s_and_b32 vcc_lo, exec_lo, s27
	s_cbranch_vccz .LBB117_124
; %bb.113:                              ;   in Loop: Header=BB117_15 Depth=1
                                        ; implicit-def: $vgpr6
	s_and_saveexec_b32 s24, s13
	s_cbranch_execz .LBB117_123
; %bb.114:                              ;   in Loop: Header=BB117_15 Depth=1
	v_dual_mov_b32 v2, v18 :: v_dual_mov_b32 v5, v0
	s_mov_b32 s25, 0
                                        ; implicit-def: $sgpr26
	s_branch .LBB117_117
.LBB117_115:                            ;   in Loop: Header=BB117_117 Depth=2
	s_or_b32 exec_lo, exec_lo, s27
	s_wait_dscnt 0x0
	s_barrier_signal -1
	s_barrier_wait -1
	ds_load_b32 v6, v17 offset:3072
	s_mov_b32 s27, -1
	s_mov_b32 s29, -1
	s_wait_dscnt 0x0
	s_barrier_signal -1
	s_barrier_wait -1
	v_and_b32_e32 v7, 0x7fff, v6
	s_delay_alu instid0(VALU_DEP_1)
	v_cmp_ne_u32_e32 vcc_lo, 0, v7
	s_cbranch_vccz .LBB117_120
.LBB117_116:                            ;   in Loop: Header=BB117_117 Depth=2
	s_and_b32 s27, exec_lo, s27
	s_delay_alu instid0(SALU_CYCLE_1) | instskip(SKIP_2) | instid1(SALU_CYCLE_1)
	s_or_b32 s25, s27, s25
	s_and_not1_b32 s26, s26, exec_lo
	s_and_b32 s27, s29, exec_lo
	s_or_b32 s26, s26, s27
	s_and_not1_b32 exec_lo, exec_lo, s25
	s_cbranch_execz .LBB117_122
.LBB117_117:                            ;   Parent Loop BB117_15 Depth=1
                                        ; =>  This Inner Loop Header: Depth=2
	s_mov_b32 s27, exec_lo
	s_delay_alu instid0(VALU_DEP_1)
	v_cmpx_gt_u32_e64 s36, v5
	s_cbranch_execz .LBB117_115
; %bb.118:                              ;   in Loop: Header=BB117_117 Depth=2
	v_readfirstlane_b32 s30, v10
	v_readfirstlane_b32 s31, v11
	global_load_u16 v6, v2, s[30:31] scale_offset
	s_wait_loadcnt 0x0
	v_cmp_lt_i16_e32 vcc_lo, -1, v6
	v_and_b32_e32 v7, 0xffff, v6
	v_dual_cndmask_b32 v8, 0xffff, v37 :: v_dual_lshlrev_b32 v9, 16, v6
	s_delay_alu instid0(VALU_DEP_1) | instskip(NEXT) | instid1(VALU_DEP_2)
	v_cmp_o_f32_e32 vcc_lo, v9, v9
	v_xor_b32_e32 v7, v8, v7
	s_delay_alu instid0(VALU_DEP_1) | instskip(NEXT) | instid1(VALU_DEP_1)
	v_cndmask_b32_e32 v7, 0xffff, v7, vcc_lo
	v_and_b32_e32 v7, v7, v4
	s_delay_alu instid0(VALU_DEP_1)
	v_cmp_eq_u32_e32 vcc_lo, v7, v3
	s_and_b32 exec_lo, exec_lo, vcc_lo
	s_cbranch_execz .LBB117_115
; %bb.119:                              ;   in Loop: Header=BB117_117 Depth=2
	v_perm_b32 v6, v6, s86, 0x5040100
	ds_store_b32 v17, v6 offset:3072
	s_branch .LBB117_115
.LBB117_120:                            ;   in Loop: Header=BB117_117 Depth=2
	v_dual_add_nc_u32 v5, s40, v5 :: v_dual_add_nc_u32 v2, s58, v2
	s_mov_b32 s29, 0
	s_delay_alu instid0(VALU_DEP_1)
	v_cmp_le_u32_e32 vcc_lo, s80, v5
	s_or_not1_b32 s27, vcc_lo, exec_lo
	s_branch .LBB117_116
.LBB117_121:                            ;   in Loop: Header=BB117_15 Depth=1
	s_mov_b64 s[14:15], 0x100000000
	v_mov_b64_e32 v[2:3], 0
	s_and_not1_b32 vcc_lo, exec_lo, s74
	s_mov_b32 s18, s71
	s_cbranch_vccz .LBB117_71
	s_branch .LBB117_72
.LBB117_122:                            ;   in Loop: Header=BB117_15 Depth=1
	s_or_b32 exec_lo, exec_lo, s25
	v_lshrrev_b32_e32 v6, 16, v6
	s_and_not1_b32 s23, s23, exec_lo
	s_and_b32 s25, s26, exec_lo
	s_delay_alu instid0(SALU_CYCLE_1)
	s_or_b32 s23, s23, s25
.LBB117_123:                            ;   in Loop: Header=BB117_15 Depth=1
	s_or_b32 exec_lo, exec_lo, s24
	s_mov_b32 s24, 0
	s_mov_b32 s25, -1
.LBB117_124:                            ;   in Loop: Header=BB117_15 Depth=1
	s_or_not1_b32 s29, s23, exec_lo
.LBB117_125:                            ;   in Loop: Header=BB117_15 Depth=1
	s_or_b32 exec_lo, exec_lo, s15
	s_mov_b32 s26, 0
	s_mov_b32 s23, 0
	;; [unrolled: 1-line block ×3, first 2 shown]
                                        ; implicit-def: $vgpr5
                                        ; implicit-def: $vgpr2
	s_and_saveexec_b32 s27, s29
	s_cbranch_execz .LBB117_255
; %bb.126:                              ;   in Loop: Header=BB117_15 Depth=1
	v_dual_mov_b32 v5, 1 :: v_dual_mov_b32 v2, 1
	s_xor_b32 s23, s28, -1
	s_mov_b32 s30, 0
	s_and_saveexec_b32 s15, s23
	s_cbranch_execz .LBB117_135
; %bb.127:                              ;   in Loop: Header=BB117_15 Depth=1
	s_mov_b32 s23, exec_lo
	v_cmpx_ge_u32_e64 s17, v40
	s_xor_b32 s23, exec_lo, s23
	s_cbranch_execz .LBB117_132
; %bb.128:                              ;   in Loop: Header=BB117_15 Depth=1
	ds_load_b32 v2, v17 offset:4096
	v_and_b32_e32 v3, s19, v3
	v_or_b32_e32 v4, s18, v4
	s_wait_dscnt 0x0
	v_cmp_ne_u32_e32 vcc_lo, 0, v2
	s_cbranch_vccnz .LBB117_132
; %bb.129:                              ;   in Loop: Header=BB117_15 Depth=1
	s_and_saveexec_b32 s28, s5
; %bb.130:                              ;   in Loop: Header=BB117_15 Depth=1
	v_mov_b32_e32 v2, s17
	ds_store_b32 v17, v2 offset:4100
; %bb.131:                              ;   in Loop: Header=BB117_15 Depth=1
	s_or_b32 exec_lo, exec_lo, s28
	s_wait_dscnt 0x0
	s_barrier_signal -1
	s_barrier_wait -1
.LBB117_132:                            ;   in Loop: Header=BB117_15 Depth=1
	s_or_saveexec_b32 s23, s23
	v_dual_mov_b32 v2, 8 :: v_dual_mov_b32 v5, v40
	s_mov_b32 s28, 0
	s_xor_b32 exec_lo, exec_lo, s23
; %bb.133:                              ;   in Loop: Header=BB117_15 Depth=1
	v_subrev_nc_u32_e32 v5, s17, v40
	v_mov_b32_e32 v2, 0
	s_mov_b32 s28, exec_lo
; %bb.134:                              ;   in Loop: Header=BB117_15 Depth=1
	s_or_b32 exec_lo, exec_lo, s23
	s_delay_alu instid0(SALU_CYCLE_1)
	s_and_b32 s30, s28, exec_lo
.LBB117_135:                            ;   in Loop: Header=BB117_15 Depth=1
	s_or_b32 exec_lo, exec_lo, s15
	s_mov_b32 s29, -1
                                        ; implicit-def: $sgpr23
                                        ; implicit-def: $sgpr28
	s_and_saveexec_b32 s15, s30
	s_delay_alu instid0(SALU_CYCLE_1)
	s_xor_b32 s15, exec_lo, s15
	s_cbranch_execz .LBB117_252
; %bb.136:                              ;   in Loop: Header=BB117_15 Depth=1
	v_cmp_eq_u32_e32 vcc_lo, 1, v5
	s_cmp_eq_u32 s20, 1
	s_mov_b32 s31, -1
	s_cselect_b32 s23, -1, 0
                                        ; implicit-def: $sgpr28
	s_delay_alu instid0(SALU_CYCLE_1) | instskip(NEXT) | instid1(SALU_CYCLE_1)
	s_and_b32 s30, s23, vcc_lo
                                        ; implicit-def: $sgpr23
	s_and_saveexec_b32 s29, s30
	s_cbranch_execz .LBB117_162
; %bb.137:                              ;   in Loop: Header=BB117_15 Depth=1
	ds_load_b32 v6, v17 offset:4096
	s_wait_dscnt 0x0
	s_barrier_signal -1
	s_barrier_wait -1
	v_readfirstlane_b32 s33, v6
	s_and_saveexec_b32 s23, s6
; %bb.138:                              ;   in Loop: Header=BB117_15 Depth=1
	ds_store_b16 v19, v17
; %bb.139:                              ;   in Loop: Header=BB117_15 Depth=1
	s_or_b32 exec_lo, exec_lo, s23
	s_lshl_b32 s23, 1, s84
	v_or_b32_e32 v4, s18, v4
	v_and_or_b32 v3, v3, s19, s23
	s_mov_b32 s23, -1
	s_mov_b32 s28, 0
	s_cmp_eq_u32 s33, 0
	s_mov_b32 s31, 0
	s_mov_b32 s34, -1
	s_wait_dscnt 0x0
	s_barrier_signal -1
	s_barrier_wait -1
                                        ; implicit-def: $vgpr6
	s_cbranch_scc1 .LBB117_150
; %bb.140:                              ;   in Loop: Header=BB117_15 Depth=1
	s_add_co_i32 s38, s33, s67
                                        ; implicit-def: $vgpr6
	s_delay_alu instid0(SALU_CYCLE_1) | instskip(NEXT) | instid1(SALU_CYCLE_1)
	s_mul_u64 s[52:53], s[38:39], s[48:49]
	s_mul_i32 s31, s53, s40
	s_delay_alu instid0(SALU_CYCLE_1) | instskip(NEXT) | instid1(SALU_CYCLE_1)
	s_sub_co_i32 s31, s38, s31
	s_sub_co_i32 s34, s31, s40
	s_cmp_ge_u32 s31, s40
	s_cselect_b32 s31, s34, s31
	s_delay_alu instid0(SALU_CYCLE_1)
	s_sub_co_i32 s34, s31, s40
	s_cmp_ge_u32 s31, s40
	s_cselect_b32 s31, s34, s31
	s_mov_b32 s34, 0
	s_sub_co_i32 s52, s38, s31
	s_mov_b32 s31, 0
	s_mov_b32 s38, exec_lo
	v_cmpx_gt_u32_e64 s52, v0
	s_cbranch_execz .LBB117_149
; %bb.141:                              ;   in Loop: Header=BB117_15 Depth=1
	v_dual_mov_b32 v6, v22 :: v_dual_mov_b32 v7, v0
                                        ; implicit-def: $sgpr53
	s_branch .LBB117_144
.LBB117_142:                            ;   in Loop: Header=BB117_144 Depth=2
	s_or_b32 exec_lo, exec_lo, s54
	s_wait_dscnt 0x0
	s_barrier_signal -1
	s_barrier_wait -1
	ds_load_b32 v8, v17 offset:3072
	s_mov_b32 s54, -1
	s_mov_b32 s55, -1
	s_wait_dscnt 0x0
	s_barrier_signal -1
	s_barrier_wait -1
	v_and_b32_e32 v9, 0x7fff, v8
	s_delay_alu instid0(VALU_DEP_1)
	v_cmp_ne_u32_e32 vcc_lo, 0, v9
	s_cbranch_vccz .LBB117_147
.LBB117_143:                            ;   in Loop: Header=BB117_144 Depth=2
	s_and_b32 s54, exec_lo, s54
	s_delay_alu instid0(SALU_CYCLE_1) | instskip(SKIP_2) | instid1(SALU_CYCLE_1)
	s_or_b32 s31, s54, s31
	s_and_not1_b32 s53, s53, exec_lo
	s_and_b32 s54, s55, exec_lo
	s_or_b32 s53, s53, s54
	s_and_not1_b32 exec_lo, exec_lo, s31
	s_cbranch_execz .LBB117_148
.LBB117_144:                            ;   Parent Loop BB117_15 Depth=1
                                        ; =>  This Inner Loop Header: Depth=2
	s_mov_b32 s54, exec_lo
	s_delay_alu instid0(VALU_DEP_1)
	v_cmpx_gt_u32_e64 s33, v7
	s_cbranch_execz .LBB117_142
; %bb.145:                              ;   in Loop: Header=BB117_144 Depth=2
	ds_load_u16 v8, v6
	s_wait_dscnt 0x0
	v_cmp_lt_i16_e32 vcc_lo, -1, v8
	v_and_b32_e32 v9, 0xffff, v8
	v_dual_cndmask_b32 v16, 0xffff, v37 :: v_dual_lshlrev_b32 v41, 16, v8
	s_delay_alu instid0(VALU_DEP_1) | instskip(NEXT) | instid1(VALU_DEP_2)
	v_cmp_o_f32_e32 vcc_lo, v41, v41
	v_xor_b32_e32 v9, v16, v9
	s_delay_alu instid0(VALU_DEP_1) | instskip(NEXT) | instid1(VALU_DEP_1)
	v_cndmask_b32_e32 v9, 0xffff, v9, vcc_lo
	v_and_b32_e32 v9, v9, v4
	s_delay_alu instid0(VALU_DEP_1)
	v_cmp_eq_u32_e32 vcc_lo, v9, v3
	s_and_b32 exec_lo, exec_lo, vcc_lo
	s_cbranch_execz .LBB117_142
; %bb.146:                              ;   in Loop: Header=BB117_144 Depth=2
	v_perm_b32 v8, v8, s86, 0x5040100
	ds_store_b32 v17, v8 offset:3072
	s_branch .LBB117_142
.LBB117_147:                            ;   in Loop: Header=BB117_144 Depth=2
	v_dual_add_nc_u32 v7, s40, v7 :: v_dual_add_nc_u32 v6, s83, v6
	s_mov_b32 s55, 0
	s_delay_alu instid0(VALU_DEP_1)
	v_cmp_le_u32_e32 vcc_lo, s52, v7
	s_or_not1_b32 s54, vcc_lo, exec_lo
	s_branch .LBB117_143
.LBB117_148:                            ;   in Loop: Header=BB117_15 Depth=1
	s_or_b32 exec_lo, exec_lo, s31
	v_lshrrev_b32_e32 v6, 16, v8
	s_and_b32 s31, s53, exec_lo
.LBB117_149:                            ;   in Loop: Header=BB117_15 Depth=1
	s_or_b32 exec_lo, exec_lo, s38
.LBB117_150:                            ;   in Loop: Header=BB117_15 Depth=1
	s_delay_alu instid0(SALU_CYCLE_1)
	s_and_b32 vcc_lo, exec_lo, s34
	s_cbranch_vccz .LBB117_161
; %bb.151:                              ;   in Loop: Header=BB117_15 Depth=1
                                        ; implicit-def: $vgpr6
	s_and_saveexec_b32 s23, s13
	s_cbranch_execz .LBB117_160
; %bb.152:                              ;   in Loop: Header=BB117_15 Depth=1
	v_dual_mov_b32 v6, v18 :: v_dual_mov_b32 v7, v0
	s_mov_b32 s28, 0
                                        ; implicit-def: $sgpr33
	s_branch .LBB117_155
.LBB117_153:                            ;   in Loop: Header=BB117_155 Depth=2
	s_or_b32 exec_lo, exec_lo, s34
	s_wait_dscnt 0x0
	s_barrier_signal -1
	s_barrier_wait -1
	ds_load_b32 v8, v17 offset:3072
	s_mov_b32 s34, -1
	s_mov_b32 s38, -1
	s_wait_dscnt 0x0
	s_barrier_signal -1
	s_barrier_wait -1
	v_and_b32_e32 v9, 0x7fff, v8
	s_delay_alu instid0(VALU_DEP_1)
	v_cmp_eq_u32_e32 vcc_lo, 0, v9
	s_cbranch_vccnz .LBB117_158
.LBB117_154:                            ;   in Loop: Header=BB117_155 Depth=2
	s_and_b32 s34, exec_lo, s34
	s_delay_alu instid0(SALU_CYCLE_1) | instskip(SKIP_2) | instid1(SALU_CYCLE_1)
	s_or_b32 s28, s34, s28
	s_and_not1_b32 s33, s33, exec_lo
	s_and_b32 s34, s38, exec_lo
	s_or_b32 s33, s33, s34
	s_and_not1_b32 exec_lo, exec_lo, s28
	s_cbranch_execz .LBB117_159
.LBB117_155:                            ;   Parent Loop BB117_15 Depth=1
                                        ; =>  This Inner Loop Header: Depth=2
	s_mov_b32 s34, exec_lo
	s_delay_alu instid0(VALU_DEP_1)
	v_cmpx_gt_u32_e64 s36, v7
	s_cbranch_execz .LBB117_153
; %bb.156:                              ;   in Loop: Header=BB117_155 Depth=2
	v_readfirstlane_b32 s52, v10
	v_readfirstlane_b32 s53, v11
	global_load_u16 v8, v6, s[52:53] scale_offset
	s_wait_loadcnt 0x0
	v_cmp_lt_i16_e32 vcc_lo, -1, v8
	v_and_b32_e32 v9, 0xffff, v8
	v_dual_cndmask_b32 v16, 0xffff, v37 :: v_dual_lshlrev_b32 v41, 16, v8
	s_delay_alu instid0(VALU_DEP_1) | instskip(NEXT) | instid1(VALU_DEP_2)
	v_cmp_o_f32_e32 vcc_lo, v41, v41
	v_xor_b32_e32 v9, v16, v9
	s_delay_alu instid0(VALU_DEP_1) | instskip(NEXT) | instid1(VALU_DEP_1)
	v_cndmask_b32_e32 v9, 0xffff, v9, vcc_lo
	v_and_b32_e32 v9, v9, v4
	s_delay_alu instid0(VALU_DEP_1)
	v_cmp_eq_u32_e32 vcc_lo, v9, v3
	s_and_b32 exec_lo, exec_lo, vcc_lo
	s_cbranch_execz .LBB117_153
; %bb.157:                              ;   in Loop: Header=BB117_155 Depth=2
	v_perm_b32 v8, v8, s86, 0x5040100
	ds_store_b32 v17, v8 offset:3072
	s_branch .LBB117_153
.LBB117_158:                            ;   in Loop: Header=BB117_155 Depth=2
	v_dual_add_nc_u32 v7, s40, v7 :: v_dual_add_nc_u32 v6, s58, v6
	s_mov_b32 s38, 0
	s_delay_alu instid0(VALU_DEP_1)
	v_cmp_le_u32_e32 vcc_lo, s80, v7
	s_or_not1_b32 s34, vcc_lo, exec_lo
	s_branch .LBB117_154
.LBB117_159:                            ;   in Loop: Header=BB117_15 Depth=1
	s_or_b32 exec_lo, exec_lo, s28
	v_lshrrev_b32_e32 v6, 16, v8
	s_and_not1_b32 s28, s31, exec_lo
	s_and_b32 s31, s33, exec_lo
	s_delay_alu instid0(SALU_CYCLE_1)
	s_or_b32 s31, s28, s31
.LBB117_160:                            ;   in Loop: Header=BB117_15 Depth=1
	s_or_b32 exec_lo, exec_lo, s23
	s_mov_b32 s23, 0
	s_mov_b32 s28, -1
.LBB117_161:                            ;   in Loop: Header=BB117_15 Depth=1
	s_or_not1_b32 s31, s31, exec_lo
.LBB117_162:                            ;   in Loop: Header=BB117_15 Depth=1
	s_or_b32 exec_lo, exec_lo, s29
	s_mov_b32 s33, 0
	s_and_saveexec_b32 s29, s31
	s_cbranch_execz .LBB117_251
; %bb.163:                              ;   in Loop: Header=BB117_15 Depth=1
	v_dual_mov_b32 v7, 1 :: v_dual_mov_b32 v2, 1
	s_xor_b32 s31, s30, -1
	s_mov_b32 s38, 0
	s_and_saveexec_b32 s30, s31
	s_cbranch_execz .LBB117_172
; %bb.164:                              ;   in Loop: Header=BB117_15 Depth=1
	s_mov_b32 s31, exec_lo
	v_cmpx_ge_u32_e64 s20, v5
	s_xor_b32 s31, exec_lo, s31
	s_cbranch_execz .LBB117_169
; %bb.165:                              ;   in Loop: Header=BB117_15 Depth=1
	ds_load_b32 v2, v17 offset:4096
	s_lshl_b32 s33, 1, s84
	v_or_b32_e32 v4, s18, v4
	v_and_or_b32 v3, v3, s19, s33
	s_wait_dscnt 0x0
	v_cmp_ne_u32_e32 vcc_lo, 0, v2
	s_cbranch_vccnz .LBB117_169
; %bb.166:                              ;   in Loop: Header=BB117_15 Depth=1
	s_and_saveexec_b32 s33, s5
; %bb.167:                              ;   in Loop: Header=BB117_15 Depth=1
	v_mov_b32_e32 v2, s20
	ds_store_b32 v17, v2 offset:4100
; %bb.168:                              ;   in Loop: Header=BB117_15 Depth=1
	s_or_b32 exec_lo, exec_lo, s33
	s_wait_dscnt 0x0
	s_barrier_signal -1
	s_barrier_wait -1
.LBB117_169:                            ;   in Loop: Header=BB117_15 Depth=1
	s_or_saveexec_b32 s31, s31
	v_mov_b32_e32 v2, 8
	s_mov_b32 s33, 0
	s_xor_b32 exec_lo, exec_lo, s31
; %bb.170:                              ;   in Loop: Header=BB117_15 Depth=1
	v_subrev_nc_u32_e32 v5, s20, v5
	v_mov_b32_e32 v2, 0
	s_mov_b32 s33, exec_lo
; %bb.171:                              ;   in Loop: Header=BB117_15 Depth=1
	s_or_b32 exec_lo, exec_lo, s31
	s_delay_alu instid0(VALU_DEP_2)
	v_mov_b32_e32 v7, v5
	s_and_b32 s38, s33, exec_lo
.LBB117_172:                            ;   in Loop: Header=BB117_15 Depth=1
	s_or_b32 exec_lo, exec_lo, s30
	s_mov_b32 s34, -1
                                        ; implicit-def: $sgpr31
                                        ; implicit-def: $sgpr33
	s_and_saveexec_b32 s30, s38
	s_cbranch_execz .LBB117_250
; %bb.173:                              ;   in Loop: Header=BB117_15 Depth=1
	v_cmp_eq_u32_e32 vcc_lo, 1, v7
	s_cmp_eq_u32 s21, 1
	s_mov_b32 s38, -1
	s_cselect_b32 s31, -1, 0
                                        ; implicit-def: $sgpr33
	s_delay_alu instid0(SALU_CYCLE_1) | instskip(NEXT) | instid1(SALU_CYCLE_1)
	s_and_b32 s52, s31, vcc_lo
                                        ; implicit-def: $sgpr31
	s_and_saveexec_b32 s34, s52
	s_cbranch_execz .LBB117_199
; %bb.174:                              ;   in Loop: Header=BB117_15 Depth=1
	ds_load_b32 v5, v17 offset:4096
	s_wait_dscnt 0x0
	s_barrier_signal -1
	s_barrier_wait -1
	v_readfirstlane_b32 s53, v5
	s_and_saveexec_b32 s31, s6
; %bb.175:                              ;   in Loop: Header=BB117_15 Depth=1
	ds_store_b16 v19, v17
; %bb.176:                              ;   in Loop: Header=BB117_15 Depth=1
	s_or_b32 exec_lo, exec_lo, s31
	s_lshl_b32 s31, 2, s84
	v_or_b32_e32 v4, s18, v4
	v_and_or_b32 v3, v3, s19, s31
	s_mov_b32 s31, -1
	s_mov_b32 s33, 0
	s_cmp_eq_u32 s53, 0
	s_mov_b32 s38, 0
	s_mov_b32 s54, -1
	s_wait_dscnt 0x0
	s_barrier_signal -1
	s_barrier_wait -1
                                        ; implicit-def: $vgpr6
	s_cbranch_scc1 .LBB117_187
; %bb.177:                              ;   in Loop: Header=BB117_15 Depth=1
	s_add_co_i32 s38, s53, s67
                                        ; implicit-def: $vgpr6
	s_delay_alu instid0(SALU_CYCLE_1) | instskip(NEXT) | instid1(SALU_CYCLE_1)
	s_mul_u64 s[54:55], s[38:39], s[48:49]
	s_mul_i32 s54, s55, s40
	s_delay_alu instid0(SALU_CYCLE_1) | instskip(NEXT) | instid1(SALU_CYCLE_1)
	s_sub_co_i32 s54, s38, s54
	s_sub_co_i32 s55, s54, s40
	s_cmp_ge_u32 s54, s40
	s_cselect_b32 s54, s55, s54
	s_delay_alu instid0(SALU_CYCLE_1)
	s_sub_co_i32 s55, s54, s40
	s_cmp_ge_u32 s54, s40
	s_cselect_b32 s54, s55, s54
	s_mov_b32 s55, exec_lo
	s_sub_co_i32 s98, s38, s54
	s_mov_b32 s54, 0
	s_mov_b32 s38, 0
	v_cmpx_gt_u32_e64 s98, v0
	s_cbranch_execz .LBB117_186
; %bb.178:                              ;   in Loop: Header=BB117_15 Depth=1
	v_dual_mov_b32 v5, v22 :: v_dual_mov_b32 v6, v0
                                        ; implicit-def: $sgpr99
	s_branch .LBB117_181
.LBB117_179:                            ;   in Loop: Header=BB117_181 Depth=2
	s_or_b32 exec_lo, exec_lo, s100
	s_wait_dscnt 0x0
	s_barrier_signal -1
	s_barrier_wait -1
	ds_load_b32 v8, v17 offset:3072
	s_mov_b32 s100, -1
	s_mov_b32 s101, -1
	s_wait_dscnt 0x0
	s_barrier_signal -1
	s_barrier_wait -1
	v_and_b32_e32 v9, 0x7fff, v8
	s_delay_alu instid0(VALU_DEP_1)
	v_cmp_ne_u32_e32 vcc_lo, 0, v9
	s_cbranch_vccz .LBB117_184
.LBB117_180:                            ;   in Loop: Header=BB117_181 Depth=2
	s_and_b32 s100, exec_lo, s100
	s_delay_alu instid0(SALU_CYCLE_1) | instskip(SKIP_2) | instid1(SALU_CYCLE_1)
	s_or_b32 s38, s100, s38
	s_and_not1_b32 s99, s99, exec_lo
	s_and_b32 s100, s101, exec_lo
	s_or_b32 s99, s99, s100
	s_and_not1_b32 exec_lo, exec_lo, s38
	s_cbranch_execz .LBB117_185
.LBB117_181:                            ;   Parent Loop BB117_15 Depth=1
                                        ; =>  This Inner Loop Header: Depth=2
	s_mov_b32 s100, exec_lo
	s_delay_alu instid0(VALU_DEP_1)
	v_cmpx_gt_u32_e64 s53, v6
	s_cbranch_execz .LBB117_179
; %bb.182:                              ;   in Loop: Header=BB117_181 Depth=2
	ds_load_u16 v8, v5
	s_wait_dscnt 0x0
	v_cmp_lt_i16_e32 vcc_lo, -1, v8
	v_and_b32_e32 v9, 0xffff, v8
	v_dual_cndmask_b32 v16, 0xffff, v37 :: v_dual_lshlrev_b32 v41, 16, v8
	s_delay_alu instid0(VALU_DEP_1) | instskip(NEXT) | instid1(VALU_DEP_2)
	v_cmp_o_f32_e32 vcc_lo, v41, v41
	v_xor_b32_e32 v9, v16, v9
	s_delay_alu instid0(VALU_DEP_1) | instskip(NEXT) | instid1(VALU_DEP_1)
	v_cndmask_b32_e32 v9, 0xffff, v9, vcc_lo
	v_and_b32_e32 v9, v9, v4
	s_delay_alu instid0(VALU_DEP_1)
	v_cmp_eq_u32_e32 vcc_lo, v9, v3
	s_and_b32 exec_lo, exec_lo, vcc_lo
	s_cbranch_execz .LBB117_179
; %bb.183:                              ;   in Loop: Header=BB117_181 Depth=2
	v_perm_b32 v8, v8, s86, 0x5040100
	ds_store_b32 v17, v8 offset:3072
	s_branch .LBB117_179
.LBB117_184:                            ;   in Loop: Header=BB117_181 Depth=2
	v_dual_add_nc_u32 v6, s40, v6 :: v_dual_add_nc_u32 v5, s83, v5
	s_mov_b32 s101, 0
	s_delay_alu instid0(VALU_DEP_1)
	v_cmp_le_u32_e32 vcc_lo, s98, v6
	s_or_not1_b32 s100, vcc_lo, exec_lo
	s_branch .LBB117_180
.LBB117_185:                            ;   in Loop: Header=BB117_15 Depth=1
	s_or_b32 exec_lo, exec_lo, s38
	v_lshrrev_b32_e32 v6, 16, v8
	s_and_b32 s38, s99, exec_lo
.LBB117_186:                            ;   in Loop: Header=BB117_15 Depth=1
	s_or_b32 exec_lo, exec_lo, s55
.LBB117_187:                            ;   in Loop: Header=BB117_15 Depth=1
	s_delay_alu instid0(SALU_CYCLE_1)
	s_and_b32 vcc_lo, exec_lo, s54
	s_cbranch_vccz .LBB117_198
; %bb.188:                              ;   in Loop: Header=BB117_15 Depth=1
                                        ; implicit-def: $vgpr6
	s_and_saveexec_b32 s31, s13
	s_cbranch_execz .LBB117_197
; %bb.189:                              ;   in Loop: Header=BB117_15 Depth=1
	v_dual_mov_b32 v5, v18 :: v_dual_mov_b32 v6, v0
	s_mov_b32 s33, 0
                                        ; implicit-def: $sgpr53
	s_branch .LBB117_192
.LBB117_190:                            ;   in Loop: Header=BB117_192 Depth=2
	s_or_b32 exec_lo, exec_lo, s54
	s_wait_dscnt 0x0
	s_barrier_signal -1
	s_barrier_wait -1
	ds_load_b32 v8, v17 offset:3072
	s_mov_b32 s54, -1
	s_mov_b32 s55, -1
	s_wait_dscnt 0x0
	s_barrier_signal -1
	s_barrier_wait -1
	v_and_b32_e32 v9, 0x7fff, v8
	s_delay_alu instid0(VALU_DEP_1)
	v_cmp_eq_u32_e32 vcc_lo, 0, v9
	s_cbranch_vccnz .LBB117_195
.LBB117_191:                            ;   in Loop: Header=BB117_192 Depth=2
	s_and_b32 s54, exec_lo, s54
	s_delay_alu instid0(SALU_CYCLE_1) | instskip(SKIP_2) | instid1(SALU_CYCLE_1)
	s_or_b32 s33, s54, s33
	s_and_not1_b32 s53, s53, exec_lo
	s_and_b32 s54, s55, exec_lo
	s_or_b32 s53, s53, s54
	s_and_not1_b32 exec_lo, exec_lo, s33
	s_cbranch_execz .LBB117_196
.LBB117_192:                            ;   Parent Loop BB117_15 Depth=1
                                        ; =>  This Inner Loop Header: Depth=2
	s_mov_b32 s54, exec_lo
	s_delay_alu instid0(VALU_DEP_1)
	v_cmpx_gt_u32_e64 s36, v6
	s_cbranch_execz .LBB117_190
; %bb.193:                              ;   in Loop: Header=BB117_192 Depth=2
	v_readfirstlane_b32 s98, v10
	v_readfirstlane_b32 s99, v11
	global_load_u16 v8, v5, s[98:99] scale_offset
	s_wait_loadcnt 0x0
	v_cmp_lt_i16_e32 vcc_lo, -1, v8
	v_and_b32_e32 v9, 0xffff, v8
	v_dual_cndmask_b32 v16, 0xffff, v37 :: v_dual_lshlrev_b32 v41, 16, v8
	s_delay_alu instid0(VALU_DEP_1) | instskip(NEXT) | instid1(VALU_DEP_2)
	v_cmp_o_f32_e32 vcc_lo, v41, v41
	v_xor_b32_e32 v9, v16, v9
	s_delay_alu instid0(VALU_DEP_1) | instskip(NEXT) | instid1(VALU_DEP_1)
	v_cndmask_b32_e32 v9, 0xffff, v9, vcc_lo
	v_and_b32_e32 v9, v9, v4
	s_delay_alu instid0(VALU_DEP_1)
	v_cmp_eq_u32_e32 vcc_lo, v9, v3
	s_and_b32 exec_lo, exec_lo, vcc_lo
	s_cbranch_execz .LBB117_190
; %bb.194:                              ;   in Loop: Header=BB117_192 Depth=2
	v_perm_b32 v8, v8, s86, 0x5040100
	ds_store_b32 v17, v8 offset:3072
	s_branch .LBB117_190
.LBB117_195:                            ;   in Loop: Header=BB117_192 Depth=2
	v_dual_add_nc_u32 v6, s40, v6 :: v_dual_add_nc_u32 v5, s58, v5
	s_mov_b32 s55, 0
	s_delay_alu instid0(VALU_DEP_1)
	v_cmp_le_u32_e32 vcc_lo, s80, v6
	s_or_not1_b32 s54, vcc_lo, exec_lo
	s_branch .LBB117_191
.LBB117_196:                            ;   in Loop: Header=BB117_15 Depth=1
	s_or_b32 exec_lo, exec_lo, s33
	v_lshrrev_b32_e32 v6, 16, v8
	s_and_not1_b32 s33, s38, exec_lo
	s_and_b32 s38, s53, exec_lo
	s_delay_alu instid0(SALU_CYCLE_1)
	s_or_b32 s38, s33, s38
.LBB117_197:                            ;   in Loop: Header=BB117_15 Depth=1
	s_or_b32 exec_lo, exec_lo, s31
	s_mov_b32 s31, 0
	s_mov_b32 s33, -1
.LBB117_198:                            ;   in Loop: Header=BB117_15 Depth=1
	s_or_not1_b32 s38, s38, exec_lo
.LBB117_199:                            ;   in Loop: Header=BB117_15 Depth=1
	s_or_b32 exec_lo, exec_lo, s34
	s_mov_b32 s53, 0
	s_and_saveexec_b32 s34, s38
	s_cbranch_execz .LBB117_249
; %bb.200:                              ;   in Loop: Header=BB117_15 Depth=1
	v_dual_mov_b32 v5, 1 :: v_dual_mov_b32 v2, 1
	s_xor_b32 s52, s52, -1
	s_delay_alu instid0(SALU_CYCLE_1)
	s_and_saveexec_b32 s38, s52
	s_cbranch_execz .LBB117_209
; %bb.201:                              ;   in Loop: Header=BB117_15 Depth=1
	s_mov_b32 s52, exec_lo
	v_cmpx_ge_u32_e64 s21, v7
	s_xor_b32 s52, exec_lo, s52
	s_cbranch_execz .LBB117_206
; %bb.202:                              ;   in Loop: Header=BB117_15 Depth=1
	ds_load_b32 v2, v17 offset:4096
	s_lshl_b32 s53, 2, s84
	v_or_b32_e32 v4, s18, v4
	v_and_or_b32 v3, v3, s19, s53
	s_wait_dscnt 0x0
	v_cmp_ne_u32_e32 vcc_lo, 0, v2
	s_cbranch_vccnz .LBB117_206
; %bb.203:                              ;   in Loop: Header=BB117_15 Depth=1
	s_and_saveexec_b32 s53, s5
; %bb.204:                              ;   in Loop: Header=BB117_15 Depth=1
	v_mov_b32_e32 v2, s21
	ds_store_b32 v17, v2 offset:4100
; %bb.205:                              ;   in Loop: Header=BB117_15 Depth=1
	s_or_b32 exec_lo, exec_lo, s53
	s_wait_dscnt 0x0
	s_barrier_signal -1
	s_barrier_wait -1
.LBB117_206:                            ;   in Loop: Header=BB117_15 Depth=1
	s_or_saveexec_b32 s52, s52
	v_mov_b32_e32 v2, 8
	s_mov_b32 s53, 0
	s_xor_b32 exec_lo, exec_lo, s52
; %bb.207:                              ;   in Loop: Header=BB117_15 Depth=1
	v_subrev_nc_u32_e32 v7, s21, v7
	v_mov_b32_e32 v2, 0
	s_mov_b32 s53, exec_lo
; %bb.208:                              ;   in Loop: Header=BB117_15 Depth=1
	s_or_b32 exec_lo, exec_lo, s52
	s_delay_alu instid0(VALU_DEP_2)
	v_mov_b32_e32 v5, v7
	s_and_b32 s53, s53, exec_lo
.LBB117_209:                            ;   in Loop: Header=BB117_15 Depth=1
	s_or_b32 exec_lo, exec_lo, s38
	s_mov_b32 s38, -1
                                        ; implicit-def: $sgpr55
                                        ; implicit-def: $sgpr54
	s_and_saveexec_b32 s52, s53
	s_cbranch_execz .LBB117_248
; %bb.210:                              ;   in Loop: Header=BB117_15 Depth=1
	v_cmp_eq_u32_e32 vcc_lo, 1, v5
	s_cmp_eq_u32 s22, 1
	s_mov_b32 s99, -1
	s_cselect_b32 s38, -1, 0
                                        ; implicit-def: $sgpr55
                                        ; implicit-def: $sgpr54
	s_delay_alu instid0(SALU_CYCLE_1) | instskip(NEXT) | instid1(SALU_CYCLE_1)
	s_and_b32 s53, s38, vcc_lo
	s_and_saveexec_b32 s98, s53
	s_cbranch_execz .LBB117_236
; %bb.211:                              ;   in Loop: Header=BB117_15 Depth=1
	ds_load_b32 v6, v17 offset:4096
	s_wait_dscnt 0x0
	s_barrier_signal -1
	s_barrier_wait -1
	v_readfirstlane_b32 s99, v6
	s_and_saveexec_b32 s38, s6
; %bb.212:                              ;   in Loop: Header=BB117_15 Depth=1
	ds_store_b16 v19, v17
; %bb.213:                              ;   in Loop: Header=BB117_15 Depth=1
	s_or_b32 exec_lo, exec_lo, s38
	v_or_b32_e32 v3, s18, v3
	v_or_b32_e32 v4, s18, v4
	s_mov_b32 s54, -1
	s_mov_b32 s55, 0
	s_cmp_eq_u32 s99, 0
	s_mov_b32 s38, 0
	s_mov_b32 s100, -1
	s_wait_dscnt 0x0
	s_barrier_signal -1
	s_barrier_wait -1
                                        ; implicit-def: $vgpr6
	s_cbranch_scc1 .LBB117_224
; %bb.214:                              ;   in Loop: Header=BB117_15 Depth=1
	s_add_co_i32 s38, s99, s67
                                        ; implicit-def: $vgpr6
	s_delay_alu instid0(SALU_CYCLE_1) | instskip(NEXT) | instid1(SALU_CYCLE_1)
	s_mul_u64 s[100:101], s[38:39], s[48:49]
	s_mul_i32 s100, s101, s40
	s_delay_alu instid0(SALU_CYCLE_1) | instskip(NEXT) | instid1(SALU_CYCLE_1)
	s_sub_co_i32 s100, s38, s100
	s_sub_co_i32 s101, s100, s40
	s_cmp_ge_u32 s100, s40
	s_cselect_b32 s100, s101, s100
	s_delay_alu instid0(SALU_CYCLE_1)
	s_sub_co_i32 s101, s100, s40
	s_cmp_ge_u32 s100, s40
	s_cselect_b32 s100, s101, s100
	s_mov_b32 s101, exec_lo
	s_sub_co_i32 s102, s38, s100
	s_mov_b32 s100, 0
	s_mov_b32 s38, 0
	v_cmpx_gt_u32_e64 s102, v0
	s_cbranch_execz .LBB117_223
; %bb.215:                              ;   in Loop: Header=BB117_15 Depth=1
	v_dual_mov_b32 v6, v22 :: v_dual_mov_b32 v7, v0
                                        ; implicit-def: $sgpr103
	s_branch .LBB117_218
.LBB117_216:                            ;   in Loop: Header=BB117_218 Depth=2
	s_or_b32 exec_lo, exec_lo, s104
	s_wait_dscnt 0x0
	s_barrier_signal -1
	s_barrier_wait -1
	ds_load_b32 v8, v17 offset:3072
	s_mov_b32 s104, -1
	s_mov_b32 vcc_hi, -1
	s_wait_dscnt 0x0
	s_barrier_signal -1
	s_barrier_wait -1
	v_and_b32_e32 v9, 0x7fff, v8
	s_delay_alu instid0(VALU_DEP_1)
	v_cmp_ne_u32_e32 vcc_lo, 0, v9
	s_cbranch_vccz .LBB117_221
.LBB117_217:                            ;   in Loop: Header=BB117_218 Depth=2
	s_and_b32 s104, exec_lo, s104
	s_delay_alu instid0(SALU_CYCLE_1) | instskip(SKIP_2) | instid1(SALU_CYCLE_1)
	s_or_b32 s38, s104, s38
	s_and_not1_b32 s103, s103, exec_lo
	s_and_b32 s104, vcc_hi, exec_lo
	s_or_b32 s103, s103, s104
	s_and_not1_b32 exec_lo, exec_lo, s38
	s_cbranch_execz .LBB117_222
.LBB117_218:                            ;   Parent Loop BB117_15 Depth=1
                                        ; =>  This Inner Loop Header: Depth=2
	s_mov_b32 s104, exec_lo
	s_delay_alu instid0(VALU_DEP_1)
	v_cmpx_gt_u32_e64 s99, v7
	s_cbranch_execz .LBB117_216
; %bb.219:                              ;   in Loop: Header=BB117_218 Depth=2
	ds_load_u16 v8, v6
	s_wait_dscnt 0x0
	v_cmp_lt_i16_e32 vcc_lo, -1, v8
	v_and_b32_e32 v9, 0xffff, v8
	v_dual_cndmask_b32 v16, 0xffff, v37 :: v_dual_lshlrev_b32 v41, 16, v8
	s_delay_alu instid0(VALU_DEP_1) | instskip(NEXT) | instid1(VALU_DEP_2)
	v_cmp_o_f32_e32 vcc_lo, v41, v41
	v_xor_b32_e32 v9, v16, v9
	s_delay_alu instid0(VALU_DEP_1) | instskip(NEXT) | instid1(VALU_DEP_1)
	v_cndmask_b32_e32 v9, 0xffff, v9, vcc_lo
	v_and_b32_e32 v9, v9, v4
	s_delay_alu instid0(VALU_DEP_1)
	v_cmp_eq_u32_e32 vcc_lo, v9, v3
	s_and_b32 exec_lo, exec_lo, vcc_lo
	s_cbranch_execz .LBB117_216
; %bb.220:                              ;   in Loop: Header=BB117_218 Depth=2
	v_perm_b32 v8, v8, s86, 0x5040100
	ds_store_b32 v17, v8 offset:3072
	s_branch .LBB117_216
.LBB117_221:                            ;   in Loop: Header=BB117_218 Depth=2
	v_dual_add_nc_u32 v7, s40, v7 :: v_dual_add_nc_u32 v6, s83, v6
	s_mov_b32 vcc_hi, 0
	s_delay_alu instid0(VALU_DEP_1)
	v_cmp_le_u32_e32 vcc_lo, s102, v7
	s_or_not1_b32 s104, vcc_lo, exec_lo
	s_branch .LBB117_217
.LBB117_222:                            ;   in Loop: Header=BB117_15 Depth=1
	s_or_b32 exec_lo, exec_lo, s38
	v_lshrrev_b32_e32 v6, 16, v8
	s_and_b32 s38, s103, exec_lo
.LBB117_223:                            ;   in Loop: Header=BB117_15 Depth=1
	s_or_b32 exec_lo, exec_lo, s101
.LBB117_224:                            ;   in Loop: Header=BB117_15 Depth=1
	s_delay_alu instid0(SALU_CYCLE_1)
	s_and_b32 vcc_lo, exec_lo, s100
	s_cbranch_vccz .LBB117_235
; %bb.225:                              ;   in Loop: Header=BB117_15 Depth=1
                                        ; implicit-def: $vgpr6
	s_and_saveexec_b32 s54, s13
	s_cbranch_execz .LBB117_234
; %bb.226:                              ;   in Loop: Header=BB117_15 Depth=1
	v_dual_mov_b32 v6, v18 :: v_dual_mov_b32 v7, v0
	s_mov_b32 s55, 0
                                        ; implicit-def: $sgpr99
	s_branch .LBB117_229
.LBB117_227:                            ;   in Loop: Header=BB117_229 Depth=2
	s_or_b32 exec_lo, exec_lo, s100
	s_wait_dscnt 0x0
	s_barrier_signal -1
	s_barrier_wait -1
	ds_load_b32 v8, v17 offset:3072
	s_mov_b32 s100, -1
	s_mov_b32 s101, -1
	s_wait_dscnt 0x0
	s_barrier_signal -1
	s_barrier_wait -1
	v_and_b32_e32 v9, 0x7fff, v8
	s_delay_alu instid0(VALU_DEP_1)
	v_cmp_eq_u32_e32 vcc_lo, 0, v9
	s_cbranch_vccnz .LBB117_232
.LBB117_228:                            ;   in Loop: Header=BB117_229 Depth=2
	s_and_b32 s100, exec_lo, s100
	s_delay_alu instid0(SALU_CYCLE_1) | instskip(SKIP_2) | instid1(SALU_CYCLE_1)
	s_or_b32 s55, s100, s55
	s_and_not1_b32 s99, s99, exec_lo
	s_and_b32 s100, s101, exec_lo
	s_or_b32 s99, s99, s100
	s_and_not1_b32 exec_lo, exec_lo, s55
	s_cbranch_execz .LBB117_233
.LBB117_229:                            ;   Parent Loop BB117_15 Depth=1
                                        ; =>  This Inner Loop Header: Depth=2
	s_mov_b32 s100, exec_lo
	s_delay_alu instid0(VALU_DEP_1)
	v_cmpx_gt_u32_e64 s36, v7
	s_cbranch_execz .LBB117_227
; %bb.230:                              ;   in Loop: Header=BB117_229 Depth=2
	v_readfirstlane_b32 s102, v10
	v_readfirstlane_b32 s103, v11
	global_load_u16 v8, v6, s[102:103] scale_offset
	s_wait_loadcnt 0x0
	v_cmp_lt_i16_e32 vcc_lo, -1, v8
	v_and_b32_e32 v9, 0xffff, v8
	v_dual_cndmask_b32 v16, 0xffff, v37 :: v_dual_lshlrev_b32 v41, 16, v8
	s_delay_alu instid0(VALU_DEP_1) | instskip(NEXT) | instid1(VALU_DEP_2)
	v_cmp_o_f32_e32 vcc_lo, v41, v41
	v_xor_b32_e32 v9, v16, v9
	s_delay_alu instid0(VALU_DEP_1) | instskip(NEXT) | instid1(VALU_DEP_1)
	v_cndmask_b32_e32 v9, 0xffff, v9, vcc_lo
	v_and_b32_e32 v9, v9, v4
	s_delay_alu instid0(VALU_DEP_1)
	v_cmp_eq_u32_e32 vcc_lo, v9, v3
	s_and_b32 exec_lo, exec_lo, vcc_lo
	s_cbranch_execz .LBB117_227
; %bb.231:                              ;   in Loop: Header=BB117_229 Depth=2
	v_perm_b32 v8, v8, s86, 0x5040100
	ds_store_b32 v17, v8 offset:3072
	s_branch .LBB117_227
.LBB117_232:                            ;   in Loop: Header=BB117_229 Depth=2
	v_dual_add_nc_u32 v7, s40, v7 :: v_dual_add_nc_u32 v6, s58, v6
	s_mov_b32 s101, 0
	s_delay_alu instid0(VALU_DEP_1)
	v_cmp_le_u32_e32 vcc_lo, s80, v7
	s_or_not1_b32 s100, vcc_lo, exec_lo
	s_branch .LBB117_228
.LBB117_233:                            ;   in Loop: Header=BB117_15 Depth=1
	s_or_b32 exec_lo, exec_lo, s55
	v_lshrrev_b32_e32 v6, 16, v8
	s_and_not1_b32 s38, s38, exec_lo
	s_and_b32 s55, s99, exec_lo
	s_delay_alu instid0(SALU_CYCLE_1)
	s_or_b32 s38, s38, s55
.LBB117_234:                            ;   in Loop: Header=BB117_15 Depth=1
	s_or_b32 exec_lo, exec_lo, s54
	s_mov_b32 s54, 0
	s_mov_b32 s55, -1
.LBB117_235:                            ;   in Loop: Header=BB117_15 Depth=1
	s_or_not1_b32 s99, s38, exec_lo
.LBB117_236:                            ;   in Loop: Header=BB117_15 Depth=1
	s_or_b32 exec_lo, exec_lo, s98
	s_mov_b32 s98, 0
	s_and_saveexec_b32 s38, s99
	s_cbranch_execz .LBB117_247
; %bb.237:                              ;   in Loop: Header=BB117_15 Depth=1
	v_dual_mov_b32 v2, 1 :: v_dual_mov_b32 v7, 1
	s_xor_b32 s98, s53, -1
	s_delay_alu instid0(SALU_CYCLE_1)
	s_and_saveexec_b32 s53, s98
	s_cbranch_execz .LBB117_246
; %bb.238:                              ;   in Loop: Header=BB117_15 Depth=1
	s_mov_b32 s98, exec_lo
	v_cmpx_ge_u32_e64 s22, v5
	s_xor_b32 s98, exec_lo, s98
	s_cbranch_execz .LBB117_243
; %bb.239:                              ;   in Loop: Header=BB117_15 Depth=1
	ds_load_b32 v2, v17 offset:4096
	v_or_b32_e32 v3, s18, v3
	v_or_b32_e32 v4, s18, v4
	s_wait_dscnt 0x0
	v_cmp_ne_u32_e32 vcc_lo, 0, v2
	s_cbranch_vccnz .LBB117_243
; %bb.240:                              ;   in Loop: Header=BB117_15 Depth=1
	s_and_saveexec_b32 s99, s5
; %bb.241:                              ;   in Loop: Header=BB117_15 Depth=1
	v_mov_b32_e32 v2, s22
	ds_store_b32 v17, v2 offset:4100
; %bb.242:                              ;   in Loop: Header=BB117_15 Depth=1
	s_or_b32 exec_lo, exec_lo, s99
	s_wait_dscnt 0x0
	s_barrier_signal -1
	s_barrier_wait -1
.LBB117_243:                            ;   in Loop: Header=BB117_15 Depth=1
	s_and_not1_saveexec_b32 s98, s98
; %bb.244:                              ;   in Loop: Header=BB117_15 Depth=1
	v_subrev_nc_u32_e32 v5, s22, v5
; %bb.245:                              ;   in Loop: Header=BB117_15 Depth=1
	s_or_b32 exec_lo, exec_lo, s98
	s_delay_alu instid0(VALU_DEP_1)
	v_dual_mov_b32 v2, 8 :: v_dual_mov_b32 v7, v5
.LBB117_246:                            ;   in Loop: Header=BB117_15 Depth=1
	s_or_b32 exec_lo, exec_lo, s53
	s_delay_alu instid0(VALU_DEP_1)
	v_mov_b32_e32 v5, v7
	s_mov_b32 s98, exec_lo
.LBB117_247:                            ;   in Loop: Header=BB117_15 Depth=1
	s_or_b32 exec_lo, exec_lo, s38
	s_delay_alu instid0(SALU_CYCLE_1)
	s_or_not1_b32 s38, s98, exec_lo
.LBB117_248:                            ;   in Loop: Header=BB117_15 Depth=1
	s_or_b32 exec_lo, exec_lo, s52
	v_mov_b32_e32 v7, v5
	s_and_not1_b32 s33, s33, exec_lo
	s_and_b32 s52, s55, exec_lo
	s_and_not1_b32 s31, s31, exec_lo
	s_and_b32 s53, s54, exec_lo
	s_or_b32 s33, s33, s52
	s_or_b32 s31, s31, s53
	s_and_b32 s53, s38, exec_lo
.LBB117_249:                            ;   in Loop: Header=BB117_15 Depth=1
	s_or_b32 exec_lo, exec_lo, s34
	s_delay_alu instid0(SALU_CYCLE_1)
	s_or_not1_b32 s34, s53, exec_lo
.LBB117_250:                            ;   in Loop: Header=BB117_15 Depth=1
	s_or_b32 exec_lo, exec_lo, s30
	v_mov_b32_e32 v5, v7
	s_and_not1_b32 s28, s28, exec_lo
	s_and_b32 s30, s33, exec_lo
	s_and_not1_b32 s23, s23, exec_lo
	s_and_b32 s31, s31, exec_lo
	s_or_b32 s28, s28, s30
	s_or_b32 s23, s23, s31
	s_and_b32 s33, s34, exec_lo
.LBB117_251:                            ;   in Loop: Header=BB117_15 Depth=1
	s_or_b32 exec_lo, exec_lo, s29
	s_delay_alu instid0(SALU_CYCLE_1)
	s_or_not1_b32 s29, s33, exec_lo
.LBB117_252:                            ;   in Loop: Header=BB117_15 Depth=1
	s_or_b32 exec_lo, exec_lo, s15
	s_mov_b32 s30, 0
	s_mov_b32 s31, 0
	s_and_saveexec_b32 s15, s29
	s_delay_alu instid0(SALU_CYCLE_1)
	s_xor_b32 s29, exec_lo, s15
; %bb.253:                              ;   in Loop: Header=BB117_15 Depth=1
	v_cmp_ne_u32_e32 vcc_lo, 8, v2
	v_cmp_eq_u32_e64 s15, 8, v2
	s_and_b32 s31, vcc_lo, exec_lo
	s_and_b32 s30, s15, exec_lo
; %bb.254:                              ;   in Loop: Header=BB117_15 Depth=1
	s_or_b32 exec_lo, exec_lo, s29
	s_delay_alu instid0(SALU_CYCLE_1)
	s_and_not1_b32 s15, s25, exec_lo
	s_and_b32 s25, s28, exec_lo
	s_and_not1_b32 s24, s24, exec_lo
	s_and_b32 s23, s23, exec_lo
	s_or_b32 s25, s15, s25
	s_or_b32 s24, s24, s23
	s_and_b32 s15, s31, exec_lo
	s_and_b32 s23, s30, exec_lo
.LBB117_255:                            ;   in Loop: Header=BB117_15 Depth=1
	s_or_b32 exec_lo, exec_lo, s27
.LBB117_256:                            ;   in Loop: Header=BB117_15 Depth=1
	s_delay_alu instid0(SALU_CYCLE_1)
	s_and_b32 vcc_lo, exec_lo, s26
	s_cbranch_vccz .LBB117_269
; %bb.257:                              ;   in Loop: Header=BB117_15 Depth=1
	s_cmp_eq_u32 s22, 1
	s_mov_b32 s25, -1
	s_cselect_b32 s16, -1, 0
                                        ; implicit-def: $sgpr26
	s_delay_alu instid0(SALU_CYCLE_1) | instskip(NEXT) | instid1(SALU_CYCLE_1)
	s_and_b32 s14, s16, s14
                                        ; implicit-def: $sgpr16
	s_and_saveexec_b32 s24, s14
	s_cbranch_execz .LBB117_284
; %bb.258:                              ;   in Loop: Header=BB117_15 Depth=1
	ds_load_b32 v2, v17 offset:4096
	s_wait_dscnt 0x0
	s_barrier_signal -1
	s_barrier_wait -1
	v_readfirstlane_b32 s27, v2
	s_and_saveexec_b32 s16, s6
; %bb.259:                              ;   in Loop: Header=BB117_15 Depth=1
	ds_store_b16 v19, v17
; %bb.260:                              ;   in Loop: Header=BB117_15 Depth=1
	s_or_b32 exec_lo, exec_lo, s16
	v_or_b32_e32 v28, s18, v28
	v_or_b32_e32 v38, s18, v38
	s_mov_b32 s16, -1
	s_mov_b32 s26, 0
	s_cmp_eq_u32 s27, 0
	s_mov_b32 s25, 0
	s_mov_b32 s28, -1
	s_wait_dscnt 0x0
	s_barrier_signal -1
	s_barrier_wait -1
                                        ; implicit-def: $vgpr39
	s_cbranch_scc1 .LBB117_272
; %bb.261:                              ;   in Loop: Header=BB117_15 Depth=1
	s_add_co_i32 s38, s27, s67
                                        ; implicit-def: $vgpr39
	s_delay_alu instid0(SALU_CYCLE_1) | instskip(NEXT) | instid1(SALU_CYCLE_1)
	s_mul_u64 s[28:29], s[38:39], s[48:49]
	s_mul_i32 s25, s29, s40
	s_mov_b32 s29, exec_lo
	s_sub_co_i32 s25, s38, s25
	s_delay_alu instid0(SALU_CYCLE_1) | instskip(SKIP_2) | instid1(SALU_CYCLE_1)
	s_sub_co_i32 s28, s25, s40
	s_cmp_ge_u32 s25, s40
	s_cselect_b32 s25, s28, s25
	s_sub_co_i32 s28, s25, s40
	s_cmp_ge_u32 s25, s40
	s_cselect_b32 s25, s28, s25
	s_mov_b32 s28, 0
	s_sub_co_i32 s30, s38, s25
	s_mov_b32 s25, 0
	v_cmpx_gt_u32_e64 s30, v0
	s_cbranch_execz .LBB117_271
; %bb.262:                              ;   in Loop: Header=BB117_15 Depth=1
	v_dual_mov_b32 v2, v22 :: v_dual_mov_b32 v3, v0
                                        ; implicit-def: $sgpr31
	s_branch .LBB117_265
.LBB117_263:                            ;   in Loop: Header=BB117_265 Depth=2
	s_or_b32 exec_lo, exec_lo, s33
	s_wait_dscnt 0x0
	s_barrier_signal -1
	s_barrier_wait -1
	ds_load_b32 v4, v17 offset:3072
	s_mov_b32 s33, -1
	s_mov_b32 s34, -1
	s_wait_dscnt 0x0
	s_barrier_signal -1
	s_barrier_wait -1
	v_and_b32_e32 v5, 0x7fff, v4
	s_delay_alu instid0(VALU_DEP_1)
	v_cmp_ne_u32_e32 vcc_lo, 0, v5
	s_cbranch_vccz .LBB117_268
.LBB117_264:                            ;   in Loop: Header=BB117_265 Depth=2
	s_and_b32 s33, exec_lo, s33
	s_delay_alu instid0(SALU_CYCLE_1) | instskip(SKIP_2) | instid1(SALU_CYCLE_1)
	s_or_b32 s25, s33, s25
	s_and_not1_b32 s31, s31, exec_lo
	s_and_b32 s33, s34, exec_lo
	s_or_b32 s31, s31, s33
	s_and_not1_b32 exec_lo, exec_lo, s25
	s_cbranch_execz .LBB117_270
.LBB117_265:                            ;   Parent Loop BB117_15 Depth=1
                                        ; =>  This Inner Loop Header: Depth=2
	s_mov_b32 s33, exec_lo
	s_delay_alu instid0(VALU_DEP_1)
	v_cmpx_gt_u32_e64 s27, v3
	s_cbranch_execz .LBB117_263
; %bb.266:                              ;   in Loop: Header=BB117_265 Depth=2
	ds_load_u16 v4, v2
	s_wait_dscnt 0x0
	v_cmp_lt_i16_e32 vcc_lo, -1, v4
	v_and_b32_e32 v5, 0xffff, v4
	v_dual_cndmask_b32 v6, 0xffff, v37 :: v_dual_lshlrev_b32 v7, 16, v4
	s_delay_alu instid0(VALU_DEP_1) | instskip(NEXT) | instid1(VALU_DEP_2)
	v_cmp_o_f32_e32 vcc_lo, v7, v7
	v_xor_b32_e32 v5, v6, v5
	s_delay_alu instid0(VALU_DEP_1) | instskip(NEXT) | instid1(VALU_DEP_1)
	v_cndmask_b32_e32 v5, 0xffff, v5, vcc_lo
	v_and_b32_e32 v5, v5, v38
	s_delay_alu instid0(VALU_DEP_1)
	v_cmp_eq_u32_e32 vcc_lo, v5, v28
	s_and_b32 exec_lo, exec_lo, vcc_lo
	s_cbranch_execz .LBB117_263
; %bb.267:                              ;   in Loop: Header=BB117_265 Depth=2
	v_perm_b32 v4, v4, s86, 0x5040100
	ds_store_b32 v17, v4 offset:3072
	s_branch .LBB117_263
.LBB117_268:                            ;   in Loop: Header=BB117_265 Depth=2
	v_dual_add_nc_u32 v3, s40, v3 :: v_dual_add_nc_u32 v2, s83, v2
	s_mov_b32 s34, 0
	s_delay_alu instid0(VALU_DEP_1)
	v_cmp_le_u32_e32 vcc_lo, s30, v3
	s_or_not1_b32 s33, vcc_lo, exec_lo
	s_branch .LBB117_264
.LBB117_269:                            ;   in Loop: Header=BB117_15 Depth=1
	v_dual_mov_b32 v28, v3 :: v_dual_mov_b32 v38, v4
	v_mov_b32_e32 v39, v6
	s_mov_b32 s26, 0
	s_and_saveexec_b32 s14, s23
	s_cbranch_execnz .LBB117_415
	s_branch .LBB117_416
.LBB117_270:                            ;   in Loop: Header=BB117_15 Depth=1
	s_or_b32 exec_lo, exec_lo, s25
	v_lshrrev_b32_e32 v39, 16, v4
	s_and_b32 s25, s31, exec_lo
.LBB117_271:                            ;   in Loop: Header=BB117_15 Depth=1
	s_or_b32 exec_lo, exec_lo, s29
.LBB117_272:                            ;   in Loop: Header=BB117_15 Depth=1
	s_delay_alu instid0(SALU_CYCLE_1)
	s_and_b32 vcc_lo, exec_lo, s28
	s_cbranch_vccz .LBB117_283
; %bb.273:                              ;   in Loop: Header=BB117_15 Depth=1
                                        ; implicit-def: $vgpr39
	s_and_saveexec_b32 s16, s13
	s_cbranch_execz .LBB117_282
; %bb.274:                              ;   in Loop: Header=BB117_15 Depth=1
	v_dual_mov_b32 v2, v18 :: v_dual_mov_b32 v3, v0
	s_mov_b32 s26, 0
                                        ; implicit-def: $sgpr27
	s_branch .LBB117_277
.LBB117_275:                            ;   in Loop: Header=BB117_277 Depth=2
	s_or_b32 exec_lo, exec_lo, s28
	s_wait_dscnt 0x0
	s_barrier_signal -1
	s_barrier_wait -1
	ds_load_b32 v4, v17 offset:3072
	s_mov_b32 s28, -1
	s_mov_b32 s29, -1
	s_wait_dscnt 0x0
	s_barrier_signal -1
	s_barrier_wait -1
	v_and_b32_e32 v5, 0x7fff, v4
	s_delay_alu instid0(VALU_DEP_1)
	v_cmp_ne_u32_e32 vcc_lo, 0, v5
	s_cbranch_vccz .LBB117_280
.LBB117_276:                            ;   in Loop: Header=BB117_277 Depth=2
	s_and_b32 s28, exec_lo, s28
	s_delay_alu instid0(SALU_CYCLE_1) | instskip(SKIP_2) | instid1(SALU_CYCLE_1)
	s_or_b32 s26, s28, s26
	s_and_not1_b32 s27, s27, exec_lo
	s_and_b32 s28, s29, exec_lo
	s_or_b32 s27, s27, s28
	s_and_not1_b32 exec_lo, exec_lo, s26
	s_cbranch_execz .LBB117_281
.LBB117_277:                            ;   Parent Loop BB117_15 Depth=1
                                        ; =>  This Inner Loop Header: Depth=2
	s_mov_b32 s28, exec_lo
	s_delay_alu instid0(VALU_DEP_1)
	v_cmpx_gt_u32_e64 s36, v3
	s_cbranch_execz .LBB117_275
; %bb.278:                              ;   in Loop: Header=BB117_277 Depth=2
	v_readfirstlane_b32 s30, v10
	v_readfirstlane_b32 s31, v11
	global_load_u16 v4, v2, s[30:31] scale_offset
	s_wait_loadcnt 0x0
	v_cmp_lt_i16_e32 vcc_lo, -1, v4
	v_and_b32_e32 v5, 0xffff, v4
	v_dual_cndmask_b32 v6, 0xffff, v37 :: v_dual_lshlrev_b32 v7, 16, v4
	s_delay_alu instid0(VALU_DEP_1) | instskip(NEXT) | instid1(VALU_DEP_2)
	v_cmp_o_f32_e32 vcc_lo, v7, v7
	v_xor_b32_e32 v5, v6, v5
	s_delay_alu instid0(VALU_DEP_1) | instskip(NEXT) | instid1(VALU_DEP_1)
	v_cndmask_b32_e32 v5, 0xffff, v5, vcc_lo
	v_and_b32_e32 v5, v5, v38
	s_delay_alu instid0(VALU_DEP_1)
	v_cmp_eq_u32_e32 vcc_lo, v5, v28
	s_and_b32 exec_lo, exec_lo, vcc_lo
	s_cbranch_execz .LBB117_275
; %bb.279:                              ;   in Loop: Header=BB117_277 Depth=2
	v_perm_b32 v4, v4, s86, 0x5040100
	ds_store_b32 v17, v4 offset:3072
	s_branch .LBB117_275
.LBB117_280:                            ;   in Loop: Header=BB117_277 Depth=2
	v_dual_add_nc_u32 v3, s40, v3 :: v_dual_add_nc_u32 v2, s58, v2
	s_mov_b32 s29, 0
	s_delay_alu instid0(VALU_DEP_1)
	v_cmp_le_u32_e32 vcc_lo, s80, v3
	s_or_not1_b32 s28, vcc_lo, exec_lo
	s_branch .LBB117_276
.LBB117_281:                            ;   in Loop: Header=BB117_15 Depth=1
	s_or_b32 exec_lo, exec_lo, s26
	v_lshrrev_b32_e32 v39, 16, v4
	s_and_not1_b32 s25, s25, exec_lo
	s_and_b32 s26, s27, exec_lo
	s_delay_alu instid0(SALU_CYCLE_1)
	s_or_b32 s25, s25, s26
.LBB117_282:                            ;   in Loop: Header=BB117_15 Depth=1
	s_or_b32 exec_lo, exec_lo, s16
	s_mov_b32 s16, 0
	s_mov_b32 s26, -1
.LBB117_283:                            ;   in Loop: Header=BB117_15 Depth=1
	s_or_not1_b32 s25, s25, exec_lo
.LBB117_284:                            ;   in Loop: Header=BB117_15 Depth=1
	s_or_b32 exec_lo, exec_lo, s24
                                        ; implicit-def: $vgpr5
                                        ; implicit-def: $vgpr2
	s_and_saveexec_b32 s24, s25
	s_cbranch_execz .LBB117_414
; %bb.285:                              ;   in Loop: Header=BB117_15 Depth=1
	v_dual_mov_b32 v5, 1 :: v_dual_mov_b32 v2, 1
	s_xor_b32 s25, s14, -1
	s_mov_b32 s28, 0
	s_and_saveexec_b32 s14, s25
	s_cbranch_execz .LBB117_294
; %bb.286:                              ;   in Loop: Header=BB117_15 Depth=1
	s_mov_b32 s25, exec_lo
	v_cmpx_ge_u32_e64 s22, v40
	s_xor_b32 s25, exec_lo, s25
	s_cbranch_execz .LBB117_291
; %bb.287:                              ;   in Loop: Header=BB117_15 Depth=1
	ds_load_b32 v2, v17 offset:4096
	v_or_b32_e32 v28, s18, v28
	v_or_b32_e32 v38, s18, v38
	s_wait_dscnt 0x0
	v_cmp_ne_u32_e32 vcc_lo, 0, v2
	s_cbranch_vccnz .LBB117_291
; %bb.288:                              ;   in Loop: Header=BB117_15 Depth=1
	s_and_saveexec_b32 s27, s5
; %bb.289:                              ;   in Loop: Header=BB117_15 Depth=1
	v_mov_b32_e32 v2, s22
	ds_store_b32 v17, v2 offset:4100
; %bb.290:                              ;   in Loop: Header=BB117_15 Depth=1
	s_or_b32 exec_lo, exec_lo, s27
	s_wait_dscnt 0x0
	s_barrier_signal -1
	s_barrier_wait -1
.LBB117_291:                            ;   in Loop: Header=BB117_15 Depth=1
	s_or_saveexec_b32 s25, s25
	v_mov_b32_e32 v2, 5
	s_mov_b32 s27, 0
	s_xor_b32 exec_lo, exec_lo, s25
; %bb.292:                              ;   in Loop: Header=BB117_15 Depth=1
	v_subrev_nc_u32_e32 v40, s22, v40
	v_mov_b32_e32 v2, 0
	s_mov_b32 s27, exec_lo
; %bb.293:                              ;   in Loop: Header=BB117_15 Depth=1
	s_or_b32 exec_lo, exec_lo, s25
	s_delay_alu instid0(VALU_DEP_2)
	v_mov_b32_e32 v5, v40
	s_and_b32 s28, s27, exec_lo
.LBB117_294:                            ;   in Loop: Header=BB117_15 Depth=1
	s_or_b32 exec_lo, exec_lo, s14
	s_mov_b32 s27, -1
                                        ; implicit-def: $sgpr22
                                        ; implicit-def: $sgpr25
	s_and_saveexec_b32 s14, s28
	s_delay_alu instid0(SALU_CYCLE_1)
	s_xor_b32 s14, exec_lo, s14
	s_cbranch_execz .LBB117_411
; %bb.295:                              ;   in Loop: Header=BB117_15 Depth=1
	v_cmp_eq_u32_e32 vcc_lo, 1, v5
	s_cmp_eq_u32 s21, 1
	s_mov_b32 s29, -1
	s_cselect_b32 s22, -1, 0
                                        ; implicit-def: $sgpr25
	s_delay_alu instid0(SALU_CYCLE_1) | instskip(NEXT) | instid1(SALU_CYCLE_1)
	s_and_b32 s28, s22, vcc_lo
                                        ; implicit-def: $sgpr22
	s_and_saveexec_b32 s27, s28
	s_cbranch_execz .LBB117_321
; %bb.296:                              ;   in Loop: Header=BB117_15 Depth=1
	ds_load_b32 v3, v17 offset:4096
	s_wait_dscnt 0x0
	s_barrier_signal -1
	s_barrier_wait -1
	v_readfirstlane_b32 s30, v3
	s_and_saveexec_b32 s22, s6
; %bb.297:                              ;   in Loop: Header=BB117_15 Depth=1
	ds_store_b16 v19, v17
; %bb.298:                              ;   in Loop: Header=BB117_15 Depth=1
	s_or_b32 exec_lo, exec_lo, s22
	s_lshl_b32 s22, 2, s84
	v_or_b32_e32 v38, s18, v38
	v_and_or_b32 v28, v28, s19, s22
	s_mov_b32 s22, -1
	s_mov_b32 s25, 0
	s_cmp_eq_u32 s30, 0
	s_mov_b32 s29, 0
	s_mov_b32 s31, -1
	s_wait_dscnt 0x0
	s_barrier_signal -1
	s_barrier_wait -1
                                        ; implicit-def: $vgpr39
	s_cbranch_scc1 .LBB117_309
; %bb.299:                              ;   in Loop: Header=BB117_15 Depth=1
	s_add_co_i32 s38, s30, s67
	s_mov_b32 s33, exec_lo
	s_mul_u64 s[52:53], s[38:39], s[48:49]
                                        ; implicit-def: $vgpr39
	s_delay_alu instid0(SALU_CYCLE_1) | instskip(NEXT) | instid1(SALU_CYCLE_1)
	s_mul_i32 s29, s53, s40
	s_sub_co_i32 s29, s38, s29
	s_delay_alu instid0(SALU_CYCLE_1) | instskip(SKIP_2) | instid1(SALU_CYCLE_1)
	s_sub_co_i32 s31, s29, s40
	s_cmp_ge_u32 s29, s40
	s_cselect_b32 s29, s31, s29
	s_sub_co_i32 s31, s29, s40
	s_cmp_ge_u32 s29, s40
	s_cselect_b32 s29, s31, s29
	s_mov_b32 s31, 0
	s_sub_co_i32 s34, s38, s29
	s_mov_b32 s29, 0
	v_cmpx_gt_u32_e64 s34, v0
	s_cbranch_execz .LBB117_308
; %bb.300:                              ;   in Loop: Header=BB117_15 Depth=1
	v_dual_mov_b32 v3, v22 :: v_dual_mov_b32 v4, v0
                                        ; implicit-def: $sgpr38
	s_branch .LBB117_303
.LBB117_301:                            ;   in Loop: Header=BB117_303 Depth=2
	s_or_b32 exec_lo, exec_lo, s52
	s_wait_dscnt 0x0
	s_barrier_signal -1
	s_barrier_wait -1
	ds_load_b32 v6, v17 offset:3072
	s_mov_b32 s52, -1
	s_mov_b32 s53, -1
	s_wait_dscnt 0x0
	s_barrier_signal -1
	s_barrier_wait -1
	v_and_b32_e32 v7, 0x7fff, v6
	s_delay_alu instid0(VALU_DEP_1)
	v_cmp_ne_u32_e32 vcc_lo, 0, v7
	s_cbranch_vccz .LBB117_306
.LBB117_302:                            ;   in Loop: Header=BB117_303 Depth=2
	s_and_b32 s52, exec_lo, s52
	s_delay_alu instid0(SALU_CYCLE_1) | instskip(SKIP_2) | instid1(SALU_CYCLE_1)
	s_or_b32 s29, s52, s29
	s_and_not1_b32 s38, s38, exec_lo
	s_and_b32 s52, s53, exec_lo
	s_or_b32 s38, s38, s52
	s_and_not1_b32 exec_lo, exec_lo, s29
	s_cbranch_execz .LBB117_307
.LBB117_303:                            ;   Parent Loop BB117_15 Depth=1
                                        ; =>  This Inner Loop Header: Depth=2
	s_mov_b32 s52, exec_lo
	s_delay_alu instid0(VALU_DEP_1)
	v_cmpx_gt_u32_e64 s30, v4
	s_cbranch_execz .LBB117_301
; %bb.304:                              ;   in Loop: Header=BB117_303 Depth=2
	ds_load_u16 v6, v3
	s_wait_dscnt 0x0
	v_cmp_lt_i16_e32 vcc_lo, -1, v6
	v_and_b32_e32 v7, 0xffff, v6
	v_dual_cndmask_b32 v8, 0xffff, v37 :: v_dual_lshlrev_b32 v9, 16, v6
	s_delay_alu instid0(VALU_DEP_1) | instskip(NEXT) | instid1(VALU_DEP_2)
	v_cmp_o_f32_e32 vcc_lo, v9, v9
	v_xor_b32_e32 v7, v8, v7
	s_delay_alu instid0(VALU_DEP_1) | instskip(NEXT) | instid1(VALU_DEP_1)
	v_cndmask_b32_e32 v7, 0xffff, v7, vcc_lo
	v_and_b32_e32 v7, v7, v38
	s_delay_alu instid0(VALU_DEP_1)
	v_cmp_eq_u32_e32 vcc_lo, v7, v28
	s_and_b32 exec_lo, exec_lo, vcc_lo
	s_cbranch_execz .LBB117_301
; %bb.305:                              ;   in Loop: Header=BB117_303 Depth=2
	v_perm_b32 v6, v6, s86, 0x5040100
	ds_store_b32 v17, v6 offset:3072
	s_branch .LBB117_301
.LBB117_306:                            ;   in Loop: Header=BB117_303 Depth=2
	v_dual_add_nc_u32 v4, s40, v4 :: v_dual_add_nc_u32 v3, s83, v3
	s_mov_b32 s53, 0
	s_delay_alu instid0(VALU_DEP_1)
	v_cmp_le_u32_e32 vcc_lo, s34, v4
	s_or_not1_b32 s52, vcc_lo, exec_lo
	s_branch .LBB117_302
.LBB117_307:                            ;   in Loop: Header=BB117_15 Depth=1
	s_or_b32 exec_lo, exec_lo, s29
	v_lshrrev_b32_e32 v39, 16, v6
	s_and_b32 s29, s38, exec_lo
.LBB117_308:                            ;   in Loop: Header=BB117_15 Depth=1
	s_or_b32 exec_lo, exec_lo, s33
.LBB117_309:                            ;   in Loop: Header=BB117_15 Depth=1
	s_delay_alu instid0(SALU_CYCLE_1)
	s_and_b32 vcc_lo, exec_lo, s31
	s_cbranch_vccz .LBB117_320
; %bb.310:                              ;   in Loop: Header=BB117_15 Depth=1
                                        ; implicit-def: $vgpr39
	s_and_saveexec_b32 s22, s13
	s_cbranch_execz .LBB117_319
; %bb.311:                              ;   in Loop: Header=BB117_15 Depth=1
	v_dual_mov_b32 v3, v18 :: v_dual_mov_b32 v4, v0
	s_mov_b32 s25, 0
                                        ; implicit-def: $sgpr30
	s_branch .LBB117_314
.LBB117_312:                            ;   in Loop: Header=BB117_314 Depth=2
	s_or_b32 exec_lo, exec_lo, s31
	s_wait_dscnt 0x0
	s_barrier_signal -1
	s_barrier_wait -1
	ds_load_b32 v6, v17 offset:3072
	s_mov_b32 s31, -1
	s_mov_b32 s33, -1
	s_wait_dscnt 0x0
	s_barrier_signal -1
	s_barrier_wait -1
	v_and_b32_e32 v7, 0x7fff, v6
	s_delay_alu instid0(VALU_DEP_1)
	v_cmp_eq_u32_e32 vcc_lo, 0, v7
	s_cbranch_vccnz .LBB117_317
.LBB117_313:                            ;   in Loop: Header=BB117_314 Depth=2
	s_and_b32 s31, exec_lo, s31
	s_delay_alu instid0(SALU_CYCLE_1) | instskip(SKIP_2) | instid1(SALU_CYCLE_1)
	s_or_b32 s25, s31, s25
	s_and_not1_b32 s30, s30, exec_lo
	s_and_b32 s31, s33, exec_lo
	s_or_b32 s30, s30, s31
	s_and_not1_b32 exec_lo, exec_lo, s25
	s_cbranch_execz .LBB117_318
.LBB117_314:                            ;   Parent Loop BB117_15 Depth=1
                                        ; =>  This Inner Loop Header: Depth=2
	s_mov_b32 s31, exec_lo
	s_delay_alu instid0(VALU_DEP_1)
	v_cmpx_gt_u32_e64 s36, v4
	s_cbranch_execz .LBB117_312
; %bb.315:                              ;   in Loop: Header=BB117_314 Depth=2
	v_readfirstlane_b32 s52, v10
	v_readfirstlane_b32 s53, v11
	global_load_u16 v6, v3, s[52:53] scale_offset
	s_wait_loadcnt 0x0
	v_cmp_lt_i16_e32 vcc_lo, -1, v6
	v_and_b32_e32 v7, 0xffff, v6
	v_dual_cndmask_b32 v8, 0xffff, v37 :: v_dual_lshlrev_b32 v9, 16, v6
	s_delay_alu instid0(VALU_DEP_1) | instskip(NEXT) | instid1(VALU_DEP_2)
	v_cmp_o_f32_e32 vcc_lo, v9, v9
	v_xor_b32_e32 v7, v8, v7
	s_delay_alu instid0(VALU_DEP_1) | instskip(NEXT) | instid1(VALU_DEP_1)
	v_cndmask_b32_e32 v7, 0xffff, v7, vcc_lo
	v_and_b32_e32 v7, v7, v38
	s_delay_alu instid0(VALU_DEP_1)
	v_cmp_eq_u32_e32 vcc_lo, v7, v28
	s_and_b32 exec_lo, exec_lo, vcc_lo
	s_cbranch_execz .LBB117_312
; %bb.316:                              ;   in Loop: Header=BB117_314 Depth=2
	v_perm_b32 v6, v6, s86, 0x5040100
	ds_store_b32 v17, v6 offset:3072
	s_branch .LBB117_312
.LBB117_317:                            ;   in Loop: Header=BB117_314 Depth=2
	v_dual_add_nc_u32 v4, s40, v4 :: v_dual_add_nc_u32 v3, s58, v3
	s_mov_b32 s33, 0
	s_delay_alu instid0(VALU_DEP_1)
	v_cmp_le_u32_e32 vcc_lo, s80, v4
	s_or_not1_b32 s31, vcc_lo, exec_lo
	s_branch .LBB117_313
.LBB117_318:                            ;   in Loop: Header=BB117_15 Depth=1
	s_or_b32 exec_lo, exec_lo, s25
	v_lshrrev_b32_e32 v39, 16, v6
	s_and_not1_b32 s25, s29, exec_lo
	s_and_b32 s29, s30, exec_lo
	s_delay_alu instid0(SALU_CYCLE_1)
	s_or_b32 s29, s25, s29
.LBB117_319:                            ;   in Loop: Header=BB117_15 Depth=1
	s_or_b32 exec_lo, exec_lo, s22
	s_mov_b32 s22, 0
	s_mov_b32 s25, -1
.LBB117_320:                            ;   in Loop: Header=BB117_15 Depth=1
	s_or_not1_b32 s29, s29, exec_lo
.LBB117_321:                            ;   in Loop: Header=BB117_15 Depth=1
	s_or_b32 exec_lo, exec_lo, s27
	s_mov_b32 s30, 0
	s_and_saveexec_b32 s27, s29
	s_cbranch_execz .LBB117_410
; %bb.322:                              ;   in Loop: Header=BB117_15 Depth=1
	v_dual_mov_b32 v3, 1 :: v_dual_mov_b32 v2, 1
	s_xor_b32 s29, s28, -1
	s_mov_b32 s31, 0
	s_and_saveexec_b32 s28, s29
	s_cbranch_execz .LBB117_331
; %bb.323:                              ;   in Loop: Header=BB117_15 Depth=1
	s_mov_b32 s29, exec_lo
	v_cmpx_ge_u32_e64 s21, v5
	s_xor_b32 s29, exec_lo, s29
	s_cbranch_execz .LBB117_328
; %bb.324:                              ;   in Loop: Header=BB117_15 Depth=1
	ds_load_b32 v2, v17 offset:4096
	s_lshl_b32 s30, 2, s84
	v_or_b32_e32 v38, s18, v38
	v_and_or_b32 v28, v28, s19, s30
	s_wait_dscnt 0x0
	v_cmp_ne_u32_e32 vcc_lo, 0, v2
	s_cbranch_vccnz .LBB117_328
; %bb.325:                              ;   in Loop: Header=BB117_15 Depth=1
	s_and_saveexec_b32 s30, s5
; %bb.326:                              ;   in Loop: Header=BB117_15 Depth=1
	v_mov_b32_e32 v2, s21
	ds_store_b32 v17, v2 offset:4100
; %bb.327:                              ;   in Loop: Header=BB117_15 Depth=1
	s_or_b32 exec_lo, exec_lo, s30
	s_wait_dscnt 0x0
	s_barrier_signal -1
	s_barrier_wait -1
.LBB117_328:                            ;   in Loop: Header=BB117_15 Depth=1
	s_or_saveexec_b32 s29, s29
	v_mov_b32_e32 v2, 5
	s_mov_b32 s30, 0
	s_xor_b32 exec_lo, exec_lo, s29
; %bb.329:                              ;   in Loop: Header=BB117_15 Depth=1
	v_subrev_nc_u32_e32 v5, s21, v5
	v_mov_b32_e32 v2, 0
	s_mov_b32 s30, exec_lo
; %bb.330:                              ;   in Loop: Header=BB117_15 Depth=1
	s_or_b32 exec_lo, exec_lo, s29
	s_delay_alu instid0(VALU_DEP_2)
	v_mov_b32_e32 v3, v5
	s_and_b32 s31, s30, exec_lo
.LBB117_331:                            ;   in Loop: Header=BB117_15 Depth=1
	s_or_b32 exec_lo, exec_lo, s28
	s_mov_b32 s30, -1
                                        ; implicit-def: $sgpr28
                                        ; implicit-def: $sgpr29
	s_and_saveexec_b32 s21, s31
	s_cbranch_execz .LBB117_409
; %bb.332:                              ;   in Loop: Header=BB117_15 Depth=1
	v_cmp_eq_u32_e32 vcc_lo, 1, v3
	s_cmp_eq_u32 s20, 1
	s_mov_b32 s33, -1
	s_cselect_b32 s28, -1, 0
                                        ; implicit-def: $sgpr29
	s_delay_alu instid0(SALU_CYCLE_1) | instskip(NEXT) | instid1(SALU_CYCLE_1)
	s_and_b32 s31, s28, vcc_lo
                                        ; implicit-def: $sgpr28
	s_and_saveexec_b32 s30, s31
	s_cbranch_execz .LBB117_358
; %bb.333:                              ;   in Loop: Header=BB117_15 Depth=1
	ds_load_b32 v4, v17 offset:4096
	s_wait_dscnt 0x0
	s_barrier_signal -1
	s_barrier_wait -1
	v_readfirstlane_b32 s34, v4
	s_and_saveexec_b32 s28, s6
; %bb.334:                              ;   in Loop: Header=BB117_15 Depth=1
	ds_store_b16 v19, v17
; %bb.335:                              ;   in Loop: Header=BB117_15 Depth=1
	s_or_b32 exec_lo, exec_lo, s28
	s_lshl_b32 s28, 1, s84
	v_or_b32_e32 v38, s18, v38
	v_and_or_b32 v28, v28, s19, s28
	s_mov_b32 s28, -1
	s_mov_b32 s29, 0
	s_cmp_eq_u32 s34, 0
	s_mov_b32 s33, 0
	s_mov_b32 s38, -1
	s_wait_dscnt 0x0
	s_barrier_signal -1
	s_barrier_wait -1
                                        ; implicit-def: $vgpr39
	s_cbranch_scc1 .LBB117_346
; %bb.336:                              ;   in Loop: Header=BB117_15 Depth=1
	s_add_co_i32 s38, s34, s67
                                        ; implicit-def: $vgpr39
	s_delay_alu instid0(SALU_CYCLE_1) | instskip(NEXT) | instid1(SALU_CYCLE_1)
	s_mul_u64 s[52:53], s[38:39], s[48:49]
	s_mul_i32 s33, s53, s40
	s_delay_alu instid0(SALU_CYCLE_1) | instskip(NEXT) | instid1(SALU_CYCLE_1)
	s_sub_co_i32 s33, s38, s33
	s_sub_co_i32 s52, s33, s40
	s_cmp_ge_u32 s33, s40
	s_cselect_b32 s33, s52, s33
	s_delay_alu instid0(SALU_CYCLE_1)
	s_sub_co_i32 s52, s33, s40
	s_cmp_ge_u32 s33, s40
	s_cselect_b32 s33, s52, s33
	s_mov_b32 s52, exec_lo
	s_sub_co_i32 s53, s38, s33
	s_mov_b32 s38, 0
	s_mov_b32 s33, 0
	v_cmpx_gt_u32_e64 s53, v0
	s_cbranch_execz .LBB117_345
; %bb.337:                              ;   in Loop: Header=BB117_15 Depth=1
	v_dual_mov_b32 v4, v22 :: v_dual_mov_b32 v5, v0
                                        ; implicit-def: $sgpr54
	s_branch .LBB117_340
.LBB117_338:                            ;   in Loop: Header=BB117_340 Depth=2
	s_or_b32 exec_lo, exec_lo, s55
	s_wait_dscnt 0x0
	s_barrier_signal -1
	s_barrier_wait -1
	ds_load_b32 v6, v17 offset:3072
	s_mov_b32 s55, -1
	s_mov_b32 s98, -1
	s_wait_dscnt 0x0
	s_barrier_signal -1
	s_barrier_wait -1
	v_and_b32_e32 v7, 0x7fff, v6
	s_delay_alu instid0(VALU_DEP_1)
	v_cmp_ne_u32_e32 vcc_lo, 0, v7
	s_cbranch_vccz .LBB117_343
.LBB117_339:                            ;   in Loop: Header=BB117_340 Depth=2
	s_and_b32 s55, exec_lo, s55
	s_delay_alu instid0(SALU_CYCLE_1) | instskip(SKIP_2) | instid1(SALU_CYCLE_1)
	s_or_b32 s33, s55, s33
	s_and_not1_b32 s54, s54, exec_lo
	s_and_b32 s55, s98, exec_lo
	s_or_b32 s54, s54, s55
	s_and_not1_b32 exec_lo, exec_lo, s33
	s_cbranch_execz .LBB117_344
.LBB117_340:                            ;   Parent Loop BB117_15 Depth=1
                                        ; =>  This Inner Loop Header: Depth=2
	s_mov_b32 s55, exec_lo
	s_delay_alu instid0(VALU_DEP_1)
	v_cmpx_gt_u32_e64 s34, v5
	s_cbranch_execz .LBB117_338
; %bb.341:                              ;   in Loop: Header=BB117_340 Depth=2
	ds_load_u16 v6, v4
	s_wait_dscnt 0x0
	v_cmp_lt_i16_e32 vcc_lo, -1, v6
	v_and_b32_e32 v7, 0xffff, v6
	v_dual_cndmask_b32 v8, 0xffff, v37 :: v_dual_lshlrev_b32 v9, 16, v6
	s_delay_alu instid0(VALU_DEP_1) | instskip(NEXT) | instid1(VALU_DEP_2)
	v_cmp_o_f32_e32 vcc_lo, v9, v9
	v_xor_b32_e32 v7, v8, v7
	s_delay_alu instid0(VALU_DEP_1) | instskip(NEXT) | instid1(VALU_DEP_1)
	v_cndmask_b32_e32 v7, 0xffff, v7, vcc_lo
	v_and_b32_e32 v7, v7, v38
	s_delay_alu instid0(VALU_DEP_1)
	v_cmp_eq_u32_e32 vcc_lo, v7, v28
	s_and_b32 exec_lo, exec_lo, vcc_lo
	s_cbranch_execz .LBB117_338
; %bb.342:                              ;   in Loop: Header=BB117_340 Depth=2
	v_perm_b32 v6, v6, s86, 0x5040100
	ds_store_b32 v17, v6 offset:3072
	s_branch .LBB117_338
.LBB117_343:                            ;   in Loop: Header=BB117_340 Depth=2
	v_dual_add_nc_u32 v5, s40, v5 :: v_dual_add_nc_u32 v4, s83, v4
	s_mov_b32 s98, 0
	s_delay_alu instid0(VALU_DEP_1)
	v_cmp_le_u32_e32 vcc_lo, s53, v5
	s_or_not1_b32 s55, vcc_lo, exec_lo
	s_branch .LBB117_339
.LBB117_344:                            ;   in Loop: Header=BB117_15 Depth=1
	s_or_b32 exec_lo, exec_lo, s33
	v_lshrrev_b32_e32 v39, 16, v6
	s_and_b32 s33, s54, exec_lo
.LBB117_345:                            ;   in Loop: Header=BB117_15 Depth=1
	s_or_b32 exec_lo, exec_lo, s52
.LBB117_346:                            ;   in Loop: Header=BB117_15 Depth=1
	s_delay_alu instid0(SALU_CYCLE_1)
	s_and_b32 vcc_lo, exec_lo, s38
	s_cbranch_vccz .LBB117_357
; %bb.347:                              ;   in Loop: Header=BB117_15 Depth=1
                                        ; implicit-def: $vgpr39
	s_and_saveexec_b32 s28, s13
	s_cbranch_execz .LBB117_356
; %bb.348:                              ;   in Loop: Header=BB117_15 Depth=1
	v_dual_mov_b32 v4, v18 :: v_dual_mov_b32 v5, v0
	s_mov_b32 s29, 0
                                        ; implicit-def: $sgpr34
	s_branch .LBB117_351
.LBB117_349:                            ;   in Loop: Header=BB117_351 Depth=2
	s_or_b32 exec_lo, exec_lo, s38
	s_wait_dscnt 0x0
	s_barrier_signal -1
	s_barrier_wait -1
	ds_load_b32 v6, v17 offset:3072
	s_mov_b32 s38, -1
	s_mov_b32 s52, -1
	s_wait_dscnt 0x0
	s_barrier_signal -1
	s_barrier_wait -1
	v_and_b32_e32 v7, 0x7fff, v6
	s_delay_alu instid0(VALU_DEP_1)
	v_cmp_eq_u32_e32 vcc_lo, 0, v7
	s_cbranch_vccnz .LBB117_354
.LBB117_350:                            ;   in Loop: Header=BB117_351 Depth=2
	s_and_b32 s38, exec_lo, s38
	s_delay_alu instid0(SALU_CYCLE_1) | instskip(SKIP_2) | instid1(SALU_CYCLE_1)
	s_or_b32 s29, s38, s29
	s_and_not1_b32 s34, s34, exec_lo
	s_and_b32 s38, s52, exec_lo
	s_or_b32 s34, s34, s38
	s_and_not1_b32 exec_lo, exec_lo, s29
	s_cbranch_execz .LBB117_355
.LBB117_351:                            ;   Parent Loop BB117_15 Depth=1
                                        ; =>  This Inner Loop Header: Depth=2
	s_mov_b32 s38, exec_lo
	s_delay_alu instid0(VALU_DEP_1)
	v_cmpx_gt_u32_e64 s36, v5
	s_cbranch_execz .LBB117_349
; %bb.352:                              ;   in Loop: Header=BB117_351 Depth=2
	v_readfirstlane_b32 s52, v10
	v_readfirstlane_b32 s53, v11
	global_load_u16 v6, v4, s[52:53] scale_offset
	s_wait_loadcnt 0x0
	v_cmp_lt_i16_e32 vcc_lo, -1, v6
	v_and_b32_e32 v7, 0xffff, v6
	v_dual_cndmask_b32 v8, 0xffff, v37 :: v_dual_lshlrev_b32 v9, 16, v6
	s_delay_alu instid0(VALU_DEP_1) | instskip(NEXT) | instid1(VALU_DEP_2)
	v_cmp_o_f32_e32 vcc_lo, v9, v9
	v_xor_b32_e32 v7, v8, v7
	s_delay_alu instid0(VALU_DEP_1) | instskip(NEXT) | instid1(VALU_DEP_1)
	v_cndmask_b32_e32 v7, 0xffff, v7, vcc_lo
	v_and_b32_e32 v7, v7, v38
	s_delay_alu instid0(VALU_DEP_1)
	v_cmp_eq_u32_e32 vcc_lo, v7, v28
	s_and_b32 exec_lo, exec_lo, vcc_lo
	s_cbranch_execz .LBB117_349
; %bb.353:                              ;   in Loop: Header=BB117_351 Depth=2
	v_perm_b32 v6, v6, s86, 0x5040100
	ds_store_b32 v17, v6 offset:3072
	s_branch .LBB117_349
.LBB117_354:                            ;   in Loop: Header=BB117_351 Depth=2
	v_dual_add_nc_u32 v5, s40, v5 :: v_dual_add_nc_u32 v4, s58, v4
	s_mov_b32 s52, 0
	s_delay_alu instid0(VALU_DEP_1)
	v_cmp_le_u32_e32 vcc_lo, s80, v5
	s_or_not1_b32 s38, vcc_lo, exec_lo
	s_branch .LBB117_350
.LBB117_355:                            ;   in Loop: Header=BB117_15 Depth=1
	s_or_b32 exec_lo, exec_lo, s29
	v_lshrrev_b32_e32 v39, 16, v6
	s_and_not1_b32 s29, s33, exec_lo
	s_and_b32 s33, s34, exec_lo
	s_delay_alu instid0(SALU_CYCLE_1)
	s_or_b32 s33, s29, s33
.LBB117_356:                            ;   in Loop: Header=BB117_15 Depth=1
	s_or_b32 exec_lo, exec_lo, s28
	s_mov_b32 s28, 0
	s_mov_b32 s29, -1
.LBB117_357:                            ;   in Loop: Header=BB117_15 Depth=1
	s_or_not1_b32 s33, s33, exec_lo
.LBB117_358:                            ;   in Loop: Header=BB117_15 Depth=1
	s_or_b32 exec_lo, exec_lo, s30
	s_mov_b32 s34, 0
	s_and_saveexec_b32 s30, s33
	s_cbranch_execz .LBB117_408
; %bb.359:                              ;   in Loop: Header=BB117_15 Depth=1
	v_dual_mov_b32 v4, 1 :: v_dual_mov_b32 v2, 1
	s_xor_b32 s33, s31, -1
	s_mov_b32 s38, 0
	s_and_saveexec_b32 s31, s33
	s_cbranch_execz .LBB117_368
; %bb.360:                              ;   in Loop: Header=BB117_15 Depth=1
	s_mov_b32 s33, exec_lo
	v_cmpx_ge_u32_e64 s20, v3
	s_xor_b32 s33, exec_lo, s33
	s_cbranch_execz .LBB117_365
; %bb.361:                              ;   in Loop: Header=BB117_15 Depth=1
	ds_load_b32 v2, v17 offset:4096
	s_lshl_b32 s34, 1, s84
	v_or_b32_e32 v38, s18, v38
	v_and_or_b32 v28, v28, s19, s34
	s_wait_dscnt 0x0
	v_cmp_ne_u32_e32 vcc_lo, 0, v2
	s_cbranch_vccnz .LBB117_365
; %bb.362:                              ;   in Loop: Header=BB117_15 Depth=1
	s_and_saveexec_b32 s34, s5
; %bb.363:                              ;   in Loop: Header=BB117_15 Depth=1
	v_mov_b32_e32 v2, s20
	ds_store_b32 v17, v2 offset:4100
; %bb.364:                              ;   in Loop: Header=BB117_15 Depth=1
	s_or_b32 exec_lo, exec_lo, s34
	s_wait_dscnt 0x0
	s_barrier_signal -1
	s_barrier_wait -1
.LBB117_365:                            ;   in Loop: Header=BB117_15 Depth=1
	s_or_saveexec_b32 s33, s33
	v_mov_b32_e32 v2, 5
	s_mov_b32 s34, 0
	s_xor_b32 exec_lo, exec_lo, s33
; %bb.366:                              ;   in Loop: Header=BB117_15 Depth=1
	v_subrev_nc_u32_e32 v3, s20, v3
	v_mov_b32_e32 v2, 0
	s_mov_b32 s34, exec_lo
; %bb.367:                              ;   in Loop: Header=BB117_15 Depth=1
	s_or_b32 exec_lo, exec_lo, s33
	s_delay_alu instid0(VALU_DEP_2)
	v_mov_b32_e32 v4, v3
	s_and_b32 s38, s34, exec_lo
.LBB117_368:                            ;   in Loop: Header=BB117_15 Depth=1
	s_or_b32 exec_lo, exec_lo, s31
	s_mov_b32 s31, -1
                                        ; implicit-def: $sgpr34
                                        ; implicit-def: $sgpr33
	s_and_saveexec_b32 s20, s38
	s_cbranch_execz .LBB117_407
; %bb.369:                              ;   in Loop: Header=BB117_15 Depth=1
	v_cmp_eq_u32_e32 vcc_lo, 1, v4
	s_cmp_eq_u32 s17, 1
	s_mov_b32 s53, -1
	s_cselect_b32 s31, -1, 0
                                        ; implicit-def: $sgpr34
                                        ; implicit-def: $sgpr33
	s_delay_alu instid0(SALU_CYCLE_1) | instskip(NEXT) | instid1(SALU_CYCLE_1)
	s_and_b32 s31, s31, vcc_lo
	s_and_saveexec_b32 s52, s31
	s_cbranch_execz .LBB117_395
; %bb.370:                              ;   in Loop: Header=BB117_15 Depth=1
	ds_load_b32 v3, v17 offset:4096
	s_wait_dscnt 0x0
	s_barrier_signal -1
	s_barrier_wait -1
	v_readfirstlane_b32 s53, v3
	s_and_saveexec_b32 s33, s6
; %bb.371:                              ;   in Loop: Header=BB117_15 Depth=1
	ds_store_b16 v19, v17
; %bb.372:                              ;   in Loop: Header=BB117_15 Depth=1
	s_or_b32 exec_lo, exec_lo, s33
	v_and_b32_e32 v28, s19, v28
	v_or_b32_e32 v38, s18, v38
	s_mov_b32 s33, -1
	s_mov_b32 s34, 0
	s_cmp_eq_u32 s53, 0
	s_mov_b32 s38, 0
	s_mov_b32 s54, -1
	s_wait_dscnt 0x0
	s_barrier_signal -1
	s_barrier_wait -1
                                        ; implicit-def: $vgpr39
	s_cbranch_scc1 .LBB117_383
; %bb.373:                              ;   in Loop: Header=BB117_15 Depth=1
	s_add_co_i32 s38, s53, s67
                                        ; implicit-def: $vgpr39
	s_delay_alu instid0(SALU_CYCLE_1) | instskip(NEXT) | instid1(SALU_CYCLE_1)
	s_mul_u64 s[54:55], s[38:39], s[48:49]
	s_mul_i32 s54, s55, s40
	s_delay_alu instid0(SALU_CYCLE_1) | instskip(NEXT) | instid1(SALU_CYCLE_1)
	s_sub_co_i32 s54, s38, s54
	s_sub_co_i32 s55, s54, s40
	s_cmp_ge_u32 s54, s40
	s_cselect_b32 s54, s55, s54
	s_delay_alu instid0(SALU_CYCLE_1)
	s_sub_co_i32 s55, s54, s40
	s_cmp_ge_u32 s54, s40
	s_cselect_b32 s54, s55, s54
	s_mov_b32 s55, exec_lo
	s_sub_co_i32 s98, s38, s54
	s_mov_b32 s54, 0
	s_mov_b32 s38, 0
	v_cmpx_gt_u32_e64 s98, v0
	s_cbranch_execz .LBB117_382
; %bb.374:                              ;   in Loop: Header=BB117_15 Depth=1
	v_dual_mov_b32 v3, v22 :: v_dual_mov_b32 v5, v0
                                        ; implicit-def: $sgpr99
	s_branch .LBB117_377
.LBB117_375:                            ;   in Loop: Header=BB117_377 Depth=2
	s_or_b32 exec_lo, exec_lo, s100
	s_wait_dscnt 0x0
	s_barrier_signal -1
	s_barrier_wait -1
	ds_load_b32 v6, v17 offset:3072
	s_mov_b32 s100, -1
	s_mov_b32 s101, -1
	s_wait_dscnt 0x0
	s_barrier_signal -1
	s_barrier_wait -1
	v_and_b32_e32 v7, 0x7fff, v6
	s_delay_alu instid0(VALU_DEP_1)
	v_cmp_ne_u32_e32 vcc_lo, 0, v7
	s_cbranch_vccz .LBB117_380
.LBB117_376:                            ;   in Loop: Header=BB117_377 Depth=2
	s_and_b32 s100, exec_lo, s100
	s_delay_alu instid0(SALU_CYCLE_1) | instskip(SKIP_2) | instid1(SALU_CYCLE_1)
	s_or_b32 s38, s100, s38
	s_and_not1_b32 s99, s99, exec_lo
	s_and_b32 s100, s101, exec_lo
	s_or_b32 s99, s99, s100
	s_and_not1_b32 exec_lo, exec_lo, s38
	s_cbranch_execz .LBB117_381
.LBB117_377:                            ;   Parent Loop BB117_15 Depth=1
                                        ; =>  This Inner Loop Header: Depth=2
	s_mov_b32 s100, exec_lo
	s_delay_alu instid0(VALU_DEP_1)
	v_cmpx_gt_u32_e64 s53, v5
	s_cbranch_execz .LBB117_375
; %bb.378:                              ;   in Loop: Header=BB117_377 Depth=2
	ds_load_u16 v6, v3
	s_wait_dscnt 0x0
	v_cmp_lt_i16_e32 vcc_lo, -1, v6
	v_and_b32_e32 v7, 0xffff, v6
	v_dual_cndmask_b32 v8, 0xffff, v37 :: v_dual_lshlrev_b32 v9, 16, v6
	s_delay_alu instid0(VALU_DEP_1) | instskip(NEXT) | instid1(VALU_DEP_2)
	v_cmp_o_f32_e32 vcc_lo, v9, v9
	v_xor_b32_e32 v7, v8, v7
	s_delay_alu instid0(VALU_DEP_1) | instskip(NEXT) | instid1(VALU_DEP_1)
	v_cndmask_b32_e32 v7, 0xffff, v7, vcc_lo
	v_and_b32_e32 v7, v7, v38
	s_delay_alu instid0(VALU_DEP_1)
	v_cmp_eq_u32_e32 vcc_lo, v7, v28
	s_and_b32 exec_lo, exec_lo, vcc_lo
	s_cbranch_execz .LBB117_375
; %bb.379:                              ;   in Loop: Header=BB117_377 Depth=2
	v_perm_b32 v6, v6, s86, 0x5040100
	ds_store_b32 v17, v6 offset:3072
	s_branch .LBB117_375
.LBB117_380:                            ;   in Loop: Header=BB117_377 Depth=2
	v_dual_add_nc_u32 v5, s40, v5 :: v_dual_add_nc_u32 v3, s83, v3
	s_mov_b32 s101, 0
	s_delay_alu instid0(VALU_DEP_1)
	v_cmp_le_u32_e32 vcc_lo, s98, v5
	s_or_not1_b32 s100, vcc_lo, exec_lo
	s_branch .LBB117_376
.LBB117_381:                            ;   in Loop: Header=BB117_15 Depth=1
	s_or_b32 exec_lo, exec_lo, s38
	v_lshrrev_b32_e32 v39, 16, v6
	s_and_b32 s38, s99, exec_lo
.LBB117_382:                            ;   in Loop: Header=BB117_15 Depth=1
	s_or_b32 exec_lo, exec_lo, s55
.LBB117_383:                            ;   in Loop: Header=BB117_15 Depth=1
	s_delay_alu instid0(SALU_CYCLE_1)
	s_and_b32 vcc_lo, exec_lo, s54
	s_cbranch_vccz .LBB117_394
; %bb.384:                              ;   in Loop: Header=BB117_15 Depth=1
                                        ; implicit-def: $vgpr39
	s_and_saveexec_b32 s33, s13
	s_cbranch_execz .LBB117_393
; %bb.385:                              ;   in Loop: Header=BB117_15 Depth=1
	v_dual_mov_b32 v3, v18 :: v_dual_mov_b32 v5, v0
	s_mov_b32 s34, 0
                                        ; implicit-def: $sgpr53
	s_branch .LBB117_388
.LBB117_386:                            ;   in Loop: Header=BB117_388 Depth=2
	s_or_b32 exec_lo, exec_lo, s54
	s_wait_dscnt 0x0
	s_barrier_signal -1
	s_barrier_wait -1
	ds_load_b32 v6, v17 offset:3072
	s_mov_b32 s54, -1
	s_mov_b32 s55, -1
	s_wait_dscnt 0x0
	s_barrier_signal -1
	s_barrier_wait -1
	v_and_b32_e32 v7, 0x7fff, v6
	s_delay_alu instid0(VALU_DEP_1)
	v_cmp_eq_u32_e32 vcc_lo, 0, v7
	s_cbranch_vccnz .LBB117_391
.LBB117_387:                            ;   in Loop: Header=BB117_388 Depth=2
	s_and_b32 s54, exec_lo, s54
	s_delay_alu instid0(SALU_CYCLE_1) | instskip(SKIP_2) | instid1(SALU_CYCLE_1)
	s_or_b32 s34, s54, s34
	s_and_not1_b32 s53, s53, exec_lo
	s_and_b32 s54, s55, exec_lo
	s_or_b32 s53, s53, s54
	s_and_not1_b32 exec_lo, exec_lo, s34
	s_cbranch_execz .LBB117_392
.LBB117_388:                            ;   Parent Loop BB117_15 Depth=1
                                        ; =>  This Inner Loop Header: Depth=2
	s_mov_b32 s54, exec_lo
	s_delay_alu instid0(VALU_DEP_1)
	v_cmpx_gt_u32_e64 s36, v5
	s_cbranch_execz .LBB117_386
; %bb.389:                              ;   in Loop: Header=BB117_388 Depth=2
	v_readfirstlane_b32 s98, v10
	v_readfirstlane_b32 s99, v11
	global_load_u16 v6, v3, s[98:99] scale_offset
	s_wait_loadcnt 0x0
	v_cmp_lt_i16_e32 vcc_lo, -1, v6
	v_and_b32_e32 v7, 0xffff, v6
	v_dual_cndmask_b32 v8, 0xffff, v37 :: v_dual_lshlrev_b32 v9, 16, v6
	s_delay_alu instid0(VALU_DEP_1) | instskip(NEXT) | instid1(VALU_DEP_2)
	v_cmp_o_f32_e32 vcc_lo, v9, v9
	v_xor_b32_e32 v7, v8, v7
	s_delay_alu instid0(VALU_DEP_1) | instskip(NEXT) | instid1(VALU_DEP_1)
	v_cndmask_b32_e32 v7, 0xffff, v7, vcc_lo
	v_and_b32_e32 v7, v7, v38
	s_delay_alu instid0(VALU_DEP_1)
	v_cmp_eq_u32_e32 vcc_lo, v7, v28
	s_and_b32 exec_lo, exec_lo, vcc_lo
	s_cbranch_execz .LBB117_386
; %bb.390:                              ;   in Loop: Header=BB117_388 Depth=2
	v_perm_b32 v6, v6, s86, 0x5040100
	ds_store_b32 v17, v6 offset:3072
	s_branch .LBB117_386
.LBB117_391:                            ;   in Loop: Header=BB117_388 Depth=2
	v_dual_add_nc_u32 v5, s40, v5 :: v_dual_add_nc_u32 v3, s58, v3
	s_mov_b32 s55, 0
	s_delay_alu instid0(VALU_DEP_1)
	v_cmp_le_u32_e32 vcc_lo, s80, v5
	s_or_not1_b32 s54, vcc_lo, exec_lo
	s_branch .LBB117_387
.LBB117_392:                            ;   in Loop: Header=BB117_15 Depth=1
	s_or_b32 exec_lo, exec_lo, s34
	v_lshrrev_b32_e32 v39, 16, v6
	s_and_not1_b32 s34, s38, exec_lo
	s_and_b32 s38, s53, exec_lo
	s_delay_alu instid0(SALU_CYCLE_1)
	s_or_b32 s38, s34, s38
.LBB117_393:                            ;   in Loop: Header=BB117_15 Depth=1
	s_or_b32 exec_lo, exec_lo, s33
	s_mov_b32 s33, 0
	s_mov_b32 s34, -1
.LBB117_394:                            ;   in Loop: Header=BB117_15 Depth=1
	s_or_not1_b32 s53, s38, exec_lo
.LBB117_395:                            ;   in Loop: Header=BB117_15 Depth=1
	s_or_b32 exec_lo, exec_lo, s52
	s_mov_b32 s52, 0
	s_and_saveexec_b32 s38, s53
	s_cbranch_execz .LBB117_406
; %bb.396:                              ;   in Loop: Header=BB117_15 Depth=1
	v_dual_mov_b32 v2, 1 :: v_dual_mov_b32 v3, 1
	s_xor_b32 s52, s31, -1
	s_delay_alu instid0(SALU_CYCLE_1)
	s_and_saveexec_b32 s31, s52
	s_cbranch_execz .LBB117_405
; %bb.397:                              ;   in Loop: Header=BB117_15 Depth=1
	s_mov_b32 s52, exec_lo
	v_cmpx_ge_u32_e64 s17, v4
	s_xor_b32 s52, exec_lo, s52
	s_cbranch_execz .LBB117_402
; %bb.398:                              ;   in Loop: Header=BB117_15 Depth=1
	ds_load_b32 v2, v17 offset:4096
	v_and_b32_e32 v28, s19, v28
	v_or_b32_e32 v38, s18, v38
	s_wait_dscnt 0x0
	v_cmp_ne_u32_e32 vcc_lo, 0, v2
	s_cbranch_vccnz .LBB117_402
; %bb.399:                              ;   in Loop: Header=BB117_15 Depth=1
	s_and_saveexec_b32 s18, s5
; %bb.400:                              ;   in Loop: Header=BB117_15 Depth=1
	v_mov_b32_e32 v2, s17
	ds_store_b32 v17, v2 offset:4100
; %bb.401:                              ;   in Loop: Header=BB117_15 Depth=1
	s_or_b32 exec_lo, exec_lo, s18
	s_wait_dscnt 0x0
	s_barrier_signal -1
	s_barrier_wait -1
.LBB117_402:                            ;   in Loop: Header=BB117_15 Depth=1
	s_and_not1_saveexec_b32 s18, s52
; %bb.403:                              ;   in Loop: Header=BB117_15 Depth=1
	v_subrev_nc_u32_e32 v4, s17, v4
; %bb.404:                              ;   in Loop: Header=BB117_15 Depth=1
	s_or_b32 exec_lo, exec_lo, s18
	s_delay_alu instid0(VALU_DEP_1)
	v_dual_mov_b32 v2, 5 :: v_dual_mov_b32 v3, v4
.LBB117_405:                            ;   in Loop: Header=BB117_15 Depth=1
	s_or_b32 exec_lo, exec_lo, s31
	s_delay_alu instid0(VALU_DEP_1)
	v_mov_b32_e32 v4, v3
	s_mov_b32 s52, exec_lo
.LBB117_406:                            ;   in Loop: Header=BB117_15 Depth=1
	s_or_b32 exec_lo, exec_lo, s38
	s_delay_alu instid0(SALU_CYCLE_1)
	s_or_not1_b32 s31, s52, exec_lo
.LBB117_407:                            ;   in Loop: Header=BB117_15 Depth=1
	s_or_b32 exec_lo, exec_lo, s20
	v_mov_b32_e32 v3, v4
	s_and_not1_b32 s17, s29, exec_lo
	s_and_b32 s18, s34, exec_lo
	s_and_not1_b32 s19, s28, exec_lo
	s_and_b32 s20, s33, exec_lo
	s_or_b32 s29, s17, s18
	s_or_b32 s28, s19, s20
	s_and_b32 s34, s31, exec_lo
.LBB117_408:                            ;   in Loop: Header=BB117_15 Depth=1
	s_or_b32 exec_lo, exec_lo, s30
	s_delay_alu instid0(SALU_CYCLE_1)
	s_or_not1_b32 s30, s34, exec_lo
.LBB117_409:                            ;   in Loop: Header=BB117_15 Depth=1
	s_or_b32 exec_lo, exec_lo, s21
	v_mov_b32_e32 v5, v3
	s_and_not1_b32 s17, s25, exec_lo
	s_and_b32 s18, s29, exec_lo
	s_and_not1_b32 s19, s22, exec_lo
	s_and_b32 s20, s28, exec_lo
	s_or_b32 s25, s17, s18
	s_or_b32 s22, s19, s20
	s_and_b32 s30, s30, exec_lo
.LBB117_410:                            ;   in Loop: Header=BB117_15 Depth=1
	s_or_b32 exec_lo, exec_lo, s27
	s_delay_alu instid0(SALU_CYCLE_1)
	s_or_not1_b32 s27, s30, exec_lo
.LBB117_411:                            ;   in Loop: Header=BB117_15 Depth=1
	s_or_b32 exec_lo, exec_lo, s14
	s_mov_b32 s14, s23
	s_mov_b32 s17, s15
	s_and_saveexec_b32 s18, s27
; %bb.412:                              ;   in Loop: Header=BB117_15 Depth=1
	v_cmp_ne_u32_e32 vcc_lo, 5, v2
	v_cmp_eq_u32_e64 s14, 5, v2
	s_and_not1_b32 s17, s15, exec_lo
	s_and_not1_b32 s19, s23, exec_lo
	s_and_b32 s20, vcc_lo, exec_lo
	s_and_b32 s14, s14, exec_lo
	s_or_b32 s17, s17, s20
	s_or_b32 s14, s19, s14
; %bb.413:                              ;   in Loop: Header=BB117_15 Depth=1
	s_or_b32 exec_lo, exec_lo, s18
	s_delay_alu instid0(SALU_CYCLE_1)
	s_and_not1_b32 s18, s26, exec_lo
	s_and_b32 s19, s25, exec_lo
	s_and_not1_b32 s16, s16, exec_lo
	s_and_b32 s20, s22, exec_lo
	s_or_b32 s26, s18, s19
	s_and_not1_b32 s15, s15, exec_lo
	s_and_b32 s17, s17, exec_lo
	s_and_not1_b32 s18, s23, exec_lo
	s_and_b32 s14, s14, exec_lo
	s_or_b32 s16, s16, s20
	s_or_b32 s15, s15, s17
	;; [unrolled: 1-line block ×3, first 2 shown]
.LBB117_414:                            ;   in Loop: Header=BB117_15 Depth=1
	s_or_b32 exec_lo, exec_lo, s24
	s_mov_b32 s24, 0
	s_mov_b32 s25, 0
	s_and_saveexec_b32 s14, s23
.LBB117_415:                            ;   in Loop: Header=BB117_15 Depth=1
	v_mov_b32_e32 v2, 0
	s_or_b32 s15, s15, exec_lo
.LBB117_416:                            ;   in Loop: Header=BB117_15 Depth=1
	s_or_b32 exec_lo, exec_lo, s14
	s_delay_alu instid0(SALU_CYCLE_1)
	s_and_not1_b32 s14, s95, exec_lo
	s_and_b32 s18, s26, exec_lo
	s_and_not1_b32 s19, s93, exec_lo
	s_and_b32 s16, s16, exec_lo
	v_mov_b32_e32 v40, v5
	s_or_b32 s95, s14, s18
	s_or_b32 s93, s19, s16
	s_and_not1_b32 s14, s97, exec_lo
	s_and_b32 s16, s25, exec_lo
	s_and_not1_b32 s18, s96, exec_lo
	s_and_b32 s19, s24, exec_lo
	s_mov_b32 s17, -1
	s_and_not1_b32 s94, s94, exec_lo
	s_or_b32 s97, s14, s16
	s_or_b32 s96, s18, s19
	s_and_saveexec_b32 s14, s15
	s_delay_alu instid0(SALU_CYCLE_1)
	s_xor_b32 s14, exec_lo, s14
	s_cbranch_execz .LBB117_14
; %bb.417:                              ;   in Loop: Header=BB117_15 Depth=1
	s_mov_b32 s15, -1
	s_mov_b32 s16, -1
	s_mov_b32 s17, exec_lo
	v_cmpx_eq_u32_e32 0, v2
	s_cbranch_execz .LBB117_13
; %bb.418:                              ;   in Loop: Header=BB117_15 Depth=1
	s_xor_b32 s88, s88, 1
	s_add_co_i32 s18, s84, -2
	s_cmp_eq_u32 s84, 0
	s_mov_b32 s84, s18
	s_cselect_b32 s15, -1, 0
	s_xor_b32 s16, exec_lo, -1
	s_or_not1_b32 s15, s15, exec_lo
	s_branch .LBB117_13
.LBB117_419:
	s_or_b32 exec_lo, exec_lo, s85
	s_xor_b32 s7, s92, -1
	s_xor_b32 s9, s90, -1
	;; [unrolled: 1-line block ×5, first 2 shown]
	s_mov_b32 s8, 0
	s_and_saveexec_b32 s12, s11
	s_delay_alu instid0(SALU_CYCLE_1)
	s_xor_b32 s12, exec_lo, s12
	s_cbranch_execnz .LBB117_424
; %bb.420:
	s_and_not1_saveexec_b32 s0, s12
	s_cbranch_execnz .LBB117_443
.LBB117_421:
	s_or_b32 exec_lo, exec_lo, s0
	s_and_saveexec_b32 s0, s8
.LBB117_422:
	; divergent unreachable
.LBB117_423:
	s_sendmsg sendmsg(MSG_DEALLOC_VGPRS)
	s_endpgm
.LBB117_424:
	s_and_saveexec_b32 s11, s10
	s_delay_alu instid0(SALU_CYCLE_1)
	s_xor_b32 s13, exec_lo, s11
	s_cbranch_execz .LBB117_441
; %bb.425:
	s_and_saveexec_b32 s10, s9
	s_delay_alu instid0(SALU_CYCLE_1)
	s_xor_b32 s14, exec_lo, s10
	s_cbranch_execz .LBB117_439
; %bb.426:
	;; [unrolled: 5-line block ×3, first 2 shown]
	s_and_saveexec_b32 s7, s6
	s_delay_alu instid0(SALU_CYCLE_1)
	s_xor_b32 s6, exec_lo, s7
; %bb.428:
	v_and_b32_e32 v1, 0x8000, v28
	v_mov_b32_e32 v2, 0xffff
	s_delay_alu instid0(VALU_DEP_2) | instskip(NEXT) | instid1(VALU_DEP_2)
	v_cmp_eq_u32_e32 vcc_lo, 0, v1
	v_cndmask_b32_e32 v1, 0x8000, v2, vcc_lo
	s_delay_alu instid0(VALU_DEP_1)
	v_xor_b32_e32 v39, v1, v28
; %bb.429:
	s_or_b32 exec_lo, exec_lo, s6
	s_and_saveexec_b32 s6, s5
; %bb.430:
	v_mov_b32_e32 v1, 0
	ds_store_b32 v1, v1 offset:4108
; %bb.431:
	s_or_b32 exec_lo, exec_lo, s6
	v_mov_b32_e32 v5, 0
	s_wait_dscnt 0x0
	s_barrier_signal -1
	s_barrier_wait -1
	s_and_saveexec_b32 s5, s3
	s_cbranch_execz .LBB117_433
; %bb.432:
	global_load_u16 v5, v[14:15], off
.LBB117_433:
	s_wait_xcnt 0x0
	s_or_b32 exec_lo, exec_lo, s5
	v_dual_mov_b32 v1, 0x8000 :: v_dual_lshlrev_b32 v4, 16, v39
	v_cmp_lt_i16_e32 vcc_lo, -1, v39
	s_clause 0x1
	s_load_b32 s5, s[0:1], 0x1c8
	s_load_b32 s16, s[0:1], 0x2a8
	v_and_b32_e32 v2, 0xffff, v39
	s_add_co_i32 s17, s36, 31
	s_wait_xcnt 0x0
	s_mul_i32 s1, s60, s59
	v_cndmask_b32_e32 v3, 0xffff, v1, vcc_lo
	v_cmp_o_f32_e32 vcc_lo, v4, v4
	s_mul_i32 s6, s61, s57
	s_mov_b32 s11, 0
	s_and_not1_b32 s17, s17, 31
	v_xor_b32_e32 v2, v3, v2
	s_add_co_i32 s10, s1, s35
	s_add_co_i32 s6, s6, s41
	s_mov_b32 s7, s11
	s_lshl_b64 s[8:9], s[10:11], 1
	v_cndmask_b32_e32 v4, 0xffff, v2, vcc_lo
	v_cmp_gt_u32_e32 vcc_lo, s17, v0
	s_lshl_b64 s[18:19], s[6:7], 3
	s_mov_b32 s0, -1
	s_add_nc_u64 s[6:7], s[42:43], s[8:9]
	s_add_nc_u64 s[8:9], s[44:45], s[18:19]
	s_mov_b32 s1, 0
	s_and_saveexec_b32 s10, vcc_lo
	s_cbranch_execnz .LBB117_444
; %bb.434:
	s_or_b32 exec_lo, exec_lo, s10
	s_and_saveexec_b32 s4, s0
	s_cbranch_execnz .LBB117_461
.LBB117_435:
	s_or_b32 exec_lo, exec_lo, s4
	s_and_saveexec_b32 s0, s1
	s_delay_alu instid0(SALU_CYCLE_1)
	s_xor_b32 s0, exec_lo, s0
	s_cbranch_execnz .LBB117_486
.LBB117_436:
	s_or_b32 exec_lo, exec_lo, s0
	s_delay_alu instid0(SALU_CYCLE_1)
	s_and_b32 s8, s11, exec_lo
.LBB117_437:
	s_and_not1_saveexec_b32 s0, s15
	s_cbranch_execnz .LBB117_488
.LBB117_438:
	s_or_b32 exec_lo, exec_lo, s0
	s_delay_alu instid0(SALU_CYCLE_1)
	s_and_b32 s8, s8, exec_lo
.LBB117_439:
	s_and_not1_saveexec_b32 s0, s14
	s_cbranch_execnz .LBB117_487
.LBB117_440:
	s_or_b32 exec_lo, exec_lo, s0
	s_delay_alu instid0(SALU_CYCLE_1)
	s_and_b32 s8, s8, exec_lo
.LBB117_441:
	s_and_not1_saveexec_b32 s0, s13
	s_cbranch_execnz .LBB117_482
.LBB117_442:
	s_or_b32 exec_lo, exec_lo, s0
	s_delay_alu instid0(SALU_CYCLE_1)
	s_and_b32 s8, s8, exec_lo
	s_and_not1_saveexec_b32 s0, s12
	s_cbranch_execz .LBB117_421
.LBB117_443:
	s_or_b32 s8, s8, exec_lo
	s_trap 2
	s_or_b32 exec_lo, exec_lo, s0
	s_and_saveexec_b32 s0, s8
	s_cbranch_execnz .LBB117_422
	s_branch .LBB117_423
.LBB117_444:
	v_dual_mov_b32 v3, 0 :: v_dual_add_nc_u32 v2, s40, v0
	s_mov_b32 s18, 0
                                        ; implicit-def: $sgpr19
                                        ; implicit-def: $vgpr9
	s_delay_alu instid0(VALU_DEP_1)
	v_mul_lo_u32 v6, s56, v2
	v_mov_b32_e32 v2, v0
	s_branch .LBB117_446
.LBB117_445:                            ;   in Loop: Header=BB117_446 Depth=1
	s_or_b32 exec_lo, exec_lo, s21
	s_xor_b32 s0, s20, -1
	s_and_b32 s1, exec_lo, s1
	s_wait_loadcnt 0x0
	v_dual_mov_b32 v2, v7 :: v_dual_mov_b32 v5, v8
	s_or_b32 s18, s1, s18
	s_and_not1_b32 s1, s19, exec_lo
	s_and_b32 s0, s0, exec_lo
	s_delay_alu instid0(SALU_CYCLE_1)
	s_or_b32 s19, s1, s0
	s_and_not1_b32 exec_lo, exec_lo, s18
	s_cbranch_execz .LBB117_460
.LBB117_446:                            ; =>This Inner Loop Header: Depth=1
	s_delay_alu instid0(VALU_DEP_1) | instskip(SKIP_1) | instid1(VALU_DEP_1)
	v_dual_mov_b32 v8, 0 :: v_dual_add_nc_u32 v7, s40, v2
	s_mov_b32 s1, exec_lo
	v_cmpx_gt_u32_e64 s36, v7
	s_cbranch_execz .LBB117_448
; %bb.447:                              ;   in Loop: Header=BB117_446 Depth=1
	v_readfirstlane_b32 s20, v10
	v_readfirstlane_b32 s21, v11
	global_load_u16 v8, v6, s[20:21] scale_offset
.LBB117_448:                            ;   in Loop: Header=BB117_446 Depth=1
	s_wait_xcnt 0x0
	s_or_b32 exec_lo, exec_lo, s1
	s_mov_b32 s20, 0
	s_mov_b32 s1, exec_lo
	v_cmpx_gt_u32_e64 s36, v2
	s_cbranch_execz .LBB117_450
; %bb.449:                              ;   in Loop: Header=BB117_446 Depth=1
	s_wait_loadcnt 0x0
	v_cmp_lt_i16_e64 s0, -1, v5
	v_and_b32_e32 v13, 0xffff, v5
	v_lshlrev_b32_e32 v17, 16, v5
	s_delay_alu instid0(VALU_DEP_3) | instskip(NEXT) | instid1(VALU_DEP_2)
	v_cndmask_b32_e64 v16, 0xffff, v1, s0
	v_cmp_o_f32_e64 s0, v17, v17
	s_delay_alu instid0(VALU_DEP_2) | instskip(NEXT) | instid1(VALU_DEP_1)
	v_xor_b32_e32 v13, v16, v13
	v_cndmask_b32_e64 v13, 0xffff, v13, s0
	s_delay_alu instid0(VALU_DEP_1) | instskip(NEXT) | instid1(VALU_DEP_1)
	v_cmp_gt_u32_e64 s0, v13, v4
	v_cndmask_b32_e64 v16, 0, 1, s0
	v_cmp_lt_u32_e64 s0, v13, v4
	s_delay_alu instid0(VALU_DEP_1) | instskip(NEXT) | instid1(VALU_DEP_1)
	v_cndmask_b32_e64 v13, 0, 1, s0
	v_cndmask_b32_e64 v13, v13, v16, s4
	s_delay_alu instid0(VALU_DEP_1) | instskip(NEXT) | instid1(VALU_DEP_1)
	v_and_b32_e32 v13, 1, v13
	v_cmp_eq_u32_e64 s0, 1, v13
	s_and_b32 s20, s0, exec_lo
.LBB117_450:                            ;   in Loop: Header=BB117_446 Depth=1
	s_or_b32 exec_lo, exec_lo, s1
	v_cndmask_b32_e64 v13, 0, 1, s20
	s_delay_alu instid0(VALU_DEP_1) | instskip(SKIP_2) | instid1(SALU_CYCLE_1)
	v_cmp_ne_u32_e64 s0, 0, v13
	s_cmp_lg_u32 s0, 0
	s_cselect_b32 s1, -1, 0
	s_and_b32 s1, s2, s1
	s_delay_alu instid0(SALU_CYCLE_1)
	s_and_saveexec_b32 s21, s1
	s_cbranch_execz .LBB117_454
; %bb.451:                              ;   in Loop: Header=BB117_446 Depth=1
	s_mov_b32 s24, exec_lo
	s_bcnt1_i32_b32 s22, s0
	s_wait_dscnt 0x0
	v_mbcnt_lo_u32_b32 v9, s24, 0
	s_mov_b32 s23, exec_lo
                                        ; implicit-def: $vgpr13
	s_delay_alu instid0(VALU_DEP_1)
	v_cmpx_eq_u32_e32 0, v9
; %bb.452:                              ;   in Loop: Header=BB117_446 Depth=1
	s_bcnt1_i32_b32 s1, s24
	s_delay_alu instid0(SALU_CYCLE_1) | instskip(NEXT) | instid1(SALU_CYCLE_1)
	s_mul_i32 s1, s22, s1
	v_mov_b32_e32 v13, s1
	ds_add_rtn_u32 v13, v3, v13 offset:4108
; %bb.453:                              ;   in Loop: Header=BB117_446 Depth=1
	s_or_b32 exec_lo, exec_lo, s23
	s_wait_dscnt 0x0
	v_readfirstlane_b32 s1, v13
	s_delay_alu instid0(VALU_DEP_1)
	v_mad_u32_u24 v9, s22, v9, s1
.LBB117_454:                            ;   in Loop: Header=BB117_446 Depth=1
	s_or_b32 exec_lo, exec_lo, s21
	s_wait_dscnt 0x0
	ds_bpermute_b32 v9, v3, v9
	s_mov_b32 s1, -1
	s_mov_b32 s22, -1
	s_and_saveexec_b32 s21, s20
	s_cbranch_execz .LBB117_458
; %bb.455:                              ;   in Loop: Header=BB117_446 Depth=1
	v_and_b32_e32 v13, s0, v12
	s_mov_b32 s20, 0
	s_mov_b32 s22, exec_lo
	s_wait_dscnt 0x0
	s_delay_alu instid0(VALU_DEP_1) | instskip(NEXT) | instid1(VALU_DEP_1)
	v_bcnt_u32_b32 v13, v13, v9
	v_cmpx_gt_u32_e64 s37, v13
	s_cbranch_execz .LBB117_457
; %bb.456:                              ;   in Loop: Header=BB117_446 Depth=1
	s_wait_kmcnt 0x0
	v_mul_lo_u32 v16, v13, s5
	v_mul_lo_u32 v13, v13, s16
	s_mov_b32 s20, exec_lo
	s_wait_loadcnt 0x0
	global_store_b16 v16, v5, s[6:7] scale_offset
	global_store_b64 v13, v[2:3], s[8:9] scale_offset
.LBB117_457:                            ;   in Loop: Header=BB117_446 Depth=1
	s_wait_xcnt 0x0
	s_or_b32 exec_lo, exec_lo, s22
	s_delay_alu instid0(SALU_CYCLE_1)
	s_or_not1_b32 s22, s20, exec_lo
.LBB117_458:                            ;   in Loop: Header=BB117_446 Depth=1
	s_or_b32 exec_lo, exec_lo, s21
	s_mov_b32 s20, -1
	s_and_saveexec_b32 s21, s22
	s_cbranch_execz .LBB117_445
; %bb.459:                              ;   in Loop: Header=BB117_446 Depth=1
	v_cmp_le_u32_e64 s0, s17, v7
	v_add_nc_u32_e32 v6, s58, v6
	s_xor_b32 s20, exec_lo, -1
	s_or_not1_b32 s1, s0, exec_lo
	s_branch .LBB117_445
.LBB117_460:
	s_or_b32 exec_lo, exec_lo, s18
	s_delay_alu instid0(SALU_CYCLE_1)
	s_mov_b32 s1, exec_lo
	s_or_not1_b32 s0, s19, exec_lo
	s_or_b32 exec_lo, exec_lo, s10
	s_and_saveexec_b32 s4, s0
	s_cbranch_execz .LBB117_435
.LBB117_461:
	v_mov_b32_e32 v8, 0
	s_wait_storecnt 0x0
	s_wait_loadcnt_dscnt 0x0
	s_barrier_signal -1
	s_barrier_wait -1
	s_and_saveexec_b32 s0, s3
	s_cbranch_execz .LBB117_463
; %bb.462:
	global_load_u16 v8, v[14:15], off
.LBB117_463:
	s_wait_xcnt 0x0
	s_or_b32 exec_lo, exec_lo, s0
	s_mov_b32 s0, 0
	s_and_saveexec_b32 s3, vcc_lo
	s_cbranch_execz .LBB117_485
; %bb.464:
	v_add_nc_u32_e32 v1, s40, v0
	v_mov_b32_e32 v3, 0x8000
	s_mov_b32 s10, 0
                                        ; implicit-def: $sgpr11
                                        ; implicit-def: $vgpr7
	s_delay_alu instid0(VALU_DEP_2)
	v_mul_lo_u32 v2, s56, v1
	v_mov_b32_e32 v1, 0
	s_branch .LBB117_467
.LBB117_465:                            ;   in Loop: Header=BB117_467 Depth=1
	s_or_b32 exec_lo, exec_lo, s20
	s_delay_alu instid0(SALU_CYCLE_1)
	s_or_not1_b32 s20, s18, exec_lo
	s_or_not1_b32 s19, s19, exec_lo
.LBB117_466:                            ;   in Loop: Header=BB117_467 Depth=1
	s_or_b32 exec_lo, exec_lo, s0
	s_xor_b32 s0, s20, -1
	s_and_b32 s18, exec_lo, s19
	s_wait_loadcnt 0x0
	v_dual_mov_b32 v0, v5 :: v_dual_mov_b32 v8, v6
	s_or_b32 s10, s18, s10
	s_and_not1_b32 s11, s11, exec_lo
	s_and_b32 s0, s0, exec_lo
	s_delay_alu instid0(SALU_CYCLE_1)
	s_or_b32 s11, s11, s0
	s_and_not1_b32 exec_lo, exec_lo, s10
	s_cbranch_execz .LBB117_483
.LBB117_467:                            ; =>This Inner Loop Header: Depth=1
	v_dual_mov_b32 v6, 0 :: v_dual_add_nc_u32 v5, s40, v0
	s_mov_b32 s0, exec_lo
	s_delay_alu instid0(VALU_DEP_1)
	v_cmpx_gt_u32_e64 s36, v5
	s_cbranch_execz .LBB117_469
; %bb.468:                              ;   in Loop: Header=BB117_467 Depth=1
	v_readfirstlane_b32 s18, v10
	v_readfirstlane_b32 s19, v11
	global_load_u16 v6, v2, s[18:19] scale_offset
.LBB117_469:                            ;   in Loop: Header=BB117_467 Depth=1
	s_wait_xcnt 0x0
	s_or_b32 exec_lo, exec_lo, s0
	s_mov_b32 s18, 0
	s_mov_b32 s0, exec_lo
	v_cmpx_gt_u32_e64 s36, v0
	s_cbranch_execz .LBB117_471
; %bb.470:                              ;   in Loop: Header=BB117_467 Depth=1
	s_wait_loadcnt 0x0
	v_cmp_lt_i16_e32 vcc_lo, -1, v8
	v_and_b32_e32 v9, 0xffff, v8
	v_dual_cndmask_b32 v13, 0xffff, v3 :: v_dual_lshlrev_b32 v14, 16, v8
	s_delay_alu instid0(VALU_DEP_1) | instskip(NEXT) | instid1(VALU_DEP_2)
	v_cmp_o_f32_e32 vcc_lo, v14, v14
	v_xor_b32_e32 v9, v13, v9
	s_delay_alu instid0(VALU_DEP_1) | instskip(NEXT) | instid1(VALU_DEP_1)
	v_cndmask_b32_e32 v9, 0xffff, v9, vcc_lo
	v_cmp_eq_u32_e32 vcc_lo, v9, v4
	s_and_b32 s18, vcc_lo, exec_lo
.LBB117_471:                            ;   in Loop: Header=BB117_467 Depth=1
	s_or_b32 exec_lo, exec_lo, s0
	v_cndmask_b32_e64 v9, 0, 1, s18
	s_delay_alu instid0(VALU_DEP_1) | instskip(SKIP_2) | instid1(SALU_CYCLE_1)
	v_cmp_ne_u32_e32 vcc_lo, 0, v9
	s_cmp_lg_u32 vcc_lo, 0
	s_cselect_b32 s0, -1, 0
	s_and_b32 s0, s2, s0
	s_delay_alu instid0(SALU_CYCLE_1)
	s_and_saveexec_b32 s19, s0
	s_cbranch_execz .LBB117_475
; %bb.472:                              ;   in Loop: Header=BB117_467 Depth=1
	s_mov_b32 s22, exec_lo
	s_bcnt1_i32_b32 s20, vcc_lo
	v_mbcnt_lo_u32_b32 v7, s22, 0
	s_mov_b32 s21, exec_lo
                                        ; implicit-def: $vgpr9
	s_delay_alu instid0(VALU_DEP_1)
	v_cmpx_eq_u32_e32 0, v7
; %bb.473:                              ;   in Loop: Header=BB117_467 Depth=1
	s_bcnt1_i32_b32 s0, s22
	s_delay_alu instid0(SALU_CYCLE_1) | instskip(NEXT) | instid1(SALU_CYCLE_1)
	s_mul_i32 s0, s20, s0
	v_mov_b32_e32 v9, s0
	ds_add_rtn_u32 v9, v1, v9 offset:4108
; %bb.474:                              ;   in Loop: Header=BB117_467 Depth=1
	s_or_b32 exec_lo, exec_lo, s21
	s_wait_dscnt 0x0
	v_readfirstlane_b32 s0, v9
	s_delay_alu instid0(VALU_DEP_1)
	v_mad_u32_u24 v7, s20, v7, s0
.LBB117_475:                            ;   in Loop: Header=BB117_467 Depth=1
	s_or_b32 exec_lo, exec_lo, s19
	ds_bpermute_b32 v7, v1, v7
	s_cmp_eq_u32 vcc_lo, 0
	s_mov_b32 s19, -1
	s_cselect_b32 s20, -1, 0
	s_wait_dscnt 0x0
	v_cmp_gt_u32_e64 s0, s37, v7
	s_or_b32 s21, s20, s0
	s_mov_b32 s20, -1
	s_and_saveexec_b32 s0, s21
	s_cbranch_execz .LBB117_466
; %bb.476:                              ;   in Loop: Header=BB117_467 Depth=1
	v_dual_sub_nc_u32 v13, s37, v7 :: v_dual_bitop2_b32 v9, vcc_lo, v12 bitop3:0x40
	s_mov_b32 s21, -1
	s_delay_alu instid0(VALU_DEP_1) | instskip(NEXT) | instid1(VALU_DEP_1)
	v_bcnt_u32_b32 v9, v9, 0
	v_bcnt_u32_b32 v9, 0, v9
	s_delay_alu instid0(VALU_DEP_1)
	v_cmp_gt_u32_e32 vcc_lo, v13, v9
	s_and_b32 s22, s18, vcc_lo
	s_mov_b32 s18, -1
	s_and_saveexec_b32 s20, s22
	s_cbranch_execz .LBB117_480
; %bb.477:                              ;   in Loop: Header=BB117_467 Depth=1
	v_add_nc_u32_e32 v9, v7, v9
	s_mov_b32 s21, 0
	s_mov_b32 s18, exec_lo
	s_delay_alu instid0(VALU_DEP_1)
	v_cmpx_gt_u32_e64 s37, v9
	s_cbranch_execz .LBB117_479
; %bb.478:                              ;   in Loop: Header=BB117_467 Depth=1
	s_wait_kmcnt 0x0
	v_mul_lo_u32 v13, v9, s5
	v_mul_lo_u32 v9, v9, s16
	s_mov_b32 s21, exec_lo
	s_wait_loadcnt 0x0
	global_store_b16 v13, v8, s[6:7] scale_offset
	global_store_b64 v9, v[0:1], s[8:9] scale_offset
.LBB117_479:                            ;   in Loop: Header=BB117_467 Depth=1
	s_wait_xcnt 0x0
	s_or_b32 exec_lo, exec_lo, s18
	s_delay_alu instid0(SALU_CYCLE_1)
	s_xor_b32 s18, exec_lo, -1
	s_or_not1_b32 s21, s21, exec_lo
.LBB117_480:                            ;   in Loop: Header=BB117_467 Depth=1
	s_or_b32 exec_lo, exec_lo, s20
	s_and_saveexec_b32 s20, s21
	s_cbranch_execz .LBB117_465
; %bb.481:                              ;   in Loop: Header=BB117_467 Depth=1
	v_cmp_le_u32_e32 vcc_lo, s17, v5
	v_add_nc_u32_e32 v2, s58, v2
	s_or_b32 s18, s18, exec_lo
	s_or_not1_b32 s19, vcc_lo, exec_lo
	s_branch .LBB117_465
.LBB117_482:
	s_or_b32 s8, s8, exec_lo
	s_trap 2
	s_branch .LBB117_442
.LBB117_483:
	s_or_b32 exec_lo, exec_lo, s10
	s_mov_b32 s0, 0
	s_and_saveexec_b32 s2, s11
	s_delay_alu instid0(SALU_CYCLE_1)
	s_xor_b32 s2, exec_lo, s2
	s_cbranch_execnz .LBB117_489
.LBB117_484:
	s_or_b32 exec_lo, exec_lo, s2
	s_delay_alu instid0(SALU_CYCLE_1)
	s_and_b32 s0, s0, exec_lo
.LBB117_485:
	s_or_b32 exec_lo, exec_lo, s3
	s_delay_alu instid0(SALU_CYCLE_1) | instskip(SKIP_3) | instid1(SALU_CYCLE_1)
	s_and_b32 s11, s0, exec_lo
	s_and_not1_b32 s1, s1, exec_lo
	s_or_b32 exec_lo, exec_lo, s4
	s_and_saveexec_b32 s0, s1
	s_xor_b32 s0, exec_lo, s0
	s_cbranch_execz .LBB117_436
.LBB117_486:
	s_or_b32 s11, s11, exec_lo
	s_trap 2
	s_branch .LBB117_436
.LBB117_487:
	s_or_b32 s8, s8, exec_lo
	s_trap 2
	s_branch .LBB117_440
.LBB117_488:
	s_or_b32 s8, s8, exec_lo
	s_trap 2
	s_branch .LBB117_438
.LBB117_489:
	s_mov_b32 s0, exec_lo
	s_trap 2
	s_branch .LBB117_484
	.section	.rodata,"a",@progbits
	.p2align	6, 0x0
	.amdhsa_kernel _ZN2at6native6sbtopk10gatherTopKIN3c108BFloat16EjLin1ELb0EEEvNS_4cuda6detail10TensorInfoIKT_T0_EESA_SA_bSA_SA_NS7_IS8_SA_EESA_NS7_IlSA_EESA_PS8_
		.amdhsa_group_segment_fixed_size 4112
		.amdhsa_private_segment_fixed_size 0
		.amdhsa_kernarg_size 952
		.amdhsa_user_sgpr_count 2
		.amdhsa_user_sgpr_dispatch_ptr 0
		.amdhsa_user_sgpr_queue_ptr 0
		.amdhsa_user_sgpr_kernarg_segment_ptr 1
		.amdhsa_user_sgpr_dispatch_id 0
		.amdhsa_user_sgpr_kernarg_preload_length 0
		.amdhsa_user_sgpr_kernarg_preload_offset 0
		.amdhsa_user_sgpr_private_segment_size 0
		.amdhsa_wavefront_size32 1
		.amdhsa_uses_dynamic_stack 0
		.amdhsa_enable_private_segment 0
		.amdhsa_system_sgpr_workgroup_id_x 1
		.amdhsa_system_sgpr_workgroup_id_y 1
		.amdhsa_system_sgpr_workgroup_id_z 1
		.amdhsa_system_sgpr_workgroup_info 0
		.amdhsa_system_vgpr_workitem_id 0
		.amdhsa_next_free_vgpr 71
		.amdhsa_next_free_sgpr 105
		.amdhsa_named_barrier_count 0
		.amdhsa_reserve_vcc 1
		.amdhsa_float_round_mode_32 0
		.amdhsa_float_round_mode_16_64 0
		.amdhsa_float_denorm_mode_32 3
		.amdhsa_float_denorm_mode_16_64 3
		.amdhsa_fp16_overflow 0
		.amdhsa_memory_ordered 1
		.amdhsa_forward_progress 1
		.amdhsa_inst_pref_size 145
		.amdhsa_round_robin_scheduling 0
		.amdhsa_exception_fp_ieee_invalid_op 0
		.amdhsa_exception_fp_denorm_src 0
		.amdhsa_exception_fp_ieee_div_zero 0
		.amdhsa_exception_fp_ieee_overflow 0
		.amdhsa_exception_fp_ieee_underflow 0
		.amdhsa_exception_fp_ieee_inexact 0
		.amdhsa_exception_int_div_zero 0
	.end_amdhsa_kernel
	.section	.text._ZN2at6native6sbtopk10gatherTopKIN3c108BFloat16EjLin1ELb0EEEvNS_4cuda6detail10TensorInfoIKT_T0_EESA_SA_bSA_SA_NS7_IS8_SA_EESA_NS7_IlSA_EESA_PS8_,"axG",@progbits,_ZN2at6native6sbtopk10gatherTopKIN3c108BFloat16EjLin1ELb0EEEvNS_4cuda6detail10TensorInfoIKT_T0_EESA_SA_bSA_SA_NS7_IS8_SA_EESA_NS7_IlSA_EESA_PS8_,comdat
.Lfunc_end117:
	.size	_ZN2at6native6sbtopk10gatherTopKIN3c108BFloat16EjLin1ELb0EEEvNS_4cuda6detail10TensorInfoIKT_T0_EESA_SA_bSA_SA_NS7_IS8_SA_EESA_NS7_IlSA_EESA_PS8_, .Lfunc_end117-_ZN2at6native6sbtopk10gatherTopKIN3c108BFloat16EjLin1ELb0EEEvNS_4cuda6detail10TensorInfoIKT_T0_EESA_SA_bSA_SA_NS7_IS8_SA_EESA_NS7_IlSA_EESA_PS8_
                                        ; -- End function
	.set _ZN2at6native6sbtopk10gatherTopKIN3c108BFloat16EjLin1ELb0EEEvNS_4cuda6detail10TensorInfoIKT_T0_EESA_SA_bSA_SA_NS7_IS8_SA_EESA_NS7_IlSA_EESA_PS8_.num_vgpr, 71
	.set _ZN2at6native6sbtopk10gatherTopKIN3c108BFloat16EjLin1ELb0EEEvNS_4cuda6detail10TensorInfoIKT_T0_EESA_SA_bSA_SA_NS7_IS8_SA_EESA_NS7_IlSA_EESA_PS8_.num_agpr, 0
	.set _ZN2at6native6sbtopk10gatherTopKIN3c108BFloat16EjLin1ELb0EEEvNS_4cuda6detail10TensorInfoIKT_T0_EESA_SA_bSA_SA_NS7_IS8_SA_EESA_NS7_IlSA_EESA_PS8_.numbered_sgpr, 105
	.set _ZN2at6native6sbtopk10gatherTopKIN3c108BFloat16EjLin1ELb0EEEvNS_4cuda6detail10TensorInfoIKT_T0_EESA_SA_bSA_SA_NS7_IS8_SA_EESA_NS7_IlSA_EESA_PS8_.num_named_barrier, 0
	.set _ZN2at6native6sbtopk10gatherTopKIN3c108BFloat16EjLin1ELb0EEEvNS_4cuda6detail10TensorInfoIKT_T0_EESA_SA_bSA_SA_NS7_IS8_SA_EESA_NS7_IlSA_EESA_PS8_.private_seg_size, 0
	.set _ZN2at6native6sbtopk10gatherTopKIN3c108BFloat16EjLin1ELb0EEEvNS_4cuda6detail10TensorInfoIKT_T0_EESA_SA_bSA_SA_NS7_IS8_SA_EESA_NS7_IlSA_EESA_PS8_.uses_vcc, 1
	.set _ZN2at6native6sbtopk10gatherTopKIN3c108BFloat16EjLin1ELb0EEEvNS_4cuda6detail10TensorInfoIKT_T0_EESA_SA_bSA_SA_NS7_IS8_SA_EESA_NS7_IlSA_EESA_PS8_.uses_flat_scratch, 0
	.set _ZN2at6native6sbtopk10gatherTopKIN3c108BFloat16EjLin1ELb0EEEvNS_4cuda6detail10TensorInfoIKT_T0_EESA_SA_bSA_SA_NS7_IS8_SA_EESA_NS7_IlSA_EESA_PS8_.has_dyn_sized_stack, 0
	.set _ZN2at6native6sbtopk10gatherTopKIN3c108BFloat16EjLin1ELb0EEEvNS_4cuda6detail10TensorInfoIKT_T0_EESA_SA_bSA_SA_NS7_IS8_SA_EESA_NS7_IlSA_EESA_PS8_.has_recursion, 0
	.set _ZN2at6native6sbtopk10gatherTopKIN3c108BFloat16EjLin1ELb0EEEvNS_4cuda6detail10TensorInfoIKT_T0_EESA_SA_bSA_SA_NS7_IS8_SA_EESA_NS7_IlSA_EESA_PS8_.has_indirect_call, 0
	.section	.AMDGPU.csdata,"",@progbits
; Kernel info:
; codeLenInByte = 18528
; TotalNumSgprs: 107
; NumVgprs: 71
; ScratchSize: 0
; MemoryBound: 0
; FloatMode: 240
; IeeeMode: 1
; LDSByteSize: 4112 bytes/workgroup (compile time only)
; SGPRBlocks: 0
; VGPRBlocks: 4
; NumSGPRsForWavesPerEU: 107
; NumVGPRsForWavesPerEU: 71
; NamedBarCnt: 0
; Occupancy: 12
; WaveLimiterHint : 1
; COMPUTE_PGM_RSRC2:SCRATCH_EN: 0
; COMPUTE_PGM_RSRC2:USER_SGPR: 2
; COMPUTE_PGM_RSRC2:TRAP_HANDLER: 0
; COMPUTE_PGM_RSRC2:TGID_X_EN: 1
; COMPUTE_PGM_RSRC2:TGID_Y_EN: 1
; COMPUTE_PGM_RSRC2:TGID_Z_EN: 1
; COMPUTE_PGM_RSRC2:TIDIG_COMP_CNT: 0
	.section	.text._ZN2at6native6mbtopk23computeBlockDigitCountsIhmjLi1EEEvNS_4cuda6detail10TensorInfoIKT_T0_EEjPjjS8_iijT1_PSB_Ps,"axG",@progbits,_ZN2at6native6mbtopk23computeBlockDigitCountsIhmjLi1EEEvNS_4cuda6detail10TensorInfoIKT_T0_EEjPjjS8_iijT1_PSB_Ps,comdat
	.protected	_ZN2at6native6mbtopk23computeBlockDigitCountsIhmjLi1EEEvNS_4cuda6detail10TensorInfoIKT_T0_EEjPjjS8_iijT1_PSB_Ps ; -- Begin function _ZN2at6native6mbtopk23computeBlockDigitCountsIhmjLi1EEEvNS_4cuda6detail10TensorInfoIKT_T0_EEjPjjS8_iijT1_PSB_Ps
	.globl	_ZN2at6native6mbtopk23computeBlockDigitCountsIhmjLi1EEEvNS_4cuda6detail10TensorInfoIKT_T0_EEjPjjS8_iijT1_PSB_Ps
	.p2align	8
	.type	_ZN2at6native6mbtopk23computeBlockDigitCountsIhmjLi1EEEvNS_4cuda6detail10TensorInfoIKT_T0_EEjPjjS8_iijT1_PSB_Ps,@function
_ZN2at6native6mbtopk23computeBlockDigitCountsIhmjLi1EEEvNS_4cuda6detail10TensorInfoIKT_T0_EEjPjjS8_iijT1_PSB_Ps: ; @_ZN2at6native6mbtopk23computeBlockDigitCountsIhmjLi1EEEvNS_4cuda6detail10TensorInfoIKT_T0_EEjPjjS8_iijT1_PSB_Ps
; %bb.0:
	s_load_b128 s[4:7], s[0:1], 0x1c0
	s_bfe_u32 s2, ttmp6, 0x40010
	s_and_b32 s8, ttmp7, 0xffff
	s_add_co_i32 s9, s2, 1
	s_bfe_u32 s10, ttmp6, 0x40004
	s_mul_i32 s9, s8, s9
	s_load_b64 s[2:3], s[0:1], 0x1e0
	s_add_co_i32 s10, s10, s9
	s_bfe_u32 s11, ttmp6, 0x4000c
	s_bfe_u32 s13, ttmp6, 0x40014
	s_add_co_i32 s11, s11, 1
	s_and_b32 s12, ttmp6, 15
	s_mul_i32 s11, ttmp9, s11
	s_add_co_i32 s13, s13, 1
	s_add_co_i32 s12, s12, s11
	s_getreg_b32 s14, hwreg(HW_REG_IB_STS2, 6, 4)
	s_wait_kmcnt 0x0
	s_cvt_f32_u32 s9, s6
	s_delay_alu instid0(SALU_CYCLE_3) | instskip(SKIP_1) | instid1(SALU_CYCLE_1)
	v_rcp_iflag_f32_e32 v1, s9
	s_lshr_b32 s9, ttmp7, 16
	s_mul_i32 s11, s9, s13
	s_bfe_u32 s13, ttmp6, 0x40008
	s_delay_alu instid0(SALU_CYCLE_1) | instskip(SKIP_1) | instid1(TRANS32_DEP_1)
	s_add_co_i32 s13, s13, s11
	v_nop
	v_readfirstlane_b32 s15, v1
	s_cmp_eq_u32 s14, 0
	s_cselect_b32 s9, s9, s13
	s_load_b32 s13, s[0:1], 0x1b0
	s_mul_f32 s11, s15, 0x4f7ffffe
	s_mul_i32 s3, s3, s9
	s_cselect_b32 s9, ttmp9, s12
	s_cselect_b32 s8, s8, s10
	s_cvt_u32_f32 s11, s11
	s_sub_co_i32 s10, 0, s6
	s_add_co_i32 s3, s3, s8
	s_mov_b32 s15, 0
	s_mul_i32 s10, s10, s11
	s_mul_i32 s16, s3, s2
	s_mul_hi_u32 s2, s11, s10
	s_add_co_i32 s16, s16, s9
	s_add_co_i32 s11, s11, s2
	s_delay_alu instid0(SALU_CYCLE_1) | instskip(NEXT) | instid1(SALU_CYCLE_1)
	s_mul_hi_u32 s2, s16, s11
	s_mul_i32 s3, s2, s6
	s_add_co_i32 s8, s2, 1
	s_sub_co_i32 s3, s16, s3
	s_delay_alu instid0(SALU_CYCLE_1)
	s_sub_co_i32 s9, s3, s6
	s_cmp_ge_u32 s3, s6
	s_cselect_b32 s2, s8, s2
	s_cselect_b32 s3, s9, s3
	s_add_co_i32 s8, s2, 1
	s_cmp_ge_u32 s3, s6
	s_cselect_b32 s14, s8, s2
	s_wait_kmcnt 0x0
	s_cmp_ge_u32 s14, s13
	s_cbranch_scc1 .LBB118_27
; %bb.1:
	v_cmp_gt_u32_e32 vcc_lo, 0x100, v0
	v_lshlrev_b32_e32 v1, 2, v0
	s_and_saveexec_b32 s2, vcc_lo
; %bb.2:
	v_mov_b32_e32 v2, 0
	ds_store_b32 v1, v2
; %bb.3:
	s_or_b32 exec_lo, exec_lo, s2
	s_clause 0x1
	s_load_b32 s17, s[0:1], 0x1a0
	s_load_b128 s[8:11], s[0:1], 0x1d0
	s_mul_i32 s2, s14, s6
	s_mov_b32 s13, 0
	s_sub_co_i32 s19, s16, s2
	s_wait_dscnt 0x0
	s_mul_i32 s2, s5, s19
	s_add_co_i32 s19, s19, 1
	s_lshl_b32 s18, s2, 8
	s_barrier_signal -1
	s_barrier_wait -1
	s_wait_kmcnt 0x0
	s_sub_co_i32 s12, s17, s18
	s_delay_alu instid0(SALU_CYCLE_1) | instskip(NEXT) | instid1(SALU_CYCLE_1)
	s_add_nc_u64 s[2:3], s[12:13], 0xff
	s_lshr_b64 s[2:3], s[2:3], 8
	s_cmp_lt_u32 s19, s6
	s_cselect_b32 s12, s5, s2
	s_delay_alu instid0(SALU_CYCLE_1)
	s_cmp_lt_i32 s12, 1
	s_cbranch_scc1 .LBB118_25
; %bb.4:
	s_clause 0x2
	s_load_b64 s[20:21], s[0:1], 0xd0
	s_load_b64 s[2:3], s[0:1], 0x1b8
	;; [unrolled: 1-line block ×3, first 2 shown]
	s_load_b32 s6, s[8:9], s14 offset:0x0 scale_offset
	s_wait_xcnt 0x0
	s_and_b32 s1, s4, 0xff
	s_cmp_lt_u32 s12, 4
	s_wait_kmcnt 0x0
	s_mul_u64 s[8:9], s[20:21], s[14:15]
	s_delay_alu instid0(SALU_CYCLE_1)
	s_add_nc_u64 s[4:5], s[22:23], s[8:9]
	s_cbranch_scc1 .LBB118_19
; %bb.5:
	v_dual_mov_b32 v3, 1 :: v_dual_add_nc_u32 v2, s18, v0
	s_and_b32 s13, s12, 0x7ffffffc
	s_mov_b32 s8, 0
	s_branch .LBB118_7
.LBB118_6:                              ;   in Loop: Header=BB118_7 Depth=1
	s_or_b32 exec_lo, exec_lo, s9
	v_add_nc_u32_e32 v2, 0x400, v2
	s_add_co_i32 s8, s8, 4
	s_delay_alu instid0(SALU_CYCLE_1)
	s_cmp_eq_u32 s13, s8
	s_cbranch_scc1 .LBB118_19
.LBB118_7:                              ; =>This Inner Loop Header: Depth=1
	s_mov_b32 s9, exec_lo
	v_cmpx_gt_u32_e64 s17, v2
	s_cbranch_execz .LBB118_10
; %bb.8:                                ;   in Loop: Header=BB118_7 Depth=1
	v_mad_nc_u64_u32 v[4:5], s2, v2, s[4:5]
	s_delay_alu instid0(VALU_DEP_1) | instskip(SKIP_4) | instid1(VALU_DEP_1)
	v_mad_u32 v5, s3, v2, v5
	global_load_u8 v4, v[4:5], off
	s_wait_loadcnt 0x0
	s_wait_xcnt 0x0
	v_bitop3_b32 v5, s6, s7, v4 bitop3:0x48
	v_cmp_eq_u32_e64 s0, 0, v5
	s_and_b32 exec_lo, exec_lo, s0
; %bb.9:                                ;   in Loop: Header=BB118_7 Depth=1
	v_lshrrev_b32_e32 v4, s1, v4
	s_delay_alu instid0(VALU_DEP_1)
	v_lshlrev_b32_e32 v4, 2, v4
	ds_add_u32 v4, v3
.LBB118_10:                             ;   in Loop: Header=BB118_7 Depth=1
	s_or_b32 exec_lo, exec_lo, s9
	v_add_nc_u32_e32 v4, 0x100, v2
	s_mov_b32 s9, exec_lo
	s_delay_alu instid0(VALU_DEP_1)
	v_cmpx_gt_u32_e64 s17, v4
	s_cbranch_execz .LBB118_13
; %bb.11:                               ;   in Loop: Header=BB118_7 Depth=1
	v_mad_nc_u64_u32 v[6:7], s2, v4, s[4:5]
	s_delay_alu instid0(VALU_DEP_1) | instskip(SKIP_3) | instid1(VALU_DEP_1)
	v_mad_u32 v7, s3, v4, v7
	global_load_u8 v4, v[6:7], off
	s_wait_loadcnt 0x0
	v_bitop3_b32 v5, s6, s7, v4 bitop3:0x48
	v_cmp_eq_u32_e64 s0, 0, v5
	s_and_b32 exec_lo, exec_lo, s0
; %bb.12:                               ;   in Loop: Header=BB118_7 Depth=1
	v_lshrrev_b32_e32 v4, s1, v4
	s_delay_alu instid0(VALU_DEP_1)
	v_lshlrev_b32_e32 v4, 2, v4
	ds_add_u32 v4, v3
.LBB118_13:                             ;   in Loop: Header=BB118_7 Depth=1
	s_or_b32 exec_lo, exec_lo, s9
	v_add_nc_u32_e32 v4, 0x200, v2
	s_mov_b32 s9, exec_lo
	s_delay_alu instid0(VALU_DEP_1)
	v_cmpx_gt_u32_e64 s17, v4
	s_cbranch_execz .LBB118_16
; %bb.14:                               ;   in Loop: Header=BB118_7 Depth=1
	v_mad_nc_u64_u32 v[6:7], s2, v4, s[4:5]
	s_delay_alu instid0(VALU_DEP_1) | instskip(SKIP_3) | instid1(VALU_DEP_1)
	v_mad_u32 v7, s3, v4, v7
	global_load_u8 v4, v[6:7], off
	s_wait_loadcnt 0x0
	v_bitop3_b32 v5, s6, s7, v4 bitop3:0x48
	v_cmp_eq_u32_e64 s0, 0, v5
	s_and_b32 exec_lo, exec_lo, s0
; %bb.15:                               ;   in Loop: Header=BB118_7 Depth=1
	v_lshrrev_b32_e32 v4, s1, v4
	s_delay_alu instid0(VALU_DEP_1)
	v_lshlrev_b32_e32 v4, 2, v4
	ds_add_u32 v4, v3
.LBB118_16:                             ;   in Loop: Header=BB118_7 Depth=1
	s_or_b32 exec_lo, exec_lo, s9
	v_add_nc_u32_e32 v4, 0x300, v2
	s_mov_b32 s9, exec_lo
	s_delay_alu instid0(VALU_DEP_1)
	v_cmpx_gt_u32_e64 s17, v4
	s_cbranch_execz .LBB118_6
; %bb.17:                               ;   in Loop: Header=BB118_7 Depth=1
	v_mad_nc_u64_u32 v[6:7], s2, v4, s[4:5]
	s_delay_alu instid0(VALU_DEP_1) | instskip(SKIP_3) | instid1(VALU_DEP_1)
	v_mad_u32 v7, s3, v4, v7
	global_load_u8 v4, v[6:7], off
	s_wait_loadcnt 0x0
	v_bitop3_b32 v5, s6, s7, v4 bitop3:0x48
	v_cmp_eq_u32_e64 s0, 0, v5
	s_and_b32 exec_lo, exec_lo, s0
	s_cbranch_execz .LBB118_6
; %bb.18:                               ;   in Loop: Header=BB118_7 Depth=1
	v_lshrrev_b32_e32 v4, s1, v4
	s_delay_alu instid0(VALU_DEP_1)
	v_lshlrev_b32_e32 v4, 2, v4
	ds_add_u32 v4, v3
	s_branch .LBB118_6
.LBB118_19:
	s_and_b32 s8, s12, 3
	s_delay_alu instid0(SALU_CYCLE_1)
	s_cmp_eq_u32 s8, 0
	s_cbranch_scc1 .LBB118_25
; %bb.20:
	s_lshl_b32 s0, s13, 8
	v_mov_b32_e32 v3, 1
	v_add3_u32 v2, s0, s18, v0
	s_branch .LBB118_22
.LBB118_21:                             ;   in Loop: Header=BB118_22 Depth=1
	s_or_b32 exec_lo, exec_lo, s9
	v_add_nc_u32_e32 v2, 0x100, v2
	s_add_co_i32 s8, s8, -1
	s_delay_alu instid0(SALU_CYCLE_1)
	s_cmp_lg_u32 s8, 0
	s_cbranch_scc0 .LBB118_25
.LBB118_22:                             ; =>This Inner Loop Header: Depth=1
	s_mov_b32 s9, exec_lo
	s_delay_alu instid0(VALU_DEP_1)
	v_cmpx_gt_u32_e64 s17, v2
	s_cbranch_execz .LBB118_21
; %bb.23:                               ;   in Loop: Header=BB118_22 Depth=1
	v_mad_nc_u64_u32 v[4:5], s2, v2, s[4:5]
	s_delay_alu instid0(VALU_DEP_1) | instskip(SKIP_3) | instid1(VALU_DEP_1)
	v_mad_u32 v5, s3, v2, v5
	global_load_u8 v4, v[4:5], off
	s_wait_loadcnt 0x0
	v_bitop3_b32 v5, s6, s7, v4 bitop3:0x48
	v_cmp_eq_u32_e64 s0, 0, v5
	s_and_b32 exec_lo, exec_lo, s0
	s_cbranch_execz .LBB118_21
; %bb.24:                               ;   in Loop: Header=BB118_22 Depth=1
	v_lshrrev_b32_e32 v4, s1, v4
	s_delay_alu instid0(VALU_DEP_1)
	v_lshlrev_b32_e32 v4, 2, v4
	ds_add_u32 v4, v3
	s_branch .LBB118_21
.LBB118_25:
	s_wait_dscnt 0x0
	s_barrier_signal -1
	s_barrier_wait -1
	s_and_saveexec_b32 s0, vcc_lo
	s_cbranch_execz .LBB118_27
; %bb.26:
	ds_load_b32 v1, v1
	v_lshl_or_b32 v0, s16, 8, v0
	s_wait_dscnt 0x0
	global_store_b16 v0, v1, s[10:11] scale_offset
.LBB118_27:
	s_endpgm
	.section	.rodata,"a",@progbits
	.p2align	6, 0x0
	.amdhsa_kernel _ZN2at6native6mbtopk23computeBlockDigitCountsIhmjLi1EEEvNS_4cuda6detail10TensorInfoIKT_T0_EEjPjjS8_iijT1_PSB_Ps
		.amdhsa_group_segment_fixed_size 1024
		.amdhsa_private_segment_fixed_size 0
		.amdhsa_kernarg_size 736
		.amdhsa_user_sgpr_count 2
		.amdhsa_user_sgpr_dispatch_ptr 0
		.amdhsa_user_sgpr_queue_ptr 0
		.amdhsa_user_sgpr_kernarg_segment_ptr 1
		.amdhsa_user_sgpr_dispatch_id 0
		.amdhsa_user_sgpr_kernarg_preload_length 0
		.amdhsa_user_sgpr_kernarg_preload_offset 0
		.amdhsa_user_sgpr_private_segment_size 0
		.amdhsa_wavefront_size32 1
		.amdhsa_uses_dynamic_stack 0
		.amdhsa_enable_private_segment 0
		.amdhsa_system_sgpr_workgroup_id_x 1
		.amdhsa_system_sgpr_workgroup_id_y 1
		.amdhsa_system_sgpr_workgroup_id_z 1
		.amdhsa_system_sgpr_workgroup_info 0
		.amdhsa_system_vgpr_workitem_id 0
		.amdhsa_next_free_vgpr 8
		.amdhsa_next_free_sgpr 24
		.amdhsa_named_barrier_count 0
		.amdhsa_reserve_vcc 1
		.amdhsa_float_round_mode_32 0
		.amdhsa_float_round_mode_16_64 0
		.amdhsa_float_denorm_mode_32 3
		.amdhsa_float_denorm_mode_16_64 3
		.amdhsa_fp16_overflow 0
		.amdhsa_memory_ordered 1
		.amdhsa_forward_progress 1
		.amdhsa_inst_pref_size 10
		.amdhsa_round_robin_scheduling 0
		.amdhsa_exception_fp_ieee_invalid_op 0
		.amdhsa_exception_fp_denorm_src 0
		.amdhsa_exception_fp_ieee_div_zero 0
		.amdhsa_exception_fp_ieee_overflow 0
		.amdhsa_exception_fp_ieee_underflow 0
		.amdhsa_exception_fp_ieee_inexact 0
		.amdhsa_exception_int_div_zero 0
	.end_amdhsa_kernel
	.section	.text._ZN2at6native6mbtopk23computeBlockDigitCountsIhmjLi1EEEvNS_4cuda6detail10TensorInfoIKT_T0_EEjPjjS8_iijT1_PSB_Ps,"axG",@progbits,_ZN2at6native6mbtopk23computeBlockDigitCountsIhmjLi1EEEvNS_4cuda6detail10TensorInfoIKT_T0_EEjPjjS8_iijT1_PSB_Ps,comdat
.Lfunc_end118:
	.size	_ZN2at6native6mbtopk23computeBlockDigitCountsIhmjLi1EEEvNS_4cuda6detail10TensorInfoIKT_T0_EEjPjjS8_iijT1_PSB_Ps, .Lfunc_end118-_ZN2at6native6mbtopk23computeBlockDigitCountsIhmjLi1EEEvNS_4cuda6detail10TensorInfoIKT_T0_EEjPjjS8_iijT1_PSB_Ps
                                        ; -- End function
	.set _ZN2at6native6mbtopk23computeBlockDigitCountsIhmjLi1EEEvNS_4cuda6detail10TensorInfoIKT_T0_EEjPjjS8_iijT1_PSB_Ps.num_vgpr, 8
	.set _ZN2at6native6mbtopk23computeBlockDigitCountsIhmjLi1EEEvNS_4cuda6detail10TensorInfoIKT_T0_EEjPjjS8_iijT1_PSB_Ps.num_agpr, 0
	.set _ZN2at6native6mbtopk23computeBlockDigitCountsIhmjLi1EEEvNS_4cuda6detail10TensorInfoIKT_T0_EEjPjjS8_iijT1_PSB_Ps.numbered_sgpr, 24
	.set _ZN2at6native6mbtopk23computeBlockDigitCountsIhmjLi1EEEvNS_4cuda6detail10TensorInfoIKT_T0_EEjPjjS8_iijT1_PSB_Ps.num_named_barrier, 0
	.set _ZN2at6native6mbtopk23computeBlockDigitCountsIhmjLi1EEEvNS_4cuda6detail10TensorInfoIKT_T0_EEjPjjS8_iijT1_PSB_Ps.private_seg_size, 0
	.set _ZN2at6native6mbtopk23computeBlockDigitCountsIhmjLi1EEEvNS_4cuda6detail10TensorInfoIKT_T0_EEjPjjS8_iijT1_PSB_Ps.uses_vcc, 1
	.set _ZN2at6native6mbtopk23computeBlockDigitCountsIhmjLi1EEEvNS_4cuda6detail10TensorInfoIKT_T0_EEjPjjS8_iijT1_PSB_Ps.uses_flat_scratch, 0
	.set _ZN2at6native6mbtopk23computeBlockDigitCountsIhmjLi1EEEvNS_4cuda6detail10TensorInfoIKT_T0_EEjPjjS8_iijT1_PSB_Ps.has_dyn_sized_stack, 0
	.set _ZN2at6native6mbtopk23computeBlockDigitCountsIhmjLi1EEEvNS_4cuda6detail10TensorInfoIKT_T0_EEjPjjS8_iijT1_PSB_Ps.has_recursion, 0
	.set _ZN2at6native6mbtopk23computeBlockDigitCountsIhmjLi1EEEvNS_4cuda6detail10TensorInfoIKT_T0_EEjPjjS8_iijT1_PSB_Ps.has_indirect_call, 0
	.section	.AMDGPU.csdata,"",@progbits
; Kernel info:
; codeLenInByte = 1184
; TotalNumSgprs: 26
; NumVgprs: 8
; ScratchSize: 0
; MemoryBound: 0
; FloatMode: 240
; IeeeMode: 1
; LDSByteSize: 1024 bytes/workgroup (compile time only)
; SGPRBlocks: 0
; VGPRBlocks: 0
; NumSGPRsForWavesPerEU: 26
; NumVGPRsForWavesPerEU: 8
; NamedBarCnt: 0
; Occupancy: 16
; WaveLimiterHint : 1
; COMPUTE_PGM_RSRC2:SCRATCH_EN: 0
; COMPUTE_PGM_RSRC2:USER_SGPR: 2
; COMPUTE_PGM_RSRC2:TRAP_HANDLER: 0
; COMPUTE_PGM_RSRC2:TGID_X_EN: 1
; COMPUTE_PGM_RSRC2:TGID_Y_EN: 1
; COMPUTE_PGM_RSRC2:TGID_Z_EN: 1
; COMPUTE_PGM_RSRC2:TIDIG_COMP_CNT: 0
	.section	.text._ZN2at6native6mbtopk10gatherTopKIhmLi1EEEvNS_4cuda6detail10TensorInfoIKT_T0_EES8_S8_bjS8_NS5_IS6_S8_EES8_NS5_IlS8_EES8_jjPS6_PjSD_j,"axG",@progbits,_ZN2at6native6mbtopk10gatherTopKIhmLi1EEEvNS_4cuda6detail10TensorInfoIKT_T0_EES8_S8_bjS8_NS5_IS6_S8_EES8_NS5_IlS8_EES8_jjPS6_PjSD_j,comdat
	.protected	_ZN2at6native6mbtopk10gatherTopKIhmLi1EEEvNS_4cuda6detail10TensorInfoIKT_T0_EES8_S8_bjS8_NS5_IS6_S8_EES8_NS5_IlS8_EES8_jjPS6_PjSD_j ; -- Begin function _ZN2at6native6mbtopk10gatherTopKIhmLi1EEEvNS_4cuda6detail10TensorInfoIKT_T0_EES8_S8_bjS8_NS5_IS6_S8_EES8_NS5_IlS8_EES8_jjPS6_PjSD_j
	.globl	_ZN2at6native6mbtopk10gatherTopKIhmLi1EEEvNS_4cuda6detail10TensorInfoIKT_T0_EES8_S8_bjS8_NS5_IS6_S8_EES8_NS5_IlS8_EES8_jjPS6_PjSD_j
	.p2align	8
	.type	_ZN2at6native6mbtopk10gatherTopKIhmLi1EEEvNS_4cuda6detail10TensorInfoIKT_T0_EES8_S8_bjS8_NS5_IS6_S8_EES8_NS5_IlS8_EES8_jjPS6_PjSD_j,@function
_ZN2at6native6mbtopk10gatherTopKIhmLi1EEEvNS_4cuda6detail10TensorInfoIKT_T0_EES8_S8_bjS8_NS5_IS6_S8_EES8_NS5_IlS8_EES8_jjPS6_PjSD_j: ; @_ZN2at6native6mbtopk10gatherTopKIhmLi1EEEvNS_4cuda6detail10TensorInfoIKT_T0_EES8_S8_bjS8_NS5_IS6_S8_EES8_NS5_IlS8_EES8_jjPS6_PjSD_j
; %bb.0:
	s_bfe_u32 s2, ttmp6, 0x40010
	s_and_b32 s4, ttmp7, 0xffff
	s_add_co_i32 s5, s2, 1
	s_clause 0x1
	s_load_b32 s6, s[0:1], 0x530
	s_load_b64 s[2:3], s[0:1], 0x538
	s_bfe_u32 s8, ttmp6, 0x4000c
	s_mul_i32 s5, s4, s5
	s_bfe_u32 s7, ttmp6, 0x40004
	s_add_co_i32 s8, s8, 1
	s_bfe_u32 s9, ttmp6, 0x40014
	s_add_co_i32 s7, s7, s5
	s_and_b32 s5, ttmp6, 15
	s_mul_i32 s8, ttmp9, s8
	s_lshr_b32 s10, ttmp7, 16
	s_add_co_i32 s9, s9, 1
	s_add_co_i32 s5, s5, s8
	s_mul_i32 s8, s10, s9
	s_bfe_u32 s9, ttmp6, 0x40008
	s_getreg_b32 s11, hwreg(HW_REG_IB_STS2, 6, 4)
	s_add_co_i32 s9, s9, s8
	s_cmp_eq_u32 s11, 0
	s_cselect_b32 s8, s10, s9
	s_cselect_b32 s4, s4, s7
	s_wait_kmcnt 0x0
	s_mul_i32 s3, s3, s8
	s_cselect_b32 s5, ttmp9, s5
	s_add_co_i32 s3, s3, s4
	s_delay_alu instid0(SALU_CYCLE_1) | instskip(NEXT) | instid1(SALU_CYCLE_1)
	s_mul_i32 s2, s3, s2
	s_add_co_i32 s2, s2, s5
	s_delay_alu instid0(SALU_CYCLE_1)
	s_cmp_ge_u32 s2, s6
	s_cbranch_scc1 .LBB119_42
; %bb.1:
	s_load_b64 s[16:17], s[0:1], 0x510
	s_wait_kmcnt 0x0
	s_cvt_f32_u32 s3, s17
	s_sub_co_i32 s4, 0, s17
	s_lshl_b32 s28, s16, 8
	s_delay_alu instid0(SALU_CYCLE_1) | instskip(SKIP_1) | instid1(TRANS32_DEP_1)
	v_rcp_iflag_f32_e32 v1, s3
	v_nop
	v_readfirstlane_b32 s3, v1
	s_mul_f32 s3, s3, 0x4f7ffffe
	s_delay_alu instid0(SALU_CYCLE_3) | instskip(NEXT) | instid1(SALU_CYCLE_3)
	s_cvt_u32_f32 s3, s3
	s_mul_i32 s4, s4, s3
	s_delay_alu instid0(SALU_CYCLE_1) | instskip(NEXT) | instid1(SALU_CYCLE_1)
	s_mul_hi_u32 s4, s3, s4
	s_add_co_i32 s3, s3, s4
	s_load_b128 s[4:7], s[0:1], 0x1a0
	s_mul_hi_u32 s3, s2, s3
	s_delay_alu instid0(SALU_CYCLE_1) | instskip(SKIP_2) | instid1(SALU_CYCLE_1)
	s_mul_i32 s8, s3, s17
	s_add_co_i32 s9, s3, 1
	s_sub_co_i32 s8, s2, s8
	s_sub_co_i32 s10, s8, s17
	s_cmp_ge_u32 s8, s17
	s_cselect_b32 s3, s9, s3
	s_cselect_b32 s8, s10, s8
	s_add_co_i32 s9, s3, 1
	s_cmp_ge_u32 s8, s17
	s_cselect_b32 s18, s9, s3
	s_delay_alu instid0(SALU_CYCLE_1) | instskip(NEXT) | instid1(SALU_CYCLE_1)
	s_mul_i32 s12, s18, s17
	s_sub_co_i32 s29, s2, s12
	s_delay_alu instid0(SALU_CYCLE_1) | instskip(NEXT) | instid1(SALU_CYCLE_1)
	s_add_co_i32 s2, s29, 1
	s_cmp_lt_u32 s2, s17
	s_cbranch_scc1 .LBB119_3
; %bb.2:
	s_mul_i32 s2, s29, s28
	s_mov_b32 s3, 0
	s_wait_kmcnt 0x0
	s_sub_nc_u64 s[8:9], s[4:5], s[2:3]
	s_delay_alu instid0(SALU_CYCLE_1) | instskip(NEXT) | instid1(SALU_CYCLE_1)
	s_add_nc_u64 s[8:9], s[8:9], 0xff
	s_ashr_i32 s2, s9, 31
	s_delay_alu instid0(SALU_CYCLE_1) | instskip(NEXT) | instid1(SALU_CYCLE_1)
	s_lshr_b32 s2, s2, 24
	s_add_nc_u64 s[2:3], s[8:9], s[2:3]
	s_delay_alu instid0(SALU_CYCLE_1) | instskip(NEXT) | instid1(SALU_CYCLE_1)
	s_lshr_b64 s[2:3], s[2:3], 8
	s_mov_b32 s16, s2
.LBB119_3:
	s_load_b128 s[8:11], s[0:1], 0x518
	v_mov_b32_e32 v1, s18
	v_cmp_ne_u32_e64 s2, 0, v0
	v_cmp_eq_u32_e64 s3, 0, v0
	s_mov_b32 s19, 0
	s_wait_kmcnt 0x0
	global_load_u8 v1, v1, s[8:9]
	s_wait_xcnt 0x0
	s_and_saveexec_b32 s26, s3
	s_cbranch_execz .LBB119_19
; %bb.4:
	s_load_b64 s[20:21], s[0:1], 0x528
	s_mov_b32 s13, s19
	s_delay_alu instid0(SALU_CYCLE_1)
	s_lshl_b64 s[22:23], s[12:13], 2
	s_cmp_lt_u32 s17, 4
	s_cbranch_scc1 .LBB119_16
; %bb.5:
	s_mov_b32 s27, 0
	s_mov_b64 s[8:9], 0
	s_mov_b32 s30, 0
.LBB119_6:                              ; =>This Inner Loop Header: Depth=1
	s_add_nc_u64 s[24:25], s[10:11], s[22:23]
	s_cmp_ge_u32 s30, s29
	s_load_b128 s[12:15], s[24:25], 0x0
	s_wait_kmcnt 0x0
	s_add_nc_u64 s[24:25], s[20:21], s[22:23]
	s_cbranch_scc0 .LBB119_13
; %bb.7:                                ;   in Loop: Header=BB119_6 Depth=1
	s_add_co_i32 s31, s30, 1
	s_delay_alu instid0(SALU_CYCLE_1)
	s_cmp_ge_u32 s31, s29
	s_cbranch_scc0 .LBB119_14
.LBB119_8:                              ;   in Loop: Header=BB119_6 Depth=1
	s_add_co_i32 s31, s31, 1
	s_delay_alu instid0(SALU_CYCLE_1)
	s_cmp_ge_u32 s31, s29
	s_cbranch_scc0 .LBB119_15
.LBB119_9:                              ;   in Loop: Header=BB119_6 Depth=1
	s_add_co_i32 s31, s31, 1
	s_delay_alu instid0(SALU_CYCLE_1)
	s_cmp_ge_u32 s31, s29
	s_cbranch_scc1 .LBB119_11
.LBB119_10:                             ;   in Loop: Header=BB119_6 Depth=1
	s_load_b32 s24, s[24:25], 0xc
	s_add_co_i32 s9, s15, s9
	s_wait_kmcnt 0x0
	s_add_co_i32 s8, s24, s8
.LBB119_11:                             ;   in Loop: Header=BB119_6 Depth=1
	s_add_co_i32 s12, s12, s27
	s_add_nc_u64 s[10:11], s[10:11], 16
	s_add_co_i32 s12, s12, s13
	s_add_co_i32 s13, s31, 4
	;; [unrolled: 1-line block ×3, first 2 shown]
	s_add_nc_u64 s[20:21], s[20:21], 16
	s_add_co_i32 s27, s12, s15
	s_add_co_i32 s12, s31, 1
	s_cmp_ge_u32 s13, s17
	s_cbranch_scc1 .LBB119_17
; %bb.12:                               ;   in Loop: Header=BB119_6 Depth=1
	s_mov_b32 s30, s12
	s_branch .LBB119_6
.LBB119_13:                             ;   in Loop: Header=BB119_6 Depth=1
	s_load_b32 s31, s[24:25], 0x0
	s_add_co_i32 s9, s12, s9
	s_wait_kmcnt 0x0
	s_add_co_i32 s8, s31, s8
	s_add_co_i32 s31, s30, 1
	s_delay_alu instid0(SALU_CYCLE_1)
	s_cmp_ge_u32 s31, s29
	s_cbranch_scc1 .LBB119_8
.LBB119_14:                             ;   in Loop: Header=BB119_6 Depth=1
	s_load_b32 s33, s[24:25], 0x4
	s_add_co_i32 s9, s13, s9
	s_wait_kmcnt 0x0
	s_add_co_i32 s8, s33, s8
	s_add_co_i32 s31, s31, 1
	s_delay_alu instid0(SALU_CYCLE_1)
	s_cmp_ge_u32 s31, s29
	s_cbranch_scc1 .LBB119_9
.LBB119_15:                             ;   in Loop: Header=BB119_6 Depth=1
	s_load_b32 s33, s[24:25], 0x8
	s_add_co_i32 s9, s14, s9
	s_wait_kmcnt 0x0
	s_add_co_i32 s8, s33, s8
	s_add_co_i32 s31, s31, 1
	s_delay_alu instid0(SALU_CYCLE_1)
	s_cmp_ge_u32 s31, s29
	s_cbranch_scc0 .LBB119_10
	s_branch .LBB119_11
.LBB119_16:
	s_mov_b64 s[8:9], 0
	s_add_nc_u64 s[10:11], s[10:11], s[22:23]
	s_wait_kmcnt 0x0
	s_add_nc_u64 s[12:13], s[20:21], s[22:23]
	s_mov_b32 s27, s19
	s_mov_b32 s14, s19
	s_delay_alu instid0(SALU_CYCLE_1)
	s_cmp_ge_u32 s14, s17
	s_cbranch_scc0 .LBB119_40
	s_branch .LBB119_18
.LBB119_17:
	s_add_co_i32 s14, s30, 4
	s_add_nc_u64 s[12:13], s[20:21], s[22:23]
	s_add_nc_u64 s[10:11], s[10:11], s[22:23]
	s_cmp_ge_u32 s14, s17
	s_cbranch_scc0 .LBB119_40
.LBB119_18:
	v_dual_mov_b32 v2, s8 :: v_dual_mov_b32 v3, s27
	v_dual_mov_b32 v4, s9 :: v_dual_mov_b32 v5, 0
	ds_store_b96 v5, v[2:4] offset:1056
.LBB119_19:
	s_or_b32 exec_lo, exec_lo, s26
	s_clause 0x5
	s_load_b64 s[20:21], s[0:1], 0x0
	s_load_b64 s[22:23], s[0:1], 0xd0
	s_load_b128 s[8:11], s[0:1], 0x1b8
	s_load_b64 s[24:25], s[0:1], 0x290
	s_load_b128 s[12:15], s[0:1], 0x360
	s_load_b64 s[26:27], s[0:1], 0x438
	s_cmp_eq_u32 s16, 0
	s_wait_loadcnt_dscnt 0x0
	s_barrier_signal -1
	s_barrier_wait -1
	s_cbranch_scc1 .LBB119_42
; %bb.20:
	v_dual_mov_b32 v7, 0 :: v_dual_lshrrev_b32 v9, 3, v0
	s_wait_kmcnt 0x0
	s_mul_u64 s[22:23], s[22:23], s[18:19]
	s_mul_u64 s[24:25], s[24:25], s[18:19]
	;; [unrolled: 1-line block ×3, first 2 shown]
	ds_load_b96 v[2:4], v7 offset:1056
	s_clause 0x1
	s_load_b32 s17, s[0:1], 0x1b0
	s_load_b64 s[18:19], s[0:1], 0x508
	v_dual_add_nc_u32 v12, -1, v0 :: v_dual_lshlrev_b32 v11, 5, v0
	v_and_b32_e32 v5, 0xff, v1
	v_mad_u32 v6, s29, s28, v0
	v_and_b32_e32 v10, 0xfc, v0
	s_delay_alu instid0(VALU_DEP_4)
	v_dual_lshrrev_b32 v1, 3, v12 :: v_dual_bitop2_b32 v13, 28, v9 bitop3:0x40
	v_mbcnt_lo_u32_b32 v8, -1, 0
	s_wait_xcnt 0x0
	v_cmp_gt_u32_e64 s0, 32, v0
	s_add_nc_u64 s[20:21], s[20:21], s[22:23]
	v_and_b32_e32 v1, 0x1ffffffc, v1
	s_lshl_b64 s[22:23], s[26:27], 3
	v_dual_add_nc_u32 v9, v10, v11 :: v_dual_bitop2_b32 v10, 15, v8 bitop3:0x40
	v_lshl_add_u32 v11, v0, 2, v13
	s_delay_alu instid0(VALU_DEP_3)
	v_lshl_add_u32 v12, v12, 2, v1
	v_bfe_i32 v13, v8, 4, 1
	s_add_nc_u64 s[10:11], s[10:11], s[24:25]
	s_wait_dscnt 0x0
	v_dual_add_nc_u32 v0, v2, v3 :: v_dual_add_nc_u32 v14, -1, v8
	s_wait_kmcnt 0x0
	s_bitcmp1_b32 s17, 0
	s_add_nc_u64 s[14:15], s[14:15], s[22:23]
	s_cselect_b32 s1, -1, 0
                                        ; implicit-def: $vgpr15
	s_branch .LBB119_23
.LBB119_21:                             ;   in Loop: Header=BB119_23 Depth=1
	s_wait_xcnt 0x0
	s_or_b32 exec_lo, exec_lo, s17
	v_add_nc_u32_e32 v0, v1, v0
.LBB119_22:                             ;   in Loop: Header=BB119_23 Depth=1
	v_add_nc_u32_e32 v4, v16, v4
	v_add_nc_u32_e32 v6, 0x100, v6
	s_add_co_i32 s16, s16, -1
	s_delay_alu instid0(SALU_CYCLE_1)
	s_cmp_lg_u32 s16, 0
	s_cbranch_scc0 .LBB119_42
.LBB119_23:                             ; =>This Inner Loop Header: Depth=1
	v_dual_mov_b32 v1, v7 :: v_dual_mov_b32 v2, v7
	s_mov_b32 s17, exec_lo
	v_cmpx_gt_u64_e64 s[4:5], v[6:7]
	s_cbranch_execz .LBB119_25
; %bb.24:                               ;   in Loop: Header=BB119_23 Depth=1
	v_mad_nc_u64_u32 v[2:3], s8, v6, s[20:21]
	s_delay_alu instid0(VALU_DEP_1)
	v_mad_u32 v3, s9, v6, v3
	global_load_u8 v15, v[2:3], off
	s_wait_loadcnt 0x0
	v_cmp_gt_u16_e32 vcc_lo, v15, v5
	v_cndmask_b32_e64 v1, 0, 1, vcc_lo
	v_cmp_lt_u16_e32 vcc_lo, v15, v5
	s_wait_xcnt 0x0
	v_cndmask_b32_e64 v2, 0, 1, vcc_lo
	v_cmp_eq_u16_e32 vcc_lo, v15, v5
	s_delay_alu instid0(VALU_DEP_2) | instskip(SKIP_1) | instid1(VALU_DEP_2)
	v_cndmask_b32_e64 v1, v2, v1, s1
	v_cndmask_b32_e64 v2, 0, 1, vcc_lo
	v_and_b32_e32 v1, 1, v1
.LBB119_25:                             ;   in Loop: Header=BB119_23 Depth=1
	s_or_b32 exec_lo, exec_lo, s17
	ds_store_b32 v11, v1
	s_wait_dscnt 0x0
	s_barrier_signal -1
	s_barrier_wait -1
	s_and_saveexec_b32 s17, s0
	s_cbranch_execz .LBB119_27
; %bb.26:                               ;   in Loop: Header=BB119_23 Depth=1
	ds_load_2addr_b32 v[16:17], v9 offset1:1
	ds_load_2addr_b32 v[18:19], v9 offset0:2 offset1:3
	ds_load_2addr_b32 v[20:21], v9 offset0:4 offset1:5
	;; [unrolled: 1-line block ×3, first 2 shown]
	v_cmp_ne_u32_e32 vcc_lo, 0, v10
	; wave barrier
	s_wait_dscnt 0x3
	v_add_nc_u32_e32 v3, v17, v16
	s_wait_dscnt 0x2
	s_delay_alu instid0(VALU_DEP_1) | instskip(SKIP_1) | instid1(VALU_DEP_1)
	v_add3_u32 v3, v3, v18, v19
	s_wait_dscnt 0x1
	v_add3_u32 v3, v3, v20, v21
	s_wait_dscnt 0x0
	s_delay_alu instid0(VALU_DEP_1) | instskip(NEXT) | instid1(VALU_DEP_1)
	v_add3_u32 v3, v3, v22, v23
	v_mov_b32_dpp v17, v3 row_shr:1 row_mask:0xf bank_mask:0xf
	s_delay_alu instid0(VALU_DEP_1) | instskip(SKIP_1) | instid1(VALU_DEP_2)
	v_cndmask_b32_e32 v17, 0, v17, vcc_lo
	v_cmp_lt_u32_e32 vcc_lo, 1, v10
	v_add_nc_u32_e32 v3, v17, v3
	s_delay_alu instid0(VALU_DEP_1) | instskip(NEXT) | instid1(VALU_DEP_1)
	v_mov_b32_dpp v17, v3 row_shr:2 row_mask:0xf bank_mask:0xf
	v_cndmask_b32_e32 v17, 0, v17, vcc_lo
	v_cmp_lt_u32_e32 vcc_lo, 3, v10
	s_delay_alu instid0(VALU_DEP_2) | instskip(NEXT) | instid1(VALU_DEP_1)
	v_add_nc_u32_e32 v3, v3, v17
	v_mov_b32_dpp v17, v3 row_shr:4 row_mask:0xf bank_mask:0xf
	s_delay_alu instid0(VALU_DEP_1) | instskip(SKIP_1) | instid1(VALU_DEP_2)
	v_cndmask_b32_e32 v17, 0, v17, vcc_lo
	v_cmp_lt_u32_e32 vcc_lo, 7, v10
	v_add_nc_u32_e32 v3, v3, v17
	s_delay_alu instid0(VALU_DEP_1) | instskip(NEXT) | instid1(VALU_DEP_1)
	v_mov_b32_dpp v17, v3 row_shr:8 row_mask:0xf bank_mask:0xf
	v_cndmask_b32_e32 v17, 0, v17, vcc_lo
	v_cmp_gt_i32_e32 vcc_lo, 0, v14
	s_delay_alu instid0(VALU_DEP_2) | instskip(SKIP_3) | instid1(VALU_DEP_1)
	v_dual_cndmask_b32 v18, v14, v8 :: v_dual_add_nc_u32 v3, v3, v17
	ds_swizzle_b32 v17, v3 offset:swizzle(BROADCAST,32,15)
	s_wait_dscnt 0x0
	v_dual_lshlrev_b32 v18, 2, v18 :: v_dual_bitop2_b32 v17, v13, v17 bitop3:0x40
	v_add_nc_u32_e32 v3, v3, v17
	ds_bpermute_b32 v3, v18, v3
	s_wait_dscnt 0x0
	v_add_nc_u32_e32 v3, v3, v16
	s_delay_alu instid0(VALU_DEP_1)
	v_cndmask_b32_e64 v3, v3, v1, s3
	ds_store_b32 v9, v3
	; wave barrier
	ds_load_2addr_b32 v[16:17], v9 offset0:1 offset1:2
	ds_load_2addr_b32 v[18:19], v9 offset0:3 offset1:4
	;; [unrolled: 1-line block ×3, first 2 shown]
	ds_load_b32 v22, v9 offset:28
	s_wait_dscnt 0x3
	v_add_nc_u32_e32 v3, v16, v3
	s_delay_alu instid0(VALU_DEP_1) | instskip(SKIP_1) | instid1(VALU_DEP_1)
	v_add_nc_u32_e32 v16, v17, v3
	s_wait_dscnt 0x2
	v_add_nc_u32_e32 v17, v18, v16
	s_delay_alu instid0(VALU_DEP_1) | instskip(SKIP_1) | instid1(VALU_DEP_1)
	v_add_nc_u32_e32 v18, v19, v17
	s_wait_dscnt 0x1
	v_add_nc_u32_e32 v19, v20, v18
	s_delay_alu instid0(VALU_DEP_1) | instskip(SKIP_1) | instid1(VALU_DEP_1)
	v_add_nc_u32_e32 v20, v21, v19
	s_wait_dscnt 0x0
	v_add_nc_u32_e32 v21, v22, v20
	ds_store_2addr_b32 v9, v3, v16 offset0:1 offset1:2
	ds_store_2addr_b32 v9, v17, v18 offset0:3 offset1:4
	;; [unrolled: 1-line block ×3, first 2 shown]
	ds_store_b32 v9, v21 offset:28
.LBB119_27:                             ;   in Loop: Header=BB119_23 Depth=1
	s_or_b32 exec_lo, exec_lo, s17
	v_mov_b32_e32 v3, 0
	s_wait_dscnt 0x0
	s_barrier_signal -1
	s_barrier_wait -1
	s_and_saveexec_b32 s17, s2
; %bb.28:                               ;   in Loop: Header=BB119_23 Depth=1
	ds_load_b32 v3, v12
; %bb.29:                               ;   in Loop: Header=BB119_23 Depth=1
	s_or_b32 exec_lo, exec_lo, s17
	ds_load_b32 v16, v7 offset:1048
	s_mov_b32 s17, exec_lo
	s_wait_dscnt 0x0
	s_barrier_signal -1
	s_barrier_wait -1
	v_cmpx_ne_u32_e32 0, v1
	s_cbranch_execz .LBB119_31
; %bb.30:                               ;   in Loop: Header=BB119_23 Depth=1
	v_add_nc_u32_e32 v18, v3, v4
	v_mov_b32_e32 v19, v7
	s_delay_alu instid0(VALU_DEP_2) | instskip(NEXT) | instid1(VALU_DEP_2)
	v_mad_nc_u64_u32 v[22:23], s12, v18, s[10:11]
	v_mul_u64_e32 v[20:21], s[18:19], v[18:19]
	s_delay_alu instid0(VALU_DEP_2) | instskip(NEXT) | instid1(VALU_DEP_2)
	v_mad_u32 v23, s13, v18, v23
	v_lshl_add_u64 v[18:19], v[20:21], 3, s[14:15]
	global_store_b8 v[22:23], v15, off
	global_store_b64 v[18:19], v[6:7], off
.LBB119_31:                             ;   in Loop: Header=BB119_23 Depth=1
	s_wait_xcnt 0x0
	s_or_b32 exec_lo, exec_lo, s17
	v_mov_b32_e32 v1, v7
	s_delay_alu instid0(VALU_DEP_1)
	v_cmp_le_u64_e32 vcc_lo, s[6:7], v[0:1]
	s_cbranch_vccnz .LBB119_22
; %bb.32:                               ;   in Loop: Header=BB119_23 Depth=1
	ds_store_b32 v11, v2
	s_wait_storecnt_dscnt 0x0
	s_barrier_signal -1
	s_barrier_wait -1
	s_and_saveexec_b32 s17, s0
	s_cbranch_execz .LBB119_34
; %bb.33:                               ;   in Loop: Header=BB119_23 Depth=1
	ds_load_2addr_b32 v[18:19], v9 offset1:1
	ds_load_2addr_b32 v[20:21], v9 offset0:2 offset1:3
	ds_load_2addr_b32 v[22:23], v9 offset0:4 offset1:5
	;; [unrolled: 1-line block ×3, first 2 shown]
	v_cmp_ne_u32_e32 vcc_lo, 0, v10
	; wave barrier
	s_wait_dscnt 0x3
	v_add_nc_u32_e32 v1, v19, v18
	s_wait_dscnt 0x2
	s_delay_alu instid0(VALU_DEP_1) | instskip(SKIP_1) | instid1(VALU_DEP_1)
	v_add3_u32 v1, v1, v20, v21
	s_wait_dscnt 0x1
	v_add3_u32 v1, v1, v22, v23
	s_wait_dscnt 0x0
	s_delay_alu instid0(VALU_DEP_1) | instskip(NEXT) | instid1(VALU_DEP_1)
	v_add3_u32 v1, v1, v24, v25
	v_mov_b32_dpp v3, v1 row_shr:1 row_mask:0xf bank_mask:0xf
	s_delay_alu instid0(VALU_DEP_1) | instskip(SKIP_1) | instid1(VALU_DEP_2)
	v_cndmask_b32_e32 v3, 0, v3, vcc_lo
	v_cmp_lt_u32_e32 vcc_lo, 1, v10
	v_add_nc_u32_e32 v1, v3, v1
	s_delay_alu instid0(VALU_DEP_1) | instskip(NEXT) | instid1(VALU_DEP_1)
	v_mov_b32_dpp v3, v1 row_shr:2 row_mask:0xf bank_mask:0xf
	v_cndmask_b32_e32 v3, 0, v3, vcc_lo
	v_cmp_lt_u32_e32 vcc_lo, 3, v10
	s_delay_alu instid0(VALU_DEP_2) | instskip(NEXT) | instid1(VALU_DEP_1)
	v_add_nc_u32_e32 v1, v1, v3
	v_mov_b32_dpp v3, v1 row_shr:4 row_mask:0xf bank_mask:0xf
	s_delay_alu instid0(VALU_DEP_1) | instskip(SKIP_1) | instid1(VALU_DEP_2)
	v_cndmask_b32_e32 v3, 0, v3, vcc_lo
	v_cmp_lt_u32_e32 vcc_lo, 7, v10
	v_add_nc_u32_e32 v1, v1, v3
	s_delay_alu instid0(VALU_DEP_1) | instskip(NEXT) | instid1(VALU_DEP_1)
	v_mov_b32_dpp v3, v1 row_shr:8 row_mask:0xf bank_mask:0xf
	v_cndmask_b32_e32 v3, 0, v3, vcc_lo
	v_cmp_gt_i32_e32 vcc_lo, 0, v14
	s_delay_alu instid0(VALU_DEP_2) | instskip(SKIP_3) | instid1(VALU_DEP_1)
	v_dual_add_nc_u32 v1, v1, v3 :: v_dual_cndmask_b32 v17, v14, v8, vcc_lo
	ds_swizzle_b32 v3, v1 offset:swizzle(BROADCAST,32,15)
	s_wait_dscnt 0x0
	v_dual_lshlrev_b32 v17, 2, v17 :: v_dual_bitop2_b32 v3, v13, v3 bitop3:0x40
	v_add_nc_u32_e32 v1, v1, v3
	ds_bpermute_b32 v1, v17, v1
	s_wait_dscnt 0x0
	v_add_nc_u32_e32 v1, v1, v18
	s_delay_alu instid0(VALU_DEP_1)
	v_cndmask_b32_e64 v1, v1, v2, s3
	ds_store_b32 v9, v1
	; wave barrier
	ds_load_2addr_b32 v[18:19], v9 offset0:1 offset1:2
	ds_load_2addr_b32 v[20:21], v9 offset0:3 offset1:4
	;; [unrolled: 1-line block ×3, first 2 shown]
	ds_load_b32 v3, v9 offset:28
	s_wait_dscnt 0x3
	v_add_nc_u32_e32 v1, v18, v1
	s_delay_alu instid0(VALU_DEP_1) | instskip(SKIP_1) | instid1(VALU_DEP_1)
	v_add_nc_u32_e32 v17, v19, v1
	s_wait_dscnt 0x2
	v_add_nc_u32_e32 v18, v20, v17
	s_delay_alu instid0(VALU_DEP_1) | instskip(SKIP_1) | instid1(VALU_DEP_1)
	v_add_nc_u32_e32 v19, v21, v18
	;; [unrolled: 4-line block ×3, first 2 shown]
	s_wait_dscnt 0x0
	v_add_nc_u32_e32 v3, v3, v21
	ds_store_2addr_b32 v9, v1, v17 offset0:1 offset1:2
	ds_store_2addr_b32 v9, v18, v19 offset0:3 offset1:4
	;; [unrolled: 1-line block ×3, first 2 shown]
	ds_store_b32 v9, v3 offset:28
.LBB119_34:                             ;   in Loop: Header=BB119_23 Depth=1
	s_or_b32 exec_lo, exec_lo, s17
	v_mov_b32_e32 v3, 0
	s_wait_dscnt 0x0
	s_barrier_signal -1
	s_barrier_wait -1
	s_and_saveexec_b32 s17, s2
; %bb.35:                               ;   in Loop: Header=BB119_23 Depth=1
	ds_load_b32 v3, v12
; %bb.36:                               ;   in Loop: Header=BB119_23 Depth=1
	s_or_b32 exec_lo, exec_lo, s17
	ds_load_b32 v1, v7 offset:1048
	s_mov_b32 s17, exec_lo
	s_wait_dscnt 0x0
	s_barrier_signal -1
	s_barrier_wait -1
	v_cmpx_ne_u32_e32 0, v2
	s_cbranch_execz .LBB119_21
; %bb.37:                               ;   in Loop: Header=BB119_23 Depth=1
	v_add_nc_u32_e32 v2, v3, v0
	v_mov_b32_e32 v3, v7
	s_delay_alu instid0(VALU_DEP_1)
	v_cmp_gt_u64_e32 vcc_lo, s[6:7], v[2:3]
	s_and_b32 exec_lo, exec_lo, vcc_lo
	s_cbranch_execz .LBB119_21
; %bb.38:                               ;   in Loop: Header=BB119_23 Depth=1
	v_mul_u64_e32 v[18:19], s[18:19], v[2:3]
	v_mad_nc_u64_u32 v[20:21], s12, v2, s[10:11]
	s_delay_alu instid0(VALU_DEP_1) | instskip(NEXT) | instid1(VALU_DEP_3)
	v_mad_u32 v21, s13, v2, v21
	v_lshl_add_u64 v[2:3], v[18:19], 3, s[14:15]
	global_store_b8 v[20:21], v15, off
	global_store_b64 v[2:3], v[6:7], off
	s_branch .LBB119_21
.LBB119_39:                             ;   in Loop: Header=BB119_40 Depth=1
	s_add_co_i32 s14, s14, 1
	s_wait_kmcnt 0x0
	s_add_co_i32 s27, s15, s27
	s_add_nc_u64 s[10:11], s[10:11], 4
	s_cmp_lt_u32 s14, s17
	s_add_nc_u64 s[12:13], s[12:13], 4
	s_cbranch_scc0 .LBB119_18
.LBB119_40:                             ; =>This Inner Loop Header: Depth=1
	s_load_b32 s15, s[10:11], 0x0
	s_cmp_ge_u32 s14, s29
	s_cbranch_scc1 .LBB119_39
; %bb.41:                               ;   in Loop: Header=BB119_40 Depth=1
	s_load_b32 s20, s[12:13], 0x0
	s_wait_kmcnt 0x0
	s_add_co_i32 s9, s15, s9
	s_add_co_i32 s8, s20, s8
	s_branch .LBB119_39
.LBB119_42:
	s_endpgm
	.section	.rodata,"a",@progbits
	.p2align	6, 0x0
	.amdhsa_kernel _ZN2at6native6mbtopk10gatherTopKIhmLi1EEEvNS_4cuda6detail10TensorInfoIKT_T0_EES8_S8_bjS8_NS5_IS6_S8_EES8_NS5_IlS8_EES8_jjPS6_PjSD_j
		.amdhsa_group_segment_fixed_size 1068
		.amdhsa_private_segment_fixed_size 0
		.amdhsa_kernarg_size 1592
		.amdhsa_user_sgpr_count 2
		.amdhsa_user_sgpr_dispatch_ptr 0
		.amdhsa_user_sgpr_queue_ptr 0
		.amdhsa_user_sgpr_kernarg_segment_ptr 1
		.amdhsa_user_sgpr_dispatch_id 0
		.amdhsa_user_sgpr_kernarg_preload_length 0
		.amdhsa_user_sgpr_kernarg_preload_offset 0
		.amdhsa_user_sgpr_private_segment_size 0
		.amdhsa_wavefront_size32 1
		.amdhsa_uses_dynamic_stack 0
		.amdhsa_enable_private_segment 0
		.amdhsa_system_sgpr_workgroup_id_x 1
		.amdhsa_system_sgpr_workgroup_id_y 1
		.amdhsa_system_sgpr_workgroup_id_z 1
		.amdhsa_system_sgpr_workgroup_info 0
		.amdhsa_system_vgpr_workitem_id 0
		.amdhsa_next_free_vgpr 26
		.amdhsa_next_free_sgpr 34
		.amdhsa_named_barrier_count 0
		.amdhsa_reserve_vcc 1
		.amdhsa_float_round_mode_32 0
		.amdhsa_float_round_mode_16_64 0
		.amdhsa_float_denorm_mode_32 3
		.amdhsa_float_denorm_mode_16_64 3
		.amdhsa_fp16_overflow 0
		.amdhsa_memory_ordered 1
		.amdhsa_forward_progress 1
		.amdhsa_inst_pref_size 20
		.amdhsa_round_robin_scheduling 0
		.amdhsa_exception_fp_ieee_invalid_op 0
		.amdhsa_exception_fp_denorm_src 0
		.amdhsa_exception_fp_ieee_div_zero 0
		.amdhsa_exception_fp_ieee_overflow 0
		.amdhsa_exception_fp_ieee_underflow 0
		.amdhsa_exception_fp_ieee_inexact 0
		.amdhsa_exception_int_div_zero 0
	.end_amdhsa_kernel
	.section	.text._ZN2at6native6mbtopk10gatherTopKIhmLi1EEEvNS_4cuda6detail10TensorInfoIKT_T0_EES8_S8_bjS8_NS5_IS6_S8_EES8_NS5_IlS8_EES8_jjPS6_PjSD_j,"axG",@progbits,_ZN2at6native6mbtopk10gatherTopKIhmLi1EEEvNS_4cuda6detail10TensorInfoIKT_T0_EES8_S8_bjS8_NS5_IS6_S8_EES8_NS5_IlS8_EES8_jjPS6_PjSD_j,comdat
.Lfunc_end119:
	.size	_ZN2at6native6mbtopk10gatherTopKIhmLi1EEEvNS_4cuda6detail10TensorInfoIKT_T0_EES8_S8_bjS8_NS5_IS6_S8_EES8_NS5_IlS8_EES8_jjPS6_PjSD_j, .Lfunc_end119-_ZN2at6native6mbtopk10gatherTopKIhmLi1EEEvNS_4cuda6detail10TensorInfoIKT_T0_EES8_S8_bjS8_NS5_IS6_S8_EES8_NS5_IlS8_EES8_jjPS6_PjSD_j
                                        ; -- End function
	.set _ZN2at6native6mbtopk10gatherTopKIhmLi1EEEvNS_4cuda6detail10TensorInfoIKT_T0_EES8_S8_bjS8_NS5_IS6_S8_EES8_NS5_IlS8_EES8_jjPS6_PjSD_j.num_vgpr, 26
	.set _ZN2at6native6mbtopk10gatherTopKIhmLi1EEEvNS_4cuda6detail10TensorInfoIKT_T0_EES8_S8_bjS8_NS5_IS6_S8_EES8_NS5_IlS8_EES8_jjPS6_PjSD_j.num_agpr, 0
	.set _ZN2at6native6mbtopk10gatherTopKIhmLi1EEEvNS_4cuda6detail10TensorInfoIKT_T0_EES8_S8_bjS8_NS5_IS6_S8_EES8_NS5_IlS8_EES8_jjPS6_PjSD_j.numbered_sgpr, 34
	.set _ZN2at6native6mbtopk10gatherTopKIhmLi1EEEvNS_4cuda6detail10TensorInfoIKT_T0_EES8_S8_bjS8_NS5_IS6_S8_EES8_NS5_IlS8_EES8_jjPS6_PjSD_j.num_named_barrier, 0
	.set _ZN2at6native6mbtopk10gatherTopKIhmLi1EEEvNS_4cuda6detail10TensorInfoIKT_T0_EES8_S8_bjS8_NS5_IS6_S8_EES8_NS5_IlS8_EES8_jjPS6_PjSD_j.private_seg_size, 0
	.set _ZN2at6native6mbtopk10gatherTopKIhmLi1EEEvNS_4cuda6detail10TensorInfoIKT_T0_EES8_S8_bjS8_NS5_IS6_S8_EES8_NS5_IlS8_EES8_jjPS6_PjSD_j.uses_vcc, 1
	.set _ZN2at6native6mbtopk10gatherTopKIhmLi1EEEvNS_4cuda6detail10TensorInfoIKT_T0_EES8_S8_bjS8_NS5_IS6_S8_EES8_NS5_IlS8_EES8_jjPS6_PjSD_j.uses_flat_scratch, 0
	.set _ZN2at6native6mbtopk10gatherTopKIhmLi1EEEvNS_4cuda6detail10TensorInfoIKT_T0_EES8_S8_bjS8_NS5_IS6_S8_EES8_NS5_IlS8_EES8_jjPS6_PjSD_j.has_dyn_sized_stack, 0
	.set _ZN2at6native6mbtopk10gatherTopKIhmLi1EEEvNS_4cuda6detail10TensorInfoIKT_T0_EES8_S8_bjS8_NS5_IS6_S8_EES8_NS5_IlS8_EES8_jjPS6_PjSD_j.has_recursion, 0
	.set _ZN2at6native6mbtopk10gatherTopKIhmLi1EEEvNS_4cuda6detail10TensorInfoIKT_T0_EES8_S8_bjS8_NS5_IS6_S8_EES8_NS5_IlS8_EES8_jjPS6_PjSD_j.has_indirect_call, 0
	.section	.AMDGPU.csdata,"",@progbits
; Kernel info:
; codeLenInByte = 2484
; TotalNumSgprs: 36
; NumVgprs: 26
; ScratchSize: 0
; MemoryBound: 0
; FloatMode: 240
; IeeeMode: 1
; LDSByteSize: 1068 bytes/workgroup (compile time only)
; SGPRBlocks: 0
; VGPRBlocks: 1
; NumSGPRsForWavesPerEU: 36
; NumVGPRsForWavesPerEU: 26
; NamedBarCnt: 0
; Occupancy: 16
; WaveLimiterHint : 1
; COMPUTE_PGM_RSRC2:SCRATCH_EN: 0
; COMPUTE_PGM_RSRC2:USER_SGPR: 2
; COMPUTE_PGM_RSRC2:TRAP_HANDLER: 0
; COMPUTE_PGM_RSRC2:TGID_X_EN: 1
; COMPUTE_PGM_RSRC2:TGID_Y_EN: 1
; COMPUTE_PGM_RSRC2:TGID_Z_EN: 1
; COMPUTE_PGM_RSRC2:TIDIG_COMP_CNT: 0
	.section	.text._ZN2at6native6sbtopk10gatherTopKIhmLi1ELb0EEEvNS_4cuda6detail10TensorInfoIKT_T0_EES8_S8_bS8_S8_NS5_IS6_S8_EES8_NS5_IlS8_EES8_PS6_,"axG",@progbits,_ZN2at6native6sbtopk10gatherTopKIhmLi1ELb0EEEvNS_4cuda6detail10TensorInfoIKT_T0_EES8_S8_bS8_S8_NS5_IS6_S8_EES8_NS5_IlS8_EES8_PS6_,comdat
	.protected	_ZN2at6native6sbtopk10gatherTopKIhmLi1ELb0EEEvNS_4cuda6detail10TensorInfoIKT_T0_EES8_S8_bS8_S8_NS5_IS6_S8_EES8_NS5_IlS8_EES8_PS6_ ; -- Begin function _ZN2at6native6sbtopk10gatherTopKIhmLi1ELb0EEEvNS_4cuda6detail10TensorInfoIKT_T0_EES8_S8_bS8_S8_NS5_IS6_S8_EES8_NS5_IlS8_EES8_PS6_
	.globl	_ZN2at6native6sbtopk10gatherTopKIhmLi1ELb0EEEvNS_4cuda6detail10TensorInfoIKT_T0_EES8_S8_bS8_S8_NS5_IS6_S8_EES8_NS5_IlS8_EES8_PS6_
	.p2align	8
	.type	_ZN2at6native6sbtopk10gatherTopKIhmLi1ELb0EEEvNS_4cuda6detail10TensorInfoIKT_T0_EES8_S8_bS8_S8_NS5_IS6_S8_EES8_NS5_IlS8_EES8_PS6_,@function
_ZN2at6native6sbtopk10gatherTopKIhmLi1ELb0EEEvNS_4cuda6detail10TensorInfoIKT_T0_EES8_S8_bS8_S8_NS5_IS6_S8_EES8_NS5_IlS8_EES8_PS6_: ; @_ZN2at6native6sbtopk10gatherTopKIhmLi1ELb0EEEvNS_4cuda6detail10TensorInfoIKT_T0_EES8_S8_bS8_S8_NS5_IS6_S8_EES8_NS5_IlS8_EES8_PS6_
; %bb.0:
	s_clause 0x1
	s_load_b128 s[28:31], s[0:1], 0x1b8
	s_load_b64 s[8:9], s[0:1], 0x520
	s_bfe_u32 s2, ttmp6, 0x40010
	s_and_b32 s3, ttmp7, 0xffff
	s_add_co_i32 s2, s2, 1
	s_bfe_u32 s5, ttmp6, 0x4000c
	s_mul_i32 s2, s3, s2
	s_bfe_u32 s4, ttmp6, 0x40004
	s_add_co_i32 s5, s5, 1
	s_bfe_u32 s6, ttmp6, 0x40014
	s_add_co_i32 s4, s4, s2
	s_and_b32 s2, ttmp6, 15
	s_mul_i32 s5, ttmp9, s5
	s_lshr_b32 s7, ttmp7, 16
	s_add_co_i32 s6, s6, 1
	s_add_co_i32 s2, s2, s5
	s_mul_i32 s5, s7, s6
	s_bfe_u32 s6, ttmp6, 0x40008
	s_getreg_b32 s10, hwreg(HW_REG_IB_STS2, 6, 4)
	s_add_co_i32 s6, s6, s5
	s_cmp_eq_u32 s10, 0
	s_mov_b32 s45, 0
	s_cselect_b32 s5, s7, s6
	s_cselect_b32 s3, s3, s4
	s_wait_kmcnt 0x0
	s_mul_i32 s5, s9, s5
	s_cselect_b32 s9, ttmp9, s2
	s_add_co_i32 s2, s5, s3
	s_delay_alu instid0(SALU_CYCLE_1) | instskip(NEXT) | instid1(SALU_CYCLE_1)
	s_mul_i32 s2, s2, s8
	s_add_co_i32 s44, s2, s9
	s_delay_alu instid0(SALU_CYCLE_1)
	v_cmp_le_u64_e64 s2, s[28:29], s[44:45]
	s_and_b32 vcc_lo, exec_lo, s2
	s_cbranch_vccnz .LBB120_472
; %bb.1:
	s_clause 0x2
	s_load_b128 s[36:39], s[0:1], 0x1a0
	s_load_b64 s[6:7], s[0:1], 0xd0
	s_load_b64 s[2:3], s[0:1], 0x0
	v_cmp_eq_u32_e64 s5, 0, v0
	s_add_nc_u64 s[10:11], s[0:1], 0x520
	s_and_saveexec_b32 s4, s5
	s_cbranch_execz .LBB120_3
; %bb.2:
	s_wait_kmcnt 0x0
	v_dual_mov_b32 v2, 0 :: v_dual_mov_b32 v4, s36
	s_delay_alu instid0(VALU_DEP_1)
	v_dual_mov_b32 v5, s37 :: v_dual_mov_b32 v3, v2
	ds_store_b32 v2, v2 offset:5144
	ds_store_b128 v2, v[2:5] offset:5120
.LBB120_3:
	s_or_b32 exec_lo, exec_lo, s4
	s_load_b64 s[12:13], s[0:1], 0x440
                                        ; implicit-def: $vgpr52 : SGPR spill to VGPR lane
	v_dual_mov_b32 v3, 0 :: v_dual_add_nc_u32 v2, 2, v0
	v_mov_b32_e32 v9, -1
	v_not_b32_e32 v8, v0
	s_delay_alu instid0(VALU_DEP_3)
	v_dual_mov_b32 v1, v3 :: v_dual_lshlrev_b32 v16, 2, v0
	s_wait_kmcnt 0x0
	v_max_u64 v[4:5], s[36:37], v[2:3]
	v_mov_b32_e32 v17, v3
	s_wait_dscnt 0x0
	s_barrier_signal -1
	v_mul_u64_e32 v[6:7], s[30:31], v[0:1]
	s_barrier_wait -1
	s_load_b32 s14, s[10:11], 0xc
	v_mbcnt_lo_u32_b32 v13, -1, 0
	v_mad_nc_u64_u32 v[26:27], s30, v16, s[30:31]
	v_cmp_gt_u32_e32 vcc_lo, 32, v0
	s_mov_b32 s29, 0
	v_cmp_lt_u64_e64 s33, 0xc00, s[36:37]
	v_writelane_b32 v52, s12, 0
	v_lshlrev_b64_e64 v[10:11], v13, -1
	v_mov_b64_e32 v[30:31], s[38:39]
	s_mov_b32 s35, s29
	v_lshl_or_b32 v40, v13, 3, 0xc00
	v_writelane_b32 v52, s13, 1
	s_mul_u64 s[12:13], s[6:7], s[44:45]
	s_load_b64 s[6:7], s[0:1], 0x370
	s_add_nc_u64 s[42:43], s[2:3], s[12:13]
	v_mad_u32 v27, s31, v16, v27
	v_cmp_gt_u64_e64 s3, s[36:37], v[0:1]
	v_cmp_eq_u32_e64 s2, 0, v13
	v_not_b32_e32 v12, v10
	v_mov_b32_e32 v41, 0
	s_mov_b32 s81, s30
	s_mov_b32 s82, s31
	s_mov_b32 s83, s30
	s_mov_b32 s84, s31
	s_mov_b32 s85, s30
	v_add_nc_u64_e32 v[4:5], v[4:5], v[8:9]
	v_or_b32_e32 v2, 3, v16
	s_mov_b32 s86, s31
	s_mov_b32 s91, 6
	v_add_nc_u64_e32 v[14:15], s[42:43], v[6:7]
	v_mov_b32_e32 v39, 0
	v_lshlrev_b64_e32 v[28:29], 2, v[6:7]
	v_mov_b32_e32 v19, v5
	s_wait_kmcnt 0x0
	v_writelane_b32 v52, s6, 2
	v_mul_u64_e32 v[20:21], s[30:31], v[2:3]
	v_or_b32_e32 v2, 2, v16
	v_dual_mov_b32 v42, 0 :: v_dual_bitop2_b32 v18, -4, v4 bitop3:0x40
	v_writelane_b32 v52, s7, 3
	s_load_b64 s[6:7], s[0:1], 0x298
	s_delay_alu instid0(VALU_DEP_3) | instskip(NEXT) | instid1(VALU_DEP_3)
	v_mul_u64_e32 v[24:25], s[30:31], v[2:3]
	v_add_nc_u64_e32 v[22:23], v[18:19], v[0:1]
	s_mov_b32 s92, 0x4f800000
	s_mov_b32 s93, 0
	;; [unrolled: 1-line block ×3, first 2 shown]
                                        ; implicit-def: $sgpr94
                                        ; implicit-def: $sgpr98
                                        ; implicit-def: $sgpr97
                                        ; implicit-def: $sgpr99
                                        ; implicit-def: $sgpr96
                                        ; implicit-def: $sgpr103
                                        ; implicit-def: $sgpr104
                                        ; implicit-def: $sgpr100
                                        ; implicit-def: $sgpr102
                                        ; implicit-def: $sgpr101
	s_load_b32 s4, s[0:1], 0x1b0
	s_wait_kmcnt 0x0
	v_writelane_b32 v52, s6, 4
	v_writelane_b32 v52, s7, 5
	s_load_b64 s[6:7], s[0:1], 0x1c8
	s_bitcmp1_b32 s4, 0
	s_cselect_b32 s4, -1, 0
	s_and_b32 s34, s14, 0xffff
	s_bfe_u32 s12, s14, 0xb0005
	s_xor_b32 s79, s4, -1
	s_add_nc_u64 s[54:55], s[34:35], -1
	s_mul_u64 s[40:41], s[30:31], s[34:35]
	s_add_nc_u64 s[56:57], s[54:55], s[36:37]
	s_wait_kmcnt 0x0
	v_writelane_b32 v52, s6, 6
	v_writelane_b32 v52, s7, 7
	v_cmp_gt_i32_e64 s7, 4, v13
	v_cmp_gt_u32_e64 s6, 2, v0
	s_and_b32 s78, vcc_lo, s7
	s_cmp_gt_u32 s34, 31
	s_movk_i32 s7, 0x3e0
	s_cselect_b32 s80, -1, 0
	s_cmp_lt_u32 s9, s8
	v_and_or_b32 v38, v0, s7, 0xc00
	s_cselect_b32 s28, 12, 18
	s_add_co_i32 s8, s12, -1
	s_bfe_u32 s87, s34, 0x30005
	s_and_b32 s8, s8, 0xffff
	v_cmp_lt_u64_e64 s7, 3, v[4:5]
	s_cmp_gt_u32 s8, 6
	v_cmp_ne_u64_e64 s8, v[4:5], v[18:19]
	s_cselect_b32 s88, -1, 0
	s_and_b32 s89, s12, 0x7f8
	s_cmp_lg_u32 s87, 0
	s_add_nc_u64 s[62:63], s[10:11], s[28:29]
	s_cselect_b32 s90, -1, 0
	s_lshl_b64 s[58:59], s[30:31], 2
	s_and_b64 s[60:61], s[36:37], 0xffffffff00000000
	v_writelane_b32 v52, s8, 8
	s_branch .LBB120_6
.LBB120_4:                              ;   in Loop: Header=BB120_6 Depth=1
	s_or_b32 exec_lo, exec_lo, s12
	v_mov_b64_e32 v[30:31], v[4:5]
	s_and_not1_b32 s8, s101, exec_lo
	s_and_b32 s11, s11, exec_lo
	s_and_not1_b32 s102, s102, exec_lo
	s_or_b32 s101, s8, s11
	s_and_not1_b32 s100, s100, exec_lo
	s_and_not1_b32 s104, s104, exec_lo
	;; [unrolled: 1-line block ×3, first 2 shown]
	s_or_not1_b32 s10, s10, exec_lo
.LBB120_5:                              ;   in Loop: Header=BB120_6 Depth=1
	s_or_b32 exec_lo, exec_lo, s9
	s_delay_alu instid0(SALU_CYCLE_1) | instskip(NEXT) | instid1(SALU_CYCLE_1)
	s_and_b32 s9, exec_lo, s10
	s_or_b32 s93, s9, s93
	s_and_not1_b32 s9, s96, exec_lo
	s_and_b32 s10, s101, exec_lo
	s_and_not1_b32 s11, s99, exec_lo
	s_or_b32 s96, s9, s10
	s_and_b32 s9, s102, exec_lo
	s_and_not1_b32 s10, s97, exec_lo
	s_and_b32 s12, s100, exec_lo
	s_or_b32 s99, s11, s9
	s_or_b32 s97, s10, s12
	s_and_not1_b32 s9, s98, exec_lo
	s_and_b32 s10, s104, exec_lo
	s_and_not1_b32 s11, s94, exec_lo
	s_and_b32 s12, s103, exec_lo
	s_or_b32 s98, s9, s10
	s_or_b32 s94, s11, s12
	s_and_not1_b32 exec_lo, exec_lo, s93
	s_cbranch_execz .LBB120_468
.LBB120_6:                              ; =>This Loop Header: Depth=1
                                        ;     Child Loop BB120_11 Depth 2
                                        ;     Child Loop BB120_25 Depth 2
	;; [unrolled: 1-line block ×25, first 2 shown]
	ds_load_b128 v[4:7], v3 offset:5120
	s_wait_dscnt 0x0
	v_readfirstlane_b32 s65, v5
	v_readfirstlane_b32 s64, v4
	s_cmp_lg_u64 s[64:65], 0
	s_cbranch_scc1 .LBB120_38
; %bb.7:                                ;   in Loop: Header=BB120_6 Depth=1
	s_and_b32 vcc_lo, exec_lo, s33
	s_cbranch_vccz .LBB120_19
; %bb.8:                                ;   in Loop: Header=BB120_6 Depth=1
	v_cmp_gt_u64_e32 vcc_lo, 0xc01, v[6:7]
	s_mov_b32 s11, 0
	s_mov_b32 s9, 0
	s_cbranch_vccz .LBB120_20
; %bb.9:                                ;   in Loop: Header=BB120_6 Depth=1
	global_load_u16 v2, v3, s[62:63]
	global_load_u8 v10, v[14:15], off
	s_mov_b32 s12, 0
	s_wait_loadcnt 0x1
	v_and_b32_e32 v2, 0xffff, v2
	s_delay_alu instid0(VALU_DEP_1) | instskip(SKIP_1) | instid1(VALU_DEP_1)
	v_mul_u64_e32 v[4:5], s[30:31], v[2:3]
	v_add_nc_u32_e32 v8, v0, v2
	v_mad_nc_u64_u32 v[6:7], s30, v8, s[42:43]
	s_delay_alu instid0(VALU_DEP_1)
	v_mad_u32 v7, s31, v8, v7
	v_mov_b64_e32 v[8:9], v[0:1]
	s_branch .LBB120_11
.LBB120_10:                             ;   in Loop: Header=BB120_11 Depth=2
	s_or_b32 exec_lo, exec_lo, s10
	v_add_nc_u64_e32 v[6:7], v[6:7], v[4:5]
	v_mov_b32_e32 v10, v11
	s_and_not1_b32 exec_lo, exec_lo, s12
	s_cbranch_execz .LBB120_92
.LBB120_11:                             ;   Parent Loop BB120_6 Depth=1
                                        ; =>  This Inner Loop Header: Depth=2
	s_delay_alu instid0(VALU_DEP_1) | instskip(SKIP_3) | instid1(VALU_DEP_2)
	v_add_nc_u64_e32 v[8:9], v[8:9], v[2:3]
	s_wait_dscnt 0x0
	v_dual_mov_b32 v32, 0 :: v_dual_mov_b32 v11, 0
	s_mov_b32 s10, exec_lo
	v_cmp_le_u64_e32 vcc_lo, s[36:37], v[8:9]
	s_wait_xcnt 0x0
	v_cmpx_gt_u64_e64 s[36:37], v[8:9]
	s_cbranch_execz .LBB120_13
; %bb.12:                               ;   in Loop: Header=BB120_11 Depth=2
	global_load_u8 v11, v[6:7], off
.LBB120_13:                             ;   in Loop: Header=BB120_11 Depth=2
	s_wait_xcnt 0x0
	s_or_b32 exec_lo, exec_lo, s10
	s_wait_loadcnt 0x0
	v_bitop3_b32 v33, v10, 0xff, v41 bitop3:0x80
	s_delay_alu instid0(VALU_DEP_1) | instskip(SKIP_2) | instid1(SALU_CYCLE_1)
	v_cmp_eq_u32_e64 s9, v33, v39
	s_cmp_lg_u32 s9, 0
	s_cselect_b32 s10, -1, 0
	s_and_b32 s10, s2, s10
	s_delay_alu instid0(SALU_CYCLE_1)
	s_and_saveexec_b32 s13, s10
	s_cbranch_execz .LBB120_17
; %bb.14:                               ;   in Loop: Header=BB120_11 Depth=2
	s_mov_b32 s16, exec_lo
	s_bcnt1_i32_b32 s14, s9
	v_mbcnt_lo_u32_b32 v32, s16, 0
	s_mov_b32 s15, exec_lo
                                        ; implicit-def: $vgpr33
	s_delay_alu instid0(VALU_DEP_1)
	v_cmpx_eq_u32_e32 0, v32
; %bb.15:                               ;   in Loop: Header=BB120_11 Depth=2
	s_bcnt1_i32_b32 s10, s16
	s_delay_alu instid0(SALU_CYCLE_1) | instskip(NEXT) | instid1(SALU_CYCLE_1)
	s_mul_i32 s10, s14, s10
	v_mov_b32_e32 v33, s10
	ds_add_rtn_u32 v33, v3, v33 offset:5144
; %bb.16:                               ;   in Loop: Header=BB120_11 Depth=2
	s_or_b32 exec_lo, exec_lo, s15
	s_wait_dscnt 0x0
	v_readfirstlane_b32 s10, v33
	s_delay_alu instid0(VALU_DEP_1)
	v_mad_u32_u24 v32, s14, v32, s10
.LBB120_17:                             ;   in Loop: Header=BB120_11 Depth=2
	s_or_b32 exec_lo, exec_lo, s13
	ds_bpermute_b32 v32, v3, v32
	s_and_b32 s10, exec_lo, vcc_lo
	s_delay_alu instid0(SALU_CYCLE_1)
	s_or_b32 s12, s10, s12
	s_and_saveexec_b32 s10, s9
	s_cbranch_execz .LBB120_10
; %bb.18:                               ;   in Loop: Header=BB120_11 Depth=2
	v_and_b32_e32 v33, s9, v12
	s_wait_dscnt 0x0
	s_delay_alu instid0(VALU_DEP_1)
	v_bcnt_u32_b32 v32, v33, v32
	ds_store_b8 v32, v10
	s_branch .LBB120_10
.LBB120_19:                             ;   in Loop: Header=BB120_6 Depth=1
	s_mov_b32 s11, -1
	s_mov_b32 s9, 0
.LBB120_20:                             ;   in Loop: Header=BB120_6 Depth=1
	s_and_b32 vcc_lo, exec_lo, s11
	s_cbranch_vccz .LBB120_36
.LBB120_21:                             ;   in Loop: Header=BB120_6 Depth=1
	s_and_saveexec_b32 s9, s3
	s_cbranch_execz .LBB120_33
; %bb.22:                               ;   in Loop: Header=BB120_6 Depth=1
	global_load_u16 v4, v3, s[62:63]
	global_load_u8 v34, v[14:15], off
	s_mov_b32 s14, exec_lo
	v_mov_b32_e32 v8, v0
	s_wait_loadcnt 0x1
	v_and_b32_e32 v2, 0xffff, v4
	v_readfirstlane_b32 s10, v4
	s_delay_alu instid0(VALU_DEP_2) | instskip(SKIP_1) | instid1(VALU_DEP_1)
	v_add_nc_u32_e32 v2, v2, v0
	s_wait_xcnt 0x0
	v_cmpx_gt_u64_e64 s[36:37], v[2:3]
	s_cbranch_execz .LBB120_32
; %bb.23:                               ;   in Loop: Header=BB120_6 Depth=1
	s_and_b32 s28, s10, 0xffff
	v_mov_b64_e32 v[6:7], v[0:1]
	v_mov_b64_e32 v[4:5], v[2:3]
	s_cmp_eq_u32 s28, 1
	s_mov_b32 s11, -1
	s_cselect_b32 s10, -1, 0
                                        ; implicit-def: $vgpr8_vgpr9
	s_delay_alu instid0(SALU_CYCLE_1) | instskip(NEXT) | instid1(SALU_CYCLE_1)
	s_and_b32 s12, s7, s10
	s_and_saveexec_b32 s10, s12
	s_cbranch_execz .LBB120_27
; %bb.24:                               ;   in Loop: Header=BB120_6 Depth=1
	v_add_nc_u64_e32 v[8:9], 3, v[2:3]
	v_add_nc_u64_e32 v[6:7], 2, v[2:3]
	;; [unrolled: 1-line block ×3, first 2 shown]
	v_mov_b64_e32 v[32:33], v[18:19]
	s_wait_loadcnt 0x0
	v_dual_mov_b32 v35, v0 :: v_dual_lshlrev_b32 v36, 24, v34
	s_mov_b32 s11, 0
	v_mov_b64_e32 v[10:11], v[8:9]
	v_mov_b64_e32 v[8:9], v[6:7]
	v_mov_b64_e32 v[6:7], v[4:5]
	v_mov_b64_e32 v[4:5], v[2:3]
.LBB120_25:                             ;   Parent Loop BB120_6 Depth=1
                                        ; =>  This Inner Loop Header: Depth=2
	s_delay_alu instid0(VALU_DEP_2) | instskip(NEXT) | instid1(VALU_DEP_2)
	v_mad_nc_u64_u32 v[44:45], v6, s30, s[42:43]
	v_mad_nc_u64_u32 v[46:47], v4, s81, s[42:43]
	;; [unrolled: 1-line block ×4, first 2 shown]
	v_add_nc_u64_e32 v[32:33], -4, v[32:33]
	s_delay_alu instid0(VALU_DEP_1)
	v_cmp_eq_u64_e32 vcc_lo, 0, v[32:33]
	v_mad_u32 v34, v7, s30, v45
	v_mad_u32 v37, v5, s81, v47
	;; [unrolled: 1-line block ×4, first 2 shown]
	s_or_b32 s11, vcc_lo, s11
	s_delay_alu instid0(VALU_DEP_4) | instskip(NEXT) | instid1(VALU_DEP_4)
	v_mad_u32 v45, v6, s31, v34
	v_mad_u32 v47, v4, s82, v37
	s_delay_alu instid0(VALU_DEP_4) | instskip(NEXT) | instid1(VALU_DEP_4)
	v_mad_u32 v49, v8, s84, v43
	v_mad_u32 v51, v10, s86, v51
	v_add_nc_u64_e32 v[10:11], 4, v[10:11]
	v_add_nc_u64_e32 v[8:9], 4, v[8:9]
	;; [unrolled: 1-line block ×4, first 2 shown]
	s_clause 0x3
	global_load_u8 v37, v[44:45], off
	global_load_u8 v43, v[46:47], off
	global_load_u8 v44, v[48:49], off
	global_load_u8 v34, v[50:51], off
	s_wait_loadcnt 0x2
	v_perm_b32 v36, v36, v43, 0xc0c0007
	s_wait_loadcnt 0x1
	v_perm_b32 v45, v37, v44, 0xc0c0004
	v_perm_b32 v37, v43, v37, 0xc0c0004
	s_wait_loadcnt 0x0
	v_perm_b32 v43, v44, v34, 0xc0c0004
	s_delay_alu instid0(VALU_DEP_3) | instskip(NEXT) | instid1(VALU_DEP_2)
	v_lshl_or_b32 v36, v45, 16, v36
	v_lshl_or_b32 v37, v43, 16, v37
	ds_store_b32 v35, v36
	v_dual_mov_b32 v36, v37 :: v_dual_add_nc_u32 v35, 4, v35
	s_wait_xcnt 0x0
	s_and_not1_b32 exec_lo, exec_lo, s11
	s_cbranch_execnz .LBB120_25
; %bb.26:                               ;   in Loop: Header=BB120_6 Depth=1
	s_or_b32 exec_lo, exec_lo, s11
	v_add_nc_u64_e32 v[4:5], v[2:3], v[18:19]
	v_mov_b64_e32 v[6:7], v[22:23]
	v_readlane_b32 s8, v52, 8
	s_or_not1_b32 s11, s8, exec_lo
	v_add_nc_u64_e32 v[8:9], -1, v[4:5]
.LBB120_27:                             ;   in Loop: Header=BB120_6 Depth=1
	s_or_b32 exec_lo, exec_lo, s10
	s_and_saveexec_b32 s15, s11
	s_cbranch_execz .LBB120_31
; %bb.28:                               ;   in Loop: Header=BB120_6 Depth=1
	v_mad_nc_u64_u32 v[8:9], s30, v4, s[42:43]
	s_sub_nc_u64 s[10:11], 0, s[28:29]
	s_mul_u64 s[12:13], s[30:31], s[28:29]
	s_mov_b32 s16, 0
	s_delay_alu instid0(VALU_DEP_1) | instskip(NEXT) | instid1(VALU_DEP_1)
	v_mad_u32 v2, s31, v4, v9
	v_mad_u32 v9, s30, v5, v2
.LBB120_29:                             ;   Parent Loop BB120_6 Depth=1
                                        ; =>  This Inner Loop Header: Depth=2
	global_load_u8 v2, v[8:9], off
	v_mov_b64_e32 v[10:11], v[4:5]
	s_wait_loadcnt 0x1
	ds_store_b8 v6, v34
	s_wait_xcnt 0x0
	v_add_nc_u64_e32 v[8:9], s[12:13], v[8:9]
	v_add_nc_u64_e32 v[4:5], s[28:29], v[10:11]
	v_mov_b64_e32 v[6:7], v[10:11]
	s_delay_alu instid0(VALU_DEP_2)
	v_cmp_le_u64_e32 vcc_lo, s[36:37], v[4:5]
	s_or_b32 s16, vcc_lo, s16
	s_wait_loadcnt 0x0
	v_mov_b32_e32 v34, v2
	s_and_not1_b32 exec_lo, exec_lo, s16
	s_cbranch_execnz .LBB120_29
; %bb.30:                               ;   in Loop: Header=BB120_6 Depth=1
	s_or_b32 exec_lo, exec_lo, s16
	v_add_nc_u64_e32 v[8:9], s[10:11], v[4:5]
	v_mov_b32_e32 v34, v2
.LBB120_31:                             ;   in Loop: Header=BB120_6 Depth=1
	s_or_b32 exec_lo, exec_lo, s15
.LBB120_32:                             ;   in Loop: Header=BB120_6 Depth=1
	s_delay_alu instid0(SALU_CYCLE_1)
	s_or_b32 exec_lo, exec_lo, s14
	s_wait_loadcnt 0x0
	ds_store_b8 v8, v34
.LBB120_33:                             ;   in Loop: Header=BB120_6 Depth=1
	s_or_b32 exec_lo, exec_lo, s9
	s_wait_dscnt 0x0
	s_barrier_signal -1
	s_barrier_wait -1
	s_and_saveexec_b32 s9, s5
; %bb.34:                               ;   in Loop: Header=BB120_6 Depth=1
	v_mov_b64_e32 v[4:5], s[36:37]
	ds_store_b64 v3, v[4:5] offset:5120
; %bb.35:                               ;   in Loop: Header=BB120_6 Depth=1
	s_or_b32 exec_lo, exec_lo, s9
	s_mov_b32 s9, -1
	s_wait_dscnt 0x0
	s_barrier_signal -1
	s_barrier_wait -1
.LBB120_36:                             ;   in Loop: Header=BB120_6 Depth=1
	s_and_b32 vcc_lo, exec_lo, s9
	s_mov_b64 s[64:65], 0
	s_cbranch_vccz .LBB120_38
; %bb.37:                               ;   in Loop: Header=BB120_6 Depth=1
	ds_load_b64 v[4:5], v3 offset:5120
	s_wait_dscnt 0x0
	v_readfirstlane_b32 s64, v4
	v_readfirstlane_b32 s65, v5
.LBB120_38:                             ;   in Loop: Header=BB120_6 Depth=1
	s_delay_alu instid0(VALU_DEP_2)
	s_cmp_lt_i32 s64, 1
	s_mov_b32 s9, -1
                                        ; implicit-def: $vgpr10_vgpr11
                                        ; implicit-def: $vgpr6_vgpr7
	s_cbranch_scc1 .LBB120_48
; %bb.39:                               ;   in Loop: Header=BB120_6 Depth=1
	s_and_b32 vcc_lo, exec_lo, s9
	s_cbranch_vccnz .LBB120_62
.LBB120_40:                             ;   in Loop: Header=BB120_6 Depth=1
	s_lshl_b32 s9, s95, 7
	s_and_saveexec_b32 s10, s2
	s_cbranch_execz .LBB120_42
.LBB120_41:                             ;   in Loop: Header=BB120_6 Depth=1
	v_lshl_add_u32 v2, s9, 3, v38
	ds_store_b128 v2, v[4:7]
	ds_store_b128 v2, v[8:11] offset:16
.LBB120_42:                             ;   in Loop: Header=BB120_6 Depth=1
	s_or_b32 exec_lo, exec_lo, s10
	s_wait_dscnt 0x0
	s_barrier_signal -1
	s_barrier_wait -1
	s_and_saveexec_b32 s10, s78
	s_cbranch_execz .LBB120_76
; %bb.43:                               ;   in Loop: Header=BB120_6 Depth=1
	v_mov_b64_e32 v[4:5], 0
	s_and_not1_b32 vcc_lo, exec_lo, s80
	s_cbranch_vccnz .LBB120_75
; %bb.44:                               ;   in Loop: Header=BB120_6 Depth=1
	v_mov_b64_e32 v[4:5], 0
	s_and_not1_b32 vcc_lo, exec_lo, s88
	s_cbranch_vccnz .LBB120_72
; %bb.45:                               ;   in Loop: Header=BB120_6 Depth=1
	v_lshl_add_u32 v2, s95, 10, v40
	s_mov_b32 s11, 0
.LBB120_46:                             ;   Parent Loop BB120_6 Depth=1
                                        ; =>  This Inner Loop Header: Depth=2
	ds_load_2addr_b64 v[6:9], v2 offset1:4
	ds_load_2addr_b64 v[32:35], v2 offset0:8 offset1:12
	s_add_co_i32 s11, s11, 8
	s_delay_alu instid0(SALU_CYCLE_1) | instskip(SKIP_2) | instid1(VALU_DEP_1)
	s_cmp_eq_u32 s89, s11
	s_wait_dscnt 0x1
	v_add_nc_u64_e32 v[4:5], v[6:7], v[4:5]
	v_add_nc_u64_e32 v[8:9], v[8:9], v[4:5]
	ds_load_2addr_b64 v[4:7], v2 offset0:16 offset1:20
	s_wait_dscnt 0x1
	v_add_nc_u64_e32 v[8:9], v[32:33], v[8:9]
	s_delay_alu instid0(VALU_DEP_1) | instskip(SKIP_4) | instid1(VALU_DEP_1)
	v_add_nc_u64_e32 v[32:33], v[34:35], v[8:9]
	ds_load_2addr_b64 v[8:11], v2 offset0:24 offset1:28
	v_add_nc_u32_e32 v2, 0x100, v2
	s_wait_dscnt 0x1
	v_add_nc_u64_e32 v[4:5], v[4:5], v[32:33]
	v_add_nc_u64_e32 v[4:5], v[6:7], v[4:5]
	s_wait_dscnt 0x0
	s_delay_alu instid0(VALU_DEP_1) | instskip(NEXT) | instid1(VALU_DEP_1)
	v_add_nc_u64_e32 v[4:5], v[8:9], v[4:5]
	v_add_nc_u64_e32 v[4:5], v[10:11], v[4:5]
	s_cbranch_scc0 .LBB120_46
; %bb.47:                               ;   in Loop: Header=BB120_6 Depth=1
	s_mov_b32 s11, s89
	s_and_not1_b32 vcc_lo, exec_lo, s90
	s_cbranch_vccz .LBB120_73
	s_branch .LBB120_75
.LBB120_48:                             ;   in Loop: Header=BB120_6 Depth=1
	global_load_u16 v2, v3, s[62:63]
	s_mov_b32 s67, s29
	s_wait_loadcnt 0x0
	v_readfirstlane_b32 s9, v2
	s_and_b32 s9, 0xffff, s9
	s_delay_alu instid0(SALU_CYCLE_1)
	s_lshl_b32 s66, s9, 2
	s_cmp_lg_u64 s[60:61], 0
	s_cbranch_scc0 .LBB120_71
; %bb.49:                               ;   in Loop: Header=BB120_6 Depth=1
	s_cvt_f32_u32 s9, s66
	s_sub_nc_u64 s[12:13], 0, s[66:67]
	s_delay_alu instid0(SALU_CYCLE_2) | instskip(NEXT) | instid1(SALU_CYCLE_3)
	s_fmamk_f32 s9, s92, 0x0, s9
	v_s_rcp_f32 s9, s9
	s_delay_alu instid0(TRANS32_DEP_1) | instskip(NEXT) | instid1(SALU_CYCLE_3)
	s_mul_f32 s9, s9, 0x5f7ffffc
	s_mul_f32 s10, s9, 0x2f800000
	s_delay_alu instid0(SALU_CYCLE_3) | instskip(NEXT) | instid1(SALU_CYCLE_3)
	s_trunc_f32 s10, s10
	s_fmamk_f32 s9, s10, 0xcf800000, s9
	s_cvt_u32_f32 s11, s10
	s_delay_alu instid0(SALU_CYCLE_2) | instskip(NEXT) | instid1(SALU_CYCLE_3)
	s_cvt_u32_f32 s10, s9
	s_mul_u64 s[14:15], s[12:13], s[10:11]
	s_delay_alu instid0(SALU_CYCLE_1)
	s_mul_hi_u32 s17, s10, s15
	s_mul_i32 s16, s10, s15
	s_mul_hi_u32 s28, s10, s14
	s_mul_i32 s18, s11, s14
	s_add_nc_u64 s[16:17], s[28:29], s[16:17]
	s_mul_hi_u32 s9, s11, s14
	s_mul_hi_u32 s19, s11, s15
	s_mul_i32 s14, s11, s15
	s_add_co_u32 s15, s16, s18
	s_add_co_ci_u32 s28, s17, s9
	s_add_co_ci_u32 s15, s19, 0
	s_delay_alu instid0(SALU_CYCLE_1) | instskip(NEXT) | instid1(SALU_CYCLE_1)
	s_add_nc_u64 s[14:15], s[28:29], s[14:15]
	s_add_co_u32 s10, s10, s14
	s_cselect_b32 s9, -1, 0
	s_delay_alu instid0(SALU_CYCLE_1) | instskip(SKIP_1) | instid1(SALU_CYCLE_1)
	s_cmp_lg_u32 s9, 0
	s_add_co_ci_u32 s11, s11, s15
	s_mul_u64 s[12:13], s[12:13], s[10:11]
	s_delay_alu instid0(SALU_CYCLE_1)
	s_mul_hi_u32 s15, s10, s13
	s_mul_i32 s14, s10, s13
	s_mul_hi_u32 s28, s10, s12
	s_mul_i32 s16, s11, s12
	s_add_nc_u64 s[14:15], s[28:29], s[14:15]
	s_mul_hi_u32 s9, s11, s12
	s_mul_hi_u32 s17, s11, s13
	s_mul_i32 s12, s11, s13
	s_add_co_u32 s13, s14, s16
	s_add_co_ci_u32 s28, s15, s9
	s_add_co_ci_u32 s13, s17, 0
	s_delay_alu instid0(SALU_CYCLE_1) | instskip(NEXT) | instid1(SALU_CYCLE_1)
	s_add_nc_u64 s[12:13], s[28:29], s[12:13]
	s_add_co_u32 s9, s10, s12
	s_cselect_b32 s10, -1, 0
	s_mul_hi_u32 s28, s36, s9
	s_cmp_lg_u32 s10, 0
	s_mul_hi_u32 s14, s37, s9
	s_add_co_ci_u32 s12, s11, s13
	s_mul_i32 s9, s37, s9
	s_mul_hi_u32 s11, s36, s12
	s_mul_i32 s10, s36, s12
	s_mul_hi_u32 s13, s37, s12
	s_add_nc_u64 s[10:11], s[28:29], s[10:11]
	s_mul_i32 s12, s37, s12
	s_add_co_u32 s9, s10, s9
	s_add_co_ci_u32 s28, s11, s14
	s_add_co_ci_u32 s13, s13, 0
	s_delay_alu instid0(SALU_CYCLE_1) | instskip(NEXT) | instid1(SALU_CYCLE_1)
	s_add_nc_u64 s[10:11], s[28:29], s[12:13]
	s_and_b64 s[12:13], s[10:11], 0xffffffff00000000
	s_delay_alu instid0(SALU_CYCLE_1) | instskip(NEXT) | instid1(SALU_CYCLE_1)
	s_or_b32 s12, s12, s10
	s_mul_u64 s[10:11], s[66:67], s[12:13]
	s_delay_alu instid0(SALU_CYCLE_1) | instskip(SKIP_1) | instid1(SALU_CYCLE_1)
	s_sub_co_u32 s9, s36, s10
	s_cselect_b32 s10, -1, 0
	s_cmp_lg_u32 s10, 0
	s_sub_co_ci_u32 s10, s37, s11
	s_sub_co_u32 s11, s9, s66
	s_cselect_b32 s12, -1, 0
	s_delay_alu instid0(SALU_CYCLE_1) | instskip(SKIP_3) | instid1(SALU_CYCLE_1)
	s_cmp_lg_u32 s12, 0
	s_sub_co_ci_u32 s12, s10, 0
	s_sub_co_u32 s13, s11, s66
	s_cselect_b32 s14, -1, 0
	s_cmp_lg_u32 s14, 0
	s_sub_co_ci_u32 s14, s12, 0
	s_cmp_ge_u32 s11, s66
	s_cselect_b32 s15, -1, 0
	s_cmp_eq_u32 s12, 0
	s_cselect_b32 s15, s15, -1
	s_delay_alu instid0(SALU_CYCLE_1)
	s_cmp_lg_u32 s15, 0
	s_cselect_b32 s12, s14, s12
	s_cselect_b32 s13, s13, s11
	s_cmp_ge_u32 s9, s66
	s_cselect_b32 s11, -1, 0
	s_cmp_eq_u32 s10, 0
	s_cselect_b32 s11, s11, -1
	s_delay_alu instid0(SALU_CYCLE_1)
	s_cmp_lg_u32 s11, 0
	s_cselect_b32 s11, s12, s10
	s_cselect_b32 s10, s13, s9
	s_cbranch_execnz .LBB120_51
.LBB120_50:                             ;   in Loop: Header=BB120_6 Depth=1
	v_cvt_f32_u32_e32 v4, s66
	s_sub_co_i32 s10, 0, s66
	s_delay_alu instid0(VALU_DEP_1) | instskip(SKIP_1) | instid1(TRANS32_DEP_1)
	v_rcp_iflag_f32_e32 v4, v4
	v_nop
	v_mul_f32_e32 v4, 0x4f7ffffe, v4
	s_delay_alu instid0(VALU_DEP_1) | instskip(NEXT) | instid1(VALU_DEP_1)
	v_cvt_u32_f32_e32 v4, v4
	v_readfirstlane_b32 s9, v4
	s_mul_i32 s10, s10, s9
	s_delay_alu instid0(SALU_CYCLE_1) | instskip(NEXT) | instid1(SALU_CYCLE_1)
	s_mul_hi_u32 s10, s9, s10
	s_add_co_i32 s9, s9, s10
	s_delay_alu instid0(SALU_CYCLE_1) | instskip(NEXT) | instid1(SALU_CYCLE_1)
	s_mul_hi_u32 s9, s36, s9
	s_mul_i32 s9, s9, s66
	s_delay_alu instid0(SALU_CYCLE_1) | instskip(NEXT) | instid1(SALU_CYCLE_1)
	s_sub_co_i32 s9, s36, s9
	s_sub_co_i32 s10, s9, s66
	s_cmp_ge_u32 s9, s66
	s_cselect_b32 s9, s10, s9
	s_delay_alu instid0(SALU_CYCLE_1) | instskip(SKIP_2) | instid1(SALU_CYCLE_1)
	s_sub_co_i32 s10, s9, s66
	s_cmp_ge_u32 s9, s66
	s_cselect_b32 s28, s10, s9
	s_mov_b64 s[10:11], s[28:29]
.LBB120_51:                             ;   in Loop: Header=BB120_6 Depth=1
	v_mov_b64_e32 v[4:5], 0
	v_mov_b64_e32 v[6:7], 0
	;; [unrolled: 1-line block ×4, first 2 shown]
	v_and_b32_e32 v2, 0xffff, v2
	s_sub_nc_u64 s[68:69], s[36:37], s[10:11]
	s_mov_b32 s46, exec_lo
	v_cmpx_gt_u64_e64 s[68:69], v[16:17]
	s_cbranch_execz .LBB120_55
; %bb.52:                               ;   in Loop: Header=BB120_6 Depth=1
	v_mul_u64_e32 v[32:33], s[58:59], v[2:3]
	v_mov_b64_e32 v[34:35], s[42:43]
	v_mov_b64_e32 v[36:37], v[16:17]
	s_mov_b64 s[70:71], 0
	s_mov_b32 s47, 0
	s_mov_b64 s[72:73], 0
	s_mov_b64 s[74:75], 0
	;; [unrolled: 1-line block ×3, first 2 shown]
.LBB120_53:                             ;   Parent Loop BB120_6 Depth=1
                                        ; =>  This Inner Loop Header: Depth=2
	v_add_nc_u64_e32 v[4:5], v[34:35], v[28:29]
	v_add_nc_u64_e32 v[6:7], v[34:35], v[26:27]
	;; [unrolled: 1-line block ×6, first 2 shown]
	s_clause 0x3
	global_load_u8 v4, v[4:5], off
	global_load_u8 v5, v[6:7], off
	;; [unrolled: 1-line block ×4, first 2 shown]
	v_cmp_le_u64_e32 vcc_lo, s[68:69], v[36:37]
	s_wait_loadcnt 0x3
	s_wait_xcnt 0x1
	v_and_b32_e32 v8, v41, v4
	s_wait_loadcnt 0x2
	v_and_b32_e32 v9, v41, v5
	v_bfe_u32 v4, v4, s91, 2
	v_bfe_u32 v5, v5, s91, 2
	s_wait_loadcnt 0x1
	s_wait_xcnt 0x0
	v_and_b32_e32 v10, v41, v6
	v_bfe_u32 v6, v6, s91, 2
	s_wait_loadcnt 0x0
	v_and_b32_e32 v11, v41, v7
	v_bfe_u32 v7, v7, s91, 2
	v_cmp_eq_u32_e64 s9, v8, v39
	v_cmp_eq_u32_e64 s10, v9, v39
	;; [unrolled: 1-line block ×15, first 2 shown]
	s_and_b32 s13, s9, s13
	s_and_b32 s14, s10, s14
	v_cmp_eq_u32_e64 s20, 1, v7
	v_cmp_eq_u32_e64 s23, 2, v6
	;; [unrolled: 1-line block ×3, first 2 shown]
	s_and_b32 s15, s11, s15
	s_and_b32 s17, s9, s17
	;; [unrolled: 1-line block ×3, first 2 shown]
	v_cndmask_b32_e64 v4, 0, 1, s13
	v_cndmask_b32_e64 v5, 0, 1, s14
	v_cmp_eq_u32_e64 s24, 2, v7
	v_cmp_eq_u32_e64 s28, 3, v7
	s_and_b32 s16, s12, s16
	s_and_b32 s19, s11, s19
	;; [unrolled: 1-line block ×4, first 2 shown]
	v_cndmask_b32_e64 v6, 0, 1, s15
	v_cndmask_b32_e64 v8, 0, 1, s17
	v_cndmask_b32_e64 v9, 0, 1, s18
	s_and_b32 s9, s9, s25
	s_and_b32 s10, s10, s26
	;; [unrolled: 1-line block ×4, first 2 shown]
	v_cndmask_b32_e64 v7, 0, 1, s16
	v_cndmask_b32_e64 v10, 0, 1, s19
	;; [unrolled: 1-line block ×4, first 2 shown]
	s_and_b32 s11, s11, s27
	v_cndmask_b32_e64 v47, 0, 1, s9
	v_cndmask_b32_e64 v48, 0, 1, s10
	v_cmp_ne_u32_e64 s9, 0, v4
	v_cmp_ne_u32_e64 s10, 0, v5
	s_and_b32 s24, s12, s24
	v_cndmask_b32_e64 v11, 0, 1, s20
	v_cndmask_b32_e64 v45, 0, 1, s23
	s_and_b32 s12, s12, s28
	v_cndmask_b32_e64 v49, 0, 1, s11
	v_cmp_ne_u32_e64 s11, 0, v6
	v_cmp_ne_u32_e64 s13, 0, v8
	;; [unrolled: 1-line block ×3, first 2 shown]
	v_cndmask_b32_e64 v46, 0, 1, s24
	v_cndmask_b32_e64 v50, 0, 1, s12
	v_cmp_ne_u32_e64 s12, 0, v7
	v_cmp_ne_u32_e64 s15, 0, v10
	;; [unrolled: 1-line block ×4, first 2 shown]
	s_bcnt1_i32_b32 s9, s9
	s_bcnt1_i32_b32 s10, s10
	v_cmp_ne_u32_e64 s16, 0, v11
	v_cmp_ne_u32_e64 s19, 0, v45
	;; [unrolled: 1-line block ×4, first 2 shown]
	s_bcnt1_i32_b32 s11, s11
	s_bcnt1_i32_b32 s13, s13
	;; [unrolled: 1-line block ×3, first 2 shown]
	s_add_co_i32 s9, s10, s9
	v_cmp_ne_u32_e64 s20, 0, v46
	v_cmp_ne_u32_e64 s23, 0, v49
	s_bcnt1_i32_b32 s12, s12
	s_bcnt1_i32_b32 s15, s15
	;; [unrolled: 1-line block ×4, first 2 shown]
	s_add_co_i32 s10, s14, s13
	s_add_co_i32 s9, s9, s11
	v_cmp_ne_u32_e64 s24, 0, v50
	s_bcnt1_i32_b32 s16, s16
	s_bcnt1_i32_b32 s19, s19
	s_bcnt1_i32_b32 s21, s21
	s_bcnt1_i32_b32 s22, s22
	s_add_co_i32 s13, s18, s17
	s_add_co_i32 s10, s10, s15
	;; [unrolled: 1-line block ×3, first 2 shown]
	s_bcnt1_i32_b32 s20, s20
	s_bcnt1_i32_b32 s23, s23
	s_add_co_i32 s14, s22, s21
	s_add_co_i32 s11, s13, s19
	s_add_nc_u64 s[76:77], s[76:77], s[28:29]
	s_add_co_i32 s28, s10, s16
	s_bcnt1_i32_b32 s24, s24
	s_add_co_i32 s13, s14, s23
	s_add_nc_u64 s[74:75], s[74:75], s[28:29]
	s_add_co_i32 s28, s11, s20
	v_mov_b64_e32 v[4:5], s[76:77]
	s_add_nc_u64 s[72:73], s[72:73], s[28:29]
	s_add_co_i32 s28, s13, s24
	v_mov_b64_e32 v[6:7], s[74:75]
	s_add_nc_u64 s[70:71], s[70:71], s[28:29]
	v_mov_b64_e32 v[8:9], s[72:73]
	v_mov_b64_e32 v[10:11], s[70:71]
	s_or_b32 s47, vcc_lo, s47
	s_delay_alu instid0(SALU_CYCLE_1)
	s_and_not1_b32 exec_lo, exec_lo, s47
	s_cbranch_execnz .LBB120_53
; %bb.54:                               ;   in Loop: Header=BB120_6 Depth=1
	s_or_b32 exec_lo, exec_lo, s47
.LBB120_55:                             ;   in Loop: Header=BB120_6 Depth=1
	s_delay_alu instid0(SALU_CYCLE_1) | instskip(SKIP_2) | instid1(VALU_DEP_1)
	s_or_b32 exec_lo, exec_lo, s46
	v_add_nc_u64_e32 v[32:33], s[68:69], v[0:1]
	s_mov_b32 s12, exec_lo
	v_cmpx_gt_u64_e64 s[36:37], v[32:33]
	s_cbranch_execz .LBB120_61
; %bb.56:                               ;   in Loop: Header=BB120_6 Depth=1
	v_mad_nc_u64_u32 v[34:35], v32, s30, s[42:43]
	s_mov_b32 s13, 0
	s_delay_alu instid0(VALU_DEP_1) | instskip(NEXT) | instid1(VALU_DEP_1)
	v_mad_u32 v35, v33, s30, v35
	v_mad_u32 v35, v32, s31, v35
	global_load_u8 v35, v[34:35], off
	s_branch .LBB120_58
.LBB120_57:                             ;   in Loop: Header=BB120_58 Depth=2
	s_wait_xcnt 0x0
	s_or_b32 exec_lo, exec_lo, s10
	s_wait_loadcnt 0x0
	v_and_b32_e32 v36, 0xff, v35
	v_bitop3_b32 v35, v41, v35, 0xff bitop3:0x80
	s_and_b32 s11, exec_lo, vcc_lo
	s_delay_alu instid0(SALU_CYCLE_1) | instskip(NEXT) | instid1(VALU_DEP_2)
	s_or_b32 s13, s11, s13
	v_bfe_u32 v36, v36, s91, 2
	s_delay_alu instid0(VALU_DEP_2) | instskip(NEXT) | instid1(VALU_DEP_2)
	v_cmp_eq_u32_e64 s9, v35, v39
	v_cmp_eq_u32_e64 s10, 0, v36
	v_cmp_eq_u32_e32 vcc_lo, 1, v36
	s_and_b32 s10, s9, s10
	s_and_b32 s11, s9, vcc_lo
	v_cndmask_b32_e64 v35, 0, 1, s10
	v_cmp_eq_u32_e64 s10, 2, v36
	v_cmp_eq_u32_e32 vcc_lo, 3, v36
	v_cndmask_b32_e64 v37, 0, 1, s11
	s_delay_alu instid0(VALU_DEP_4)
	v_cmp_ne_u32_e64 s11, 0, v35
	s_and_b32 s10, s9, s10
	s_and_b32 s9, s9, vcc_lo
	v_cndmask_b32_e64 v35, 0, 1, s10
	v_cndmask_b32_e64 v36, 0, 1, s9
	v_cmp_ne_u32_e64 s10, 0, v37
	s_bcnt1_i32_b32 s28, s11
	v_cmp_ne_u32_e32 vcc_lo, 0, v35
	v_cmp_ne_u32_e64 s9, 0, v36
	v_add_nc_u64_e32 v[4:5], s[28:29], v[4:5]
	s_bcnt1_i32_b32 s28, s10
	v_mov_b32_e32 v35, v34
	v_add_nc_u64_e32 v[6:7], s[28:29], v[6:7]
	s_bcnt1_i32_b32 s28, vcc_lo
	s_delay_alu instid0(SALU_CYCLE_1) | instskip(SKIP_1) | instid1(SALU_CYCLE_1)
	v_add_nc_u64_e32 v[8:9], s[28:29], v[8:9]
	s_bcnt1_i32_b32 s28, s9
	v_add_nc_u64_e32 v[10:11], s[28:29], v[10:11]
	s_and_not1_b32 exec_lo, exec_lo, s13
	s_cbranch_execz .LBB120_60
.LBB120_58:                             ;   Parent Loop BB120_6 Depth=1
                                        ; =>  This Inner Loop Header: Depth=2
	v_add_nc_u64_e32 v[32:33], v[32:33], v[2:3]
	s_wait_xcnt 0x0
	v_mov_b32_e32 v34, 0
	s_mov_b32 s10, exec_lo
	s_delay_alu instid0(VALU_DEP_2)
	v_cmp_le_u64_e32 vcc_lo, s[36:37], v[32:33]
	v_cmpx_gt_u64_e64 s[36:37], v[32:33]
	s_cbranch_execz .LBB120_57
; %bb.59:                               ;   in Loop: Header=BB120_58 Depth=2
	v_mad_nc_u64_u32 v[36:37], v32, s30, s[42:43]
	s_delay_alu instid0(VALU_DEP_1) | instskip(NEXT) | instid1(VALU_DEP_1)
	v_mad_u32 v34, v33, s30, v37
	v_mad_u32 v37, v32, s31, v34
	global_load_u8 v34, v[36:37], off
	s_branch .LBB120_57
.LBB120_60:                             ;   in Loop: Header=BB120_6 Depth=1
	s_or_b32 exec_lo, exec_lo, s13
.LBB120_61:                             ;   in Loop: Header=BB120_6 Depth=1
	s_delay_alu instid0(SALU_CYCLE_1)
	s_or_b32 exec_lo, exec_lo, s12
	s_branch .LBB120_40
.LBB120_62:                             ;   in Loop: Header=BB120_6 Depth=1
	global_load_u16 v2, v3, s[62:63]
	s_mov_b32 s67, s29
	v_mov_b64_e32 v[6:7], 0
	v_mov_b64_e32 v[8:9], 0
	;; [unrolled: 1-line block ×3, first 2 shown]
	s_mov_b32 s47, exec_lo
	s_wait_loadcnt 0x0
	v_readfirstlane_b32 s9, v2
	v_and_b32_e32 v2, 0xffff, v2
	s_and_b32 s46, 0xffff, s9
	s_delay_alu instid0(SALU_CYCLE_1) | instskip(NEXT) | instid1(SALU_CYCLE_1)
	s_lshl_b32 s68, s46, 2
	s_cvt_f32_u32 s9, s68
	s_sub_co_i32 s10, 0, s68
	s_delay_alu instid0(SALU_CYCLE_2) | instskip(SKIP_1) | instid1(TRANS32_DEP_1)
	v_rcp_iflag_f32_e32 v4, s9
	v_nop
	v_readfirstlane_b32 s9, v4
	s_mul_f32 s9, s9, 0x4f7ffffe
	s_delay_alu instid0(SALU_CYCLE_3) | instskip(NEXT) | instid1(SALU_CYCLE_3)
	s_cvt_u32_f32 s9, s9
	s_mul_i32 s10, s10, s9
	s_delay_alu instid0(SALU_CYCLE_1) | instskip(NEXT) | instid1(SALU_CYCLE_1)
	s_mul_hi_u32 s10, s9, s10
	s_add_co_i32 s9, s9, s10
	s_delay_alu instid0(SALU_CYCLE_1) | instskip(NEXT) | instid1(SALU_CYCLE_1)
	s_mul_hi_u32 s9, s64, s9
	s_mul_i32 s10, s9, s68
	s_add_co_i32 s11, s9, 1
	s_sub_co_i32 s10, s64, s10
	s_delay_alu instid0(SALU_CYCLE_1)
	s_sub_co_i32 s12, s10, s68
	s_cmp_ge_u32 s10, s68
	s_cselect_b32 s9, s11, s9
	s_cselect_b32 s10, s12, s10
	s_add_co_i32 s11, s9, 1
	s_cmp_ge_u32 s10, s68
	s_cselect_b32 s66, s11, s9
	s_delay_alu instid0(SALU_CYCLE_1) | instskip(NEXT) | instid1(VALU_DEP_1)
	v_mul_u64_e32 v[4:5], s[66:67], v[2:3]
	v_lshlrev_b64_e32 v[32:33], 2, v[4:5]
	v_mov_b64_e32 v[4:5], 0
	s_delay_alu instid0(VALU_DEP_2)
	v_cmpx_gt_u64_e64 v[32:33], v[16:17]
	s_cbranch_execz .LBB120_66
; %bb.63:                               ;   in Loop: Header=BB120_6 Depth=1
	v_mov_b64_e32 v[34:35], v[16:17]
	v_mov_b32_e32 v36, v16
	s_mov_b32 s69, s29
	s_mov_b64 s[70:71], 0
	s_mov_b32 s67, 0
	s_mov_b64 s[72:73], 0
	s_mov_b64 s[74:75], 0
	;; [unrolled: 1-line block ×3, first 2 shown]
.LBB120_64:                             ;   Parent Loop BB120_6 Depth=1
                                        ; =>  This Inner Loop Header: Depth=2
	ds_load_b32 v4, v36
	v_add_nc_u64_e32 v[34:35], s[68:69], v[34:35]
	v_add_nc_u32_e32 v36, s68, v36
	s_delay_alu instid0(VALU_DEP_2)
	v_cmp_ge_u64_e32 vcc_lo, v[34:35], v[32:33]
	s_wait_dscnt 0x0
	v_dual_lshrrev_b32 v5, 16, v4 :: v_dual_lshrrev_b32 v6, 8, v4
	v_and_b32_e32 v9, 0xff, v4
	v_bfe_u32 v10, v4, 8, 8
	v_bitop3_b32 v7, v41, v4, 0xff bitop3:0x80
	v_lshrrev_b32_e32 v8, 24, v4
	v_bfe_u32 v4, v4, 16, 8
	v_bitop3_b32 v6, v41, v6, 0xff bitop3:0x80
	v_bfe_u32 v9, v9, s91, 2
	v_bfe_u32 v10, v10, s91, 2
	v_bitop3_b32 v5, v41, v5, 0xff bitop3:0x80
	v_bfe_u32 v4, v4, s91, 2
	v_cmp_eq_u32_e64 s9, v7, v39
	v_and_b32_e32 v7, v41, v8
	v_bfe_u32 v8, v8, s91, 2
	v_cmp_eq_u32_e64 s10, v6, v39
	v_cmp_eq_u32_e64 s13, 0, v9
	;; [unrolled: 1-line block ×14, first 2 shown]
	s_and_b32 s13, s9, s13
	s_and_b32 s14, s10, s14
	v_cmp_eq_u32_e64 s20, 1, v8
	v_cmp_eq_u32_e64 s23, 2, v4
	;; [unrolled: 1-line block ×3, first 2 shown]
	s_and_b32 s15, s11, s15
	s_and_b32 s17, s9, s17
	;; [unrolled: 1-line block ×3, first 2 shown]
	v_cndmask_b32_e64 v4, 0, 1, s13
	v_cndmask_b32_e64 v5, 0, 1, s14
	v_cmp_eq_u32_e64 s24, 2, v8
	v_cmp_eq_u32_e64 s28, 3, v8
	s_and_b32 s16, s12, s16
	s_and_b32 s19, s11, s19
	;; [unrolled: 1-line block ×4, first 2 shown]
	v_cndmask_b32_e64 v6, 0, 1, s15
	v_cndmask_b32_e64 v8, 0, 1, s17
	;; [unrolled: 1-line block ×3, first 2 shown]
	s_and_b32 s9, s9, s25
	s_and_b32 s10, s10, s26
	;; [unrolled: 1-line block ×4, first 2 shown]
	v_cndmask_b32_e64 v7, 0, 1, s16
	v_cndmask_b32_e64 v10, 0, 1, s19
	;; [unrolled: 1-line block ×4, first 2 shown]
	s_and_b32 s11, s11, s27
	v_cndmask_b32_e64 v46, 0, 1, s9
	v_cndmask_b32_e64 v47, 0, 1, s10
	v_cmp_ne_u32_e64 s9, 0, v4
	v_cmp_ne_u32_e64 s10, 0, v5
	s_and_b32 s24, s12, s24
	v_cndmask_b32_e64 v11, 0, 1, s20
	v_cndmask_b32_e64 v44, 0, 1, s23
	s_and_b32 s12, s12, s28
	v_cndmask_b32_e64 v48, 0, 1, s11
	v_cmp_ne_u32_e64 s11, 0, v6
	v_cmp_ne_u32_e64 s13, 0, v8
	;; [unrolled: 1-line block ×3, first 2 shown]
	v_cndmask_b32_e64 v45, 0, 1, s24
	v_cndmask_b32_e64 v49, 0, 1, s12
	v_cmp_ne_u32_e64 s12, 0, v7
	v_cmp_ne_u32_e64 s15, 0, v10
	;; [unrolled: 1-line block ×4, first 2 shown]
	s_bcnt1_i32_b32 s9, s9
	s_bcnt1_i32_b32 s10, s10
	v_cmp_ne_u32_e64 s16, 0, v11
	v_cmp_ne_u32_e64 s19, 0, v44
	;; [unrolled: 1-line block ×4, first 2 shown]
	s_bcnt1_i32_b32 s11, s11
	s_bcnt1_i32_b32 s13, s13
	;; [unrolled: 1-line block ×3, first 2 shown]
	s_add_co_i32 s9, s10, s9
	v_cmp_ne_u32_e64 s20, 0, v45
	v_cmp_ne_u32_e64 s23, 0, v48
	s_bcnt1_i32_b32 s12, s12
	s_bcnt1_i32_b32 s15, s15
	;; [unrolled: 1-line block ×4, first 2 shown]
	s_add_co_i32 s10, s14, s13
	s_add_co_i32 s9, s9, s11
	v_cmp_ne_u32_e64 s24, 0, v49
	s_bcnt1_i32_b32 s16, s16
	s_bcnt1_i32_b32 s19, s19
	;; [unrolled: 1-line block ×4, first 2 shown]
	s_add_co_i32 s13, s18, s17
	s_add_co_i32 s10, s10, s15
	;; [unrolled: 1-line block ×3, first 2 shown]
	s_bcnt1_i32_b32 s20, s20
	s_bcnt1_i32_b32 s23, s23
	s_add_co_i32 s14, s22, s21
	s_add_co_i32 s11, s13, s19
	s_add_nc_u64 s[76:77], s[76:77], s[28:29]
	s_add_co_i32 s28, s10, s16
	s_bcnt1_i32_b32 s24, s24
	s_add_co_i32 s13, s14, s23
	s_add_nc_u64 s[74:75], s[74:75], s[28:29]
	s_add_co_i32 s28, s11, s20
	v_mov_b64_e32 v[4:5], s[76:77]
	s_add_nc_u64 s[72:73], s[72:73], s[28:29]
	s_add_co_i32 s28, s13, s24
	v_mov_b64_e32 v[6:7], s[74:75]
	s_add_nc_u64 s[70:71], s[70:71], s[28:29]
	v_mov_b64_e32 v[8:9], s[72:73]
	v_mov_b64_e32 v[10:11], s[70:71]
	s_or_b32 s67, vcc_lo, s67
	s_delay_alu instid0(SALU_CYCLE_1)
	s_and_not1_b32 exec_lo, exec_lo, s67
	s_cbranch_execnz .LBB120_64
; %bb.65:                               ;   in Loop: Header=BB120_6 Depth=1
	s_or_b32 exec_lo, exec_lo, s67
.LBB120_66:                             ;   in Loop: Header=BB120_6 Depth=1
	s_delay_alu instid0(SALU_CYCLE_1) | instskip(SKIP_3) | instid1(VALU_DEP_1)
	s_or_b32 exec_lo, exec_lo, s47
	v_add_nc_u64_e32 v[32:33], v[32:33], v[0:1]
	s_and_b64 s[14:15], s[64:65], 0x7fffffff
	s_mov_b32 s16, exec_lo
	v_cmpx_gt_u64_e64 s[14:15], v[32:33]
	s_cbranch_execz .LBB120_70
; %bb.67:                               ;   in Loop: Header=BB120_6 Depth=1
	s_mul_i32 s9, s66, s46
	s_mov_b32 s17, 0
	v_lshl_add_u32 v34, s9, 2, v0
.LBB120_68:                             ;   Parent Loop BB120_6 Depth=1
                                        ; =>  This Inner Loop Header: Depth=2
	ds_load_u8 v35, v34
	v_add_nc_u64_e32 v[32:33], v[32:33], v[2:3]
	v_add_nc_u32_e32 v34, s46, v34
	s_delay_alu instid0(VALU_DEP_2) | instskip(SKIP_3) | instid1(VALU_DEP_2)
	v_cmp_le_u64_e32 vcc_lo, s[14:15], v[32:33]
	s_wait_dscnt 0x0
	v_and_b32_e32 v36, v41, v35
	v_bfe_u32 v35, v35, s91, 2
	v_cmp_eq_u32_e64 s9, v36, v39
	s_delay_alu instid0(VALU_DEP_2) | instskip(SKIP_4) | instid1(SALU_CYCLE_1)
	v_cmp_eq_u32_e64 s10, 0, v35
	v_cmp_eq_u32_e64 s11, 1, v35
	;; [unrolled: 1-line block ×4, first 2 shown]
	s_and_b32 s10, s9, s10
	v_cndmask_b32_e64 v35, 0, 1, s10
	s_and_b32 s10, s9, s11
	s_delay_alu instid0(SALU_CYCLE_1)
	v_cndmask_b32_e64 v36, 0, 1, s10
	s_and_b32 s10, s9, s12
	s_and_b32 s9, s9, s13
	v_cndmask_b32_e64 v37, 0, 1, s10
	v_cndmask_b32_e64 v43, 0, 1, s9
	v_cmp_ne_u32_e64 s9, 0, v35
	v_cmp_ne_u32_e64 s10, 0, v36
	s_delay_alu instid0(VALU_DEP_4) | instskip(NEXT) | instid1(VALU_DEP_4)
	v_cmp_ne_u32_e64 s11, 0, v37
	v_cmp_ne_u32_e64 s12, 0, v43
	s_bcnt1_i32_b32 s28, s9
	s_delay_alu instid0(SALU_CYCLE_1) | instskip(SKIP_1) | instid1(SALU_CYCLE_1)
	v_add_nc_u64_e32 v[4:5], s[28:29], v[4:5]
	s_bcnt1_i32_b32 s28, s10
	v_add_nc_u64_e32 v[6:7], s[28:29], v[6:7]
	s_bcnt1_i32_b32 s28, s11
	s_delay_alu instid0(SALU_CYCLE_1)
	v_add_nc_u64_e32 v[8:9], s[28:29], v[8:9]
	s_bcnt1_i32_b32 s28, s12
	s_or_b32 s17, vcc_lo, s17
	v_add_nc_u64_e32 v[10:11], s[28:29], v[10:11]
	s_and_not1_b32 exec_lo, exec_lo, s17
	s_cbranch_execnz .LBB120_68
; %bb.69:                               ;   in Loop: Header=BB120_6 Depth=1
	s_or_b32 exec_lo, exec_lo, s17
.LBB120_70:                             ;   in Loop: Header=BB120_6 Depth=1
	s_delay_alu instid0(SALU_CYCLE_1)
	s_or_b32 exec_lo, exec_lo, s16
	s_lshl_b32 s9, s95, 7
	s_and_saveexec_b32 s10, s2
	s_cbranch_execnz .LBB120_41
	s_branch .LBB120_42
.LBB120_71:                             ;   in Loop: Header=BB120_6 Depth=1
                                        ; implicit-def: $sgpr10_sgpr11
	s_branch .LBB120_50
.LBB120_72:                             ;   in Loop: Header=BB120_6 Depth=1
	s_mov_b32 s11, 0
	s_and_not1_b32 vcc_lo, exec_lo, s90
	s_cbranch_vccnz .LBB120_75
.LBB120_73:                             ;   in Loop: Header=BB120_6 Depth=1
	s_lshl_b32 s12, s95, 10
	s_lshl_b32 s11, s11, 5
	s_delay_alu instid0(SALU_CYCLE_1)
	v_add3_u32 v2, s12, s11, v40
	s_mov_b32 s11, s87
.LBB120_74:                             ;   Parent Loop BB120_6 Depth=1
                                        ; =>  This Inner Loop Header: Depth=2
	ds_load_b64 v[6:7], v2
	v_add_nc_u32_e32 v2, 32, v2
	s_add_co_i32 s11, s11, -1
	s_delay_alu instid0(SALU_CYCLE_1)
	s_cmp_lg_u32 s11, 0
	s_wait_dscnt 0x0
	v_add_nc_u64_e32 v[4:5], v[6:7], v[4:5]
	s_cbranch_scc1 .LBB120_74
.LBB120_75:                             ;   in Loop: Header=BB120_6 Depth=1
	v_add_lshl_u32 v2, s9, v13, 3
	ds_store_b64 v2, v[4:5] offset:3072
.LBB120_76:                             ;   in Loop: Header=BB120_6 Depth=1
	s_or_b32 exec_lo, exec_lo, s10
	s_lshl_b32 s9, s9, 3
	s_wait_dscnt 0x0
	v_mov_b32_e32 v2, s9
	s_barrier_signal -1
	s_barrier_wait -1
	v_cmp_eq_u64_e64 s9, 1, v[30:31]
	ds_load_b128 v[4:7], v2 offset:3072
	ds_load_b128 v[8:11], v2 offset:3088
	s_lshl_b32 s24, 3, s91
	s_mov_b32 s67, -1
	s_not_b32 s25, s24
	s_mov_b32 s26, 0
	s_and_not1_b32 vcc_lo, exec_lo, s79
	s_mov_b32 s64, 0
	s_mov_b32 s27, 0
                                        ; implicit-def: $sgpr65
                                        ; implicit-def: $sgpr66
                                        ; implicit-def: $vgpr2
	s_wait_dscnt 0x1
	v_readfirstlane_b32 s13, v5
	v_readfirstlane_b32 s12, v4
	v_readfirstlane_b32 s15, v7
	v_readfirstlane_b32 s14, v6
	s_wait_dscnt 0x0
	v_readfirstlane_b32 s17, v9
	v_readfirstlane_b32 s16, v8
	;; [unrolled: 1-line block ×4, first 2 shown]
                                        ; implicit-def: $vgpr4_vgpr5
                                        ; implicit-def: $vgpr10
                                        ; implicit-def: $vgpr11
                                        ; implicit-def: $vgpr8
	s_cbranch_vccnz .LBB120_271
; %bb.77:                               ;   in Loop: Header=BB120_6 Depth=1
	s_cmp_eq_u64 s[12:13], 1
	v_dual_mov_b32 v10, v39 :: v_dual_mov_b32 v11, v41
	v_mov_b32_e32 v8, v42
	s_cselect_b32 s10, -1, 0
                                        ; implicit-def: $sgpr66
                                        ; implicit-def: $sgpr65
	s_delay_alu instid0(SALU_CYCLE_1)
	s_and_b32 s69, s10, s9
	s_mov_b32 s10, -1
	s_and_saveexec_b32 s27, s69
	s_cbranch_execz .LBB120_112
; %bb.78:                               ;   in Loop: Header=BB120_6 Depth=1
	ds_load_b64 v[4:5], v3 offset:5120
	s_wait_dscnt 0x0
	s_barrier_signal -1
	s_barrier_wait -1
	v_readfirstlane_b32 s10, v4
	v_readfirstlane_b32 s11, v5
	s_and_saveexec_b32 s20, s6
; %bb.79:                               ;   in Loop: Header=BB120_6 Depth=1
	ds_store_b8 v0, v3 offset:3072
; %bb.80:                               ;   in Loop: Header=BB120_6 Depth=1
	s_or_b32 exec_lo, exec_lo, s20
	v_and_b32_e32 v10, s25, v39
	v_or_b32_e32 v11, s24, v41
	s_mov_b32 s65, -1
	s_mov_b32 s66, 0
	s_cmp_eq_u64 s[10:11], 0
	s_mov_b32 s22, 0
	s_mov_b32 s23, -1
	s_wait_dscnt 0x0
	s_barrier_signal -1
	s_barrier_wait -1
                                        ; implicit-def: $vgpr8
	s_cbranch_scc1 .LBB120_97
; %bb.81:                               ;   in Loop: Header=BB120_6 Depth=1
	s_add_nc_u64 s[20:21], s[10:11], s[54:55]
	s_delay_alu instid0(SALU_CYCLE_1) | instskip(NEXT) | instid1(SALU_CYCLE_1)
	s_and_b64 s[22:23], s[20:21], 0xffffffff00000000
	s_cmp_lg_u64 s[22:23], 0
	s_cbranch_scc0 .LBB120_138
; %bb.82:                               ;   in Loop: Header=BB120_6 Depth=1
	s_cvt_f32_u32 s8, s34
	s_sub_nc_u64 s[46:47], 0, s[34:35]
	s_delay_alu instid0(SALU_CYCLE_2) | instskip(NEXT) | instid1(SALU_CYCLE_3)
	s_fmamk_f32 s8, s92, 0x0, s8
	v_s_rcp_f32 s8, s8
	s_delay_alu instid0(TRANS32_DEP_1) | instskip(NEXT) | instid1(SALU_CYCLE_3)
	s_mul_f32 s8, s8, 0x5f7ffffc
	s_mul_f32 s22, s8, 0x2f800000
	s_delay_alu instid0(SALU_CYCLE_3) | instskip(NEXT) | instid1(SALU_CYCLE_3)
	s_trunc_f32 s22, s22
	s_fmamk_f32 s8, s22, 0xcf800000, s8
	s_cvt_u32_f32 s23, s22
	s_delay_alu instid0(SALU_CYCLE_2) | instskip(NEXT) | instid1(SALU_CYCLE_3)
	s_cvt_u32_f32 s22, s8
	s_mul_u64 s[48:49], s[46:47], s[22:23]
	s_delay_alu instid0(SALU_CYCLE_1)
	s_mul_hi_u32 s51, s22, s49
	s_mul_i32 s50, s22, s49
	s_mul_hi_u32 s28, s22, s48
	s_mul_i32 s52, s23, s48
	s_add_nc_u64 s[50:51], s[28:29], s[50:51]
	s_mul_hi_u32 s8, s23, s48
	s_mul_hi_u32 s53, s23, s49
	s_add_co_u32 s28, s50, s52
	s_add_co_ci_u32 s28, s51, s8
	s_mul_i32 s48, s23, s49
	s_add_co_ci_u32 s49, s53, 0
	s_delay_alu instid0(SALU_CYCLE_1) | instskip(NEXT) | instid1(SALU_CYCLE_1)
	s_add_nc_u64 s[48:49], s[28:29], s[48:49]
	s_add_co_u32 s22, s22, s48
	s_cselect_b32 s8, -1, 0
	s_delay_alu instid0(SALU_CYCLE_1) | instskip(SKIP_1) | instid1(SALU_CYCLE_1)
	s_cmp_lg_u32 s8, 0
	s_add_co_ci_u32 s23, s23, s49
	s_mul_u64 s[46:47], s[46:47], s[22:23]
	s_delay_alu instid0(SALU_CYCLE_1)
	s_mul_hi_u32 s49, s22, s47
	s_mul_i32 s48, s22, s47
	s_mul_hi_u32 s28, s22, s46
	s_mul_i32 s50, s23, s46
	s_add_nc_u64 s[48:49], s[28:29], s[48:49]
	s_mul_hi_u32 s8, s23, s46
	s_mul_hi_u32 s51, s23, s47
	s_add_co_u32 s28, s48, s50
	s_add_co_ci_u32 s28, s49, s8
	s_mul_i32 s46, s23, s47
	s_add_co_ci_u32 s47, s51, 0
	s_delay_alu instid0(SALU_CYCLE_1) | instskip(NEXT) | instid1(SALU_CYCLE_1)
	s_add_nc_u64 s[46:47], s[28:29], s[46:47]
	s_add_co_u32 s8, s22, s46
	s_cselect_b32 s22, -1, 0
	s_mul_hi_u32 s28, s20, s8
	s_cmp_lg_u32 s22, 0
	s_mul_hi_u32 s48, s21, s8
	s_add_co_ci_u32 s46, s23, s47
	s_mul_i32 s8, s21, s8
	s_mul_hi_u32 s23, s20, s46
	s_mul_i32 s22, s20, s46
	s_mul_hi_u32 s47, s21, s46
	s_add_nc_u64 s[22:23], s[28:29], s[22:23]
	s_mul_i32 s46, s21, s46
	s_add_co_u32 s8, s22, s8
	s_add_co_ci_u32 s28, s23, s48
	s_add_co_ci_u32 s47, s47, 0
	s_delay_alu instid0(SALU_CYCLE_1) | instskip(NEXT) | instid1(SALU_CYCLE_1)
	s_add_nc_u64 s[22:23], s[28:29], s[46:47]
	s_and_b64 s[46:47], s[22:23], 0xffffffff00000000
	s_delay_alu instid0(SALU_CYCLE_1) | instskip(NEXT) | instid1(SALU_CYCLE_1)
	s_or_b32 s46, s46, s22
	s_mul_u64 s[22:23], s[34:35], s[46:47]
	s_delay_alu instid0(SALU_CYCLE_1) | instskip(SKIP_1) | instid1(SALU_CYCLE_1)
	s_sub_co_u32 s8, s20, s22
	s_cselect_b32 s22, -1, 0
	s_cmp_lg_u32 s22, 0
	s_sub_co_ci_u32 s22, s21, s23
	s_sub_co_u32 s23, s8, s34
	s_cselect_b32 s28, -1, 0
	s_delay_alu instid0(SALU_CYCLE_1) | instskip(SKIP_3) | instid1(SALU_CYCLE_1)
	s_cmp_lg_u32 s28, 0
	s_sub_co_ci_u32 s28, s22, 0
	s_sub_co_u32 s46, s23, s34
	s_cselect_b32 s47, -1, 0
	s_cmp_lg_u32 s47, 0
	s_sub_co_ci_u32 s47, s28, 0
	s_cmp_ge_u32 s23, s34
	s_cselect_b32 s48, -1, 0
	s_cmp_eq_u32 s28, 0
	s_cselect_b32 s48, s48, -1
	s_delay_alu instid0(SALU_CYCLE_1)
	s_cmp_lg_u32 s48, 0
	s_cselect_b32 s28, s47, s28
	s_cselect_b32 s46, s46, s23
	s_cmp_ge_u32 s8, s34
	s_cselect_b32 s23, -1, 0
	s_cmp_eq_u32 s22, 0
	s_cselect_b32 s23, s23, -1
	s_delay_alu instid0(SALU_CYCLE_1)
	s_cmp_lg_u32 s23, 0
	s_cselect_b32 s23, s28, s22
	s_cselect_b32 s22, s46, s8
	s_cbranch_execnz .LBB120_84
.LBB120_83:                             ;   in Loop: Header=BB120_6 Depth=1
	v_cvt_f32_u32_e32 v2, s34
	s_sub_co_i32 s22, 0, s34
	s_delay_alu instid0(VALU_DEP_1) | instskip(SKIP_1) | instid1(TRANS32_DEP_1)
	v_rcp_iflag_f32_e32 v2, v2
	v_nop
	v_mul_f32_e32 v2, 0x4f7ffffe, v2
	s_delay_alu instid0(VALU_DEP_1) | instskip(NEXT) | instid1(VALU_DEP_1)
	v_cvt_u32_f32_e32 v2, v2
	v_readfirstlane_b32 s8, v2
	s_mul_i32 s22, s22, s8
	s_delay_alu instid0(SALU_CYCLE_1) | instskip(NEXT) | instid1(SALU_CYCLE_1)
	s_mul_hi_u32 s22, s8, s22
	s_add_co_i32 s8, s8, s22
	s_delay_alu instid0(SALU_CYCLE_1) | instskip(NEXT) | instid1(SALU_CYCLE_1)
	s_mul_hi_u32 s8, s20, s8
	s_mul_i32 s8, s8, s34
	s_delay_alu instid0(SALU_CYCLE_1) | instskip(NEXT) | instid1(SALU_CYCLE_1)
	s_sub_co_i32 s8, s20, s8
	s_sub_co_i32 s22, s8, s34
	s_cmp_ge_u32 s8, s34
	s_cselect_b32 s8, s22, s8
	s_delay_alu instid0(SALU_CYCLE_1) | instskip(SKIP_2) | instid1(SALU_CYCLE_1)
	s_sub_co_i32 s22, s8, s34
	s_cmp_ge_u32 s8, s34
	s_cselect_b32 s28, s22, s8
	s_mov_b64 s[22:23], s[28:29]
.LBB120_84:                             ;   in Loop: Header=BB120_6 Depth=1
	s_delay_alu instid0(SALU_CYCLE_1)
	s_sub_nc_u64 s[20:21], s[20:21], s[22:23]
	s_mov_b32 s23, 0
	s_mov_b32 s22, 0
	s_mov_b32 s28, exec_lo
                                        ; implicit-def: $vgpr8
	v_cmpx_gt_u64_e64 s[20:21], v[0:1]
	s_cbranch_execz .LBB120_96
; %bb.85:                               ;   in Loop: Header=BB120_6 Depth=1
	v_mov_b64_e32 v[4:5], v[0:1]
	v_mov_b32_e32 v2, v0
                                        ; implicit-def: $sgpr46
	s_branch .LBB120_88
.LBB120_86:                             ;   in Loop: Header=BB120_88 Depth=2
	s_or_b32 exec_lo, exec_lo, s47
	s_wait_dscnt 0x0
	s_barrier_signal -1
	s_barrier_wait -1
	ds_load_u16 v6, v3 offset:3072
	s_mov_b32 s47, -1
	s_mov_b32 s48, -1
	s_wait_dscnt 0x0
	s_barrier_signal -1
	s_barrier_wait -1
	v_and_b32_e32 v7, 0xff, v6
	s_delay_alu instid0(VALU_DEP_1)
	v_cmp_ne_u32_e32 vcc_lo, 0, v7
	s_cbranch_vccz .LBB120_91
.LBB120_87:                             ;   in Loop: Header=BB120_88 Depth=2
	s_and_b32 s8, exec_lo, s47
	s_delay_alu instid0(SALU_CYCLE_1) | instskip(SKIP_2) | instid1(SALU_CYCLE_1)
	s_or_b32 s22, s8, s22
	s_and_not1_b32 s8, s46, exec_lo
	s_and_b32 s46, s48, exec_lo
	s_or_b32 s46, s8, s46
	s_and_not1_b32 exec_lo, exec_lo, s22
	s_cbranch_execz .LBB120_95
.LBB120_88:                             ;   Parent Loop BB120_6 Depth=1
                                        ; =>  This Inner Loop Header: Depth=2
	s_mov_b32 s47, exec_lo
	s_delay_alu instid0(VALU_DEP_2)
	v_cmpx_gt_u64_e64 s[10:11], v[4:5]
	s_cbranch_execz .LBB120_86
; %bb.89:                               ;   in Loop: Header=BB120_88 Depth=2
	ds_load_u8 v6, v2
	s_wait_dscnt 0x0
	v_bitop3_b32 v7, v6, 0xff, v11 bitop3:0x80
	s_delay_alu instid0(VALU_DEP_1)
	v_cmp_eq_u32_e32 vcc_lo, v7, v10
	s_and_b32 exec_lo, exec_lo, vcc_lo
	s_cbranch_execz .LBB120_86
; %bb.90:                               ;   in Loop: Header=BB120_88 Depth=2
	v_lshlrev_b16 v6, 8, v6
	s_delay_alu instid0(VALU_DEP_1)
	v_or_b32_e32 v6, 1, v6
	ds_store_b16 v3, v6 offset:3072
	s_branch .LBB120_86
.LBB120_91:                             ;   in Loop: Header=BB120_88 Depth=2
	v_add_nc_u64_e32 v[4:5], s[34:35], v[4:5]
	v_add_nc_u32_e32 v2, s34, v2
	s_mov_b32 s48, 0
	s_delay_alu instid0(VALU_DEP_2)
	v_cmp_le_u64_e32 vcc_lo, s[20:21], v[4:5]
	s_or_not1_b32 s47, vcc_lo, exec_lo
	s_branch .LBB120_87
.LBB120_92:                             ;   in Loop: Header=BB120_6 Depth=1
	s_or_b32 exec_lo, exec_lo, s12
	s_wait_dscnt 0x0
	s_barrier_signal -1
	s_barrier_wait -1
	s_and_saveexec_b32 s9, s5
	s_cbranch_execz .LBB120_94
; %bb.93:                               ;   in Loop: Header=BB120_6 Depth=1
	ds_load_b32 v4, v3 offset:5144
	s_wait_dscnt 0x0
	v_ashrrev_i32_e32 v5, 31, v4
	ds_store_b64 v3, v[4:5] offset:5120
.LBB120_94:                             ;   in Loop: Header=BB120_6 Depth=1
	s_or_b32 exec_lo, exec_lo, s9
	s_wait_dscnt 0x0
	s_barrier_signal -1
	s_mov_b32 s9, -1
	s_barrier_wait -1
	s_and_b32 vcc_lo, exec_lo, s11
	s_cbranch_vccnz .LBB120_21
	s_branch .LBB120_36
.LBB120_95:                             ;   in Loop: Header=BB120_6 Depth=1
	s_or_b32 exec_lo, exec_lo, s22
	v_and_b32_e32 v2, 0xffff, v6
	s_and_b32 s22, s46, exec_lo
	s_delay_alu instid0(VALU_DEP_1)
	v_lshrrev_b32_e32 v8, 8, v2
.LBB120_96:                             ;   in Loop: Header=BB120_6 Depth=1
	s_or_b32 exec_lo, exec_lo, s28
.LBB120_97:                             ;   in Loop: Header=BB120_6 Depth=1
	s_delay_alu instid0(SALU_CYCLE_1)
	s_and_b32 vcc_lo, exec_lo, s23
	s_cbranch_vccz .LBB120_111
; %bb.98:                               ;   in Loop: Header=BB120_6 Depth=1
	s_and_b64 s[10:11], s[56:57], 0xffffffff00000000
	s_delay_alu instid0(SALU_CYCLE_1)
	s_cmp_lg_u64 s[10:11], 0
	s_cbranch_scc0 .LBB120_139
; %bb.99:                               ;   in Loop: Header=BB120_6 Depth=1
	s_cvt_f32_u32 s8, s34
	s_sub_nc_u64 s[20:21], 0, s[34:35]
	s_delay_alu instid0(SALU_CYCLE_2) | instskip(NEXT) | instid1(SALU_CYCLE_3)
	s_fmamk_f32 s8, s92, 0x0, s8
	v_s_rcp_f32 s8, s8
	s_delay_alu instid0(TRANS32_DEP_1) | instskip(NEXT) | instid1(SALU_CYCLE_3)
	s_mul_f32 s8, s8, 0x5f7ffffc
	s_mul_f32 s10, s8, 0x2f800000
	s_delay_alu instid0(SALU_CYCLE_3) | instskip(NEXT) | instid1(SALU_CYCLE_3)
	s_trunc_f32 s10, s10
	s_fmamk_f32 s8, s10, 0xcf800000, s8
	s_cvt_u32_f32 s11, s10
	s_delay_alu instid0(SALU_CYCLE_2) | instskip(NEXT) | instid1(SALU_CYCLE_3)
	s_cvt_u32_f32 s10, s8
	s_mul_u64 s[46:47], s[20:21], s[10:11]
	s_delay_alu instid0(SALU_CYCLE_1)
	s_mul_hi_u32 s49, s10, s47
	s_mul_i32 s48, s10, s47
	s_mul_hi_u32 s28, s10, s46
	s_mul_i32 s23, s11, s46
	s_add_nc_u64 s[48:49], s[28:29], s[48:49]
	s_mul_hi_u32 s8, s11, s46
	s_mul_hi_u32 s50, s11, s47
	s_add_co_u32 s23, s48, s23
	s_add_co_ci_u32 s28, s49, s8
	s_mul_i32 s46, s11, s47
	s_add_co_ci_u32 s47, s50, 0
	s_delay_alu instid0(SALU_CYCLE_1) | instskip(NEXT) | instid1(SALU_CYCLE_1)
	s_add_nc_u64 s[46:47], s[28:29], s[46:47]
	s_add_co_u32 s10, s10, s46
	s_cselect_b32 s8, -1, 0
	s_delay_alu instid0(SALU_CYCLE_1) | instskip(SKIP_1) | instid1(SALU_CYCLE_1)
	s_cmp_lg_u32 s8, 0
	s_add_co_ci_u32 s11, s11, s47
	s_mul_u64 s[20:21], s[20:21], s[10:11]
	s_delay_alu instid0(SALU_CYCLE_1)
	s_mul_hi_u32 s47, s10, s21
	s_mul_i32 s46, s10, s21
	s_mul_hi_u32 s28, s10, s20
	s_mul_i32 s23, s11, s20
	s_add_nc_u64 s[46:47], s[28:29], s[46:47]
	s_mul_hi_u32 s8, s11, s20
	s_mul_hi_u32 s48, s11, s21
	s_mul_i32 s20, s11, s21
	s_add_co_u32 s21, s46, s23
	s_add_co_ci_u32 s28, s47, s8
	s_add_co_ci_u32 s21, s48, 0
	s_delay_alu instid0(SALU_CYCLE_1) | instskip(NEXT) | instid1(SALU_CYCLE_1)
	s_add_nc_u64 s[20:21], s[28:29], s[20:21]
	s_add_co_u32 s8, s10, s20
	s_cselect_b32 s10, -1, 0
	s_mul_hi_u32 s28, s56, s8
	s_cmp_lg_u32 s10, 0
	s_mul_hi_u32 s23, s57, s8
	s_add_co_ci_u32 s20, s11, s21
	s_mul_i32 s8, s57, s8
	s_mul_hi_u32 s11, s56, s20
	s_mul_i32 s10, s56, s20
	s_mul_hi_u32 s21, s57, s20
	s_add_nc_u64 s[10:11], s[28:29], s[10:11]
	s_mul_i32 s20, s57, s20
	s_add_co_u32 s8, s10, s8
	s_add_co_ci_u32 s28, s11, s23
	s_add_co_ci_u32 s21, s21, 0
	s_delay_alu instid0(SALU_CYCLE_1) | instskip(NEXT) | instid1(SALU_CYCLE_1)
	s_add_nc_u64 s[10:11], s[28:29], s[20:21]
	s_and_b64 s[20:21], s[10:11], 0xffffffff00000000
	s_delay_alu instid0(SALU_CYCLE_1) | instskip(NEXT) | instid1(SALU_CYCLE_1)
	s_or_b32 s20, s20, s10
	s_mul_u64 s[10:11], s[34:35], s[20:21]
	s_delay_alu instid0(SALU_CYCLE_1) | instskip(SKIP_1) | instid1(SALU_CYCLE_1)
	s_sub_co_u32 s8, s56, s10
	s_cselect_b32 s10, -1, 0
	s_cmp_lg_u32 s10, 0
	s_sub_co_ci_u32 s10, s57, s11
	s_sub_co_u32 s11, s8, s34
	s_cselect_b32 s20, -1, 0
	s_delay_alu instid0(SALU_CYCLE_1) | instskip(SKIP_3) | instid1(SALU_CYCLE_1)
	s_cmp_lg_u32 s20, 0
	s_sub_co_ci_u32 s20, s10, 0
	s_sub_co_u32 s21, s11, s34
	s_cselect_b32 s23, -1, 0
	s_cmp_lg_u32 s23, 0
	s_sub_co_ci_u32 s23, s20, 0
	s_cmp_ge_u32 s11, s34
	s_cselect_b32 s28, -1, 0
	s_cmp_eq_u32 s20, 0
	s_cselect_b32 s28, s28, -1
	s_delay_alu instid0(SALU_CYCLE_1)
	s_cmp_lg_u32 s28, 0
	s_cselect_b32 s20, s23, s20
	s_cselect_b32 s21, s21, s11
	s_cmp_ge_u32 s8, s34
	s_cselect_b32 s11, -1, 0
	s_cmp_eq_u32 s10, 0
	s_cselect_b32 s11, s11, -1
	s_delay_alu instid0(SALU_CYCLE_1)
	s_cmp_lg_u32 s11, 0
	s_cselect_b32 s11, s20, s10
	s_cselect_b32 s10, s21, s8
	s_cbranch_execnz .LBB120_101
.LBB120_100:                            ;   in Loop: Header=BB120_6 Depth=1
	v_cvt_f32_u32_e32 v2, s34
	s_sub_co_i32 s10, 0, s34
	s_delay_alu instid0(VALU_DEP_1) | instskip(SKIP_1) | instid1(TRANS32_DEP_1)
	v_rcp_iflag_f32_e32 v2, v2
	v_nop
	v_mul_f32_e32 v2, 0x4f7ffffe, v2
	s_delay_alu instid0(VALU_DEP_1) | instskip(NEXT) | instid1(VALU_DEP_1)
	v_cvt_u32_f32_e32 v2, v2
	v_readfirstlane_b32 s8, v2
	s_mul_i32 s10, s10, s8
	s_delay_alu instid0(SALU_CYCLE_1) | instskip(NEXT) | instid1(SALU_CYCLE_1)
	s_mul_hi_u32 s10, s8, s10
	s_add_co_i32 s8, s8, s10
	s_delay_alu instid0(SALU_CYCLE_1) | instskip(NEXT) | instid1(SALU_CYCLE_1)
	s_mul_hi_u32 s8, s56, s8
	s_mul_i32 s8, s8, s34
	s_delay_alu instid0(SALU_CYCLE_1) | instskip(NEXT) | instid1(SALU_CYCLE_1)
	s_sub_co_i32 s8, s56, s8
	s_sub_co_i32 s10, s8, s34
	s_cmp_ge_u32 s8, s34
	s_cselect_b32 s8, s10, s8
	s_delay_alu instid0(SALU_CYCLE_1) | instskip(SKIP_2) | instid1(SALU_CYCLE_1)
	s_sub_co_i32 s10, s8, s34
	s_cmp_ge_u32 s8, s34
	s_cselect_b32 s28, s10, s8
	s_mov_b64 s[10:11], s[28:29]
.LBB120_101:                            ;   in Loop: Header=BB120_6 Depth=1
	s_delay_alu instid0(SALU_CYCLE_1)
	s_sub_nc_u64 s[10:11], s[56:57], s[10:11]
	s_mov_b32 s20, exec_lo
                                        ; implicit-def: $vgpr8
	v_cmpx_gt_u64_e64 s[10:11], v[0:1]
	s_cbranch_execz .LBB120_110
; %bb.102:                              ;   in Loop: Header=BB120_6 Depth=1
	v_mov_b64_e32 v[4:5], v[14:15]
	v_mov_b64_e32 v[6:7], v[0:1]
	s_mov_b32 s23, 0
                                        ; implicit-def: $sgpr21
	s_branch .LBB120_105
.LBB120_103:                            ;   in Loop: Header=BB120_105 Depth=2
	s_or_b32 exec_lo, exec_lo, s28
	s_wait_dscnt 0x0
	s_barrier_signal -1
	s_barrier_wait -1
	ds_load_u16 v2, v3 offset:3072
	s_mov_b32 s28, -1
	s_mov_b32 s46, -1
	s_wait_dscnt 0x0
	s_barrier_signal -1
	s_barrier_wait -1
	v_and_b32_e32 v8, 0xff, v2
	s_delay_alu instid0(VALU_DEP_1)
	v_cmp_ne_u32_e32 vcc_lo, 0, v8
	s_cbranch_vccz .LBB120_108
.LBB120_104:                            ;   in Loop: Header=BB120_105 Depth=2
	s_and_b32 s8, exec_lo, s28
	s_delay_alu instid0(SALU_CYCLE_1) | instskip(SKIP_2) | instid1(SALU_CYCLE_1)
	s_or_b32 s23, s8, s23
	s_and_not1_b32 s8, s21, exec_lo
	s_and_b32 s21, s46, exec_lo
	s_or_b32 s21, s8, s21
	s_and_not1_b32 exec_lo, exec_lo, s23
	s_cbranch_execz .LBB120_109
.LBB120_105:                            ;   Parent Loop BB120_6 Depth=1
                                        ; =>  This Inner Loop Header: Depth=2
	s_mov_b32 s28, exec_lo
	s_delay_alu instid0(VALU_DEP_1)
	v_cmpx_gt_u64_e64 s[36:37], v[6:7]
	s_cbranch_execz .LBB120_103
; %bb.106:                              ;   in Loop: Header=BB120_105 Depth=2
	global_load_u8 v2, v[4:5], off
	s_wait_loadcnt 0x0
	v_bitop3_b32 v8, v2, 0xff, v11 bitop3:0x80
	s_delay_alu instid0(VALU_DEP_1)
	v_cmp_eq_u32_e32 vcc_lo, v8, v10
	s_and_b32 exec_lo, exec_lo, vcc_lo
	s_cbranch_execz .LBB120_103
; %bb.107:                              ;   in Loop: Header=BB120_105 Depth=2
	v_lshlrev_b16 v2, 8, v2
	s_delay_alu instid0(VALU_DEP_1)
	v_or_b32_e32 v2, 1, v2
	ds_store_b16 v3, v2 offset:3072
	s_branch .LBB120_103
.LBB120_108:                            ;   in Loop: Header=BB120_105 Depth=2
	v_add_nc_u64_e32 v[6:7], s[34:35], v[6:7]
	v_add_nc_u64_e32 v[4:5], s[40:41], v[4:5]
	s_mov_b32 s46, 0
	s_delay_alu instid0(VALU_DEP_2)
	v_cmp_le_u64_e32 vcc_lo, s[10:11], v[6:7]
	s_or_not1_b32 s28, vcc_lo, exec_lo
	s_branch .LBB120_104
.LBB120_109:                            ;   in Loop: Header=BB120_6 Depth=1
	s_or_b32 exec_lo, exec_lo, s23
	v_and_b32_e32 v2, 0xffff, v2
	s_and_not1_b32 s8, s22, exec_lo
	s_and_b32 s10, s21, exec_lo
	s_delay_alu instid0(SALU_CYCLE_1) | instskip(NEXT) | instid1(VALU_DEP_1)
	s_or_b32 s22, s8, s10
	v_lshrrev_b32_e32 v8, 8, v2
.LBB120_110:                            ;   in Loop: Header=BB120_6 Depth=1
	s_or_b32 exec_lo, exec_lo, s20
	s_mov_b32 s65, 0
	s_mov_b32 s66, -1
.LBB120_111:                            ;   in Loop: Header=BB120_6 Depth=1
	s_or_not1_b32 s10, s22, exec_lo
.LBB120_112:                            ;   in Loop: Header=BB120_6 Depth=1
	s_or_b32 exec_lo, exec_lo, s27
	s_mov_b32 s67, 0
	s_mov_b32 s64, 0
	;; [unrolled: 1-line block ×3, first 2 shown]
                                        ; implicit-def: $vgpr4_vgpr5
                                        ; implicit-def: $vgpr2
	s_and_saveexec_b32 s68, s10
	s_cbranch_execz .LBB120_270
; %bb.113:                              ;   in Loop: Header=BB120_6 Depth=1
	v_mov_b64_e32 v[4:5], 1
	v_mov_b32_e32 v2, 1
	s_xor_b32 s8, s69, -1
	s_mov_b32 s11, 0
	s_and_saveexec_b32 s10, s8
	s_cbranch_execz .LBB120_122
; %bb.114:                              ;   in Loop: Header=BB120_6 Depth=1
	s_mov_b32 s8, exec_lo
	v_cmpx_ge_u64_e64 s[12:13], v[30:31]
	s_xor_b32 s11, exec_lo, s8
	s_cbranch_execz .LBB120_119
; %bb.115:                              ;   in Loop: Header=BB120_6 Depth=1
	ds_load_b64 v[4:5], v3 offset:5120
	v_and_b32_e32 v10, s25, v10
	v_or_b32_e32 v11, s24, v11
	s_wait_dscnt 0x0
	v_cmp_ne_u64_e32 vcc_lo, 0, v[4:5]
	s_cbranch_vccnz .LBB120_119
; %bb.116:                              ;   in Loop: Header=BB120_6 Depth=1
	s_and_saveexec_b32 s20, s5
; %bb.117:                              ;   in Loop: Header=BB120_6 Depth=1
	v_mov_b64_e32 v[4:5], s[12:13]
	ds_store_b64 v3, v[4:5] offset:5128
; %bb.118:                              ;   in Loop: Header=BB120_6 Depth=1
	s_or_b32 exec_lo, exec_lo, s20
	s_wait_dscnt 0x0
	s_barrier_signal -1
	s_barrier_wait -1
.LBB120_119:                            ;   in Loop: Header=BB120_6 Depth=1
	s_or_saveexec_b32 s11, s11
	v_mov_b64_e32 v[4:5], v[30:31]
	v_mov_b32_e32 v2, 8
	s_mov_b32 s20, 0
	s_xor_b32 exec_lo, exec_lo, s11
; %bb.120:                              ;   in Loop: Header=BB120_6 Depth=1
	v_sub_nc_u64_e64 v[4:5], v[30:31], s[12:13]
	v_mov_b32_e32 v2, 0
	s_mov_b32 s20, exec_lo
; %bb.121:                              ;   in Loop: Header=BB120_6 Depth=1
	s_or_b32 exec_lo, exec_lo, s11
	s_delay_alu instid0(SALU_CYCLE_1)
	s_and_b32 s11, s20, exec_lo
.LBB120_122:                            ;   in Loop: Header=BB120_6 Depth=1
	s_or_b32 exec_lo, exec_lo, s10
	s_mov_b32 s10, -1
                                        ; implicit-def: $sgpr64
                                        ; implicit-def: $sgpr69
	s_and_saveexec_b32 s8, s11
	s_delay_alu instid0(SALU_CYCLE_1)
	s_xor_b32 s27, exec_lo, s8
	s_cbranch_execz .LBB120_267
; %bb.123:                              ;   in Loop: Header=BB120_6 Depth=1
	v_cmp_eq_u64_e32 vcc_lo, 1, v[4:5]
	s_cmp_eq_u64 s[14:15], 1
                                        ; implicit-def: $sgpr69
                                        ; implicit-def: $sgpr64
	s_cselect_b32 s10, -1, 0
	s_delay_alu instid0(SALU_CYCLE_1)
	s_and_b32 s71, s10, vcc_lo
	s_mov_b32 s10, -1
	s_and_saveexec_b32 s70, s71
	s_cbranch_execz .LBB120_157
; %bb.124:                              ;   in Loop: Header=BB120_6 Depth=1
	ds_load_b64 v[6:7], v3 offset:5120
	s_wait_dscnt 0x0
	s_barrier_signal -1
	s_barrier_wait -1
	v_readfirstlane_b32 s10, v6
	v_readfirstlane_b32 s11, v7
	s_and_saveexec_b32 s20, s6
; %bb.125:                              ;   in Loop: Header=BB120_6 Depth=1
	ds_store_b8 v0, v3 offset:3072
; %bb.126:                              ;   in Loop: Header=BB120_6 Depth=1
	s_or_b32 exec_lo, exec_lo, s20
	s_lshl_b32 s20, 1, s91
	v_or_b32_e32 v11, s24, v11
	v_and_or_b32 v10, v10, s25, s20
	s_mov_b32 s64, -1
	s_mov_b32 s69, 0
	s_cmp_eq_u64 s[10:11], 0
	s_mov_b32 s22, 0
	s_mov_b32 s23, -1
	s_wait_dscnt 0x0
	s_barrier_signal -1
	s_barrier_wait -1
                                        ; implicit-def: $vgpr8
	s_cbranch_scc1 .LBB120_142
; %bb.127:                              ;   in Loop: Header=BB120_6 Depth=1
	s_add_nc_u64 s[20:21], s[10:11], s[54:55]
	s_delay_alu instid0(SALU_CYCLE_1) | instskip(NEXT) | instid1(SALU_CYCLE_1)
	s_and_b64 s[22:23], s[20:21], 0xffffffff00000000
	s_cmp_lg_u64 s[22:23], 0
	s_cbranch_scc0 .LBB120_183
; %bb.128:                              ;   in Loop: Header=BB120_6 Depth=1
	s_cvt_f32_u32 s22, s34
	s_sub_nc_u64 s[46:47], 0, s[34:35]
	s_delay_alu instid0(SALU_CYCLE_2) | instskip(NEXT) | instid1(SALU_CYCLE_3)
	s_fmamk_f32 s22, s92, 0x0, s22
	v_s_rcp_f32 s22, s22
	s_delay_alu instid0(TRANS32_DEP_1) | instskip(NEXT) | instid1(SALU_CYCLE_3)
	s_mul_f32 s22, s22, 0x5f7ffffc
	s_mul_f32 s23, s22, 0x2f800000
	s_delay_alu instid0(SALU_CYCLE_3) | instskip(NEXT) | instid1(SALU_CYCLE_3)
	s_trunc_f32 s23, s23
	s_fmamk_f32 s22, s23, 0xcf800000, s22
	s_cvt_u32_f32 s23, s23
	s_delay_alu instid0(SALU_CYCLE_2) | instskip(NEXT) | instid1(SALU_CYCLE_3)
	s_cvt_u32_f32 s22, s22
	s_mul_u64 s[48:49], s[46:47], s[22:23]
	s_delay_alu instid0(SALU_CYCLE_1)
	s_mul_hi_u32 s73, s22, s49
	s_mul_i32 s72, s22, s49
	s_mul_hi_u32 s28, s22, s48
	s_mul_i32 s51, s23, s48
	s_add_nc_u64 s[72:73], s[28:29], s[72:73]
	s_mul_hi_u32 s50, s23, s48
	s_mul_hi_u32 s52, s23, s49
	s_add_co_u32 s28, s72, s51
	s_add_co_ci_u32 s28, s73, s50
	s_mul_i32 s48, s23, s49
	s_add_co_ci_u32 s49, s52, 0
	s_delay_alu instid0(SALU_CYCLE_1) | instskip(NEXT) | instid1(SALU_CYCLE_1)
	s_add_nc_u64 s[48:49], s[28:29], s[48:49]
	s_add_co_u32 s22, s22, s48
	s_cselect_b32 s28, -1, 0
	s_delay_alu instid0(SALU_CYCLE_1) | instskip(SKIP_1) | instid1(SALU_CYCLE_1)
	s_cmp_lg_u32 s28, 0
	s_add_co_ci_u32 s23, s23, s49
	s_mul_u64 s[46:47], s[46:47], s[22:23]
	s_delay_alu instid0(SALU_CYCLE_1)
	s_mul_hi_u32 s49, s22, s47
	s_mul_i32 s48, s22, s47
	s_mul_hi_u32 s28, s22, s46
	s_mul_i32 s51, s23, s46
	s_add_nc_u64 s[48:49], s[28:29], s[48:49]
	s_mul_hi_u32 s50, s23, s46
	s_mul_hi_u32 s52, s23, s47
	s_add_co_u32 s28, s48, s51
	s_add_co_ci_u32 s28, s49, s50
	s_mul_i32 s46, s23, s47
	s_add_co_ci_u32 s47, s52, 0
	s_delay_alu instid0(SALU_CYCLE_1) | instskip(NEXT) | instid1(SALU_CYCLE_1)
	s_add_nc_u64 s[46:47], s[28:29], s[46:47]
	s_add_co_u32 s22, s22, s46
	s_cselect_b32 s46, -1, 0
	s_mul_hi_u32 s28, s20, s22
	s_cmp_lg_u32 s46, 0
	s_mul_hi_u32 s48, s21, s22
	s_add_co_ci_u32 s46, s23, s47
	s_mul_i32 s47, s21, s22
	s_mul_hi_u32 s23, s20, s46
	s_mul_i32 s22, s20, s46
	s_mul_hi_u32 s49, s21, s46
	s_add_nc_u64 s[22:23], s[28:29], s[22:23]
	s_mul_i32 s46, s21, s46
	s_add_co_u32 s22, s22, s47
	s_add_co_ci_u32 s28, s23, s48
	s_add_co_ci_u32 s47, s49, 0
	s_delay_alu instid0(SALU_CYCLE_1) | instskip(NEXT) | instid1(SALU_CYCLE_1)
	s_add_nc_u64 s[22:23], s[28:29], s[46:47]
	s_and_b64 s[46:47], s[22:23], 0xffffffff00000000
	s_delay_alu instid0(SALU_CYCLE_1) | instskip(NEXT) | instid1(SALU_CYCLE_1)
	s_or_b32 s46, s46, s22
	s_mul_u64 s[22:23], s[34:35], s[46:47]
	s_delay_alu instid0(SALU_CYCLE_1) | instskip(SKIP_1) | instid1(SALU_CYCLE_1)
	s_sub_co_u32 s22, s20, s22
	s_cselect_b32 s28, -1, 0
	s_cmp_lg_u32 s28, 0
	s_sub_co_ci_u32 s23, s21, s23
	s_sub_co_u32 s28, s22, s34
	s_cselect_b32 s46, -1, 0
	s_delay_alu instid0(SALU_CYCLE_1) | instskip(SKIP_3) | instid1(SALU_CYCLE_1)
	s_cmp_lg_u32 s46, 0
	s_sub_co_ci_u32 s46, s23, 0
	s_sub_co_u32 s47, s28, s34
	s_cselect_b32 s48, -1, 0
	s_cmp_lg_u32 s48, 0
	s_sub_co_ci_u32 s48, s46, 0
	s_cmp_ge_u32 s28, s34
	s_cselect_b32 s49, -1, 0
	s_cmp_eq_u32 s46, 0
	s_cselect_b32 s49, s49, -1
	s_delay_alu instid0(SALU_CYCLE_1)
	s_cmp_lg_u32 s49, 0
	s_cselect_b32 s46, s48, s46
	s_cselect_b32 s28, s47, s28
	s_cmp_ge_u32 s22, s34
	s_cselect_b32 s47, -1, 0
	s_cmp_eq_u32 s23, 0
	s_cselect_b32 s47, s47, -1
	s_delay_alu instid0(SALU_CYCLE_1)
	s_cmp_lg_u32 s47, 0
	s_cselect_b32 s23, s46, s23
	s_cselect_b32 s22, s28, s22
	s_cbranch_execnz .LBB120_130
.LBB120_129:                            ;   in Loop: Header=BB120_6 Depth=1
	v_cvt_f32_u32_e32 v6, s34
	s_sub_co_i32 s23, 0, s34
	s_delay_alu instid0(VALU_DEP_1) | instskip(SKIP_1) | instid1(TRANS32_DEP_1)
	v_rcp_iflag_f32_e32 v6, v6
	v_nop
	v_mul_f32_e32 v6, 0x4f7ffffe, v6
	s_delay_alu instid0(VALU_DEP_1) | instskip(NEXT) | instid1(VALU_DEP_1)
	v_cvt_u32_f32_e32 v6, v6
	v_readfirstlane_b32 s22, v6
	s_mul_i32 s23, s23, s22
	s_delay_alu instid0(SALU_CYCLE_1) | instskip(NEXT) | instid1(SALU_CYCLE_1)
	s_mul_hi_u32 s23, s22, s23
	s_add_co_i32 s22, s22, s23
	s_delay_alu instid0(SALU_CYCLE_1) | instskip(NEXT) | instid1(SALU_CYCLE_1)
	s_mul_hi_u32 s22, s20, s22
	s_mul_i32 s22, s22, s34
	s_delay_alu instid0(SALU_CYCLE_1) | instskip(NEXT) | instid1(SALU_CYCLE_1)
	s_sub_co_i32 s22, s20, s22
	s_sub_co_i32 s23, s22, s34
	s_cmp_ge_u32 s22, s34
	s_cselect_b32 s22, s23, s22
	s_delay_alu instid0(SALU_CYCLE_1) | instskip(SKIP_2) | instid1(SALU_CYCLE_1)
	s_sub_co_i32 s23, s22, s34
	s_cmp_ge_u32 s22, s34
	s_cselect_b32 s28, s23, s22
	s_mov_b64 s[22:23], s[28:29]
.LBB120_130:                            ;   in Loop: Header=BB120_6 Depth=1
	s_delay_alu instid0(SALU_CYCLE_1)
	s_sub_nc_u64 s[20:21], s[20:21], s[22:23]
	s_mov_b32 s23, 0
	s_mov_b32 s22, 0
	s_mov_b32 s28, exec_lo
                                        ; implicit-def: $vgpr8
	v_cmpx_gt_u64_e64 s[20:21], v[0:1]
	s_cbranch_execz .LBB120_141
; %bb.131:                              ;   in Loop: Header=BB120_6 Depth=1
	v_mov_b64_e32 v[6:7], v[0:1]
	v_mov_b32_e32 v8, v0
                                        ; implicit-def: $sgpr46
	s_branch .LBB120_134
.LBB120_132:                            ;   in Loop: Header=BB120_134 Depth=2
	s_or_b32 exec_lo, exec_lo, s47
	s_wait_dscnt 0x0
	s_barrier_signal -1
	s_barrier_wait -1
	ds_load_u16 v9, v3 offset:3072
	s_mov_b32 s47, -1
	s_mov_b32 s48, -1
	s_wait_dscnt 0x0
	s_barrier_signal -1
	s_barrier_wait -1
	v_and_b32_e32 v32, 0xff, v9
	s_delay_alu instid0(VALU_DEP_1)
	v_cmp_ne_u32_e32 vcc_lo, 0, v32
	s_cbranch_vccz .LBB120_137
.LBB120_133:                            ;   in Loop: Header=BB120_134 Depth=2
	s_and_b32 s8, exec_lo, s47
	s_delay_alu instid0(SALU_CYCLE_1) | instskip(SKIP_2) | instid1(SALU_CYCLE_1)
	s_or_b32 s22, s8, s22
	s_and_not1_b32 s8, s46, exec_lo
	s_and_b32 s46, s48, exec_lo
	s_or_b32 s46, s8, s46
	s_and_not1_b32 exec_lo, exec_lo, s22
	s_cbranch_execz .LBB120_140
.LBB120_134:                            ;   Parent Loop BB120_6 Depth=1
                                        ; =>  This Inner Loop Header: Depth=2
	s_mov_b32 s47, exec_lo
	s_delay_alu instid0(VALU_DEP_2)
	v_cmpx_gt_u64_e64 s[10:11], v[6:7]
	s_cbranch_execz .LBB120_132
; %bb.135:                              ;   in Loop: Header=BB120_134 Depth=2
	ds_load_u8 v9, v8
	s_wait_dscnt 0x0
	v_bitop3_b32 v32, v9, 0xff, v11 bitop3:0x80
	s_delay_alu instid0(VALU_DEP_1)
	v_cmp_eq_u32_e32 vcc_lo, v32, v10
	s_and_b32 exec_lo, exec_lo, vcc_lo
	s_cbranch_execz .LBB120_132
; %bb.136:                              ;   in Loop: Header=BB120_134 Depth=2
	v_lshlrev_b16 v9, 8, v9
	s_delay_alu instid0(VALU_DEP_1)
	v_or_b32_e32 v9, 1, v9
	ds_store_b16 v3, v9 offset:3072
	s_branch .LBB120_132
.LBB120_137:                            ;   in Loop: Header=BB120_134 Depth=2
	v_add_nc_u64_e32 v[6:7], s[34:35], v[6:7]
	v_add_nc_u32_e32 v8, s34, v8
	s_mov_b32 s48, 0
	s_delay_alu instid0(VALU_DEP_2)
	v_cmp_le_u64_e32 vcc_lo, s[20:21], v[6:7]
	s_or_not1_b32 s47, vcc_lo, exec_lo
	s_branch .LBB120_133
.LBB120_138:                            ;   in Loop: Header=BB120_6 Depth=1
                                        ; implicit-def: $sgpr22_sgpr23
	s_branch .LBB120_83
.LBB120_139:                            ;   in Loop: Header=BB120_6 Depth=1
                                        ; implicit-def: $sgpr10_sgpr11
	s_branch .LBB120_100
.LBB120_140:                            ;   in Loop: Header=BB120_6 Depth=1
	s_or_b32 exec_lo, exec_lo, s22
	v_and_b32_e32 v6, 0xffff, v9
	s_and_b32 s22, s46, exec_lo
	s_delay_alu instid0(VALU_DEP_1)
	v_lshrrev_b32_e32 v8, 8, v6
.LBB120_141:                            ;   in Loop: Header=BB120_6 Depth=1
	s_or_b32 exec_lo, exec_lo, s28
.LBB120_142:                            ;   in Loop: Header=BB120_6 Depth=1
	s_delay_alu instid0(SALU_CYCLE_1)
	s_and_b32 vcc_lo, exec_lo, s23
	s_cbranch_vccz .LBB120_156
; %bb.143:                              ;   in Loop: Header=BB120_6 Depth=1
	s_and_b64 s[10:11], s[56:57], 0xffffffff00000000
	s_delay_alu instid0(SALU_CYCLE_1)
	s_cmp_lg_u64 s[10:11], 0
	s_cbranch_scc0 .LBB120_184
; %bb.144:                              ;   in Loop: Header=BB120_6 Depth=1
	s_cvt_f32_u32 s10, s34
	s_sub_nc_u64 s[20:21], 0, s[34:35]
	s_delay_alu instid0(SALU_CYCLE_2) | instskip(NEXT) | instid1(SALU_CYCLE_3)
	s_fmamk_f32 s10, s92, 0x0, s10
	v_s_rcp_f32 s10, s10
	s_delay_alu instid0(TRANS32_DEP_1) | instskip(NEXT) | instid1(SALU_CYCLE_3)
	s_mul_f32 s10, s10, 0x5f7ffffc
	s_mul_f32 s11, s10, 0x2f800000
	s_delay_alu instid0(SALU_CYCLE_3) | instskip(NEXT) | instid1(SALU_CYCLE_3)
	s_trunc_f32 s11, s11
	s_fmamk_f32 s10, s11, 0xcf800000, s10
	s_cvt_u32_f32 s11, s11
	s_delay_alu instid0(SALU_CYCLE_2) | instskip(NEXT) | instid1(SALU_CYCLE_3)
	s_cvt_u32_f32 s10, s10
	s_mul_u64 s[46:47], s[20:21], s[10:11]
	s_delay_alu instid0(SALU_CYCLE_1)
	s_mul_hi_u32 s49, s10, s47
	s_mul_i32 s48, s10, s47
	s_mul_hi_u32 s28, s10, s46
	s_mul_i32 s50, s11, s46
	s_add_nc_u64 s[48:49], s[28:29], s[48:49]
	s_mul_hi_u32 s23, s11, s46
	s_mul_hi_u32 s51, s11, s47
	s_add_co_u32 s28, s48, s50
	s_add_co_ci_u32 s28, s49, s23
	s_mul_i32 s46, s11, s47
	s_add_co_ci_u32 s47, s51, 0
	s_delay_alu instid0(SALU_CYCLE_1) | instskip(NEXT) | instid1(SALU_CYCLE_1)
	s_add_nc_u64 s[46:47], s[28:29], s[46:47]
	s_add_co_u32 s10, s10, s46
	s_cselect_b32 s23, -1, 0
	s_delay_alu instid0(SALU_CYCLE_1) | instskip(SKIP_1) | instid1(SALU_CYCLE_1)
	s_cmp_lg_u32 s23, 0
	s_add_co_ci_u32 s11, s11, s47
	s_mul_u64 s[20:21], s[20:21], s[10:11]
	s_delay_alu instid0(SALU_CYCLE_1)
	s_mul_hi_u32 s47, s10, s21
	s_mul_i32 s46, s10, s21
	s_mul_hi_u32 s28, s10, s20
	s_mul_i32 s48, s11, s20
	s_add_nc_u64 s[46:47], s[28:29], s[46:47]
	s_mul_hi_u32 s23, s11, s20
	s_mul_hi_u32 s49, s11, s21
	s_mul_i32 s20, s11, s21
	s_add_co_u32 s21, s46, s48
	s_add_co_ci_u32 s28, s47, s23
	s_add_co_ci_u32 s21, s49, 0
	s_delay_alu instid0(SALU_CYCLE_1) | instskip(NEXT) | instid1(SALU_CYCLE_1)
	s_add_nc_u64 s[20:21], s[28:29], s[20:21]
	s_add_co_u32 s10, s10, s20
	s_cselect_b32 s20, -1, 0
	s_mul_hi_u32 s28, s56, s10
	s_cmp_lg_u32 s20, 0
	s_mul_hi_u32 s23, s57, s10
	s_add_co_ci_u32 s20, s11, s21
	s_mul_i32 s21, s57, s10
	s_mul_hi_u32 s11, s56, s20
	s_mul_i32 s10, s56, s20
	s_mul_hi_u32 s46, s57, s20
	s_add_nc_u64 s[10:11], s[28:29], s[10:11]
	s_mul_i32 s20, s57, s20
	s_add_co_u32 s10, s10, s21
	s_add_co_ci_u32 s28, s11, s23
	s_add_co_ci_u32 s21, s46, 0
	s_delay_alu instid0(SALU_CYCLE_1) | instskip(NEXT) | instid1(SALU_CYCLE_1)
	s_add_nc_u64 s[10:11], s[28:29], s[20:21]
	s_and_b64 s[20:21], s[10:11], 0xffffffff00000000
	s_delay_alu instid0(SALU_CYCLE_1) | instskip(NEXT) | instid1(SALU_CYCLE_1)
	s_or_b32 s20, s20, s10
	s_mul_u64 s[10:11], s[34:35], s[20:21]
	s_delay_alu instid0(SALU_CYCLE_1) | instskip(SKIP_1) | instid1(SALU_CYCLE_1)
	s_sub_co_u32 s10, s56, s10
	s_cselect_b32 s20, -1, 0
	s_cmp_lg_u32 s20, 0
	s_sub_co_ci_u32 s11, s57, s11
	s_sub_co_u32 s20, s10, s34
	s_cselect_b32 s21, -1, 0
	s_delay_alu instid0(SALU_CYCLE_1) | instskip(SKIP_3) | instid1(SALU_CYCLE_1)
	s_cmp_lg_u32 s21, 0
	s_sub_co_ci_u32 s21, s11, 0
	s_sub_co_u32 s23, s20, s34
	s_cselect_b32 s28, -1, 0
	s_cmp_lg_u32 s28, 0
	s_sub_co_ci_u32 s28, s21, 0
	s_cmp_ge_u32 s20, s34
	s_cselect_b32 s46, -1, 0
	s_cmp_eq_u32 s21, 0
	s_cselect_b32 s46, s46, -1
	s_delay_alu instid0(SALU_CYCLE_1)
	s_cmp_lg_u32 s46, 0
	s_cselect_b32 s21, s28, s21
	s_cselect_b32 s20, s23, s20
	s_cmp_ge_u32 s10, s34
	s_cselect_b32 s23, -1, 0
	s_cmp_eq_u32 s11, 0
	s_cselect_b32 s23, s23, -1
	s_delay_alu instid0(SALU_CYCLE_1)
	s_cmp_lg_u32 s23, 0
	s_cselect_b32 s11, s21, s11
	s_cselect_b32 s10, s20, s10
	s_cbranch_execnz .LBB120_146
.LBB120_145:                            ;   in Loop: Header=BB120_6 Depth=1
	v_cvt_f32_u32_e32 v6, s34
	s_sub_co_i32 s11, 0, s34
	s_delay_alu instid0(VALU_DEP_1) | instskip(SKIP_1) | instid1(TRANS32_DEP_1)
	v_rcp_iflag_f32_e32 v6, v6
	v_nop
	v_mul_f32_e32 v6, 0x4f7ffffe, v6
	s_delay_alu instid0(VALU_DEP_1) | instskip(NEXT) | instid1(VALU_DEP_1)
	v_cvt_u32_f32_e32 v6, v6
	v_readfirstlane_b32 s10, v6
	s_mul_i32 s11, s11, s10
	s_delay_alu instid0(SALU_CYCLE_1) | instskip(NEXT) | instid1(SALU_CYCLE_1)
	s_mul_hi_u32 s11, s10, s11
	s_add_co_i32 s10, s10, s11
	s_delay_alu instid0(SALU_CYCLE_1) | instskip(NEXT) | instid1(SALU_CYCLE_1)
	s_mul_hi_u32 s10, s56, s10
	s_mul_i32 s10, s10, s34
	s_delay_alu instid0(SALU_CYCLE_1) | instskip(NEXT) | instid1(SALU_CYCLE_1)
	s_sub_co_i32 s10, s56, s10
	s_sub_co_i32 s11, s10, s34
	s_cmp_ge_u32 s10, s34
	s_cselect_b32 s10, s11, s10
	s_delay_alu instid0(SALU_CYCLE_1) | instskip(SKIP_2) | instid1(SALU_CYCLE_1)
	s_sub_co_i32 s11, s10, s34
	s_cmp_ge_u32 s10, s34
	s_cselect_b32 s28, s11, s10
	s_mov_b64 s[10:11], s[28:29]
.LBB120_146:                            ;   in Loop: Header=BB120_6 Depth=1
	s_delay_alu instid0(SALU_CYCLE_1)
	s_sub_nc_u64 s[10:11], s[56:57], s[10:11]
	s_mov_b32 s20, exec_lo
                                        ; implicit-def: $vgpr8
	v_nop
	v_cmpx_gt_u64_e64 s[10:11], v[0:1]
	s_cbranch_execz .LBB120_155
; %bb.147:                              ;   in Loop: Header=BB120_6 Depth=1
	v_mov_b64_e32 v[6:7], v[14:15]
	v_mov_b64_e32 v[8:9], v[0:1]
	s_mov_b32 s21, 0
                                        ; implicit-def: $sgpr23
	s_branch .LBB120_150
.LBB120_148:                            ;   in Loop: Header=BB120_150 Depth=2
	s_or_b32 exec_lo, exec_lo, s28
	s_wait_dscnt 0x0
	s_barrier_signal -1
	s_barrier_wait -1
	ds_load_u16 v32, v3 offset:3072
	s_mov_b32 s28, -1
	s_mov_b32 s46, -1
	s_wait_dscnt 0x0
	s_barrier_signal -1
	s_barrier_wait -1
	v_and_b32_e32 v33, 0xff, v32
	s_delay_alu instid0(VALU_DEP_1)
	v_cmp_eq_u32_e32 vcc_lo, 0, v33
	s_cbranch_vccnz .LBB120_153
.LBB120_149:                            ;   in Loop: Header=BB120_150 Depth=2
	s_and_b32 s8, exec_lo, s28
	s_delay_alu instid0(SALU_CYCLE_1) | instskip(SKIP_2) | instid1(SALU_CYCLE_1)
	s_or_b32 s21, s8, s21
	s_and_not1_b32 s8, s23, exec_lo
	s_and_b32 s23, s46, exec_lo
	s_or_b32 s23, s8, s23
	s_and_not1_b32 exec_lo, exec_lo, s21
	s_cbranch_execz .LBB120_154
.LBB120_150:                            ;   Parent Loop BB120_6 Depth=1
                                        ; =>  This Inner Loop Header: Depth=2
	s_mov_b32 s28, exec_lo
	s_delay_alu instid0(VALU_DEP_1)
	v_cmpx_gt_u64_e64 s[36:37], v[8:9]
	s_cbranch_execz .LBB120_148
; %bb.151:                              ;   in Loop: Header=BB120_150 Depth=2
	global_load_u8 v32, v[6:7], off
	s_wait_loadcnt 0x0
	v_bitop3_b32 v33, v32, 0xff, v11 bitop3:0x80
	s_delay_alu instid0(VALU_DEP_1)
	v_cmp_eq_u32_e32 vcc_lo, v33, v10
	s_and_b32 exec_lo, exec_lo, vcc_lo
	s_cbranch_execz .LBB120_148
; %bb.152:                              ;   in Loop: Header=BB120_150 Depth=2
	v_lshlrev_b16 v32, 8, v32
	s_delay_alu instid0(VALU_DEP_1)
	v_or_b32_e32 v32, 1, v32
	ds_store_b16 v3, v32 offset:3072
	s_branch .LBB120_148
.LBB120_153:                            ;   in Loop: Header=BB120_150 Depth=2
	v_add_nc_u64_e32 v[8:9], s[34:35], v[8:9]
	v_add_nc_u64_e32 v[6:7], s[40:41], v[6:7]
	s_mov_b32 s46, 0
	s_delay_alu instid0(VALU_DEP_2)
	v_cmp_le_u64_e32 vcc_lo, s[10:11], v[8:9]
	s_or_not1_b32 s28, vcc_lo, exec_lo
	s_branch .LBB120_149
.LBB120_154:                            ;   in Loop: Header=BB120_6 Depth=1
	s_or_b32 exec_lo, exec_lo, s21
	v_and_b32_e32 v6, 0xffff, v32
	s_and_not1_b32 s8, s22, exec_lo
	s_and_b32 s10, s23, exec_lo
	s_delay_alu instid0(SALU_CYCLE_1) | instskip(NEXT) | instid1(VALU_DEP_1)
	s_or_b32 s22, s8, s10
	v_lshrrev_b32_e32 v8, 8, v6
.LBB120_155:                            ;   in Loop: Header=BB120_6 Depth=1
	s_or_b32 exec_lo, exec_lo, s20
	s_mov_b32 s64, 0
	s_mov_b32 s69, -1
.LBB120_156:                            ;   in Loop: Header=BB120_6 Depth=1
	s_or_not1_b32 s10, s22, exec_lo
.LBB120_157:                            ;   in Loop: Header=BB120_6 Depth=1
	s_or_b32 exec_lo, exec_lo, s70
	s_mov_b32 s11, 0
	s_and_saveexec_b32 s70, s10
	s_cbranch_execz .LBB120_266
; %bb.158:                              ;   in Loop: Header=BB120_6 Depth=1
	v_mov_b64_e32 v[6:7], 1
	v_mov_b32_e32 v2, 1
	s_xor_b32 s20, s71, -1
	s_delay_alu instid0(SALU_CYCLE_1)
	s_and_saveexec_b32 s10, s20
	s_cbranch_execz .LBB120_167
; %bb.159:                              ;   in Loop: Header=BB120_6 Depth=1
	s_mov_b32 s11, exec_lo
	v_cmpx_ge_u64_e64 s[14:15], v[4:5]
	s_xor_b32 s11, exec_lo, s11
	s_cbranch_execz .LBB120_164
; %bb.160:                              ;   in Loop: Header=BB120_6 Depth=1
	ds_load_b64 v[6:7], v3 offset:5120
	s_lshl_b32 s20, 1, s91
	v_or_b32_e32 v11, s24, v11
	v_and_or_b32 v10, v10, s25, s20
	s_wait_dscnt 0x0
	v_cmp_ne_u64_e32 vcc_lo, 0, v[6:7]
	s_cbranch_vccnz .LBB120_164
; %bb.161:                              ;   in Loop: Header=BB120_6 Depth=1
	s_and_saveexec_b32 s20, s5
; %bb.162:                              ;   in Loop: Header=BB120_6 Depth=1
	v_mov_b64_e32 v[6:7], s[14:15]
	ds_store_b64 v3, v[6:7] offset:5128
; %bb.163:                              ;   in Loop: Header=BB120_6 Depth=1
	s_or_b32 exec_lo, exec_lo, s20
	s_wait_dscnt 0x0
	s_barrier_signal -1
	s_barrier_wait -1
.LBB120_164:                            ;   in Loop: Header=BB120_6 Depth=1
	s_or_saveexec_b32 s11, s11
	v_mov_b32_e32 v2, 8
	s_mov_b32 s20, 0
	s_xor_b32 exec_lo, exec_lo, s11
; %bb.165:                              ;   in Loop: Header=BB120_6 Depth=1
	v_sub_nc_u64_e64 v[4:5], v[4:5], s[14:15]
	v_mov_b32_e32 v2, 0
	s_mov_b32 s20, exec_lo
; %bb.166:                              ;   in Loop: Header=BB120_6 Depth=1
	s_or_b32 exec_lo, exec_lo, s11
	s_delay_alu instid0(VALU_DEP_2)
	v_mov_b64_e32 v[6:7], v[4:5]
	s_and_b32 s11, s20, exec_lo
.LBB120_167:                            ;   in Loop: Header=BB120_6 Depth=1
	s_or_b32 exec_lo, exec_lo, s10
	s_mov_b32 s10, -1
                                        ; implicit-def: $sgpr72
                                        ; implicit-def: $sgpr73
	s_and_saveexec_b32 s71, s11
	s_cbranch_execz .LBB120_265
; %bb.168:                              ;   in Loop: Header=BB120_6 Depth=1
	s_delay_alu instid0(VALU_DEP_1) | instskip(SKIP_2) | instid1(SALU_CYCLE_1)
	v_cmp_eq_u64_e32 vcc_lo, 1, v[6:7]
	s_cmp_eq_u64 s[16:17], 1
                                        ; implicit-def: $sgpr73
                                        ; implicit-def: $sgpr72
	s_cselect_b32 s10, -1, 0
	s_and_b32 s75, s10, vcc_lo
	s_mov_b32 s10, -1
	s_and_saveexec_b32 s74, s75
	s_cbranch_execz .LBB120_202
; %bb.169:                              ;   in Loop: Header=BB120_6 Depth=1
	ds_load_b64 v[4:5], v3 offset:5120
	s_wait_dscnt 0x0
	s_barrier_signal -1
	s_barrier_wait -1
	v_readfirstlane_b32 s10, v4
	v_readfirstlane_b32 s11, v5
	s_and_saveexec_b32 s20, s6
; %bb.170:                              ;   in Loop: Header=BB120_6 Depth=1
	ds_store_b8 v0, v3 offset:3072
; %bb.171:                              ;   in Loop: Header=BB120_6 Depth=1
	s_or_b32 exec_lo, exec_lo, s20
	s_lshl_b32 s20, 2, s91
	v_or_b32_e32 v11, s24, v11
	v_and_or_b32 v10, v10, s25, s20
	s_mov_b32 s72, -1
	s_mov_b32 s73, 0
	s_cmp_eq_u64 s[10:11], 0
	s_mov_b32 s22, 0
	s_mov_b32 s23, -1
	s_wait_dscnt 0x0
	s_barrier_signal -1
	s_barrier_wait -1
                                        ; implicit-def: $vgpr8
	s_cbranch_scc1 .LBB120_187
; %bb.172:                              ;   in Loop: Header=BB120_6 Depth=1
	s_add_nc_u64 s[20:21], s[10:11], s[54:55]
	s_delay_alu instid0(SALU_CYCLE_1) | instskip(NEXT) | instid1(SALU_CYCLE_1)
	s_and_b64 s[22:23], s[20:21], 0xffffffff00000000
	s_cmp_lg_u64 s[22:23], 0
	s_cbranch_scc0 .LBB120_219
; %bb.173:                              ;   in Loop: Header=BB120_6 Depth=1
	s_cvt_f32_u32 s22, s34
	s_sub_nc_u64 s[46:47], 0, s[34:35]
	s_delay_alu instid0(SALU_CYCLE_2) | instskip(NEXT) | instid1(SALU_CYCLE_3)
	s_fmamk_f32 s22, s92, 0x0, s22
	v_s_rcp_f32 s22, s22
	s_delay_alu instid0(TRANS32_DEP_1) | instskip(NEXT) | instid1(SALU_CYCLE_3)
	s_mul_f32 s22, s22, 0x5f7ffffc
	s_mul_f32 s23, s22, 0x2f800000
	s_delay_alu instid0(SALU_CYCLE_3) | instskip(NEXT) | instid1(SALU_CYCLE_3)
	s_trunc_f32 s23, s23
	s_fmamk_f32 s22, s23, 0xcf800000, s22
	s_cvt_u32_f32 s23, s23
	s_delay_alu instid0(SALU_CYCLE_2) | instskip(NEXT) | instid1(SALU_CYCLE_3)
	s_cvt_u32_f32 s22, s22
	s_mul_u64 s[48:49], s[46:47], s[22:23]
	s_delay_alu instid0(SALU_CYCLE_1)
	s_mul_hi_u32 s77, s22, s49
	s_mul_i32 s76, s22, s49
	s_mul_hi_u32 s28, s22, s48
	s_mul_i32 s51, s23, s48
	s_add_nc_u64 s[76:77], s[28:29], s[76:77]
	s_mul_hi_u32 s50, s23, s48
	s_mul_hi_u32 s52, s23, s49
	s_add_co_u32 s28, s76, s51
	s_add_co_ci_u32 s28, s77, s50
	s_mul_i32 s48, s23, s49
	s_add_co_ci_u32 s49, s52, 0
	s_delay_alu instid0(SALU_CYCLE_1) | instskip(NEXT) | instid1(SALU_CYCLE_1)
	s_add_nc_u64 s[48:49], s[28:29], s[48:49]
	s_add_co_u32 s22, s22, s48
	s_cselect_b32 s28, -1, 0
	s_delay_alu instid0(SALU_CYCLE_1) | instskip(SKIP_1) | instid1(SALU_CYCLE_1)
	s_cmp_lg_u32 s28, 0
	s_add_co_ci_u32 s23, s23, s49
	s_mul_u64 s[46:47], s[46:47], s[22:23]
	s_delay_alu instid0(SALU_CYCLE_1)
	s_mul_hi_u32 s49, s22, s47
	s_mul_i32 s48, s22, s47
	s_mul_hi_u32 s28, s22, s46
	s_mul_i32 s51, s23, s46
	s_add_nc_u64 s[48:49], s[28:29], s[48:49]
	s_mul_hi_u32 s50, s23, s46
	s_mul_hi_u32 s52, s23, s47
	s_add_co_u32 s28, s48, s51
	s_add_co_ci_u32 s28, s49, s50
	s_mul_i32 s46, s23, s47
	s_add_co_ci_u32 s47, s52, 0
	s_delay_alu instid0(SALU_CYCLE_1) | instskip(NEXT) | instid1(SALU_CYCLE_1)
	s_add_nc_u64 s[46:47], s[28:29], s[46:47]
	s_add_co_u32 s22, s22, s46
	s_cselect_b32 s46, -1, 0
	s_mul_hi_u32 s28, s20, s22
	s_cmp_lg_u32 s46, 0
	s_mul_hi_u32 s48, s21, s22
	s_add_co_ci_u32 s46, s23, s47
	s_mul_i32 s47, s21, s22
	s_mul_hi_u32 s23, s20, s46
	s_mul_i32 s22, s20, s46
	s_mul_hi_u32 s49, s21, s46
	s_add_nc_u64 s[22:23], s[28:29], s[22:23]
	s_mul_i32 s46, s21, s46
	s_add_co_u32 s22, s22, s47
	s_add_co_ci_u32 s28, s23, s48
	s_add_co_ci_u32 s47, s49, 0
	s_delay_alu instid0(SALU_CYCLE_1) | instskip(NEXT) | instid1(SALU_CYCLE_1)
	s_add_nc_u64 s[22:23], s[28:29], s[46:47]
	s_and_b64 s[46:47], s[22:23], 0xffffffff00000000
	s_delay_alu instid0(SALU_CYCLE_1) | instskip(NEXT) | instid1(SALU_CYCLE_1)
	s_or_b32 s46, s46, s22
	s_mul_u64 s[22:23], s[34:35], s[46:47]
	s_delay_alu instid0(SALU_CYCLE_1) | instskip(SKIP_1) | instid1(SALU_CYCLE_1)
	s_sub_co_u32 s22, s20, s22
	s_cselect_b32 s28, -1, 0
	s_cmp_lg_u32 s28, 0
	s_sub_co_ci_u32 s23, s21, s23
	s_sub_co_u32 s28, s22, s34
	s_cselect_b32 s46, -1, 0
	s_delay_alu instid0(SALU_CYCLE_1) | instskip(SKIP_3) | instid1(SALU_CYCLE_1)
	s_cmp_lg_u32 s46, 0
	s_sub_co_ci_u32 s46, s23, 0
	s_sub_co_u32 s47, s28, s34
	s_cselect_b32 s48, -1, 0
	s_cmp_lg_u32 s48, 0
	s_sub_co_ci_u32 s48, s46, 0
	s_cmp_ge_u32 s28, s34
	s_cselect_b32 s49, -1, 0
	s_cmp_eq_u32 s46, 0
	s_cselect_b32 s49, s49, -1
	s_delay_alu instid0(SALU_CYCLE_1)
	s_cmp_lg_u32 s49, 0
	s_cselect_b32 s46, s48, s46
	s_cselect_b32 s28, s47, s28
	s_cmp_ge_u32 s22, s34
	s_cselect_b32 s47, -1, 0
	s_cmp_eq_u32 s23, 0
	s_cselect_b32 s47, s47, -1
	s_delay_alu instid0(SALU_CYCLE_1)
	s_cmp_lg_u32 s47, 0
	s_cselect_b32 s23, s46, s23
	s_cselect_b32 s22, s28, s22
	s_cbranch_execnz .LBB120_175
.LBB120_174:                            ;   in Loop: Header=BB120_6 Depth=1
	v_cvt_f32_u32_e32 v4, s34
	s_sub_co_i32 s23, 0, s34
	s_delay_alu instid0(VALU_DEP_1) | instskip(SKIP_1) | instid1(TRANS32_DEP_1)
	v_rcp_iflag_f32_e32 v4, v4
	v_nop
	v_mul_f32_e32 v4, 0x4f7ffffe, v4
	s_delay_alu instid0(VALU_DEP_1) | instskip(NEXT) | instid1(VALU_DEP_1)
	v_cvt_u32_f32_e32 v4, v4
	v_readfirstlane_b32 s22, v4
	s_mul_i32 s23, s23, s22
	s_delay_alu instid0(SALU_CYCLE_1) | instskip(NEXT) | instid1(SALU_CYCLE_1)
	s_mul_hi_u32 s23, s22, s23
	s_add_co_i32 s22, s22, s23
	s_delay_alu instid0(SALU_CYCLE_1) | instskip(NEXT) | instid1(SALU_CYCLE_1)
	s_mul_hi_u32 s22, s20, s22
	s_mul_i32 s22, s22, s34
	s_delay_alu instid0(SALU_CYCLE_1) | instskip(NEXT) | instid1(SALU_CYCLE_1)
	s_sub_co_i32 s22, s20, s22
	s_sub_co_i32 s23, s22, s34
	s_cmp_ge_u32 s22, s34
	s_cselect_b32 s22, s23, s22
	s_delay_alu instid0(SALU_CYCLE_1) | instskip(SKIP_2) | instid1(SALU_CYCLE_1)
	s_sub_co_i32 s23, s22, s34
	s_cmp_ge_u32 s22, s34
	s_cselect_b32 s28, s23, s22
	s_mov_b64 s[22:23], s[28:29]
.LBB120_175:                            ;   in Loop: Header=BB120_6 Depth=1
	s_delay_alu instid0(SALU_CYCLE_1)
	s_sub_nc_u64 s[20:21], s[20:21], s[22:23]
	s_mov_b32 s23, 0
	s_mov_b32 s22, 0
	s_mov_b32 s28, exec_lo
                                        ; implicit-def: $vgpr8
	v_cmpx_gt_u64_e64 s[20:21], v[0:1]
	s_cbranch_execz .LBB120_186
; %bb.176:                              ;   in Loop: Header=BB120_6 Depth=1
	v_mov_b64_e32 v[4:5], v[0:1]
	v_mov_b32_e32 v8, v0
                                        ; implicit-def: $sgpr46
	s_branch .LBB120_179
.LBB120_177:                            ;   in Loop: Header=BB120_179 Depth=2
	s_or_b32 exec_lo, exec_lo, s47
	s_wait_dscnt 0x0
	s_barrier_signal -1
	s_barrier_wait -1
	ds_load_u16 v9, v3 offset:3072
	s_mov_b32 s47, -1
	s_mov_b32 s48, -1
	s_wait_dscnt 0x0
	s_barrier_signal -1
	s_barrier_wait -1
	v_and_b32_e32 v32, 0xff, v9
	s_delay_alu instid0(VALU_DEP_1)
	v_cmp_ne_u32_e32 vcc_lo, 0, v32
	s_cbranch_vccz .LBB120_182
.LBB120_178:                            ;   in Loop: Header=BB120_179 Depth=2
	s_and_b32 s8, exec_lo, s47
	s_delay_alu instid0(SALU_CYCLE_1) | instskip(SKIP_2) | instid1(SALU_CYCLE_1)
	s_or_b32 s22, s8, s22
	s_and_not1_b32 s8, s46, exec_lo
	s_and_b32 s46, s48, exec_lo
	s_or_b32 s46, s8, s46
	s_and_not1_b32 exec_lo, exec_lo, s22
	s_cbranch_execz .LBB120_185
.LBB120_179:                            ;   Parent Loop BB120_6 Depth=1
                                        ; =>  This Inner Loop Header: Depth=2
	s_mov_b32 s47, exec_lo
	s_delay_alu instid0(VALU_DEP_2)
	v_cmpx_gt_u64_e64 s[10:11], v[4:5]
	s_cbranch_execz .LBB120_177
; %bb.180:                              ;   in Loop: Header=BB120_179 Depth=2
	ds_load_u8 v9, v8
	s_wait_dscnt 0x0
	v_bitop3_b32 v32, v9, 0xff, v11 bitop3:0x80
	s_delay_alu instid0(VALU_DEP_1)
	v_cmp_eq_u32_e32 vcc_lo, v32, v10
	s_and_b32 exec_lo, exec_lo, vcc_lo
	s_cbranch_execz .LBB120_177
; %bb.181:                              ;   in Loop: Header=BB120_179 Depth=2
	v_lshlrev_b16 v9, 8, v9
	s_delay_alu instid0(VALU_DEP_1)
	v_or_b32_e32 v9, 1, v9
	ds_store_b16 v3, v9 offset:3072
	s_branch .LBB120_177
.LBB120_182:                            ;   in Loop: Header=BB120_179 Depth=2
	v_add_nc_u64_e32 v[4:5], s[34:35], v[4:5]
	v_add_nc_u32_e32 v8, s34, v8
	s_mov_b32 s48, 0
	s_delay_alu instid0(VALU_DEP_2)
	v_cmp_le_u64_e32 vcc_lo, s[20:21], v[4:5]
	s_or_not1_b32 s47, vcc_lo, exec_lo
	s_branch .LBB120_178
.LBB120_183:                            ;   in Loop: Header=BB120_6 Depth=1
                                        ; implicit-def: $sgpr22_sgpr23
	s_branch .LBB120_129
.LBB120_184:                            ;   in Loop: Header=BB120_6 Depth=1
                                        ; implicit-def: $sgpr10_sgpr11
	s_branch .LBB120_145
.LBB120_185:                            ;   in Loop: Header=BB120_6 Depth=1
	s_or_b32 exec_lo, exec_lo, s22
	v_and_b32_e32 v4, 0xffff, v9
	s_and_b32 s22, s46, exec_lo
	s_delay_alu instid0(VALU_DEP_1)
	v_lshrrev_b32_e32 v8, 8, v4
.LBB120_186:                            ;   in Loop: Header=BB120_6 Depth=1
	s_or_b32 exec_lo, exec_lo, s28
.LBB120_187:                            ;   in Loop: Header=BB120_6 Depth=1
	s_delay_alu instid0(SALU_CYCLE_1)
	s_and_b32 vcc_lo, exec_lo, s23
	s_cbranch_vccz .LBB120_201
; %bb.188:                              ;   in Loop: Header=BB120_6 Depth=1
	s_and_b64 s[10:11], s[56:57], 0xffffffff00000000
	s_delay_alu instid0(SALU_CYCLE_1)
	s_cmp_lg_u64 s[10:11], 0
	s_cbranch_scc0 .LBB120_220
; %bb.189:                              ;   in Loop: Header=BB120_6 Depth=1
	s_cvt_f32_u32 s10, s34
	s_sub_nc_u64 s[20:21], 0, s[34:35]
	s_delay_alu instid0(SALU_CYCLE_2) | instskip(NEXT) | instid1(SALU_CYCLE_3)
	s_fmamk_f32 s10, s92, 0x0, s10
	v_s_rcp_f32 s10, s10
	s_delay_alu instid0(TRANS32_DEP_1) | instskip(NEXT) | instid1(SALU_CYCLE_3)
	s_mul_f32 s10, s10, 0x5f7ffffc
	s_mul_f32 s11, s10, 0x2f800000
	s_delay_alu instid0(SALU_CYCLE_3) | instskip(NEXT) | instid1(SALU_CYCLE_3)
	s_trunc_f32 s11, s11
	s_fmamk_f32 s10, s11, 0xcf800000, s10
	s_cvt_u32_f32 s11, s11
	s_delay_alu instid0(SALU_CYCLE_2) | instskip(NEXT) | instid1(SALU_CYCLE_3)
	s_cvt_u32_f32 s10, s10
	s_mul_u64 s[46:47], s[20:21], s[10:11]
	s_delay_alu instid0(SALU_CYCLE_1)
	s_mul_hi_u32 s49, s10, s47
	s_mul_i32 s48, s10, s47
	s_mul_hi_u32 s28, s10, s46
	s_mul_i32 s50, s11, s46
	s_add_nc_u64 s[48:49], s[28:29], s[48:49]
	s_mul_hi_u32 s23, s11, s46
	s_mul_hi_u32 s51, s11, s47
	s_add_co_u32 s28, s48, s50
	s_add_co_ci_u32 s28, s49, s23
	s_mul_i32 s46, s11, s47
	s_add_co_ci_u32 s47, s51, 0
	s_delay_alu instid0(SALU_CYCLE_1) | instskip(NEXT) | instid1(SALU_CYCLE_1)
	s_add_nc_u64 s[46:47], s[28:29], s[46:47]
	s_add_co_u32 s10, s10, s46
	s_cselect_b32 s23, -1, 0
	s_delay_alu instid0(SALU_CYCLE_1) | instskip(SKIP_1) | instid1(SALU_CYCLE_1)
	s_cmp_lg_u32 s23, 0
	s_add_co_ci_u32 s11, s11, s47
	s_mul_u64 s[20:21], s[20:21], s[10:11]
	s_delay_alu instid0(SALU_CYCLE_1)
	s_mul_hi_u32 s47, s10, s21
	s_mul_i32 s46, s10, s21
	s_mul_hi_u32 s28, s10, s20
	s_mul_i32 s48, s11, s20
	s_add_nc_u64 s[46:47], s[28:29], s[46:47]
	s_mul_hi_u32 s23, s11, s20
	s_mul_hi_u32 s49, s11, s21
	s_mul_i32 s20, s11, s21
	s_add_co_u32 s21, s46, s48
	s_add_co_ci_u32 s28, s47, s23
	s_add_co_ci_u32 s21, s49, 0
	s_delay_alu instid0(SALU_CYCLE_1) | instskip(NEXT) | instid1(SALU_CYCLE_1)
	s_add_nc_u64 s[20:21], s[28:29], s[20:21]
	s_add_co_u32 s10, s10, s20
	s_cselect_b32 s20, -1, 0
	s_mul_hi_u32 s28, s56, s10
	s_cmp_lg_u32 s20, 0
	s_mul_hi_u32 s23, s57, s10
	s_add_co_ci_u32 s20, s11, s21
	s_mul_i32 s21, s57, s10
	s_mul_hi_u32 s11, s56, s20
	s_mul_i32 s10, s56, s20
	s_mul_hi_u32 s46, s57, s20
	s_add_nc_u64 s[10:11], s[28:29], s[10:11]
	s_mul_i32 s20, s57, s20
	s_add_co_u32 s10, s10, s21
	s_add_co_ci_u32 s28, s11, s23
	s_add_co_ci_u32 s21, s46, 0
	s_delay_alu instid0(SALU_CYCLE_1) | instskip(NEXT) | instid1(SALU_CYCLE_1)
	s_add_nc_u64 s[10:11], s[28:29], s[20:21]
	s_and_b64 s[20:21], s[10:11], 0xffffffff00000000
	s_delay_alu instid0(SALU_CYCLE_1) | instskip(NEXT) | instid1(SALU_CYCLE_1)
	s_or_b32 s20, s20, s10
	s_mul_u64 s[10:11], s[34:35], s[20:21]
	s_delay_alu instid0(SALU_CYCLE_1) | instskip(SKIP_1) | instid1(SALU_CYCLE_1)
	s_sub_co_u32 s10, s56, s10
	s_cselect_b32 s20, -1, 0
	s_cmp_lg_u32 s20, 0
	s_sub_co_ci_u32 s11, s57, s11
	s_sub_co_u32 s20, s10, s34
	s_cselect_b32 s21, -1, 0
	s_delay_alu instid0(SALU_CYCLE_1) | instskip(SKIP_3) | instid1(SALU_CYCLE_1)
	s_cmp_lg_u32 s21, 0
	s_sub_co_ci_u32 s21, s11, 0
	s_sub_co_u32 s23, s20, s34
	s_cselect_b32 s28, -1, 0
	s_cmp_lg_u32 s28, 0
	s_sub_co_ci_u32 s28, s21, 0
	s_cmp_ge_u32 s20, s34
	s_cselect_b32 s46, -1, 0
	s_cmp_eq_u32 s21, 0
	s_cselect_b32 s46, s46, -1
	s_delay_alu instid0(SALU_CYCLE_1)
	s_cmp_lg_u32 s46, 0
	s_cselect_b32 s21, s28, s21
	s_cselect_b32 s20, s23, s20
	s_cmp_ge_u32 s10, s34
	s_cselect_b32 s23, -1, 0
	s_cmp_eq_u32 s11, 0
	s_cselect_b32 s23, s23, -1
	s_delay_alu instid0(SALU_CYCLE_1)
	s_cmp_lg_u32 s23, 0
	s_cselect_b32 s11, s21, s11
	s_cselect_b32 s10, s20, s10
	s_cbranch_execnz .LBB120_191
.LBB120_190:                            ;   in Loop: Header=BB120_6 Depth=1
	v_cvt_f32_u32_e32 v4, s34
	s_sub_co_i32 s11, 0, s34
	s_delay_alu instid0(VALU_DEP_1) | instskip(SKIP_1) | instid1(TRANS32_DEP_1)
	v_rcp_iflag_f32_e32 v4, v4
	v_nop
	v_mul_f32_e32 v4, 0x4f7ffffe, v4
	s_delay_alu instid0(VALU_DEP_1) | instskip(NEXT) | instid1(VALU_DEP_1)
	v_cvt_u32_f32_e32 v4, v4
	v_readfirstlane_b32 s10, v4
	s_mul_i32 s11, s11, s10
	s_delay_alu instid0(SALU_CYCLE_1) | instskip(NEXT) | instid1(SALU_CYCLE_1)
	s_mul_hi_u32 s11, s10, s11
	s_add_co_i32 s10, s10, s11
	s_delay_alu instid0(SALU_CYCLE_1) | instskip(NEXT) | instid1(SALU_CYCLE_1)
	s_mul_hi_u32 s10, s56, s10
	s_mul_i32 s10, s10, s34
	s_delay_alu instid0(SALU_CYCLE_1) | instskip(NEXT) | instid1(SALU_CYCLE_1)
	s_sub_co_i32 s10, s56, s10
	s_sub_co_i32 s11, s10, s34
	s_cmp_ge_u32 s10, s34
	s_cselect_b32 s10, s11, s10
	s_delay_alu instid0(SALU_CYCLE_1) | instskip(SKIP_2) | instid1(SALU_CYCLE_1)
	s_sub_co_i32 s11, s10, s34
	s_cmp_ge_u32 s10, s34
	s_cselect_b32 s28, s11, s10
	s_mov_b64 s[10:11], s[28:29]
.LBB120_191:                            ;   in Loop: Header=BB120_6 Depth=1
	s_delay_alu instid0(SALU_CYCLE_1)
	s_sub_nc_u64 s[10:11], s[56:57], s[10:11]
	s_mov_b32 s20, exec_lo
                                        ; implicit-def: $vgpr8
	v_nop
	v_cmpx_gt_u64_e64 s[10:11], v[0:1]
	s_cbranch_execz .LBB120_200
; %bb.192:                              ;   in Loop: Header=BB120_6 Depth=1
	v_mov_b64_e32 v[4:5], v[14:15]
	v_mov_b64_e32 v[8:9], v[0:1]
	s_mov_b32 s21, 0
                                        ; implicit-def: $sgpr23
	s_branch .LBB120_195
.LBB120_193:                            ;   in Loop: Header=BB120_195 Depth=2
	s_or_b32 exec_lo, exec_lo, s28
	s_wait_dscnt 0x0
	s_barrier_signal -1
	s_barrier_wait -1
	ds_load_u16 v32, v3 offset:3072
	s_mov_b32 s28, -1
	s_mov_b32 s46, -1
	s_wait_dscnt 0x0
	s_barrier_signal -1
	s_barrier_wait -1
	v_and_b32_e32 v33, 0xff, v32
	s_delay_alu instid0(VALU_DEP_1)
	v_cmp_eq_u32_e32 vcc_lo, 0, v33
	s_cbranch_vccnz .LBB120_198
.LBB120_194:                            ;   in Loop: Header=BB120_195 Depth=2
	s_and_b32 s8, exec_lo, s28
	s_delay_alu instid0(SALU_CYCLE_1) | instskip(SKIP_2) | instid1(SALU_CYCLE_1)
	s_or_b32 s21, s8, s21
	s_and_not1_b32 s8, s23, exec_lo
	s_and_b32 s23, s46, exec_lo
	s_or_b32 s23, s8, s23
	s_and_not1_b32 exec_lo, exec_lo, s21
	s_cbranch_execz .LBB120_199
.LBB120_195:                            ;   Parent Loop BB120_6 Depth=1
                                        ; =>  This Inner Loop Header: Depth=2
	s_mov_b32 s28, exec_lo
	s_delay_alu instid0(VALU_DEP_1)
	v_cmpx_gt_u64_e64 s[36:37], v[8:9]
	s_cbranch_execz .LBB120_193
; %bb.196:                              ;   in Loop: Header=BB120_195 Depth=2
	global_load_u8 v32, v[4:5], off
	s_wait_loadcnt 0x0
	v_bitop3_b32 v33, v32, 0xff, v11 bitop3:0x80
	s_delay_alu instid0(VALU_DEP_1)
	v_cmp_eq_u32_e32 vcc_lo, v33, v10
	s_and_b32 exec_lo, exec_lo, vcc_lo
	s_cbranch_execz .LBB120_193
; %bb.197:                              ;   in Loop: Header=BB120_195 Depth=2
	v_lshlrev_b16 v32, 8, v32
	s_delay_alu instid0(VALU_DEP_1)
	v_or_b32_e32 v32, 1, v32
	ds_store_b16 v3, v32 offset:3072
	s_branch .LBB120_193
.LBB120_198:                            ;   in Loop: Header=BB120_195 Depth=2
	v_add_nc_u64_e32 v[8:9], s[34:35], v[8:9]
	v_add_nc_u64_e32 v[4:5], s[40:41], v[4:5]
	s_mov_b32 s46, 0
	s_delay_alu instid0(VALU_DEP_2)
	v_cmp_le_u64_e32 vcc_lo, s[10:11], v[8:9]
	s_or_not1_b32 s28, vcc_lo, exec_lo
	s_branch .LBB120_194
.LBB120_199:                            ;   in Loop: Header=BB120_6 Depth=1
	s_or_b32 exec_lo, exec_lo, s21
	v_and_b32_e32 v4, 0xffff, v32
	s_and_not1_b32 s8, s22, exec_lo
	s_and_b32 s10, s23, exec_lo
	s_delay_alu instid0(SALU_CYCLE_1) | instskip(NEXT) | instid1(VALU_DEP_1)
	s_or_b32 s22, s8, s10
	v_lshrrev_b32_e32 v8, 8, v4
.LBB120_200:                            ;   in Loop: Header=BB120_6 Depth=1
	s_or_b32 exec_lo, exec_lo, s20
	s_mov_b32 s72, 0
	s_mov_b32 s73, -1
.LBB120_201:                            ;   in Loop: Header=BB120_6 Depth=1
	s_or_not1_b32 s10, s22, exec_lo
.LBB120_202:                            ;   in Loop: Header=BB120_6 Depth=1
	s_or_b32 exec_lo, exec_lo, s74
	s_mov_b32 s11, 0
	s_and_saveexec_b32 s74, s10
	s_cbranch_execz .LBB120_264
; %bb.203:                              ;   in Loop: Header=BB120_6 Depth=1
	v_mov_b64_e32 v[4:5], 1
	v_mov_b32_e32 v2, 1
	s_xor_b32 s20, s75, -1
	s_delay_alu instid0(SALU_CYCLE_1)
	s_and_saveexec_b32 s10, s20
	s_cbranch_execz .LBB120_212
; %bb.204:                              ;   in Loop: Header=BB120_6 Depth=1
	s_mov_b32 s11, exec_lo
	v_cmpx_ge_u64_e64 s[16:17], v[6:7]
	s_xor_b32 s11, exec_lo, s11
	s_cbranch_execz .LBB120_209
; %bb.205:                              ;   in Loop: Header=BB120_6 Depth=1
	ds_load_b64 v[4:5], v3 offset:5120
	s_lshl_b32 s20, 2, s91
	v_or_b32_e32 v11, s24, v11
	v_and_or_b32 v10, v10, s25, s20
	s_wait_dscnt 0x0
	v_cmp_ne_u64_e32 vcc_lo, 0, v[4:5]
	s_cbranch_vccnz .LBB120_209
; %bb.206:                              ;   in Loop: Header=BB120_6 Depth=1
	s_and_saveexec_b32 s20, s5
; %bb.207:                              ;   in Loop: Header=BB120_6 Depth=1
	v_mov_b64_e32 v[4:5], s[16:17]
	ds_store_b64 v3, v[4:5] offset:5128
; %bb.208:                              ;   in Loop: Header=BB120_6 Depth=1
	s_or_b32 exec_lo, exec_lo, s20
	s_wait_dscnt 0x0
	s_barrier_signal -1
	s_barrier_wait -1
.LBB120_209:                            ;   in Loop: Header=BB120_6 Depth=1
	s_or_saveexec_b32 s11, s11
	v_mov_b32_e32 v2, 8
	s_mov_b32 s20, 0
	s_xor_b32 exec_lo, exec_lo, s11
; %bb.210:                              ;   in Loop: Header=BB120_6 Depth=1
	v_sub_nc_u64_e64 v[6:7], v[6:7], s[16:17]
	v_mov_b32_e32 v2, 0
	s_mov_b32 s20, exec_lo
; %bb.211:                              ;   in Loop: Header=BB120_6 Depth=1
	s_or_b32 exec_lo, exec_lo, s11
	s_delay_alu instid0(VALU_DEP_2)
	v_mov_b64_e32 v[4:5], v[6:7]
	s_and_b32 s11, s20, exec_lo
.LBB120_212:                            ;   in Loop: Header=BB120_6 Depth=1
	s_or_b32 exec_lo, exec_lo, s10
	s_mov_b32 s10, -1
                                        ; implicit-def: $sgpr46
                                        ; implicit-def: $vcc_hi
	s_and_saveexec_b32 s75, s11
	s_cbranch_execz .LBB120_263
; %bb.213:                              ;   in Loop: Header=BB120_6 Depth=1
	s_delay_alu instid0(VALU_DEP_1) | instskip(SKIP_3) | instid1(SALU_CYCLE_1)
	v_cmp_eq_u64_e32 vcc_lo, 1, v[4:5]
	s_cmp_eq_u64 s[18:19], 1
	s_mov_b32 s11, -1
	s_cselect_b32 s10, -1, 0
                                        ; implicit-def: $sgpr46
                                        ; implicit-def: $vcc_hi
	s_and_b32 s76, s10, vcc_lo
	s_delay_alu instid0(SALU_CYCLE_1)
	s_and_saveexec_b32 s77, s76
	s_cbranch_execz .LBB120_251
; %bb.214:                              ;   in Loop: Header=BB120_6 Depth=1
	ds_load_b64 v[6:7], v3 offset:5120
	s_wait_dscnt 0x0
	s_barrier_signal -1
	s_barrier_wait -1
	v_readfirstlane_b32 s10, v6
	v_readfirstlane_b32 s11, v7
	s_and_saveexec_b32 s20, s6
; %bb.215:                              ;   in Loop: Header=BB120_6 Depth=1
	ds_store_b8 v0, v3 offset:3072
; %bb.216:                              ;   in Loop: Header=BB120_6 Depth=1
	s_or_b32 exec_lo, exec_lo, s20
	v_or_b32_e32 v10, s24, v10
	v_or_b32_e32 v11, s24, v11
	s_mov_b32 vcc_hi, -1
	s_mov_b32 s46, 0
	s_cmp_eq_u64 s[10:11], 0
	s_mov_b32 s22, 0
	s_mov_b32 s23, -1
	s_wait_dscnt 0x0
	s_barrier_signal -1
	s_barrier_wait -1
                                        ; implicit-def: $vgpr8
	s_cbranch_scc1 .LBB120_234
; %bb.217:                              ;   in Loop: Header=BB120_6 Depth=1
	s_add_nc_u64 s[20:21], s[10:11], s[54:55]
	s_delay_alu instid0(SALU_CYCLE_1) | instskip(NEXT) | instid1(SALU_CYCLE_1)
	s_and_b64 s[22:23], s[20:21], 0xffffffff00000000
	s_cmp_lg_u64 s[22:23], 0
	s_cbranch_scc0 .LBB120_221
; %bb.218:                              ;   in Loop: Header=BB120_6 Depth=1
	s_cvt_f32_u32 s22, s34
	s_sub_nc_u64 s[48:49], 0, s[34:35]
	s_delay_alu instid0(SALU_CYCLE_2) | instskip(NEXT) | instid1(SALU_CYCLE_3)
	s_fmamk_f32 s22, s92, 0x0, s22
	v_s_rcp_f32 s22, s22
	s_delay_alu instid0(TRANS32_DEP_1) | instskip(NEXT) | instid1(SALU_CYCLE_3)
	s_mul_f32 s22, s22, 0x5f7ffffc
	s_mul_f32 s23, s22, 0x2f800000
	s_delay_alu instid0(SALU_CYCLE_3) | instskip(NEXT) | instid1(SALU_CYCLE_3)
	s_trunc_f32 s23, s23
	s_fmamk_f32 s22, s23, 0xcf800000, s22
	s_cvt_u32_f32 s23, s23
	s_delay_alu instid0(SALU_CYCLE_2) | instskip(NEXT) | instid1(SALU_CYCLE_3)
	s_cvt_u32_f32 s22, s22
	s_mul_u64 s[50:51], s[48:49], s[22:23]
	s_delay_alu instid0(SALU_CYCLE_1)
	s_mul_hi_u32 s53, s22, s51
	s_mul_i32 s52, s22, s51
	s_mul_hi_u32 s28, s22, s50
	s_mul_i32 vcc_lo, s23, s50
	s_add_nc_u64 s[52:53], s[28:29], s[52:53]
	s_mul_hi_u32 s47, s23, s50
	s_mul_hi_u32 s8, s23, s51
	s_add_co_u32 s28, s52, vcc_lo
	s_add_co_ci_u32 s28, s53, s47
	s_mul_i32 s50, s23, s51
	s_add_co_ci_u32 s51, s8, 0
	s_delay_alu instid0(SALU_CYCLE_1) | instskip(NEXT) | instid1(SALU_CYCLE_1)
	s_add_nc_u64 s[50:51], s[28:29], s[50:51]
	s_add_co_u32 s22, s22, s50
	s_cselect_b32 s8, -1, 0
	s_delay_alu instid0(SALU_CYCLE_1) | instskip(SKIP_1) | instid1(SALU_CYCLE_1)
	s_cmp_lg_u32 s8, 0
	s_add_co_ci_u32 s23, s23, s51
	s_mul_u64 s[48:49], s[48:49], s[22:23]
	s_delay_alu instid0(SALU_CYCLE_1)
	s_mul_hi_u32 s51, s22, s49
	s_mul_i32 s50, s22, s49
	s_mul_hi_u32 s28, s22, s48
	s_mul_i32 s47, s23, s48
	s_add_nc_u64 s[50:51], s[28:29], s[50:51]
	s_mul_hi_u32 s8, s23, s48
	s_mul_hi_u32 s52, s23, s49
	s_add_co_u32 s28, s50, s47
	s_add_co_ci_u32 s28, s51, s8
	s_mul_i32 s48, s23, s49
	s_add_co_ci_u32 s49, s52, 0
	s_delay_alu instid0(SALU_CYCLE_1) | instskip(NEXT) | instid1(SALU_CYCLE_1)
	s_add_nc_u64 s[48:49], s[28:29], s[48:49]
	s_add_co_u32 s8, s22, s48
	s_cselect_b32 s22, -1, 0
	s_mul_hi_u32 s28, s20, s8
	s_cmp_lg_u32 s22, 0
	s_mul_hi_u32 s47, s21, s8
	s_add_co_ci_u32 s48, s23, s49
	s_mul_i32 s8, s21, s8
	s_mul_hi_u32 s23, s20, s48
	s_mul_i32 s22, s20, s48
	s_mul_hi_u32 s49, s21, s48
	s_add_nc_u64 s[22:23], s[28:29], s[22:23]
	s_mul_i32 s48, s21, s48
	s_add_co_u32 s8, s22, s8
	s_add_co_ci_u32 s28, s23, s47
	s_add_co_ci_u32 s49, s49, 0
	s_delay_alu instid0(SALU_CYCLE_1) | instskip(NEXT) | instid1(SALU_CYCLE_1)
	s_add_nc_u64 s[22:23], s[28:29], s[48:49]
	s_and_b64 s[48:49], s[22:23], 0xffffffff00000000
	s_delay_alu instid0(SALU_CYCLE_1) | instskip(NEXT) | instid1(SALU_CYCLE_1)
	s_or_b32 s48, s48, s22
	s_mul_u64 s[22:23], s[34:35], s[48:49]
	s_delay_alu instid0(SALU_CYCLE_1) | instskip(SKIP_1) | instid1(SALU_CYCLE_1)
	s_sub_co_u32 s8, s20, s22
	s_cselect_b32 s22, -1, 0
	s_cmp_lg_u32 s22, 0
	s_sub_co_ci_u32 s22, s21, s23
	s_sub_co_u32 s23, s8, s34
	s_cselect_b32 s28, -1, 0
	s_delay_alu instid0(SALU_CYCLE_1) | instskip(SKIP_3) | instid1(SALU_CYCLE_1)
	s_cmp_lg_u32 s28, 0
	s_sub_co_ci_u32 s28, s22, 0
	s_sub_co_u32 s47, s23, s34
	s_cselect_b32 s48, -1, 0
	s_cmp_lg_u32 s48, 0
	s_sub_co_ci_u32 s48, s28, 0
	s_cmp_ge_u32 s23, s34
	s_cselect_b32 s49, -1, 0
	s_cmp_eq_u32 s28, 0
	s_cselect_b32 s49, s49, -1
	s_delay_alu instid0(SALU_CYCLE_1)
	s_cmp_lg_u32 s49, 0
	s_cselect_b32 s28, s48, s28
	s_cselect_b32 s47, s47, s23
	s_cmp_ge_u32 s8, s34
	s_cselect_b32 s23, -1, 0
	s_cmp_eq_u32 s22, 0
	s_cselect_b32 s23, s23, -1
	s_delay_alu instid0(SALU_CYCLE_1)
	s_cmp_lg_u32 s23, 0
	s_cselect_b32 s23, s28, s22
	s_cselect_b32 s22, s47, s8
	s_mov_b32 s28, 0
	s_branch .LBB120_222
.LBB120_219:                            ;   in Loop: Header=BB120_6 Depth=1
                                        ; implicit-def: $sgpr22_sgpr23
	s_branch .LBB120_174
.LBB120_220:                            ;   in Loop: Header=BB120_6 Depth=1
                                        ; implicit-def: $sgpr10_sgpr11
	s_branch .LBB120_190
.LBB120_221:                            ;   in Loop: Header=BB120_6 Depth=1
	s_mov_b32 s28, -1
                                        ; implicit-def: $sgpr22_sgpr23
.LBB120_222:                            ;   in Loop: Header=BB120_6 Depth=1
	s_delay_alu instid0(SALU_CYCLE_1)
	s_and_not1_b32 vcc_lo, exec_lo, s28
	s_cbranch_vccnz .LBB120_224
; %bb.223:                              ;   in Loop: Header=BB120_6 Depth=1
	v_cvt_f32_u32_e32 v6, s34
	s_sub_co_i32 s23, 0, s34
	s_delay_alu instid0(VALU_DEP_1) | instskip(SKIP_1) | instid1(TRANS32_DEP_1)
	v_rcp_iflag_f32_e32 v6, v6
	v_nop
	v_mul_f32_e32 v6, 0x4f7ffffe, v6
	s_delay_alu instid0(VALU_DEP_1) | instskip(NEXT) | instid1(VALU_DEP_1)
	v_cvt_u32_f32_e32 v6, v6
	v_readfirstlane_b32 s22, v6
	s_mul_i32 s23, s23, s22
	s_delay_alu instid0(SALU_CYCLE_1) | instskip(NEXT) | instid1(SALU_CYCLE_1)
	s_mul_hi_u32 s23, s22, s23
	s_add_co_i32 s22, s22, s23
	s_delay_alu instid0(SALU_CYCLE_1) | instskip(NEXT) | instid1(SALU_CYCLE_1)
	s_mul_hi_u32 s22, s20, s22
	s_mul_i32 s22, s22, s34
	s_delay_alu instid0(SALU_CYCLE_1) | instskip(NEXT) | instid1(SALU_CYCLE_1)
	s_sub_co_i32 s22, s20, s22
	s_sub_co_i32 s23, s22, s34
	s_cmp_ge_u32 s22, s34
	s_cselect_b32 s22, s23, s22
	s_delay_alu instid0(SALU_CYCLE_1) | instskip(SKIP_2) | instid1(SALU_CYCLE_1)
	s_sub_co_i32 s23, s22, s34
	s_cmp_ge_u32 s22, s34
	s_cselect_b32 s28, s23, s22
	s_mov_b64 s[22:23], s[28:29]
.LBB120_224:                            ;   in Loop: Header=BB120_6 Depth=1
	s_delay_alu instid0(SALU_CYCLE_1)
	s_sub_nc_u64 s[20:21], s[20:21], s[22:23]
	s_mov_b32 s23, 0
	s_mov_b32 s22, 0
	s_mov_b32 s28, exec_lo
                                        ; implicit-def: $vgpr8
	v_cmpx_gt_u64_e64 s[20:21], v[0:1]
	s_cbranch_execz .LBB120_233
; %bb.225:                              ;   in Loop: Header=BB120_6 Depth=1
	v_mov_b64_e32 v[6:7], v[0:1]
	v_mov_b32_e32 v8, v0
                                        ; implicit-def: $sgpr47
	s_branch .LBB120_228
.LBB120_226:                            ;   in Loop: Header=BB120_228 Depth=2
	s_or_b32 exec_lo, exec_lo, s48
	s_wait_dscnt 0x0
	s_barrier_signal -1
	s_barrier_wait -1
	ds_load_u16 v9, v3 offset:3072
	s_mov_b32 s48, -1
	s_mov_b32 s49, -1
	s_wait_dscnt 0x0
	s_barrier_signal -1
	s_barrier_wait -1
	v_and_b32_e32 v32, 0xff, v9
	s_delay_alu instid0(VALU_DEP_1)
	v_cmp_ne_u32_e32 vcc_lo, 0, v32
	s_cbranch_vccz .LBB120_231
.LBB120_227:                            ;   in Loop: Header=BB120_228 Depth=2
	s_and_b32 s8, exec_lo, s48
	s_delay_alu instid0(SALU_CYCLE_1) | instskip(SKIP_2) | instid1(SALU_CYCLE_1)
	s_or_b32 s22, s8, s22
	s_and_not1_b32 s8, s47, exec_lo
	s_and_b32 s47, s49, exec_lo
	s_or_b32 s47, s8, s47
	s_and_not1_b32 exec_lo, exec_lo, s22
	s_cbranch_execz .LBB120_232
.LBB120_228:                            ;   Parent Loop BB120_6 Depth=1
                                        ; =>  This Inner Loop Header: Depth=2
	s_mov_b32 s48, exec_lo
	s_delay_alu instid0(VALU_DEP_2)
	v_cmpx_gt_u64_e64 s[10:11], v[6:7]
	s_cbranch_execz .LBB120_226
; %bb.229:                              ;   in Loop: Header=BB120_228 Depth=2
	ds_load_u8 v9, v8
	s_wait_dscnt 0x0
	v_bitop3_b32 v32, v9, 0xff, v11 bitop3:0x80
	s_delay_alu instid0(VALU_DEP_1)
	v_cmp_eq_u32_e32 vcc_lo, v32, v10
	s_and_b32 exec_lo, exec_lo, vcc_lo
	s_cbranch_execz .LBB120_226
; %bb.230:                              ;   in Loop: Header=BB120_228 Depth=2
	v_lshlrev_b16 v9, 8, v9
	s_delay_alu instid0(VALU_DEP_1)
	v_or_b32_e32 v9, 1, v9
	ds_store_b16 v3, v9 offset:3072
	s_branch .LBB120_226
.LBB120_231:                            ;   in Loop: Header=BB120_228 Depth=2
	v_add_nc_u64_e32 v[6:7], s[34:35], v[6:7]
	v_add_nc_u32_e32 v8, s34, v8
	s_mov_b32 s49, 0
	s_delay_alu instid0(VALU_DEP_2)
	v_cmp_le_u64_e32 vcc_lo, s[20:21], v[6:7]
	s_or_not1_b32 s48, vcc_lo, exec_lo
	s_branch .LBB120_227
.LBB120_232:                            ;   in Loop: Header=BB120_6 Depth=1
	s_or_b32 exec_lo, exec_lo, s22
	v_and_b32_e32 v6, 0xffff, v9
	s_and_b32 s22, s47, exec_lo
	s_delay_alu instid0(VALU_DEP_1)
	v_lshrrev_b32_e32 v8, 8, v6
.LBB120_233:                            ;   in Loop: Header=BB120_6 Depth=1
	s_or_b32 exec_lo, exec_lo, s28
.LBB120_234:                            ;   in Loop: Header=BB120_6 Depth=1
	s_delay_alu instid0(SALU_CYCLE_1)
	s_and_b32 vcc_lo, exec_lo, s23
	s_cbranch_vccz .LBB120_250
; %bb.235:                              ;   in Loop: Header=BB120_6 Depth=1
	s_and_b64 s[10:11], s[56:57], 0xffffffff00000000
	s_delay_alu instid0(SALU_CYCLE_1)
	s_cmp_lg_u64 s[10:11], 0
	s_cbranch_scc0 .LBB120_237
; %bb.236:                              ;   in Loop: Header=BB120_6 Depth=1
	s_cvt_f32_u32 s8, s34
	s_sub_nc_u64 s[20:21], 0, s[34:35]
	s_delay_alu instid0(SALU_CYCLE_2) | instskip(NEXT) | instid1(SALU_CYCLE_3)
	s_fmamk_f32 s8, s92, 0x0, s8
	v_s_rcp_f32 s8, s8
	s_delay_alu instid0(TRANS32_DEP_1) | instskip(NEXT) | instid1(SALU_CYCLE_3)
	s_mul_f32 s8, s8, 0x5f7ffffc
	s_mul_f32 s10, s8, 0x2f800000
	s_delay_alu instid0(SALU_CYCLE_3) | instskip(NEXT) | instid1(SALU_CYCLE_3)
	s_trunc_f32 s10, s10
	s_fmamk_f32 s8, s10, 0xcf800000, s8
	s_cvt_u32_f32 s11, s10
	s_delay_alu instid0(SALU_CYCLE_2) | instskip(NEXT) | instid1(SALU_CYCLE_3)
	s_cvt_u32_f32 s10, s8
	s_mul_u64 s[46:47], s[20:21], s[10:11]
	s_delay_alu instid0(SALU_CYCLE_1)
	s_mul_hi_u32 s49, s10, s47
	s_mul_i32 s48, s10, s47
	s_mul_hi_u32 s28, s10, s46
	s_mul_i32 s23, s11, s46
	s_add_nc_u64 s[48:49], s[28:29], s[48:49]
	s_mul_hi_u32 s8, s11, s46
	s_mul_hi_u32 s50, s11, s47
	s_add_co_u32 s23, s48, s23
	s_add_co_ci_u32 s28, s49, s8
	s_mul_i32 s46, s11, s47
	s_add_co_ci_u32 s47, s50, 0
	s_delay_alu instid0(SALU_CYCLE_1) | instskip(NEXT) | instid1(SALU_CYCLE_1)
	s_add_nc_u64 s[46:47], s[28:29], s[46:47]
	s_add_co_u32 s10, s10, s46
	s_cselect_b32 s8, -1, 0
	s_delay_alu instid0(SALU_CYCLE_1) | instskip(SKIP_1) | instid1(SALU_CYCLE_1)
	s_cmp_lg_u32 s8, 0
	s_add_co_ci_u32 s11, s11, s47
	s_mul_u64 s[20:21], s[20:21], s[10:11]
	s_delay_alu instid0(SALU_CYCLE_1)
	s_mul_hi_u32 s47, s10, s21
	s_mul_i32 s46, s10, s21
	s_mul_hi_u32 s28, s10, s20
	s_mul_i32 s23, s11, s20
	s_add_nc_u64 s[46:47], s[28:29], s[46:47]
	s_mul_hi_u32 s8, s11, s20
	s_mul_hi_u32 s48, s11, s21
	s_mul_i32 s20, s11, s21
	s_add_co_u32 s21, s46, s23
	s_add_co_ci_u32 s28, s47, s8
	s_add_co_ci_u32 s21, s48, 0
	s_delay_alu instid0(SALU_CYCLE_1) | instskip(NEXT) | instid1(SALU_CYCLE_1)
	s_add_nc_u64 s[20:21], s[28:29], s[20:21]
	s_add_co_u32 s8, s10, s20
	s_cselect_b32 s10, -1, 0
	s_mul_hi_u32 s28, s56, s8
	s_cmp_lg_u32 s10, 0
	s_mul_hi_u32 s23, s57, s8
	s_add_co_ci_u32 s20, s11, s21
	s_mul_i32 s8, s57, s8
	s_mul_hi_u32 s11, s56, s20
	s_mul_i32 s10, s56, s20
	s_mul_hi_u32 s21, s57, s20
	s_add_nc_u64 s[10:11], s[28:29], s[10:11]
	s_mul_i32 s20, s57, s20
	s_add_co_u32 s8, s10, s8
	s_add_co_ci_u32 s28, s11, s23
	s_add_co_ci_u32 s21, s21, 0
	s_delay_alu instid0(SALU_CYCLE_1) | instskip(NEXT) | instid1(SALU_CYCLE_1)
	s_add_nc_u64 s[10:11], s[28:29], s[20:21]
	s_and_b64 s[20:21], s[10:11], 0xffffffff00000000
	s_delay_alu instid0(SALU_CYCLE_1) | instskip(NEXT) | instid1(SALU_CYCLE_1)
	s_or_b32 s20, s20, s10
	s_mul_u64 s[10:11], s[34:35], s[20:21]
	s_delay_alu instid0(SALU_CYCLE_1) | instskip(SKIP_1) | instid1(SALU_CYCLE_1)
	s_sub_co_u32 s8, s56, s10
	s_cselect_b32 s10, -1, 0
	s_cmp_lg_u32 s10, 0
	s_sub_co_ci_u32 s10, s57, s11
	s_sub_co_u32 s11, s8, s34
	s_cselect_b32 s20, -1, 0
	s_delay_alu instid0(SALU_CYCLE_1) | instskip(SKIP_3) | instid1(SALU_CYCLE_1)
	s_cmp_lg_u32 s20, 0
	s_sub_co_ci_u32 s20, s10, 0
	s_sub_co_u32 s21, s11, s34
	s_cselect_b32 s23, -1, 0
	s_cmp_lg_u32 s23, 0
	s_sub_co_ci_u32 s23, s20, 0
	s_cmp_ge_u32 s11, s34
	s_cselect_b32 s28, -1, 0
	s_cmp_eq_u32 s20, 0
	s_cselect_b32 s28, s28, -1
	s_delay_alu instid0(SALU_CYCLE_1)
	s_cmp_lg_u32 s28, 0
	s_cselect_b32 s20, s23, s20
	s_cselect_b32 s21, s21, s11
	s_cmp_ge_u32 s8, s34
	s_cselect_b32 s11, -1, 0
	s_cmp_eq_u32 s10, 0
	s_cselect_b32 s11, s11, -1
	s_delay_alu instid0(SALU_CYCLE_1)
	s_cmp_lg_u32 s11, 0
	s_cselect_b32 s11, s20, s10
	s_cselect_b32 s10, s21, s8
	s_mov_b32 s20, 0
	s_branch .LBB120_238
.LBB120_237:                            ;   in Loop: Header=BB120_6 Depth=1
	s_mov_b32 s20, -1
                                        ; implicit-def: $sgpr10_sgpr11
.LBB120_238:                            ;   in Loop: Header=BB120_6 Depth=1
	s_delay_alu instid0(SALU_CYCLE_1)
	s_and_not1_b32 vcc_lo, exec_lo, s20
	s_cbranch_vccnz .LBB120_240
; %bb.239:                              ;   in Loop: Header=BB120_6 Depth=1
	v_cvt_f32_u32_e32 v6, s34
	s_sub_co_i32 s10, 0, s34
	s_delay_alu instid0(VALU_DEP_1) | instskip(SKIP_1) | instid1(TRANS32_DEP_1)
	v_rcp_iflag_f32_e32 v6, v6
	v_nop
	v_mul_f32_e32 v6, 0x4f7ffffe, v6
	s_delay_alu instid0(VALU_DEP_1) | instskip(NEXT) | instid1(VALU_DEP_1)
	v_cvt_u32_f32_e32 v6, v6
	v_readfirstlane_b32 s8, v6
	s_mul_i32 s10, s10, s8
	s_delay_alu instid0(SALU_CYCLE_1) | instskip(NEXT) | instid1(SALU_CYCLE_1)
	s_mul_hi_u32 s10, s8, s10
	s_add_co_i32 s8, s8, s10
	s_delay_alu instid0(SALU_CYCLE_1) | instskip(NEXT) | instid1(SALU_CYCLE_1)
	s_mul_hi_u32 s8, s56, s8
	s_mul_i32 s8, s8, s34
	s_delay_alu instid0(SALU_CYCLE_1) | instskip(NEXT) | instid1(SALU_CYCLE_1)
	s_sub_co_i32 s8, s56, s8
	s_sub_co_i32 s10, s8, s34
	s_cmp_ge_u32 s8, s34
	s_cselect_b32 s8, s10, s8
	s_delay_alu instid0(SALU_CYCLE_1) | instskip(SKIP_2) | instid1(SALU_CYCLE_1)
	s_sub_co_i32 s10, s8, s34
	s_cmp_ge_u32 s8, s34
	s_cselect_b32 s28, s10, s8
	s_mov_b64 s[10:11], s[28:29]
.LBB120_240:                            ;   in Loop: Header=BB120_6 Depth=1
	s_delay_alu instid0(SALU_CYCLE_1)
	s_sub_nc_u64 s[10:11], s[56:57], s[10:11]
	s_mov_b32 s20, exec_lo
                                        ; implicit-def: $vgpr8
	v_cmpx_gt_u64_e64 s[10:11], v[0:1]
	s_cbranch_execz .LBB120_249
; %bb.241:                              ;   in Loop: Header=BB120_6 Depth=1
	v_mov_b64_e32 v[6:7], v[14:15]
	v_mov_b64_e32 v[8:9], v[0:1]
	s_mov_b32 s21, 0
                                        ; implicit-def: $sgpr23
	s_branch .LBB120_244
.LBB120_242:                            ;   in Loop: Header=BB120_244 Depth=2
	s_or_b32 exec_lo, exec_lo, s28
	s_wait_dscnt 0x0
	s_barrier_signal -1
	s_barrier_wait -1
	ds_load_u16 v32, v3 offset:3072
	s_mov_b32 s28, -1
	s_mov_b32 s46, -1
	s_wait_dscnt 0x0
	s_barrier_signal -1
	s_barrier_wait -1
	v_and_b32_e32 v33, 0xff, v32
	s_delay_alu instid0(VALU_DEP_1)
	v_cmp_eq_u32_e32 vcc_lo, 0, v33
	s_cbranch_vccnz .LBB120_247
.LBB120_243:                            ;   in Loop: Header=BB120_244 Depth=2
	s_and_b32 s8, exec_lo, s28
	s_delay_alu instid0(SALU_CYCLE_1) | instskip(SKIP_2) | instid1(SALU_CYCLE_1)
	s_or_b32 s21, s8, s21
	s_and_not1_b32 s8, s23, exec_lo
	s_and_b32 s23, s46, exec_lo
	s_or_b32 s23, s8, s23
	s_and_not1_b32 exec_lo, exec_lo, s21
	s_cbranch_execz .LBB120_248
.LBB120_244:                            ;   Parent Loop BB120_6 Depth=1
                                        ; =>  This Inner Loop Header: Depth=2
	s_mov_b32 s28, exec_lo
	s_delay_alu instid0(VALU_DEP_1)
	v_cmpx_gt_u64_e64 s[36:37], v[8:9]
	s_cbranch_execz .LBB120_242
; %bb.245:                              ;   in Loop: Header=BB120_244 Depth=2
	global_load_u8 v32, v[6:7], off
	s_wait_loadcnt 0x0
	v_bitop3_b32 v33, v32, 0xff, v11 bitop3:0x80
	s_delay_alu instid0(VALU_DEP_1)
	v_cmp_eq_u32_e32 vcc_lo, v33, v10
	s_and_b32 exec_lo, exec_lo, vcc_lo
	s_cbranch_execz .LBB120_242
; %bb.246:                              ;   in Loop: Header=BB120_244 Depth=2
	v_lshlrev_b16 v32, 8, v32
	s_delay_alu instid0(VALU_DEP_1)
	v_or_b32_e32 v32, 1, v32
	ds_store_b16 v3, v32 offset:3072
	s_branch .LBB120_242
.LBB120_247:                            ;   in Loop: Header=BB120_244 Depth=2
	v_add_nc_u64_e32 v[8:9], s[34:35], v[8:9]
	v_add_nc_u64_e32 v[6:7], s[40:41], v[6:7]
	s_mov_b32 s46, 0
	s_delay_alu instid0(VALU_DEP_2)
	v_cmp_le_u64_e32 vcc_lo, s[10:11], v[8:9]
	s_or_not1_b32 s28, vcc_lo, exec_lo
	s_branch .LBB120_243
.LBB120_248:                            ;   in Loop: Header=BB120_6 Depth=1
	s_or_b32 exec_lo, exec_lo, s21
	v_and_b32_e32 v6, 0xffff, v32
	s_and_not1_b32 s8, s22, exec_lo
	s_and_b32 s10, s23, exec_lo
	s_delay_alu instid0(SALU_CYCLE_1) | instskip(NEXT) | instid1(VALU_DEP_1)
	s_or_b32 s22, s8, s10
	v_lshrrev_b32_e32 v8, 8, v6
.LBB120_249:                            ;   in Loop: Header=BB120_6 Depth=1
	s_or_b32 exec_lo, exec_lo, s20
	s_mov_b32 vcc_hi, 0
	s_mov_b32 s46, -1
.LBB120_250:                            ;   in Loop: Header=BB120_6 Depth=1
	s_or_not1_b32 s11, s22, exec_lo
.LBB120_251:                            ;   in Loop: Header=BB120_6 Depth=1
	s_or_b32 exec_lo, exec_lo, s77
	s_mov_b32 s20, 0
	s_and_saveexec_b32 s10, s11
	s_cbranch_execz .LBB120_262
; %bb.252:                              ;   in Loop: Header=BB120_6 Depth=1
	v_mov_b64_e32 v[6:7], 1
	v_mov_b32_e32 v2, 1
	s_xor_b32 s8, s76, -1
	s_delay_alu instid0(SALU_CYCLE_1)
	s_and_saveexec_b32 s11, s8
	s_cbranch_execz .LBB120_261
; %bb.253:                              ;   in Loop: Header=BB120_6 Depth=1
	s_mov_b32 s8, exec_lo
	v_cmpx_ge_u64_e64 s[18:19], v[4:5]
	s_xor_b32 s20, exec_lo, s8
	s_cbranch_execz .LBB120_258
; %bb.254:                              ;   in Loop: Header=BB120_6 Depth=1
	ds_load_b64 v[6:7], v3 offset:5120
	v_or_b32_e32 v10, s24, v10
	v_or_b32_e32 v11, s24, v11
	s_wait_dscnt 0x0
	v_cmp_ne_u64_e32 vcc_lo, 0, v[6:7]
	s_cbranch_vccnz .LBB120_258
; %bb.255:                              ;   in Loop: Header=BB120_6 Depth=1
	s_and_saveexec_b32 s21, s5
; %bb.256:                              ;   in Loop: Header=BB120_6 Depth=1
	v_mov_b64_e32 v[6:7], s[18:19]
	ds_store_b64 v3, v[6:7] offset:5128
; %bb.257:                              ;   in Loop: Header=BB120_6 Depth=1
	s_or_b32 exec_lo, exec_lo, s21
	s_wait_dscnt 0x0
	s_barrier_signal -1
	s_barrier_wait -1
.LBB120_258:                            ;   in Loop: Header=BB120_6 Depth=1
	s_and_not1_saveexec_b32 s20, s20
; %bb.259:                              ;   in Loop: Header=BB120_6 Depth=1
	v_sub_nc_u64_e64 v[4:5], v[4:5], s[18:19]
; %bb.260:                              ;   in Loop: Header=BB120_6 Depth=1
	s_or_b32 exec_lo, exec_lo, s20
	s_delay_alu instid0(VALU_DEP_1)
	v_mov_b64_e32 v[6:7], v[4:5]
	v_mov_b32_e32 v2, 8
.LBB120_261:                            ;   in Loop: Header=BB120_6 Depth=1
	s_or_b32 exec_lo, exec_lo, s11
	s_delay_alu instid0(VALU_DEP_2)
	v_mov_b64_e32 v[4:5], v[6:7]
	s_mov_b32 s20, exec_lo
.LBB120_262:                            ;   in Loop: Header=BB120_6 Depth=1
	s_or_b32 exec_lo, exec_lo, s10
	s_delay_alu instid0(SALU_CYCLE_1)
	s_or_not1_b32 s10, s20, exec_lo
.LBB120_263:                            ;   in Loop: Header=BB120_6 Depth=1
	s_or_b32 exec_lo, exec_lo, s75
	s_delay_alu instid0(VALU_DEP_1)
	v_mov_b64_e32 v[6:7], v[4:5]
	s_and_not1_b32 s11, s73, exec_lo
	s_and_b32 s20, s46, exec_lo
	s_and_not1_b32 s21, s72, exec_lo
	s_and_b32 s22, vcc_hi, exec_lo
	s_or_b32 s73, s11, s20
	s_or_b32 s72, s21, s22
	s_and_b32 s11, s10, exec_lo
.LBB120_264:                            ;   in Loop: Header=BB120_6 Depth=1
	s_or_b32 exec_lo, exec_lo, s74
	s_delay_alu instid0(SALU_CYCLE_1)
	s_or_not1_b32 s10, s11, exec_lo
.LBB120_265:                            ;   in Loop: Header=BB120_6 Depth=1
	s_or_b32 exec_lo, exec_lo, s71
	v_mov_b64_e32 v[4:5], v[6:7]
	s_and_not1_b32 s11, s69, exec_lo
	s_and_b32 s20, s73, exec_lo
	s_and_not1_b32 s21, s64, exec_lo
	s_and_b32 s22, s72, exec_lo
	s_or_b32 s69, s11, s20
	s_or_b32 s64, s21, s22
	s_and_b32 s11, s10, exec_lo
.LBB120_266:                            ;   in Loop: Header=BB120_6 Depth=1
	s_or_b32 exec_lo, exec_lo, s70
	s_delay_alu instid0(SALU_CYCLE_1)
	s_or_not1_b32 s10, s11, exec_lo
.LBB120_267:                            ;   in Loop: Header=BB120_6 Depth=1
	s_or_b32 exec_lo, exec_lo, s27
	s_mov_b32 s11, 0
	s_mov_b32 s20, 0
	s_and_saveexec_b32 s21, s10
	s_delay_alu instid0(SALU_CYCLE_1)
	s_xor_b32 s21, exec_lo, s21
; %bb.268:                              ;   in Loop: Header=BB120_6 Depth=1
	v_cmp_ne_u32_e32 vcc_lo, 8, v2
	v_cmp_eq_u32_e64 s10, 8, v2
	s_and_b32 s20, vcc_lo, exec_lo
	s_and_b32 s11, s10, exec_lo
; %bb.269:                              ;   in Loop: Header=BB120_6 Depth=1
	s_or_b32 exec_lo, exec_lo, s21
	s_delay_alu instid0(SALU_CYCLE_1)
	s_and_not1_b32 s10, s66, exec_lo
	s_and_b32 s21, s69, exec_lo
	s_and_not1_b32 s22, s65, exec_lo
	s_and_b32 s23, s64, exec_lo
	s_or_b32 s66, s10, s21
	s_or_b32 s65, s22, s23
	s_and_b32 s27, s20, exec_lo
	s_and_b32 s64, s11, exec_lo
.LBB120_270:                            ;   in Loop: Header=BB120_6 Depth=1
	s_or_b32 exec_lo, exec_lo, s68
.LBB120_271:                            ;   in Loop: Header=BB120_6 Depth=1
	s_delay_alu instid0(SALU_CYCLE_1)
	s_and_b32 vcc_lo, exec_lo, s67
	s_cbranch_vccz .LBB120_287
; %bb.272:                              ;   in Loop: Header=BB120_6 Depth=1
	s_cmp_eq_u64 s[18:19], 1
                                        ; implicit-def: $sgpr67
                                        ; implicit-def: $sgpr26
	s_cselect_b32 s10, -1, 0
	s_delay_alu instid0(SALU_CYCLE_1)
	s_and_b32 s9, s10, s9
	s_mov_b32 s10, -1
	s_and_saveexec_b32 s65, s9
	s_cbranch_execz .LBB120_305
; %bb.273:                              ;   in Loop: Header=BB120_6 Depth=1
	ds_load_b64 v[4:5], v3 offset:5120
	s_wait_dscnt 0x0
	s_barrier_signal -1
	s_barrier_wait -1
	v_readfirstlane_b32 s10, v4
	v_readfirstlane_b32 s11, v5
	s_and_saveexec_b32 s20, s6
; %bb.274:                              ;   in Loop: Header=BB120_6 Depth=1
	ds_store_b8 v0, v3 offset:3072
; %bb.275:                              ;   in Loop: Header=BB120_6 Depth=1
	s_or_b32 exec_lo, exec_lo, s20
	v_or_b32_e32 v39, s24, v39
	v_or_b32_e32 v41, s24, v41
	s_mov_b32 s26, -1
	s_mov_b32 s67, 0
	s_cmp_eq_u64 s[10:11], 0
	s_mov_b32 s22, 0
	s_mov_b32 s23, -1
	s_wait_dscnt 0x0
	s_barrier_signal -1
	s_barrier_wait -1
                                        ; implicit-def: $vgpr42
	s_cbranch_scc1 .LBB120_290
; %bb.276:                              ;   in Loop: Header=BB120_6 Depth=1
	s_add_nc_u64 s[20:21], s[10:11], s[54:55]
	s_delay_alu instid0(SALU_CYCLE_1) | instskip(NEXT) | instid1(SALU_CYCLE_1)
	s_and_b64 s[22:23], s[20:21], 0xffffffff00000000
	s_cmp_lg_u64 s[22:23], 0
	s_cbranch_scc0 .LBB120_331
; %bb.277:                              ;   in Loop: Header=BB120_6 Depth=1
	s_cvt_f32_u32 s22, s34
	s_sub_nc_u64 s[46:47], 0, s[34:35]
	s_delay_alu instid0(SALU_CYCLE_2) | instskip(NEXT) | instid1(SALU_CYCLE_3)
	s_fmamk_f32 s22, s92, 0x0, s22
	v_s_rcp_f32 s22, s22
	s_delay_alu instid0(TRANS32_DEP_1) | instskip(NEXT) | instid1(SALU_CYCLE_3)
	s_mul_f32 s22, s22, 0x5f7ffffc
	s_mul_f32 s23, s22, 0x2f800000
	s_delay_alu instid0(SALU_CYCLE_3) | instskip(NEXT) | instid1(SALU_CYCLE_3)
	s_trunc_f32 s23, s23
	s_fmamk_f32 s22, s23, 0xcf800000, s22
	s_cvt_u32_f32 s23, s23
	s_delay_alu instid0(SALU_CYCLE_2) | instskip(NEXT) | instid1(SALU_CYCLE_3)
	s_cvt_u32_f32 s22, s22
	s_mul_u64 s[48:49], s[46:47], s[22:23]
	s_delay_alu instid0(SALU_CYCLE_1)
	s_mul_hi_u32 s69, s22, s49
	s_mul_i32 s68, s22, s49
	s_mul_hi_u32 s28, s22, s48
	s_mul_i32 s51, s23, s48
	s_add_nc_u64 s[68:69], s[28:29], s[68:69]
	s_mul_hi_u32 s50, s23, s48
	s_mul_hi_u32 s52, s23, s49
	s_add_co_u32 s28, s68, s51
	s_add_co_ci_u32 s28, s69, s50
	s_mul_i32 s48, s23, s49
	s_add_co_ci_u32 s49, s52, 0
	s_delay_alu instid0(SALU_CYCLE_1) | instskip(NEXT) | instid1(SALU_CYCLE_1)
	s_add_nc_u64 s[48:49], s[28:29], s[48:49]
	s_add_co_u32 s22, s22, s48
	s_cselect_b32 s28, -1, 0
	s_delay_alu instid0(SALU_CYCLE_1) | instskip(SKIP_1) | instid1(SALU_CYCLE_1)
	s_cmp_lg_u32 s28, 0
	s_add_co_ci_u32 s23, s23, s49
	s_mul_u64 s[46:47], s[46:47], s[22:23]
	s_delay_alu instid0(SALU_CYCLE_1)
	s_mul_hi_u32 s49, s22, s47
	s_mul_i32 s48, s22, s47
	s_mul_hi_u32 s28, s22, s46
	s_mul_i32 s51, s23, s46
	s_add_nc_u64 s[48:49], s[28:29], s[48:49]
	s_mul_hi_u32 s50, s23, s46
	s_mul_hi_u32 s52, s23, s47
	s_add_co_u32 s28, s48, s51
	s_add_co_ci_u32 s28, s49, s50
	s_mul_i32 s46, s23, s47
	s_add_co_ci_u32 s47, s52, 0
	s_delay_alu instid0(SALU_CYCLE_1) | instskip(NEXT) | instid1(SALU_CYCLE_1)
	s_add_nc_u64 s[46:47], s[28:29], s[46:47]
	s_add_co_u32 s22, s22, s46
	s_cselect_b32 s46, -1, 0
	s_mul_hi_u32 s28, s20, s22
	s_cmp_lg_u32 s46, 0
	s_mul_hi_u32 s48, s21, s22
	s_add_co_ci_u32 s46, s23, s47
	s_mul_i32 s47, s21, s22
	s_mul_hi_u32 s23, s20, s46
	s_mul_i32 s22, s20, s46
	s_mul_hi_u32 s49, s21, s46
	s_add_nc_u64 s[22:23], s[28:29], s[22:23]
	s_mul_i32 s46, s21, s46
	s_add_co_u32 s22, s22, s47
	s_add_co_ci_u32 s28, s23, s48
	s_add_co_ci_u32 s47, s49, 0
	s_delay_alu instid0(SALU_CYCLE_1) | instskip(NEXT) | instid1(SALU_CYCLE_1)
	s_add_nc_u64 s[22:23], s[28:29], s[46:47]
	s_and_b64 s[46:47], s[22:23], 0xffffffff00000000
	s_delay_alu instid0(SALU_CYCLE_1) | instskip(NEXT) | instid1(SALU_CYCLE_1)
	s_or_b32 s46, s46, s22
	s_mul_u64 s[22:23], s[34:35], s[46:47]
	s_delay_alu instid0(SALU_CYCLE_1) | instskip(SKIP_1) | instid1(SALU_CYCLE_1)
	s_sub_co_u32 s22, s20, s22
	s_cselect_b32 s28, -1, 0
	s_cmp_lg_u32 s28, 0
	s_sub_co_ci_u32 s23, s21, s23
	s_sub_co_u32 s28, s22, s34
	s_cselect_b32 s46, -1, 0
	s_delay_alu instid0(SALU_CYCLE_1) | instskip(SKIP_3) | instid1(SALU_CYCLE_1)
	s_cmp_lg_u32 s46, 0
	s_sub_co_ci_u32 s46, s23, 0
	s_sub_co_u32 s47, s28, s34
	s_cselect_b32 s48, -1, 0
	s_cmp_lg_u32 s48, 0
	s_sub_co_ci_u32 s48, s46, 0
	s_cmp_ge_u32 s28, s34
	s_cselect_b32 s49, -1, 0
	s_cmp_eq_u32 s46, 0
	s_cselect_b32 s49, s49, -1
	s_delay_alu instid0(SALU_CYCLE_1)
	s_cmp_lg_u32 s49, 0
	s_cselect_b32 s46, s48, s46
	s_cselect_b32 s28, s47, s28
	s_cmp_ge_u32 s22, s34
	s_cselect_b32 s47, -1, 0
	s_cmp_eq_u32 s23, 0
	s_cselect_b32 s47, s47, -1
	s_delay_alu instid0(SALU_CYCLE_1)
	s_cmp_lg_u32 s47, 0
	s_cselect_b32 s23, s46, s23
	s_cselect_b32 s22, s28, s22
	s_cbranch_execnz .LBB120_279
.LBB120_278:                            ;   in Loop: Header=BB120_6 Depth=1
	v_cvt_f32_u32_e32 v2, s34
	s_sub_co_i32 s23, 0, s34
	s_delay_alu instid0(VALU_DEP_1) | instskip(SKIP_1) | instid1(TRANS32_DEP_1)
	v_rcp_iflag_f32_e32 v2, v2
	v_nop
	v_mul_f32_e32 v2, 0x4f7ffffe, v2
	s_delay_alu instid0(VALU_DEP_1) | instskip(NEXT) | instid1(VALU_DEP_1)
	v_cvt_u32_f32_e32 v2, v2
	v_readfirstlane_b32 s22, v2
	s_mul_i32 s23, s23, s22
	s_delay_alu instid0(SALU_CYCLE_1) | instskip(NEXT) | instid1(SALU_CYCLE_1)
	s_mul_hi_u32 s23, s22, s23
	s_add_co_i32 s22, s22, s23
	s_delay_alu instid0(SALU_CYCLE_1) | instskip(NEXT) | instid1(SALU_CYCLE_1)
	s_mul_hi_u32 s22, s20, s22
	s_mul_i32 s22, s22, s34
	s_delay_alu instid0(SALU_CYCLE_1) | instskip(NEXT) | instid1(SALU_CYCLE_1)
	s_sub_co_i32 s22, s20, s22
	s_sub_co_i32 s23, s22, s34
	s_cmp_ge_u32 s22, s34
	s_cselect_b32 s22, s23, s22
	s_delay_alu instid0(SALU_CYCLE_1) | instskip(SKIP_2) | instid1(SALU_CYCLE_1)
	s_sub_co_i32 s23, s22, s34
	s_cmp_ge_u32 s22, s34
	s_cselect_b32 s28, s23, s22
	s_mov_b64 s[22:23], s[28:29]
.LBB120_279:                            ;   in Loop: Header=BB120_6 Depth=1
	s_delay_alu instid0(SALU_CYCLE_1)
	s_sub_nc_u64 s[20:21], s[20:21], s[22:23]
	s_mov_b32 s23, 0
	s_mov_b32 s22, 0
	s_mov_b32 s28, exec_lo
                                        ; implicit-def: $vgpr42
	v_cmpx_gt_u64_e64 s[20:21], v[0:1]
	s_cbranch_execz .LBB120_289
; %bb.280:                              ;   in Loop: Header=BB120_6 Depth=1
	v_mov_b64_e32 v[4:5], v[0:1]
	v_mov_b32_e32 v2, v0
                                        ; implicit-def: $sgpr46
	s_branch .LBB120_283
.LBB120_281:                            ;   in Loop: Header=BB120_283 Depth=2
	s_or_b32 exec_lo, exec_lo, s47
	s_wait_dscnt 0x0
	s_barrier_signal -1
	s_barrier_wait -1
	ds_load_u16 v6, v3 offset:3072
	s_mov_b32 s47, -1
	s_mov_b32 s48, -1
	s_wait_dscnt 0x0
	s_barrier_signal -1
	s_barrier_wait -1
	v_and_b32_e32 v7, 0xff, v6
	s_delay_alu instid0(VALU_DEP_1)
	v_cmp_ne_u32_e32 vcc_lo, 0, v7
	s_cbranch_vccz .LBB120_286
.LBB120_282:                            ;   in Loop: Header=BB120_283 Depth=2
	s_and_b32 s8, exec_lo, s47
	s_delay_alu instid0(SALU_CYCLE_1) | instskip(SKIP_2) | instid1(SALU_CYCLE_1)
	s_or_b32 s22, s8, s22
	s_and_not1_b32 s8, s46, exec_lo
	s_and_b32 s46, s48, exec_lo
	s_or_b32 s46, s8, s46
	s_and_not1_b32 exec_lo, exec_lo, s22
	s_cbranch_execz .LBB120_288
.LBB120_283:                            ;   Parent Loop BB120_6 Depth=1
                                        ; =>  This Inner Loop Header: Depth=2
	s_mov_b32 s47, exec_lo
	s_delay_alu instid0(VALU_DEP_2)
	v_cmpx_gt_u64_e64 s[10:11], v[4:5]
	s_cbranch_execz .LBB120_281
; %bb.284:                              ;   in Loop: Header=BB120_283 Depth=2
	ds_load_u8 v6, v2
	s_wait_dscnt 0x0
	v_bitop3_b32 v7, v6, 0xff, v41 bitop3:0x80
	s_delay_alu instid0(VALU_DEP_1)
	v_cmp_eq_u32_e32 vcc_lo, v7, v39
	s_and_b32 exec_lo, exec_lo, vcc_lo
	s_cbranch_execz .LBB120_281
; %bb.285:                              ;   in Loop: Header=BB120_283 Depth=2
	v_lshlrev_b16 v6, 8, v6
	s_delay_alu instid0(VALU_DEP_1)
	v_or_b32_e32 v6, 1, v6
	ds_store_b16 v3, v6 offset:3072
	s_branch .LBB120_281
.LBB120_286:                            ;   in Loop: Header=BB120_283 Depth=2
	v_add_nc_u64_e32 v[4:5], s[34:35], v[4:5]
	v_add_nc_u32_e32 v2, s34, v2
	s_mov_b32 s48, 0
	s_delay_alu instid0(VALU_DEP_2)
	v_cmp_le_u64_e32 vcc_lo, s[20:21], v[4:5]
	s_or_not1_b32 s47, vcc_lo, exec_lo
	s_branch .LBB120_282
.LBB120_287:                            ;   in Loop: Header=BB120_6 Depth=1
	v_dual_mov_b32 v39, v10 :: v_dual_mov_b32 v41, v11
	v_mov_b32_e32 v42, v8
	s_mov_b32 s67, 0
	s_and_saveexec_b32 s9, s64
	s_cbranch_execnz .LBB120_464
	s_branch .LBB120_465
.LBB120_288:                            ;   in Loop: Header=BB120_6 Depth=1
	s_or_b32 exec_lo, exec_lo, s22
	v_and_b32_e32 v2, 0xffff, v6
	s_and_b32 s22, s46, exec_lo
	s_delay_alu instid0(VALU_DEP_1)
	v_lshrrev_b32_e32 v42, 8, v2
.LBB120_289:                            ;   in Loop: Header=BB120_6 Depth=1
	s_or_b32 exec_lo, exec_lo, s28
.LBB120_290:                            ;   in Loop: Header=BB120_6 Depth=1
	s_delay_alu instid0(SALU_CYCLE_1)
	s_and_b32 vcc_lo, exec_lo, s23
	s_cbranch_vccz .LBB120_304
; %bb.291:                              ;   in Loop: Header=BB120_6 Depth=1
	s_and_b64 s[10:11], s[56:57], 0xffffffff00000000
	s_delay_alu instid0(SALU_CYCLE_1)
	s_cmp_lg_u64 s[10:11], 0
	s_cbranch_scc0 .LBB120_332
; %bb.292:                              ;   in Loop: Header=BB120_6 Depth=1
	s_cvt_f32_u32 s10, s34
	s_sub_nc_u64 s[20:21], 0, s[34:35]
	s_delay_alu instid0(SALU_CYCLE_2) | instskip(NEXT) | instid1(SALU_CYCLE_3)
	s_fmamk_f32 s10, s92, 0x0, s10
	v_s_rcp_f32 s10, s10
	s_delay_alu instid0(TRANS32_DEP_1) | instskip(NEXT) | instid1(SALU_CYCLE_3)
	s_mul_f32 s10, s10, 0x5f7ffffc
	s_mul_f32 s11, s10, 0x2f800000
	s_delay_alu instid0(SALU_CYCLE_3) | instskip(NEXT) | instid1(SALU_CYCLE_3)
	s_trunc_f32 s11, s11
	s_fmamk_f32 s10, s11, 0xcf800000, s10
	s_cvt_u32_f32 s11, s11
	s_delay_alu instid0(SALU_CYCLE_2) | instskip(NEXT) | instid1(SALU_CYCLE_3)
	s_cvt_u32_f32 s10, s10
	s_mul_u64 s[46:47], s[20:21], s[10:11]
	s_delay_alu instid0(SALU_CYCLE_1)
	s_mul_hi_u32 s49, s10, s47
	s_mul_i32 s48, s10, s47
	s_mul_hi_u32 s28, s10, s46
	s_mul_i32 s26, s11, s46
	s_add_nc_u64 s[48:49], s[28:29], s[48:49]
	s_mul_hi_u32 s23, s11, s46
	s_mul_hi_u32 s50, s11, s47
	s_add_co_u32 s26, s48, s26
	s_add_co_ci_u32 s28, s49, s23
	s_mul_i32 s46, s11, s47
	s_add_co_ci_u32 s47, s50, 0
	s_delay_alu instid0(SALU_CYCLE_1) | instskip(NEXT) | instid1(SALU_CYCLE_1)
	s_add_nc_u64 s[46:47], s[28:29], s[46:47]
	s_add_co_u32 s10, s10, s46
	s_cselect_b32 s23, -1, 0
	s_delay_alu instid0(SALU_CYCLE_1) | instskip(SKIP_1) | instid1(SALU_CYCLE_1)
	s_cmp_lg_u32 s23, 0
	s_add_co_ci_u32 s11, s11, s47
	s_mul_u64 s[20:21], s[20:21], s[10:11]
	s_delay_alu instid0(SALU_CYCLE_1)
	s_mul_hi_u32 s47, s10, s21
	s_mul_i32 s46, s10, s21
	s_mul_hi_u32 s28, s10, s20
	s_mul_i32 s26, s11, s20
	s_add_nc_u64 s[46:47], s[28:29], s[46:47]
	s_mul_hi_u32 s23, s11, s20
	s_mul_hi_u32 s48, s11, s21
	s_mul_i32 s20, s11, s21
	s_add_co_u32 s21, s46, s26
	s_add_co_ci_u32 s28, s47, s23
	s_add_co_ci_u32 s21, s48, 0
	s_delay_alu instid0(SALU_CYCLE_1) | instskip(NEXT) | instid1(SALU_CYCLE_1)
	s_add_nc_u64 s[20:21], s[28:29], s[20:21]
	s_add_co_u32 s10, s10, s20
	s_cselect_b32 s20, -1, 0
	s_mul_hi_u32 s28, s56, s10
	s_cmp_lg_u32 s20, 0
	s_mul_hi_u32 s23, s57, s10
	s_add_co_ci_u32 s20, s11, s21
	s_mul_i32 s21, s57, s10
	s_mul_hi_u32 s11, s56, s20
	s_mul_i32 s10, s56, s20
	s_mul_hi_u32 s26, s57, s20
	s_add_nc_u64 s[10:11], s[28:29], s[10:11]
	s_mul_i32 s20, s57, s20
	s_add_co_u32 s10, s10, s21
	s_add_co_ci_u32 s28, s11, s23
	s_add_co_ci_u32 s21, s26, 0
	s_delay_alu instid0(SALU_CYCLE_1) | instskip(NEXT) | instid1(SALU_CYCLE_1)
	s_add_nc_u64 s[10:11], s[28:29], s[20:21]
	s_and_b64 s[20:21], s[10:11], 0xffffffff00000000
	s_delay_alu instid0(SALU_CYCLE_1) | instskip(NEXT) | instid1(SALU_CYCLE_1)
	s_or_b32 s20, s20, s10
	s_mul_u64 s[10:11], s[34:35], s[20:21]
	s_delay_alu instid0(SALU_CYCLE_1) | instskip(SKIP_1) | instid1(SALU_CYCLE_1)
	s_sub_co_u32 s10, s56, s10
	s_cselect_b32 s20, -1, 0
	s_cmp_lg_u32 s20, 0
	s_sub_co_ci_u32 s11, s57, s11
	s_sub_co_u32 s20, s10, s34
	s_cselect_b32 s21, -1, 0
	s_delay_alu instid0(SALU_CYCLE_1) | instskip(SKIP_3) | instid1(SALU_CYCLE_1)
	s_cmp_lg_u32 s21, 0
	s_sub_co_ci_u32 s21, s11, 0
	s_sub_co_u32 s23, s20, s34
	s_cselect_b32 s26, -1, 0
	s_cmp_lg_u32 s26, 0
	s_sub_co_ci_u32 s26, s21, 0
	s_cmp_ge_u32 s20, s34
	s_cselect_b32 s28, -1, 0
	s_cmp_eq_u32 s21, 0
	s_cselect_b32 s28, s28, -1
	s_delay_alu instid0(SALU_CYCLE_1)
	s_cmp_lg_u32 s28, 0
	s_cselect_b32 s21, s26, s21
	s_cselect_b32 s20, s23, s20
	s_cmp_ge_u32 s10, s34
	s_cselect_b32 s23, -1, 0
	s_cmp_eq_u32 s11, 0
	s_cselect_b32 s23, s23, -1
	s_delay_alu instid0(SALU_CYCLE_1)
	s_cmp_lg_u32 s23, 0
	s_cselect_b32 s11, s21, s11
	s_cselect_b32 s10, s20, s10
	s_cbranch_execnz .LBB120_294
.LBB120_293:                            ;   in Loop: Header=BB120_6 Depth=1
	v_cvt_f32_u32_e32 v2, s34
	s_sub_co_i32 s11, 0, s34
	s_delay_alu instid0(VALU_DEP_1) | instskip(SKIP_1) | instid1(TRANS32_DEP_1)
	v_rcp_iflag_f32_e32 v2, v2
	v_nop
	v_mul_f32_e32 v2, 0x4f7ffffe, v2
	s_delay_alu instid0(VALU_DEP_1) | instskip(NEXT) | instid1(VALU_DEP_1)
	v_cvt_u32_f32_e32 v2, v2
	v_readfirstlane_b32 s10, v2
	s_mul_i32 s11, s11, s10
	s_delay_alu instid0(SALU_CYCLE_1) | instskip(NEXT) | instid1(SALU_CYCLE_1)
	s_mul_hi_u32 s11, s10, s11
	s_add_co_i32 s10, s10, s11
	s_delay_alu instid0(SALU_CYCLE_1) | instskip(NEXT) | instid1(SALU_CYCLE_1)
	s_mul_hi_u32 s10, s56, s10
	s_mul_i32 s10, s10, s34
	s_delay_alu instid0(SALU_CYCLE_1) | instskip(NEXT) | instid1(SALU_CYCLE_1)
	s_sub_co_i32 s10, s56, s10
	s_sub_co_i32 s11, s10, s34
	s_cmp_ge_u32 s10, s34
	s_cselect_b32 s10, s11, s10
	s_delay_alu instid0(SALU_CYCLE_1) | instskip(SKIP_2) | instid1(SALU_CYCLE_1)
	s_sub_co_i32 s11, s10, s34
	s_cmp_ge_u32 s10, s34
	s_cselect_b32 s28, s11, s10
	s_mov_b64 s[10:11], s[28:29]
.LBB120_294:                            ;   in Loop: Header=BB120_6 Depth=1
	s_delay_alu instid0(SALU_CYCLE_1)
	s_sub_nc_u64 s[10:11], s[56:57], s[10:11]
	s_mov_b32 s20, exec_lo
                                        ; implicit-def: $vgpr42
	v_nop
	v_cmpx_gt_u64_e64 s[10:11], v[0:1]
	s_cbranch_execz .LBB120_303
; %bb.295:                              ;   in Loop: Header=BB120_6 Depth=1
	v_mov_b64_e32 v[4:5], v[14:15]
	v_mov_b64_e32 v[6:7], v[0:1]
	s_mov_b32 s23, 0
                                        ; implicit-def: $sgpr21
	s_branch .LBB120_298
.LBB120_296:                            ;   in Loop: Header=BB120_298 Depth=2
	s_or_b32 exec_lo, exec_lo, s26
	s_wait_dscnt 0x0
	s_barrier_signal -1
	s_barrier_wait -1
	ds_load_u16 v2, v3 offset:3072
	s_mov_b32 s26, -1
	s_mov_b32 s28, -1
	s_wait_dscnt 0x0
	s_barrier_signal -1
	s_barrier_wait -1
	v_and_b32_e32 v8, 0xff, v2
	s_delay_alu instid0(VALU_DEP_1)
	v_cmp_ne_u32_e32 vcc_lo, 0, v8
	s_cbranch_vccz .LBB120_301
.LBB120_297:                            ;   in Loop: Header=BB120_298 Depth=2
	s_and_b32 s8, exec_lo, s26
	s_delay_alu instid0(SALU_CYCLE_1) | instskip(SKIP_2) | instid1(SALU_CYCLE_1)
	s_or_b32 s23, s8, s23
	s_and_not1_b32 s8, s21, exec_lo
	s_and_b32 s21, s28, exec_lo
	s_or_b32 s21, s8, s21
	s_and_not1_b32 exec_lo, exec_lo, s23
	s_cbranch_execz .LBB120_302
.LBB120_298:                            ;   Parent Loop BB120_6 Depth=1
                                        ; =>  This Inner Loop Header: Depth=2
	s_mov_b32 s26, exec_lo
	s_delay_alu instid0(VALU_DEP_1)
	v_cmpx_gt_u64_e64 s[36:37], v[6:7]
	s_cbranch_execz .LBB120_296
; %bb.299:                              ;   in Loop: Header=BB120_298 Depth=2
	global_load_u8 v2, v[4:5], off
	s_wait_loadcnt 0x0
	v_bitop3_b32 v8, v2, 0xff, v41 bitop3:0x80
	s_delay_alu instid0(VALU_DEP_1)
	v_cmp_eq_u32_e32 vcc_lo, v8, v39
	s_and_b32 exec_lo, exec_lo, vcc_lo
	s_cbranch_execz .LBB120_296
; %bb.300:                              ;   in Loop: Header=BB120_298 Depth=2
	v_lshlrev_b16 v2, 8, v2
	s_delay_alu instid0(VALU_DEP_1)
	v_or_b32_e32 v2, 1, v2
	ds_store_b16 v3, v2 offset:3072
	s_branch .LBB120_296
.LBB120_301:                            ;   in Loop: Header=BB120_298 Depth=2
	v_add_nc_u64_e32 v[6:7], s[34:35], v[6:7]
	v_add_nc_u64_e32 v[4:5], s[40:41], v[4:5]
	s_mov_b32 s28, 0
	s_delay_alu instid0(VALU_DEP_2)
	v_cmp_le_u64_e32 vcc_lo, s[10:11], v[6:7]
	s_or_not1_b32 s26, vcc_lo, exec_lo
	s_branch .LBB120_297
.LBB120_302:                            ;   in Loop: Header=BB120_6 Depth=1
	s_or_b32 exec_lo, exec_lo, s23
	v_and_b32_e32 v2, 0xffff, v2
	s_and_not1_b32 s8, s22, exec_lo
	s_and_b32 s10, s21, exec_lo
	s_delay_alu instid0(SALU_CYCLE_1) | instskip(NEXT) | instid1(VALU_DEP_1)
	s_or_b32 s22, s8, s10
	v_lshrrev_b32_e32 v42, 8, v2
.LBB120_303:                            ;   in Loop: Header=BB120_6 Depth=1
	s_or_b32 exec_lo, exec_lo, s20
	s_mov_b32 s26, 0
	s_mov_b32 s67, -1
.LBB120_304:                            ;   in Loop: Header=BB120_6 Depth=1
	s_or_not1_b32 s10, s22, exec_lo
.LBB120_305:                            ;   in Loop: Header=BB120_6 Depth=1
	s_or_b32 exec_lo, exec_lo, s65
                                        ; implicit-def: $vgpr4_vgpr5
                                        ; implicit-def: $vgpr2
	s_and_saveexec_b32 s22, s10
	s_cbranch_execz .LBB120_463
; %bb.306:                              ;   in Loop: Header=BB120_6 Depth=1
	v_mov_b64_e32 v[4:5], 1
	v_mov_b32_e32 v2, 1
	s_xor_b32 s10, s9, -1
	s_mov_b32 s11, 0
	s_and_saveexec_b32 s9, s10
	s_cbranch_execz .LBB120_315
; %bb.307:                              ;   in Loop: Header=BB120_6 Depth=1
	s_mov_b32 s10, exec_lo
	v_cmpx_ge_u64_e64 s[18:19], v[30:31]
	s_xor_b32 s10, exec_lo, s10
	s_cbranch_execz .LBB120_312
; %bb.308:                              ;   in Loop: Header=BB120_6 Depth=1
	ds_load_b64 v[4:5], v3 offset:5120
	v_or_b32_e32 v39, s24, v39
	v_or_b32_e32 v41, s24, v41
	s_wait_dscnt 0x0
	v_cmp_ne_u64_e32 vcc_lo, 0, v[4:5]
	s_cbranch_vccnz .LBB120_312
; %bb.309:                              ;   in Loop: Header=BB120_6 Depth=1
	s_and_saveexec_b32 s11, s5
; %bb.310:                              ;   in Loop: Header=BB120_6 Depth=1
	v_mov_b64_e32 v[4:5], s[18:19]
	ds_store_b64 v3, v[4:5] offset:5128
; %bb.311:                              ;   in Loop: Header=BB120_6 Depth=1
	s_or_b32 exec_lo, exec_lo, s11
	s_wait_dscnt 0x0
	s_barrier_signal -1
	s_barrier_wait -1
.LBB120_312:                            ;   in Loop: Header=BB120_6 Depth=1
	s_or_saveexec_b32 s10, s10
	v_mov_b32_e32 v2, 5
	s_mov_b32 s11, 0
	s_xor_b32 exec_lo, exec_lo, s10
; %bb.313:                              ;   in Loop: Header=BB120_6 Depth=1
	v_sub_nc_u64_e64 v[30:31], v[30:31], s[18:19]
	v_mov_b32_e32 v2, 0
	s_mov_b32 s11, exec_lo
; %bb.314:                              ;   in Loop: Header=BB120_6 Depth=1
	s_or_b32 exec_lo, exec_lo, s10
	s_delay_alu instid0(VALU_DEP_2)
	v_mov_b64_e32 v[4:5], v[30:31]
	s_and_b32 s11, s11, exec_lo
.LBB120_315:                            ;   in Loop: Header=BB120_6 Depth=1
	s_or_b32 exec_lo, exec_lo, s9
	s_mov_b32 s10, -1
                                        ; implicit-def: $sgpr23
                                        ; implicit-def: $sgpr65
	s_and_saveexec_b32 s9, s11
	s_delay_alu instid0(SALU_CYCLE_1)
	s_xor_b32 s9, exec_lo, s9
	s_cbranch_execz .LBB120_460
; %bb.316:                              ;   in Loop: Header=BB120_6 Depth=1
	v_cmp_eq_u64_e32 vcc_lo, 1, v[4:5]
	s_cmp_eq_u64 s[16:17], 1
                                        ; implicit-def: $sgpr65
                                        ; implicit-def: $sgpr23
	s_cselect_b32 s10, -1, 0
	s_delay_alu instid0(SALU_CYCLE_1)
	s_and_b32 s66, s10, vcc_lo
	s_mov_b32 s10, -1
	s_and_saveexec_b32 s68, s66
	s_cbranch_execz .LBB120_350
; %bb.317:                              ;   in Loop: Header=BB120_6 Depth=1
	ds_load_b64 v[6:7], v3 offset:5120
	s_wait_dscnt 0x0
	s_barrier_signal -1
	s_barrier_wait -1
	v_readfirstlane_b32 s10, v6
	v_readfirstlane_b32 s11, v7
	s_and_saveexec_b32 s18, s6
; %bb.318:                              ;   in Loop: Header=BB120_6 Depth=1
	ds_store_b8 v0, v3 offset:3072
; %bb.319:                              ;   in Loop: Header=BB120_6 Depth=1
	s_or_b32 exec_lo, exec_lo, s18
	s_lshl_b32 s18, 2, s91
	v_or_b32_e32 v41, s24, v41
	v_and_or_b32 v39, v39, s25, s18
	s_mov_b32 s23, -1
	s_mov_b32 s65, 0
	s_cmp_eq_u64 s[10:11], 0
	s_mov_b32 s20, 0
	s_mov_b32 s21, -1
	s_wait_dscnt 0x0
	s_barrier_signal -1
	s_barrier_wait -1
                                        ; implicit-def: $vgpr42
	s_cbranch_scc1 .LBB120_335
; %bb.320:                              ;   in Loop: Header=BB120_6 Depth=1
	s_add_nc_u64 s[18:19], s[10:11], s[54:55]
	s_delay_alu instid0(SALU_CYCLE_1) | instskip(NEXT) | instid1(SALU_CYCLE_1)
	s_and_b64 s[20:21], s[18:19], 0xffffffff00000000
	s_cmp_lg_u64 s[20:21], 0
	s_cbranch_scc0 .LBB120_376
; %bb.321:                              ;   in Loop: Header=BB120_6 Depth=1
	s_cvt_f32_u32 s20, s34
	s_sub_nc_u64 s[46:47], 0, s[34:35]
	s_delay_alu instid0(SALU_CYCLE_2) | instskip(NEXT) | instid1(SALU_CYCLE_3)
	s_fmamk_f32 s20, s92, 0x0, s20
	v_s_rcp_f32 s20, s20
	s_delay_alu instid0(TRANS32_DEP_1) | instskip(NEXT) | instid1(SALU_CYCLE_3)
	s_mul_f32 s20, s20, 0x5f7ffffc
	s_mul_f32 s21, s20, 0x2f800000
	s_delay_alu instid0(SALU_CYCLE_3) | instskip(NEXT) | instid1(SALU_CYCLE_3)
	s_trunc_f32 s21, s21
	s_fmamk_f32 s20, s21, 0xcf800000, s20
	s_cvt_u32_f32 s21, s21
	s_delay_alu instid0(SALU_CYCLE_2) | instskip(NEXT) | instid1(SALU_CYCLE_3)
	s_cvt_u32_f32 s20, s20
	s_mul_u64 s[48:49], s[46:47], s[20:21]
	s_delay_alu instid0(SALU_CYCLE_1)
	s_mul_hi_u32 s71, s20, s49
	s_mul_i32 s70, s20, s49
	s_mul_hi_u32 s28, s20, s48
	s_mul_i32 s51, s21, s48
	s_add_nc_u64 s[70:71], s[28:29], s[70:71]
	s_mul_hi_u32 s50, s21, s48
	s_mul_hi_u32 s52, s21, s49
	s_add_co_u32 s28, s70, s51
	s_add_co_ci_u32 s28, s71, s50
	s_mul_i32 s48, s21, s49
	s_add_co_ci_u32 s49, s52, 0
	s_delay_alu instid0(SALU_CYCLE_1) | instskip(NEXT) | instid1(SALU_CYCLE_1)
	s_add_nc_u64 s[48:49], s[28:29], s[48:49]
	s_add_co_u32 s20, s20, s48
	s_cselect_b32 s28, -1, 0
	s_delay_alu instid0(SALU_CYCLE_1) | instskip(SKIP_1) | instid1(SALU_CYCLE_1)
	s_cmp_lg_u32 s28, 0
	s_add_co_ci_u32 s21, s21, s49
	s_mul_u64 s[46:47], s[46:47], s[20:21]
	s_delay_alu instid0(SALU_CYCLE_1)
	s_mul_hi_u32 s49, s20, s47
	s_mul_i32 s48, s20, s47
	s_mul_hi_u32 s28, s20, s46
	s_mul_i32 s51, s21, s46
	s_add_nc_u64 s[48:49], s[28:29], s[48:49]
	s_mul_hi_u32 s50, s21, s46
	s_mul_hi_u32 s52, s21, s47
	s_add_co_u32 s28, s48, s51
	s_add_co_ci_u32 s28, s49, s50
	s_mul_i32 s46, s21, s47
	s_add_co_ci_u32 s47, s52, 0
	s_delay_alu instid0(SALU_CYCLE_1) | instskip(NEXT) | instid1(SALU_CYCLE_1)
	s_add_nc_u64 s[46:47], s[28:29], s[46:47]
	s_add_co_u32 s20, s20, s46
	s_cselect_b32 s46, -1, 0
	s_mul_hi_u32 s28, s18, s20
	s_cmp_lg_u32 s46, 0
	s_mul_hi_u32 s48, s19, s20
	s_add_co_ci_u32 s46, s21, s47
	s_mul_i32 s47, s19, s20
	s_mul_hi_u32 s21, s18, s46
	s_mul_i32 s20, s18, s46
	s_mul_hi_u32 s49, s19, s46
	s_add_nc_u64 s[20:21], s[28:29], s[20:21]
	s_mul_i32 s46, s19, s46
	s_add_co_u32 s20, s20, s47
	s_add_co_ci_u32 s28, s21, s48
	s_add_co_ci_u32 s47, s49, 0
	s_delay_alu instid0(SALU_CYCLE_1) | instskip(NEXT) | instid1(SALU_CYCLE_1)
	s_add_nc_u64 s[20:21], s[28:29], s[46:47]
	s_and_b64 s[46:47], s[20:21], 0xffffffff00000000
	s_delay_alu instid0(SALU_CYCLE_1) | instskip(NEXT) | instid1(SALU_CYCLE_1)
	s_or_b32 s46, s46, s20
	s_mul_u64 s[20:21], s[34:35], s[46:47]
	s_delay_alu instid0(SALU_CYCLE_1) | instskip(SKIP_1) | instid1(SALU_CYCLE_1)
	s_sub_co_u32 s20, s18, s20
	s_cselect_b32 s28, -1, 0
	s_cmp_lg_u32 s28, 0
	s_sub_co_ci_u32 s21, s19, s21
	s_sub_co_u32 s28, s20, s34
	s_cselect_b32 s46, -1, 0
	s_delay_alu instid0(SALU_CYCLE_1) | instskip(SKIP_3) | instid1(SALU_CYCLE_1)
	s_cmp_lg_u32 s46, 0
	s_sub_co_ci_u32 s46, s21, 0
	s_sub_co_u32 s47, s28, s34
	s_cselect_b32 s48, -1, 0
	s_cmp_lg_u32 s48, 0
	s_sub_co_ci_u32 s48, s46, 0
	s_cmp_ge_u32 s28, s34
	s_cselect_b32 s49, -1, 0
	s_cmp_eq_u32 s46, 0
	s_cselect_b32 s49, s49, -1
	s_delay_alu instid0(SALU_CYCLE_1)
	s_cmp_lg_u32 s49, 0
	s_cselect_b32 s46, s48, s46
	s_cselect_b32 s28, s47, s28
	s_cmp_ge_u32 s20, s34
	s_cselect_b32 s47, -1, 0
	s_cmp_eq_u32 s21, 0
	s_cselect_b32 s47, s47, -1
	s_delay_alu instid0(SALU_CYCLE_1)
	s_cmp_lg_u32 s47, 0
	s_cselect_b32 s21, s46, s21
	s_cselect_b32 s20, s28, s20
	s_cbranch_execnz .LBB120_323
.LBB120_322:                            ;   in Loop: Header=BB120_6 Depth=1
	v_cvt_f32_u32_e32 v6, s34
	s_sub_co_i32 s21, 0, s34
	s_delay_alu instid0(VALU_DEP_1) | instskip(SKIP_1) | instid1(TRANS32_DEP_1)
	v_rcp_iflag_f32_e32 v6, v6
	v_nop
	v_mul_f32_e32 v6, 0x4f7ffffe, v6
	s_delay_alu instid0(VALU_DEP_1) | instskip(NEXT) | instid1(VALU_DEP_1)
	v_cvt_u32_f32_e32 v6, v6
	v_readfirstlane_b32 s20, v6
	s_mul_i32 s21, s21, s20
	s_delay_alu instid0(SALU_CYCLE_1) | instskip(NEXT) | instid1(SALU_CYCLE_1)
	s_mul_hi_u32 s21, s20, s21
	s_add_co_i32 s20, s20, s21
	s_delay_alu instid0(SALU_CYCLE_1) | instskip(NEXT) | instid1(SALU_CYCLE_1)
	s_mul_hi_u32 s20, s18, s20
	s_mul_i32 s20, s20, s34
	s_delay_alu instid0(SALU_CYCLE_1) | instskip(NEXT) | instid1(SALU_CYCLE_1)
	s_sub_co_i32 s20, s18, s20
	s_sub_co_i32 s21, s20, s34
	s_cmp_ge_u32 s20, s34
	s_cselect_b32 s20, s21, s20
	s_delay_alu instid0(SALU_CYCLE_1) | instskip(SKIP_2) | instid1(SALU_CYCLE_1)
	s_sub_co_i32 s21, s20, s34
	s_cmp_ge_u32 s20, s34
	s_cselect_b32 s28, s21, s20
	s_mov_b64 s[20:21], s[28:29]
.LBB120_323:                            ;   in Loop: Header=BB120_6 Depth=1
	s_delay_alu instid0(SALU_CYCLE_1)
	s_sub_nc_u64 s[18:19], s[18:19], s[20:21]
	s_mov_b32 s21, 0
	s_mov_b32 s20, 0
	s_mov_b32 s28, exec_lo
                                        ; implicit-def: $vgpr42
	v_cmpx_gt_u64_e64 s[18:19], v[0:1]
	s_cbranch_execz .LBB120_334
; %bb.324:                              ;   in Loop: Header=BB120_6 Depth=1
	v_mov_b64_e32 v[6:7], v[0:1]
	v_mov_b32_e32 v8, v0
                                        ; implicit-def: $sgpr46
	s_branch .LBB120_327
.LBB120_325:                            ;   in Loop: Header=BB120_327 Depth=2
	s_or_b32 exec_lo, exec_lo, s47
	s_wait_dscnt 0x0
	s_barrier_signal -1
	s_barrier_wait -1
	ds_load_u16 v9, v3 offset:3072
	s_mov_b32 s47, -1
	s_mov_b32 s48, -1
	s_wait_dscnt 0x0
	s_barrier_signal -1
	s_barrier_wait -1
	v_and_b32_e32 v10, 0xff, v9
	s_delay_alu instid0(VALU_DEP_1)
	v_cmp_ne_u32_e32 vcc_lo, 0, v10
	s_cbranch_vccz .LBB120_330
.LBB120_326:                            ;   in Loop: Header=BB120_327 Depth=2
	s_and_b32 s8, exec_lo, s47
	s_delay_alu instid0(SALU_CYCLE_1) | instskip(SKIP_2) | instid1(SALU_CYCLE_1)
	s_or_b32 s20, s8, s20
	s_and_not1_b32 s8, s46, exec_lo
	s_and_b32 s46, s48, exec_lo
	s_or_b32 s46, s8, s46
	s_and_not1_b32 exec_lo, exec_lo, s20
	s_cbranch_execz .LBB120_333
.LBB120_327:                            ;   Parent Loop BB120_6 Depth=1
                                        ; =>  This Inner Loop Header: Depth=2
	s_mov_b32 s47, exec_lo
	s_delay_alu instid0(VALU_DEP_2)
	v_cmpx_gt_u64_e64 s[10:11], v[6:7]
	s_cbranch_execz .LBB120_325
; %bb.328:                              ;   in Loop: Header=BB120_327 Depth=2
	ds_load_u8 v9, v8
	s_wait_dscnt 0x0
	v_bitop3_b32 v10, v9, 0xff, v41 bitop3:0x80
	s_delay_alu instid0(VALU_DEP_1)
	v_cmp_eq_u32_e32 vcc_lo, v10, v39
	s_and_b32 exec_lo, exec_lo, vcc_lo
	s_cbranch_execz .LBB120_325
; %bb.329:                              ;   in Loop: Header=BB120_327 Depth=2
	v_lshlrev_b16 v9, 8, v9
	s_delay_alu instid0(VALU_DEP_1)
	v_or_b32_e32 v9, 1, v9
	ds_store_b16 v3, v9 offset:3072
	s_branch .LBB120_325
.LBB120_330:                            ;   in Loop: Header=BB120_327 Depth=2
	v_add_nc_u64_e32 v[6:7], s[34:35], v[6:7]
	v_add_nc_u32_e32 v8, s34, v8
	s_mov_b32 s48, 0
	s_delay_alu instid0(VALU_DEP_2)
	v_cmp_le_u64_e32 vcc_lo, s[18:19], v[6:7]
	s_or_not1_b32 s47, vcc_lo, exec_lo
	s_branch .LBB120_326
.LBB120_331:                            ;   in Loop: Header=BB120_6 Depth=1
                                        ; implicit-def: $sgpr22_sgpr23
	s_branch .LBB120_278
.LBB120_332:                            ;   in Loop: Header=BB120_6 Depth=1
                                        ; implicit-def: $sgpr10_sgpr11
	s_branch .LBB120_293
.LBB120_333:                            ;   in Loop: Header=BB120_6 Depth=1
	s_or_b32 exec_lo, exec_lo, s20
	v_and_b32_e32 v6, 0xffff, v9
	s_and_b32 s20, s46, exec_lo
	s_delay_alu instid0(VALU_DEP_1)
	v_lshrrev_b32_e32 v42, 8, v6
.LBB120_334:                            ;   in Loop: Header=BB120_6 Depth=1
	s_or_b32 exec_lo, exec_lo, s28
.LBB120_335:                            ;   in Loop: Header=BB120_6 Depth=1
	s_delay_alu instid0(SALU_CYCLE_1)
	s_and_b32 vcc_lo, exec_lo, s21
	s_cbranch_vccz .LBB120_349
; %bb.336:                              ;   in Loop: Header=BB120_6 Depth=1
	s_and_b64 s[10:11], s[56:57], 0xffffffff00000000
	s_delay_alu instid0(SALU_CYCLE_1)
	s_cmp_lg_u64 s[10:11], 0
	s_cbranch_scc0 .LBB120_377
; %bb.337:                              ;   in Loop: Header=BB120_6 Depth=1
	s_cvt_f32_u32 s10, s34
	s_sub_nc_u64 s[18:19], 0, s[34:35]
	s_delay_alu instid0(SALU_CYCLE_2) | instskip(NEXT) | instid1(SALU_CYCLE_3)
	s_fmamk_f32 s10, s92, 0x0, s10
	v_s_rcp_f32 s10, s10
	s_delay_alu instid0(TRANS32_DEP_1) | instskip(NEXT) | instid1(SALU_CYCLE_3)
	s_mul_f32 s10, s10, 0x5f7ffffc
	s_mul_f32 s11, s10, 0x2f800000
	s_delay_alu instid0(SALU_CYCLE_3) | instskip(NEXT) | instid1(SALU_CYCLE_3)
	s_trunc_f32 s11, s11
	s_fmamk_f32 s10, s11, 0xcf800000, s10
	s_cvt_u32_f32 s11, s11
	s_delay_alu instid0(SALU_CYCLE_2) | instskip(NEXT) | instid1(SALU_CYCLE_3)
	s_cvt_u32_f32 s10, s10
	s_mul_u64 s[46:47], s[18:19], s[10:11]
	s_delay_alu instid0(SALU_CYCLE_1)
	s_mul_hi_u32 s49, s10, s47
	s_mul_i32 s48, s10, s47
	s_mul_hi_u32 s28, s10, s46
	s_mul_i32 s23, s11, s46
	s_add_nc_u64 s[48:49], s[28:29], s[48:49]
	s_mul_hi_u32 s21, s11, s46
	s_mul_hi_u32 s50, s11, s47
	s_add_co_u32 s23, s48, s23
	s_add_co_ci_u32 s28, s49, s21
	s_mul_i32 s46, s11, s47
	s_add_co_ci_u32 s47, s50, 0
	s_delay_alu instid0(SALU_CYCLE_1) | instskip(NEXT) | instid1(SALU_CYCLE_1)
	s_add_nc_u64 s[46:47], s[28:29], s[46:47]
	s_add_co_u32 s10, s10, s46
	s_cselect_b32 s21, -1, 0
	s_delay_alu instid0(SALU_CYCLE_1) | instskip(SKIP_1) | instid1(SALU_CYCLE_1)
	s_cmp_lg_u32 s21, 0
	s_add_co_ci_u32 s11, s11, s47
	s_mul_u64 s[18:19], s[18:19], s[10:11]
	s_delay_alu instid0(SALU_CYCLE_1)
	s_mul_hi_u32 s47, s10, s19
	s_mul_i32 s46, s10, s19
	s_mul_hi_u32 s28, s10, s18
	s_mul_i32 s23, s11, s18
	s_add_nc_u64 s[46:47], s[28:29], s[46:47]
	s_mul_hi_u32 s21, s11, s18
	s_mul_hi_u32 s48, s11, s19
	s_mul_i32 s18, s11, s19
	s_add_co_u32 s19, s46, s23
	s_add_co_ci_u32 s28, s47, s21
	s_add_co_ci_u32 s19, s48, 0
	s_delay_alu instid0(SALU_CYCLE_1) | instskip(NEXT) | instid1(SALU_CYCLE_1)
	s_add_nc_u64 s[18:19], s[28:29], s[18:19]
	s_add_co_u32 s10, s10, s18
	s_cselect_b32 s18, -1, 0
	s_mul_hi_u32 s28, s56, s10
	s_cmp_lg_u32 s18, 0
	s_mul_hi_u32 s21, s57, s10
	s_add_co_ci_u32 s18, s11, s19
	s_mul_i32 s19, s57, s10
	s_mul_hi_u32 s11, s56, s18
	s_mul_i32 s10, s56, s18
	s_mul_hi_u32 s23, s57, s18
	s_add_nc_u64 s[10:11], s[28:29], s[10:11]
	s_mul_i32 s18, s57, s18
	s_add_co_u32 s10, s10, s19
	s_add_co_ci_u32 s28, s11, s21
	s_add_co_ci_u32 s19, s23, 0
	s_delay_alu instid0(SALU_CYCLE_1) | instskip(NEXT) | instid1(SALU_CYCLE_1)
	s_add_nc_u64 s[10:11], s[28:29], s[18:19]
	s_and_b64 s[18:19], s[10:11], 0xffffffff00000000
	s_delay_alu instid0(SALU_CYCLE_1) | instskip(NEXT) | instid1(SALU_CYCLE_1)
	s_or_b32 s18, s18, s10
	s_mul_u64 s[10:11], s[34:35], s[18:19]
	s_delay_alu instid0(SALU_CYCLE_1) | instskip(SKIP_1) | instid1(SALU_CYCLE_1)
	s_sub_co_u32 s10, s56, s10
	s_cselect_b32 s18, -1, 0
	s_cmp_lg_u32 s18, 0
	s_sub_co_ci_u32 s11, s57, s11
	s_sub_co_u32 s18, s10, s34
	s_cselect_b32 s19, -1, 0
	s_delay_alu instid0(SALU_CYCLE_1) | instskip(SKIP_3) | instid1(SALU_CYCLE_1)
	s_cmp_lg_u32 s19, 0
	s_sub_co_ci_u32 s19, s11, 0
	s_sub_co_u32 s21, s18, s34
	s_cselect_b32 s23, -1, 0
	s_cmp_lg_u32 s23, 0
	s_sub_co_ci_u32 s23, s19, 0
	s_cmp_ge_u32 s18, s34
	s_cselect_b32 s28, -1, 0
	s_cmp_eq_u32 s19, 0
	s_cselect_b32 s28, s28, -1
	s_delay_alu instid0(SALU_CYCLE_1)
	s_cmp_lg_u32 s28, 0
	s_cselect_b32 s19, s23, s19
	s_cselect_b32 s18, s21, s18
	s_cmp_ge_u32 s10, s34
	s_cselect_b32 s21, -1, 0
	s_cmp_eq_u32 s11, 0
	s_cselect_b32 s21, s21, -1
	s_delay_alu instid0(SALU_CYCLE_1)
	s_cmp_lg_u32 s21, 0
	s_cselect_b32 s11, s19, s11
	s_cselect_b32 s10, s18, s10
	s_cbranch_execnz .LBB120_339
.LBB120_338:                            ;   in Loop: Header=BB120_6 Depth=1
	v_cvt_f32_u32_e32 v6, s34
	s_sub_co_i32 s11, 0, s34
	s_delay_alu instid0(VALU_DEP_1) | instskip(SKIP_1) | instid1(TRANS32_DEP_1)
	v_rcp_iflag_f32_e32 v6, v6
	v_nop
	v_mul_f32_e32 v6, 0x4f7ffffe, v6
	s_delay_alu instid0(VALU_DEP_1) | instskip(NEXT) | instid1(VALU_DEP_1)
	v_cvt_u32_f32_e32 v6, v6
	v_readfirstlane_b32 s10, v6
	s_mul_i32 s11, s11, s10
	s_delay_alu instid0(SALU_CYCLE_1) | instskip(NEXT) | instid1(SALU_CYCLE_1)
	s_mul_hi_u32 s11, s10, s11
	s_add_co_i32 s10, s10, s11
	s_delay_alu instid0(SALU_CYCLE_1) | instskip(NEXT) | instid1(SALU_CYCLE_1)
	s_mul_hi_u32 s10, s56, s10
	s_mul_i32 s10, s10, s34
	s_delay_alu instid0(SALU_CYCLE_1) | instskip(NEXT) | instid1(SALU_CYCLE_1)
	s_sub_co_i32 s10, s56, s10
	s_sub_co_i32 s11, s10, s34
	s_cmp_ge_u32 s10, s34
	s_cselect_b32 s10, s11, s10
	s_delay_alu instid0(SALU_CYCLE_1) | instskip(SKIP_2) | instid1(SALU_CYCLE_1)
	s_sub_co_i32 s11, s10, s34
	s_cmp_ge_u32 s10, s34
	s_cselect_b32 s28, s11, s10
	s_mov_b64 s[10:11], s[28:29]
.LBB120_339:                            ;   in Loop: Header=BB120_6 Depth=1
	s_delay_alu instid0(SALU_CYCLE_1)
	s_sub_nc_u64 s[10:11], s[56:57], s[10:11]
	s_mov_b32 s18, exec_lo
                                        ; implicit-def: $vgpr42
	v_nop
	v_cmpx_gt_u64_e64 s[10:11], v[0:1]
	s_cbranch_execz .LBB120_348
; %bb.340:                              ;   in Loop: Header=BB120_6 Depth=1
	v_mov_b64_e32 v[6:7], v[14:15]
	v_mov_b64_e32 v[8:9], v[0:1]
	s_mov_b32 s19, 0
                                        ; implicit-def: $sgpr21
	s_branch .LBB120_343
.LBB120_341:                            ;   in Loop: Header=BB120_343 Depth=2
	s_or_b32 exec_lo, exec_lo, s23
	s_wait_dscnt 0x0
	s_barrier_signal -1
	s_barrier_wait -1
	ds_load_u16 v10, v3 offset:3072
	s_mov_b32 s23, -1
	s_mov_b32 s28, -1
	s_wait_dscnt 0x0
	s_barrier_signal -1
	s_barrier_wait -1
	v_and_b32_e32 v11, 0xff, v10
	s_delay_alu instid0(VALU_DEP_1)
	v_cmp_eq_u32_e32 vcc_lo, 0, v11
	s_cbranch_vccnz .LBB120_346
.LBB120_342:                            ;   in Loop: Header=BB120_343 Depth=2
	s_and_b32 s8, exec_lo, s23
	s_delay_alu instid0(SALU_CYCLE_1) | instskip(SKIP_2) | instid1(SALU_CYCLE_1)
	s_or_b32 s19, s8, s19
	s_and_not1_b32 s8, s21, exec_lo
	s_and_b32 s21, s28, exec_lo
	s_or_b32 s21, s8, s21
	s_and_not1_b32 exec_lo, exec_lo, s19
	s_cbranch_execz .LBB120_347
.LBB120_343:                            ;   Parent Loop BB120_6 Depth=1
                                        ; =>  This Inner Loop Header: Depth=2
	s_mov_b32 s23, exec_lo
	s_delay_alu instid0(VALU_DEP_1)
	v_cmpx_gt_u64_e64 s[36:37], v[8:9]
	s_cbranch_execz .LBB120_341
; %bb.344:                              ;   in Loop: Header=BB120_343 Depth=2
	global_load_u8 v10, v[6:7], off
	s_wait_loadcnt 0x0
	v_bitop3_b32 v11, v10, 0xff, v41 bitop3:0x80
	s_delay_alu instid0(VALU_DEP_1)
	v_cmp_eq_u32_e32 vcc_lo, v11, v39
	s_and_b32 exec_lo, exec_lo, vcc_lo
	s_cbranch_execz .LBB120_341
; %bb.345:                              ;   in Loop: Header=BB120_343 Depth=2
	v_lshlrev_b16 v10, 8, v10
	s_delay_alu instid0(VALU_DEP_1)
	v_or_b32_e32 v10, 1, v10
	ds_store_b16 v3, v10 offset:3072
	s_branch .LBB120_341
.LBB120_346:                            ;   in Loop: Header=BB120_343 Depth=2
	v_add_nc_u64_e32 v[8:9], s[34:35], v[8:9]
	v_add_nc_u64_e32 v[6:7], s[40:41], v[6:7]
	s_mov_b32 s28, 0
	s_delay_alu instid0(VALU_DEP_2)
	v_cmp_le_u64_e32 vcc_lo, s[10:11], v[8:9]
	s_or_not1_b32 s23, vcc_lo, exec_lo
	s_branch .LBB120_342
.LBB120_347:                            ;   in Loop: Header=BB120_6 Depth=1
	s_or_b32 exec_lo, exec_lo, s19
	v_and_b32_e32 v6, 0xffff, v10
	s_and_not1_b32 s8, s20, exec_lo
	s_and_b32 s10, s21, exec_lo
	s_delay_alu instid0(SALU_CYCLE_1) | instskip(NEXT) | instid1(VALU_DEP_1)
	s_or_b32 s20, s8, s10
	v_lshrrev_b32_e32 v42, 8, v6
.LBB120_348:                            ;   in Loop: Header=BB120_6 Depth=1
	s_or_b32 exec_lo, exec_lo, s18
	s_mov_b32 s23, 0
	s_mov_b32 s65, -1
.LBB120_349:                            ;   in Loop: Header=BB120_6 Depth=1
	s_or_not1_b32 s10, s20, exec_lo
.LBB120_350:                            ;   in Loop: Header=BB120_6 Depth=1
	s_or_b32 exec_lo, exec_lo, s68
	s_mov_b32 s11, 0
	s_and_saveexec_b32 s20, s10
	s_cbranch_execz .LBB120_459
; %bb.351:                              ;   in Loop: Header=BB120_6 Depth=1
	v_mov_b64_e32 v[6:7], 1
	v_mov_b32_e32 v2, 1
	s_xor_b32 s18, s66, -1
	s_delay_alu instid0(SALU_CYCLE_1)
	s_and_saveexec_b32 s10, s18
	s_cbranch_execz .LBB120_360
; %bb.352:                              ;   in Loop: Header=BB120_6 Depth=1
	s_mov_b32 s11, exec_lo
	v_cmpx_ge_u64_e64 s[16:17], v[4:5]
	s_xor_b32 s11, exec_lo, s11
	s_cbranch_execz .LBB120_357
; %bb.353:                              ;   in Loop: Header=BB120_6 Depth=1
	ds_load_b64 v[6:7], v3 offset:5120
	s_lshl_b32 s18, 2, s91
	v_or_b32_e32 v41, s24, v41
	v_and_or_b32 v39, v39, s25, s18
	s_wait_dscnt 0x0
	v_cmp_ne_u64_e32 vcc_lo, 0, v[6:7]
	s_cbranch_vccnz .LBB120_357
; %bb.354:                              ;   in Loop: Header=BB120_6 Depth=1
	s_and_saveexec_b32 s18, s5
; %bb.355:                              ;   in Loop: Header=BB120_6 Depth=1
	v_mov_b64_e32 v[6:7], s[16:17]
	ds_store_b64 v3, v[6:7] offset:5128
; %bb.356:                              ;   in Loop: Header=BB120_6 Depth=1
	s_or_b32 exec_lo, exec_lo, s18
	s_wait_dscnt 0x0
	s_barrier_signal -1
	s_barrier_wait -1
.LBB120_357:                            ;   in Loop: Header=BB120_6 Depth=1
	s_or_saveexec_b32 s11, s11
	v_mov_b32_e32 v2, 5
	s_mov_b32 s18, 0
	s_xor_b32 exec_lo, exec_lo, s11
; %bb.358:                              ;   in Loop: Header=BB120_6 Depth=1
	v_sub_nc_u64_e64 v[4:5], v[4:5], s[16:17]
	v_mov_b32_e32 v2, 0
	s_mov_b32 s18, exec_lo
; %bb.359:                              ;   in Loop: Header=BB120_6 Depth=1
	s_or_b32 exec_lo, exec_lo, s11
	s_delay_alu instid0(VALU_DEP_2)
	v_mov_b64_e32 v[6:7], v[4:5]
	s_and_b32 s11, s18, exec_lo
.LBB120_360:                            ;   in Loop: Header=BB120_6 Depth=1
	s_or_b32 exec_lo, exec_lo, s10
	s_mov_b32 s10, -1
                                        ; implicit-def: $sgpr66
                                        ; implicit-def: $sgpr68
	s_and_saveexec_b32 s21, s11
	s_cbranch_execz .LBB120_458
; %bb.361:                              ;   in Loop: Header=BB120_6 Depth=1
	s_delay_alu instid0(VALU_DEP_1) | instskip(SKIP_2) | instid1(SALU_CYCLE_1)
	v_cmp_eq_u64_e32 vcc_lo, 1, v[6:7]
	s_cmp_eq_u64 s[14:15], 1
                                        ; implicit-def: $sgpr68
                                        ; implicit-def: $sgpr66
	s_cselect_b32 s10, -1, 0
	s_and_b32 s69, s10, vcc_lo
	s_mov_b32 s10, -1
	s_and_saveexec_b32 s70, s69
	s_cbranch_execz .LBB120_395
; %bb.362:                              ;   in Loop: Header=BB120_6 Depth=1
	ds_load_b64 v[4:5], v3 offset:5120
	s_wait_dscnt 0x0
	s_barrier_signal -1
	s_barrier_wait -1
	v_readfirstlane_b32 s10, v4
	v_readfirstlane_b32 s11, v5
	s_and_saveexec_b32 s16, s6
; %bb.363:                              ;   in Loop: Header=BB120_6 Depth=1
	ds_store_b8 v0, v3 offset:3072
; %bb.364:                              ;   in Loop: Header=BB120_6 Depth=1
	s_or_b32 exec_lo, exec_lo, s16
	s_lshl_b32 s16, 1, s91
	v_or_b32_e32 v41, s24, v41
	v_and_or_b32 v39, v39, s25, s16
	s_mov_b32 s66, -1
	s_mov_b32 s68, 0
	s_cmp_eq_u64 s[10:11], 0
	s_mov_b32 s18, 0
	s_mov_b32 s19, -1
	s_wait_dscnt 0x0
	s_barrier_signal -1
	s_barrier_wait -1
                                        ; implicit-def: $vgpr42
	s_cbranch_scc1 .LBB120_380
; %bb.365:                              ;   in Loop: Header=BB120_6 Depth=1
	s_add_nc_u64 s[16:17], s[10:11], s[54:55]
	s_delay_alu instid0(SALU_CYCLE_1) | instskip(NEXT) | instid1(SALU_CYCLE_1)
	s_and_b64 s[18:19], s[16:17], 0xffffffff00000000
	s_cmp_lg_u64 s[18:19], 0
	s_cbranch_scc0 .LBB120_412
; %bb.366:                              ;   in Loop: Header=BB120_6 Depth=1
	s_cvt_f32_u32 s18, s34
	s_sub_nc_u64 s[46:47], 0, s[34:35]
	s_delay_alu instid0(SALU_CYCLE_2) | instskip(NEXT) | instid1(SALU_CYCLE_3)
	s_fmamk_f32 s18, s92, 0x0, s18
	v_s_rcp_f32 s18, s18
	s_delay_alu instid0(TRANS32_DEP_1) | instskip(NEXT) | instid1(SALU_CYCLE_3)
	s_mul_f32 s18, s18, 0x5f7ffffc
	s_mul_f32 s19, s18, 0x2f800000
	s_delay_alu instid0(SALU_CYCLE_3) | instskip(NEXT) | instid1(SALU_CYCLE_3)
	s_trunc_f32 s19, s19
	s_fmamk_f32 s18, s19, 0xcf800000, s18
	s_cvt_u32_f32 s19, s19
	s_delay_alu instid0(SALU_CYCLE_2) | instskip(NEXT) | instid1(SALU_CYCLE_3)
	s_cvt_u32_f32 s18, s18
	s_mul_u64 s[48:49], s[46:47], s[18:19]
	s_delay_alu instid0(SALU_CYCLE_1)
	s_mul_hi_u32 s73, s18, s49
	s_mul_i32 s72, s18, s49
	s_mul_hi_u32 s28, s18, s48
	s_mul_i32 s51, s19, s48
	s_add_nc_u64 s[72:73], s[28:29], s[72:73]
	s_mul_hi_u32 s50, s19, s48
	s_mul_hi_u32 s52, s19, s49
	s_add_co_u32 s28, s72, s51
	s_add_co_ci_u32 s28, s73, s50
	s_mul_i32 s48, s19, s49
	s_add_co_ci_u32 s49, s52, 0
	s_delay_alu instid0(SALU_CYCLE_1) | instskip(NEXT) | instid1(SALU_CYCLE_1)
	s_add_nc_u64 s[48:49], s[28:29], s[48:49]
	s_add_co_u32 s18, s18, s48
	s_cselect_b32 s28, -1, 0
	s_delay_alu instid0(SALU_CYCLE_1) | instskip(SKIP_1) | instid1(SALU_CYCLE_1)
	s_cmp_lg_u32 s28, 0
	s_add_co_ci_u32 s19, s19, s49
	s_mul_u64 s[46:47], s[46:47], s[18:19]
	s_delay_alu instid0(SALU_CYCLE_1)
	s_mul_hi_u32 s49, s18, s47
	s_mul_i32 s48, s18, s47
	s_mul_hi_u32 s28, s18, s46
	s_mul_i32 s51, s19, s46
	s_add_nc_u64 s[48:49], s[28:29], s[48:49]
	s_mul_hi_u32 s50, s19, s46
	s_mul_hi_u32 s52, s19, s47
	s_add_co_u32 s28, s48, s51
	s_add_co_ci_u32 s28, s49, s50
	s_mul_i32 s46, s19, s47
	s_add_co_ci_u32 s47, s52, 0
	s_delay_alu instid0(SALU_CYCLE_1) | instskip(NEXT) | instid1(SALU_CYCLE_1)
	s_add_nc_u64 s[46:47], s[28:29], s[46:47]
	s_add_co_u32 s18, s18, s46
	s_cselect_b32 s46, -1, 0
	s_mul_hi_u32 s28, s16, s18
	s_cmp_lg_u32 s46, 0
	s_mul_hi_u32 s48, s17, s18
	s_add_co_ci_u32 s46, s19, s47
	s_mul_i32 s47, s17, s18
	s_mul_hi_u32 s19, s16, s46
	s_mul_i32 s18, s16, s46
	s_mul_hi_u32 s49, s17, s46
	s_add_nc_u64 s[18:19], s[28:29], s[18:19]
	s_mul_i32 s46, s17, s46
	s_add_co_u32 s18, s18, s47
	s_add_co_ci_u32 s28, s19, s48
	s_add_co_ci_u32 s47, s49, 0
	s_delay_alu instid0(SALU_CYCLE_1) | instskip(NEXT) | instid1(SALU_CYCLE_1)
	s_add_nc_u64 s[18:19], s[28:29], s[46:47]
	s_and_b64 s[46:47], s[18:19], 0xffffffff00000000
	s_delay_alu instid0(SALU_CYCLE_1) | instskip(NEXT) | instid1(SALU_CYCLE_1)
	s_or_b32 s46, s46, s18
	s_mul_u64 s[18:19], s[34:35], s[46:47]
	s_delay_alu instid0(SALU_CYCLE_1) | instskip(SKIP_1) | instid1(SALU_CYCLE_1)
	s_sub_co_u32 s18, s16, s18
	s_cselect_b32 s28, -1, 0
	s_cmp_lg_u32 s28, 0
	s_sub_co_ci_u32 s19, s17, s19
	s_sub_co_u32 s28, s18, s34
	s_cselect_b32 s46, -1, 0
	s_delay_alu instid0(SALU_CYCLE_1) | instskip(SKIP_3) | instid1(SALU_CYCLE_1)
	s_cmp_lg_u32 s46, 0
	s_sub_co_ci_u32 s46, s19, 0
	s_sub_co_u32 s47, s28, s34
	s_cselect_b32 s48, -1, 0
	s_cmp_lg_u32 s48, 0
	s_sub_co_ci_u32 s48, s46, 0
	s_cmp_ge_u32 s28, s34
	s_cselect_b32 s49, -1, 0
	s_cmp_eq_u32 s46, 0
	s_cselect_b32 s49, s49, -1
	s_delay_alu instid0(SALU_CYCLE_1)
	s_cmp_lg_u32 s49, 0
	s_cselect_b32 s46, s48, s46
	s_cselect_b32 s28, s47, s28
	s_cmp_ge_u32 s18, s34
	s_cselect_b32 s47, -1, 0
	s_cmp_eq_u32 s19, 0
	s_cselect_b32 s47, s47, -1
	s_delay_alu instid0(SALU_CYCLE_1)
	s_cmp_lg_u32 s47, 0
	s_cselect_b32 s19, s46, s19
	s_cselect_b32 s18, s28, s18
	s_cbranch_execnz .LBB120_368
.LBB120_367:                            ;   in Loop: Header=BB120_6 Depth=1
	v_cvt_f32_u32_e32 v4, s34
	s_sub_co_i32 s19, 0, s34
	s_delay_alu instid0(VALU_DEP_1) | instskip(SKIP_1) | instid1(TRANS32_DEP_1)
	v_rcp_iflag_f32_e32 v4, v4
	v_nop
	v_mul_f32_e32 v4, 0x4f7ffffe, v4
	s_delay_alu instid0(VALU_DEP_1) | instskip(NEXT) | instid1(VALU_DEP_1)
	v_cvt_u32_f32_e32 v4, v4
	v_readfirstlane_b32 s18, v4
	s_mul_i32 s19, s19, s18
	s_delay_alu instid0(SALU_CYCLE_1) | instskip(NEXT) | instid1(SALU_CYCLE_1)
	s_mul_hi_u32 s19, s18, s19
	s_add_co_i32 s18, s18, s19
	s_delay_alu instid0(SALU_CYCLE_1) | instskip(NEXT) | instid1(SALU_CYCLE_1)
	s_mul_hi_u32 s18, s16, s18
	s_mul_i32 s18, s18, s34
	s_delay_alu instid0(SALU_CYCLE_1) | instskip(NEXT) | instid1(SALU_CYCLE_1)
	s_sub_co_i32 s18, s16, s18
	s_sub_co_i32 s19, s18, s34
	s_cmp_ge_u32 s18, s34
	s_cselect_b32 s18, s19, s18
	s_delay_alu instid0(SALU_CYCLE_1) | instskip(SKIP_2) | instid1(SALU_CYCLE_1)
	s_sub_co_i32 s19, s18, s34
	s_cmp_ge_u32 s18, s34
	s_cselect_b32 s28, s19, s18
	s_mov_b64 s[18:19], s[28:29]
.LBB120_368:                            ;   in Loop: Header=BB120_6 Depth=1
	s_delay_alu instid0(SALU_CYCLE_1)
	s_sub_nc_u64 s[16:17], s[16:17], s[18:19]
	s_mov_b32 s19, 0
	s_mov_b32 s18, 0
	s_mov_b32 s28, exec_lo
                                        ; implicit-def: $vgpr42
	v_cmpx_gt_u64_e64 s[16:17], v[0:1]
	s_cbranch_execz .LBB120_379
; %bb.369:                              ;   in Loop: Header=BB120_6 Depth=1
	v_mov_b64_e32 v[4:5], v[0:1]
	v_mov_b32_e32 v8, v0
                                        ; implicit-def: $sgpr46
	s_branch .LBB120_372
.LBB120_370:                            ;   in Loop: Header=BB120_372 Depth=2
	s_or_b32 exec_lo, exec_lo, s47
	s_wait_dscnt 0x0
	s_barrier_signal -1
	s_barrier_wait -1
	ds_load_u16 v9, v3 offset:3072
	s_mov_b32 s47, -1
	s_mov_b32 s48, -1
	s_wait_dscnt 0x0
	s_barrier_signal -1
	s_barrier_wait -1
	v_and_b32_e32 v10, 0xff, v9
	s_delay_alu instid0(VALU_DEP_1)
	v_cmp_ne_u32_e32 vcc_lo, 0, v10
	s_cbranch_vccz .LBB120_375
.LBB120_371:                            ;   in Loop: Header=BB120_372 Depth=2
	s_and_b32 s8, exec_lo, s47
	s_delay_alu instid0(SALU_CYCLE_1) | instskip(SKIP_2) | instid1(SALU_CYCLE_1)
	s_or_b32 s18, s8, s18
	s_and_not1_b32 s8, s46, exec_lo
	s_and_b32 s46, s48, exec_lo
	s_or_b32 s46, s8, s46
	s_and_not1_b32 exec_lo, exec_lo, s18
	s_cbranch_execz .LBB120_378
.LBB120_372:                            ;   Parent Loop BB120_6 Depth=1
                                        ; =>  This Inner Loop Header: Depth=2
	s_mov_b32 s47, exec_lo
	s_delay_alu instid0(VALU_DEP_2)
	v_cmpx_gt_u64_e64 s[10:11], v[4:5]
	s_cbranch_execz .LBB120_370
; %bb.373:                              ;   in Loop: Header=BB120_372 Depth=2
	ds_load_u8 v9, v8
	s_wait_dscnt 0x0
	v_bitop3_b32 v10, v9, 0xff, v41 bitop3:0x80
	s_delay_alu instid0(VALU_DEP_1)
	v_cmp_eq_u32_e32 vcc_lo, v10, v39
	s_and_b32 exec_lo, exec_lo, vcc_lo
	s_cbranch_execz .LBB120_370
; %bb.374:                              ;   in Loop: Header=BB120_372 Depth=2
	v_lshlrev_b16 v9, 8, v9
	s_delay_alu instid0(VALU_DEP_1)
	v_or_b32_e32 v9, 1, v9
	ds_store_b16 v3, v9 offset:3072
	s_branch .LBB120_370
.LBB120_375:                            ;   in Loop: Header=BB120_372 Depth=2
	v_add_nc_u64_e32 v[4:5], s[34:35], v[4:5]
	v_add_nc_u32_e32 v8, s34, v8
	s_mov_b32 s48, 0
	s_delay_alu instid0(VALU_DEP_2)
	v_cmp_le_u64_e32 vcc_lo, s[16:17], v[4:5]
	s_or_not1_b32 s47, vcc_lo, exec_lo
	s_branch .LBB120_371
.LBB120_376:                            ;   in Loop: Header=BB120_6 Depth=1
                                        ; implicit-def: $sgpr20_sgpr21
	s_branch .LBB120_322
.LBB120_377:                            ;   in Loop: Header=BB120_6 Depth=1
                                        ; implicit-def: $sgpr10_sgpr11
	s_branch .LBB120_338
.LBB120_378:                            ;   in Loop: Header=BB120_6 Depth=1
	s_or_b32 exec_lo, exec_lo, s18
	v_and_b32_e32 v4, 0xffff, v9
	s_and_b32 s18, s46, exec_lo
	s_delay_alu instid0(VALU_DEP_1)
	v_lshrrev_b32_e32 v42, 8, v4
.LBB120_379:                            ;   in Loop: Header=BB120_6 Depth=1
	s_or_b32 exec_lo, exec_lo, s28
.LBB120_380:                            ;   in Loop: Header=BB120_6 Depth=1
	s_delay_alu instid0(SALU_CYCLE_1)
	s_and_b32 vcc_lo, exec_lo, s19
	s_cbranch_vccz .LBB120_394
; %bb.381:                              ;   in Loop: Header=BB120_6 Depth=1
	s_and_b64 s[10:11], s[56:57], 0xffffffff00000000
	s_delay_alu instid0(SALU_CYCLE_1)
	s_cmp_lg_u64 s[10:11], 0
	s_cbranch_scc0 .LBB120_413
; %bb.382:                              ;   in Loop: Header=BB120_6 Depth=1
	s_cvt_f32_u32 s10, s34
	s_sub_nc_u64 s[16:17], 0, s[34:35]
	s_delay_alu instid0(SALU_CYCLE_2) | instskip(NEXT) | instid1(SALU_CYCLE_3)
	s_fmamk_f32 s10, s92, 0x0, s10
	v_s_rcp_f32 s10, s10
	s_delay_alu instid0(TRANS32_DEP_1) | instskip(NEXT) | instid1(SALU_CYCLE_3)
	s_mul_f32 s10, s10, 0x5f7ffffc
	s_mul_f32 s11, s10, 0x2f800000
	s_delay_alu instid0(SALU_CYCLE_3) | instskip(NEXT) | instid1(SALU_CYCLE_3)
	s_trunc_f32 s11, s11
	s_fmamk_f32 s10, s11, 0xcf800000, s10
	s_cvt_u32_f32 s11, s11
	s_delay_alu instid0(SALU_CYCLE_2) | instskip(NEXT) | instid1(SALU_CYCLE_3)
	s_cvt_u32_f32 s10, s10
	s_mul_u64 s[46:47], s[16:17], s[10:11]
	s_delay_alu instid0(SALU_CYCLE_1)
	s_mul_hi_u32 s49, s10, s47
	s_mul_i32 s48, s10, s47
	s_mul_hi_u32 s28, s10, s46
	s_mul_i32 s50, s11, s46
	s_add_nc_u64 s[48:49], s[28:29], s[48:49]
	s_mul_hi_u32 s19, s11, s46
	s_mul_hi_u32 s51, s11, s47
	s_add_co_u32 s28, s48, s50
	s_add_co_ci_u32 s28, s49, s19
	s_mul_i32 s46, s11, s47
	s_add_co_ci_u32 s47, s51, 0
	s_delay_alu instid0(SALU_CYCLE_1) | instskip(NEXT) | instid1(SALU_CYCLE_1)
	s_add_nc_u64 s[46:47], s[28:29], s[46:47]
	s_add_co_u32 s10, s10, s46
	s_cselect_b32 s19, -1, 0
	s_delay_alu instid0(SALU_CYCLE_1) | instskip(SKIP_1) | instid1(SALU_CYCLE_1)
	s_cmp_lg_u32 s19, 0
	s_add_co_ci_u32 s11, s11, s47
	s_mul_u64 s[16:17], s[16:17], s[10:11]
	s_delay_alu instid0(SALU_CYCLE_1)
	s_mul_hi_u32 s47, s10, s17
	s_mul_i32 s46, s10, s17
	s_mul_hi_u32 s28, s10, s16
	s_mul_i32 s48, s11, s16
	s_add_nc_u64 s[46:47], s[28:29], s[46:47]
	s_mul_hi_u32 s19, s11, s16
	s_mul_hi_u32 s49, s11, s17
	s_mul_i32 s16, s11, s17
	s_add_co_u32 s17, s46, s48
	s_add_co_ci_u32 s28, s47, s19
	s_add_co_ci_u32 s17, s49, 0
	s_delay_alu instid0(SALU_CYCLE_1) | instskip(NEXT) | instid1(SALU_CYCLE_1)
	s_add_nc_u64 s[16:17], s[28:29], s[16:17]
	s_add_co_u32 s10, s10, s16
	s_cselect_b32 s16, -1, 0
	s_mul_hi_u32 s28, s56, s10
	s_cmp_lg_u32 s16, 0
	s_mul_hi_u32 s19, s57, s10
	s_add_co_ci_u32 s16, s11, s17
	s_mul_i32 s17, s57, s10
	s_mul_hi_u32 s11, s56, s16
	s_mul_i32 s10, s56, s16
	s_mul_hi_u32 s46, s57, s16
	s_add_nc_u64 s[10:11], s[28:29], s[10:11]
	s_mul_i32 s16, s57, s16
	s_add_co_u32 s10, s10, s17
	s_add_co_ci_u32 s28, s11, s19
	s_add_co_ci_u32 s17, s46, 0
	s_delay_alu instid0(SALU_CYCLE_1) | instskip(NEXT) | instid1(SALU_CYCLE_1)
	s_add_nc_u64 s[10:11], s[28:29], s[16:17]
	s_and_b64 s[16:17], s[10:11], 0xffffffff00000000
	s_delay_alu instid0(SALU_CYCLE_1) | instskip(NEXT) | instid1(SALU_CYCLE_1)
	s_or_b32 s16, s16, s10
	s_mul_u64 s[10:11], s[34:35], s[16:17]
	s_delay_alu instid0(SALU_CYCLE_1) | instskip(SKIP_1) | instid1(SALU_CYCLE_1)
	s_sub_co_u32 s10, s56, s10
	s_cselect_b32 s16, -1, 0
	s_cmp_lg_u32 s16, 0
	s_sub_co_ci_u32 s11, s57, s11
	s_sub_co_u32 s16, s10, s34
	s_cselect_b32 s17, -1, 0
	s_delay_alu instid0(SALU_CYCLE_1) | instskip(SKIP_3) | instid1(SALU_CYCLE_1)
	s_cmp_lg_u32 s17, 0
	s_sub_co_ci_u32 s17, s11, 0
	s_sub_co_u32 s19, s16, s34
	s_cselect_b32 s28, -1, 0
	s_cmp_lg_u32 s28, 0
	s_sub_co_ci_u32 s28, s17, 0
	s_cmp_ge_u32 s16, s34
	s_cselect_b32 s46, -1, 0
	s_cmp_eq_u32 s17, 0
	s_cselect_b32 s46, s46, -1
	s_delay_alu instid0(SALU_CYCLE_1)
	s_cmp_lg_u32 s46, 0
	s_cselect_b32 s17, s28, s17
	s_cselect_b32 s16, s19, s16
	s_cmp_ge_u32 s10, s34
	s_cselect_b32 s19, -1, 0
	s_cmp_eq_u32 s11, 0
	s_cselect_b32 s19, s19, -1
	s_delay_alu instid0(SALU_CYCLE_1)
	s_cmp_lg_u32 s19, 0
	s_cselect_b32 s11, s17, s11
	s_cselect_b32 s10, s16, s10
	s_cbranch_execnz .LBB120_384
.LBB120_383:                            ;   in Loop: Header=BB120_6 Depth=1
	v_cvt_f32_u32_e32 v4, s34
	s_sub_co_i32 s11, 0, s34
	s_delay_alu instid0(VALU_DEP_1) | instskip(SKIP_1) | instid1(TRANS32_DEP_1)
	v_rcp_iflag_f32_e32 v4, v4
	v_nop
	v_mul_f32_e32 v4, 0x4f7ffffe, v4
	s_delay_alu instid0(VALU_DEP_1) | instskip(NEXT) | instid1(VALU_DEP_1)
	v_cvt_u32_f32_e32 v4, v4
	v_readfirstlane_b32 s10, v4
	s_mul_i32 s11, s11, s10
	s_delay_alu instid0(SALU_CYCLE_1) | instskip(NEXT) | instid1(SALU_CYCLE_1)
	s_mul_hi_u32 s11, s10, s11
	s_add_co_i32 s10, s10, s11
	s_delay_alu instid0(SALU_CYCLE_1) | instskip(NEXT) | instid1(SALU_CYCLE_1)
	s_mul_hi_u32 s10, s56, s10
	s_mul_i32 s10, s10, s34
	s_delay_alu instid0(SALU_CYCLE_1) | instskip(NEXT) | instid1(SALU_CYCLE_1)
	s_sub_co_i32 s10, s56, s10
	s_sub_co_i32 s11, s10, s34
	s_cmp_ge_u32 s10, s34
	s_cselect_b32 s10, s11, s10
	s_delay_alu instid0(SALU_CYCLE_1) | instskip(SKIP_2) | instid1(SALU_CYCLE_1)
	s_sub_co_i32 s11, s10, s34
	s_cmp_ge_u32 s10, s34
	s_cselect_b32 s28, s11, s10
	s_mov_b64 s[10:11], s[28:29]
.LBB120_384:                            ;   in Loop: Header=BB120_6 Depth=1
	s_delay_alu instid0(SALU_CYCLE_1)
	s_sub_nc_u64 s[10:11], s[56:57], s[10:11]
	s_mov_b32 s16, exec_lo
                                        ; implicit-def: $vgpr42
	v_nop
	v_cmpx_gt_u64_e64 s[10:11], v[0:1]
	s_cbranch_execz .LBB120_393
; %bb.385:                              ;   in Loop: Header=BB120_6 Depth=1
	v_mov_b64_e32 v[4:5], v[14:15]
	v_mov_b64_e32 v[8:9], v[0:1]
	s_mov_b32 s17, 0
                                        ; implicit-def: $sgpr19
	s_branch .LBB120_388
.LBB120_386:                            ;   in Loop: Header=BB120_388 Depth=2
	s_or_b32 exec_lo, exec_lo, s28
	s_wait_dscnt 0x0
	s_barrier_signal -1
	s_barrier_wait -1
	ds_load_u16 v10, v3 offset:3072
	s_mov_b32 s28, -1
	s_mov_b32 s46, -1
	s_wait_dscnt 0x0
	s_barrier_signal -1
	s_barrier_wait -1
	v_and_b32_e32 v11, 0xff, v10
	s_delay_alu instid0(VALU_DEP_1)
	v_cmp_eq_u32_e32 vcc_lo, 0, v11
	s_cbranch_vccnz .LBB120_391
.LBB120_387:                            ;   in Loop: Header=BB120_388 Depth=2
	s_and_b32 s8, exec_lo, s28
	s_delay_alu instid0(SALU_CYCLE_1) | instskip(SKIP_2) | instid1(SALU_CYCLE_1)
	s_or_b32 s17, s8, s17
	s_and_not1_b32 s8, s19, exec_lo
	s_and_b32 s19, s46, exec_lo
	s_or_b32 s19, s8, s19
	s_and_not1_b32 exec_lo, exec_lo, s17
	s_cbranch_execz .LBB120_392
.LBB120_388:                            ;   Parent Loop BB120_6 Depth=1
                                        ; =>  This Inner Loop Header: Depth=2
	s_mov_b32 s28, exec_lo
	s_delay_alu instid0(VALU_DEP_1)
	v_cmpx_gt_u64_e64 s[36:37], v[8:9]
	s_cbranch_execz .LBB120_386
; %bb.389:                              ;   in Loop: Header=BB120_388 Depth=2
	global_load_u8 v10, v[4:5], off
	s_wait_loadcnt 0x0
	v_bitop3_b32 v11, v10, 0xff, v41 bitop3:0x80
	s_delay_alu instid0(VALU_DEP_1)
	v_cmp_eq_u32_e32 vcc_lo, v11, v39
	s_and_b32 exec_lo, exec_lo, vcc_lo
	s_cbranch_execz .LBB120_386
; %bb.390:                              ;   in Loop: Header=BB120_388 Depth=2
	v_lshlrev_b16 v10, 8, v10
	s_delay_alu instid0(VALU_DEP_1)
	v_or_b32_e32 v10, 1, v10
	ds_store_b16 v3, v10 offset:3072
	s_branch .LBB120_386
.LBB120_391:                            ;   in Loop: Header=BB120_388 Depth=2
	v_add_nc_u64_e32 v[8:9], s[34:35], v[8:9]
	v_add_nc_u64_e32 v[4:5], s[40:41], v[4:5]
	s_mov_b32 s46, 0
	s_delay_alu instid0(VALU_DEP_2)
	v_cmp_le_u64_e32 vcc_lo, s[10:11], v[8:9]
	s_or_not1_b32 s28, vcc_lo, exec_lo
	s_branch .LBB120_387
.LBB120_392:                            ;   in Loop: Header=BB120_6 Depth=1
	s_or_b32 exec_lo, exec_lo, s17
	v_and_b32_e32 v4, 0xffff, v10
	s_and_not1_b32 s8, s18, exec_lo
	s_and_b32 s10, s19, exec_lo
	s_delay_alu instid0(SALU_CYCLE_1) | instskip(NEXT) | instid1(VALU_DEP_1)
	s_or_b32 s18, s8, s10
	v_lshrrev_b32_e32 v42, 8, v4
.LBB120_393:                            ;   in Loop: Header=BB120_6 Depth=1
	s_or_b32 exec_lo, exec_lo, s16
	s_mov_b32 s66, 0
	s_mov_b32 s68, -1
.LBB120_394:                            ;   in Loop: Header=BB120_6 Depth=1
	s_or_not1_b32 s10, s18, exec_lo
.LBB120_395:                            ;   in Loop: Header=BB120_6 Depth=1
	s_or_b32 exec_lo, exec_lo, s70
	s_mov_b32 s11, 0
	s_and_saveexec_b32 s18, s10
	s_cbranch_execz .LBB120_457
; %bb.396:                              ;   in Loop: Header=BB120_6 Depth=1
	v_mov_b64_e32 v[4:5], 1
	v_mov_b32_e32 v2, 1
	s_xor_b32 s16, s69, -1
	s_delay_alu instid0(SALU_CYCLE_1)
	s_and_saveexec_b32 s10, s16
	s_cbranch_execz .LBB120_405
; %bb.397:                              ;   in Loop: Header=BB120_6 Depth=1
	s_mov_b32 s11, exec_lo
	v_cmpx_ge_u64_e64 s[14:15], v[6:7]
	s_xor_b32 s11, exec_lo, s11
	s_cbranch_execz .LBB120_402
; %bb.398:                              ;   in Loop: Header=BB120_6 Depth=1
	ds_load_b64 v[4:5], v3 offset:5120
	s_lshl_b32 s16, 1, s91
	v_or_b32_e32 v41, s24, v41
	v_and_or_b32 v39, v39, s25, s16
	s_wait_dscnt 0x0
	v_cmp_ne_u64_e32 vcc_lo, 0, v[4:5]
	s_cbranch_vccnz .LBB120_402
; %bb.399:                              ;   in Loop: Header=BB120_6 Depth=1
	s_and_saveexec_b32 s16, s5
; %bb.400:                              ;   in Loop: Header=BB120_6 Depth=1
	v_mov_b64_e32 v[4:5], s[14:15]
	ds_store_b64 v3, v[4:5] offset:5128
; %bb.401:                              ;   in Loop: Header=BB120_6 Depth=1
	s_or_b32 exec_lo, exec_lo, s16
	s_wait_dscnt 0x0
	s_barrier_signal -1
	s_barrier_wait -1
.LBB120_402:                            ;   in Loop: Header=BB120_6 Depth=1
	s_or_saveexec_b32 s11, s11
	v_mov_b32_e32 v2, 5
	s_mov_b32 s16, 0
	s_xor_b32 exec_lo, exec_lo, s11
; %bb.403:                              ;   in Loop: Header=BB120_6 Depth=1
	v_sub_nc_u64_e64 v[6:7], v[6:7], s[14:15]
	v_mov_b32_e32 v2, 0
	s_mov_b32 s16, exec_lo
; %bb.404:                              ;   in Loop: Header=BB120_6 Depth=1
	s_or_b32 exec_lo, exec_lo, s11
	s_delay_alu instid0(VALU_DEP_2)
	v_mov_b64_e32 v[4:5], v[6:7]
	s_and_b32 s11, s16, exec_lo
.LBB120_405:                            ;   in Loop: Header=BB120_6 Depth=1
	s_or_b32 exec_lo, exec_lo, s10
	s_mov_b32 s10, -1
                                        ; implicit-def: $sgpr72
                                        ; implicit-def: $sgpr71
	s_and_saveexec_b32 s19, s11
	s_cbranch_execz .LBB120_456
; %bb.406:                              ;   in Loop: Header=BB120_6 Depth=1
	s_delay_alu instid0(VALU_DEP_1) | instskip(SKIP_3) | instid1(SALU_CYCLE_1)
	v_cmp_eq_u64_e32 vcc_lo, 1, v[4:5]
	s_cmp_eq_u64 s[12:13], 1
	s_mov_b32 s11, -1
	s_cselect_b32 s10, -1, 0
                                        ; implicit-def: $sgpr72
                                        ; implicit-def: $sgpr71
	s_and_b32 s69, s10, vcc_lo
	s_delay_alu instid0(SALU_CYCLE_1)
	s_and_saveexec_b32 s70, s69
	s_cbranch_execz .LBB120_444
; %bb.407:                              ;   in Loop: Header=BB120_6 Depth=1
	ds_load_b64 v[6:7], v3 offset:5120
	s_wait_dscnt 0x0
	s_barrier_signal -1
	s_barrier_wait -1
	v_readfirstlane_b32 s10, v6
	v_readfirstlane_b32 s11, v7
	s_and_saveexec_b32 s14, s6
; %bb.408:                              ;   in Loop: Header=BB120_6 Depth=1
	ds_store_b8 v0, v3 offset:3072
; %bb.409:                              ;   in Loop: Header=BB120_6 Depth=1
	s_or_b32 exec_lo, exec_lo, s14
	v_and_b32_e32 v39, s25, v39
	v_or_b32_e32 v41, s24, v41
	s_mov_b32 s71, -1
	s_mov_b32 s72, 0
	s_cmp_eq_u64 s[10:11], 0
	s_mov_b32 s16, 0
	s_mov_b32 s17, -1
	s_wait_dscnt 0x0
	s_barrier_signal -1
	s_barrier_wait -1
                                        ; implicit-def: $vgpr42
	s_cbranch_scc1 .LBB120_427
; %bb.410:                              ;   in Loop: Header=BB120_6 Depth=1
	s_add_nc_u64 s[14:15], s[10:11], s[54:55]
	s_delay_alu instid0(SALU_CYCLE_1) | instskip(NEXT) | instid1(SALU_CYCLE_1)
	s_and_b64 s[16:17], s[14:15], 0xffffffff00000000
	s_cmp_lg_u64 s[16:17], 0
	s_cbranch_scc0 .LBB120_414
; %bb.411:                              ;   in Loop: Header=BB120_6 Depth=1
	s_cvt_f32_u32 s16, s34
	s_sub_nc_u64 s[46:47], 0, s[34:35]
	s_delay_alu instid0(SALU_CYCLE_2) | instskip(NEXT) | instid1(SALU_CYCLE_3)
	s_fmamk_f32 s16, s92, 0x0, s16
	v_s_rcp_f32 s16, s16
	s_delay_alu instid0(TRANS32_DEP_1) | instskip(NEXT) | instid1(SALU_CYCLE_3)
	s_mul_f32 s16, s16, 0x5f7ffffc
	s_mul_f32 s17, s16, 0x2f800000
	s_delay_alu instid0(SALU_CYCLE_3) | instskip(NEXT) | instid1(SALU_CYCLE_3)
	s_trunc_f32 s17, s17
	s_fmamk_f32 s16, s17, 0xcf800000, s16
	s_cvt_u32_f32 s17, s17
	s_delay_alu instid0(SALU_CYCLE_2) | instskip(NEXT) | instid1(SALU_CYCLE_3)
	s_cvt_u32_f32 s16, s16
	s_mul_u64 s[48:49], s[46:47], s[16:17]
	s_delay_alu instid0(SALU_CYCLE_1)
	s_mul_hi_u32 s75, s16, s49
	s_mul_i32 s74, s16, s49
	s_mul_hi_u32 s28, s16, s48
	s_mul_i32 s51, s17, s48
	s_add_nc_u64 s[74:75], s[28:29], s[74:75]
	s_mul_hi_u32 s50, s17, s48
	s_mul_hi_u32 s52, s17, s49
	s_add_co_u32 s28, s74, s51
	s_add_co_ci_u32 s28, s75, s50
	s_mul_i32 s48, s17, s49
	s_add_co_ci_u32 s49, s52, 0
	s_delay_alu instid0(SALU_CYCLE_1) | instskip(NEXT) | instid1(SALU_CYCLE_1)
	s_add_nc_u64 s[48:49], s[28:29], s[48:49]
	s_add_co_u32 s16, s16, s48
	s_cselect_b32 s28, -1, 0
	s_delay_alu instid0(SALU_CYCLE_1) | instskip(SKIP_1) | instid1(SALU_CYCLE_1)
	s_cmp_lg_u32 s28, 0
	s_add_co_ci_u32 s17, s17, s49
	s_mul_u64 s[46:47], s[46:47], s[16:17]
	s_delay_alu instid0(SALU_CYCLE_1)
	s_mul_hi_u32 s49, s16, s47
	s_mul_i32 s48, s16, s47
	s_mul_hi_u32 s28, s16, s46
	s_mul_i32 s51, s17, s46
	s_add_nc_u64 s[48:49], s[28:29], s[48:49]
	s_mul_hi_u32 s50, s17, s46
	s_mul_hi_u32 s52, s17, s47
	s_add_co_u32 s28, s48, s51
	s_add_co_ci_u32 s28, s49, s50
	s_mul_i32 s46, s17, s47
	s_add_co_ci_u32 s47, s52, 0
	s_delay_alu instid0(SALU_CYCLE_1) | instskip(NEXT) | instid1(SALU_CYCLE_1)
	s_add_nc_u64 s[46:47], s[28:29], s[46:47]
	s_add_co_u32 s16, s16, s46
	s_cselect_b32 s46, -1, 0
	s_mul_hi_u32 s28, s14, s16
	s_cmp_lg_u32 s46, 0
	s_mul_hi_u32 s48, s15, s16
	s_add_co_ci_u32 s46, s17, s47
	s_mul_i32 s47, s15, s16
	s_mul_hi_u32 s17, s14, s46
	s_mul_i32 s16, s14, s46
	s_mul_hi_u32 s49, s15, s46
	s_add_nc_u64 s[16:17], s[28:29], s[16:17]
	s_mul_i32 s46, s15, s46
	s_add_co_u32 s16, s16, s47
	s_add_co_ci_u32 s28, s17, s48
	s_add_co_ci_u32 s47, s49, 0
	s_delay_alu instid0(SALU_CYCLE_1) | instskip(NEXT) | instid1(SALU_CYCLE_1)
	s_add_nc_u64 s[16:17], s[28:29], s[46:47]
	s_and_b64 s[46:47], s[16:17], 0xffffffff00000000
	s_delay_alu instid0(SALU_CYCLE_1) | instskip(NEXT) | instid1(SALU_CYCLE_1)
	s_or_b32 s46, s46, s16
	s_mul_u64 s[16:17], s[34:35], s[46:47]
	s_delay_alu instid0(SALU_CYCLE_1) | instskip(SKIP_1) | instid1(SALU_CYCLE_1)
	s_sub_co_u32 s16, s14, s16
	s_cselect_b32 s28, -1, 0
	s_cmp_lg_u32 s28, 0
	s_sub_co_ci_u32 s17, s15, s17
	s_sub_co_u32 s28, s16, s34
	s_cselect_b32 s46, -1, 0
	s_delay_alu instid0(SALU_CYCLE_1) | instskip(SKIP_3) | instid1(SALU_CYCLE_1)
	s_cmp_lg_u32 s46, 0
	s_sub_co_ci_u32 s46, s17, 0
	s_sub_co_u32 s47, s28, s34
	s_cselect_b32 s48, -1, 0
	s_cmp_lg_u32 s48, 0
	s_sub_co_ci_u32 s48, s46, 0
	s_cmp_ge_u32 s28, s34
	s_cselect_b32 s49, -1, 0
	s_cmp_eq_u32 s46, 0
	s_cselect_b32 s49, s49, -1
	s_delay_alu instid0(SALU_CYCLE_1)
	s_cmp_lg_u32 s49, 0
	s_cselect_b32 s46, s48, s46
	s_cselect_b32 s28, s47, s28
	s_cmp_ge_u32 s16, s34
	s_cselect_b32 s47, -1, 0
	s_cmp_eq_u32 s17, 0
	s_cselect_b32 s47, s47, -1
	s_delay_alu instid0(SALU_CYCLE_1)
	s_cmp_lg_u32 s47, 0
	s_cselect_b32 s17, s46, s17
	s_cselect_b32 s16, s28, s16
	s_mov_b32 s28, 0
	s_branch .LBB120_415
.LBB120_412:                            ;   in Loop: Header=BB120_6 Depth=1
                                        ; implicit-def: $sgpr18_sgpr19
	s_branch .LBB120_367
.LBB120_413:                            ;   in Loop: Header=BB120_6 Depth=1
                                        ; implicit-def: $sgpr10_sgpr11
	s_branch .LBB120_383
.LBB120_414:                            ;   in Loop: Header=BB120_6 Depth=1
	s_mov_b32 s28, -1
                                        ; implicit-def: $sgpr16_sgpr17
.LBB120_415:                            ;   in Loop: Header=BB120_6 Depth=1
	s_delay_alu instid0(SALU_CYCLE_1)
	s_and_not1_b32 vcc_lo, exec_lo, s28
	s_cbranch_vccnz .LBB120_417
; %bb.416:                              ;   in Loop: Header=BB120_6 Depth=1
	v_cvt_f32_u32_e32 v6, s34
	s_sub_co_i32 s17, 0, s34
	s_delay_alu instid0(VALU_DEP_1) | instskip(SKIP_1) | instid1(TRANS32_DEP_1)
	v_rcp_iflag_f32_e32 v6, v6
	v_nop
	v_mul_f32_e32 v6, 0x4f7ffffe, v6
	s_delay_alu instid0(VALU_DEP_1) | instskip(NEXT) | instid1(VALU_DEP_1)
	v_cvt_u32_f32_e32 v6, v6
	v_readfirstlane_b32 s16, v6
	s_mul_i32 s17, s17, s16
	s_delay_alu instid0(SALU_CYCLE_1) | instskip(NEXT) | instid1(SALU_CYCLE_1)
	s_mul_hi_u32 s17, s16, s17
	s_add_co_i32 s16, s16, s17
	s_delay_alu instid0(SALU_CYCLE_1) | instskip(NEXT) | instid1(SALU_CYCLE_1)
	s_mul_hi_u32 s16, s14, s16
	s_mul_i32 s16, s16, s34
	s_delay_alu instid0(SALU_CYCLE_1) | instskip(NEXT) | instid1(SALU_CYCLE_1)
	s_sub_co_i32 s16, s14, s16
	s_sub_co_i32 s17, s16, s34
	s_cmp_ge_u32 s16, s34
	s_cselect_b32 s16, s17, s16
	s_delay_alu instid0(SALU_CYCLE_1) | instskip(SKIP_2) | instid1(SALU_CYCLE_1)
	s_sub_co_i32 s17, s16, s34
	s_cmp_ge_u32 s16, s34
	s_cselect_b32 s28, s17, s16
	s_mov_b64 s[16:17], s[28:29]
.LBB120_417:                            ;   in Loop: Header=BB120_6 Depth=1
	s_delay_alu instid0(SALU_CYCLE_1)
	s_sub_nc_u64 s[14:15], s[14:15], s[16:17]
	s_mov_b32 s17, 0
	s_mov_b32 s16, 0
	s_mov_b32 s28, exec_lo
                                        ; implicit-def: $vgpr42
	v_cmpx_gt_u64_e64 s[14:15], v[0:1]
	s_cbranch_execz .LBB120_426
; %bb.418:                              ;   in Loop: Header=BB120_6 Depth=1
	v_mov_b64_e32 v[6:7], v[0:1]
	v_mov_b32_e32 v8, v0
                                        ; implicit-def: $sgpr46
	s_branch .LBB120_421
.LBB120_419:                            ;   in Loop: Header=BB120_421 Depth=2
	s_or_b32 exec_lo, exec_lo, s47
	s_wait_dscnt 0x0
	s_barrier_signal -1
	s_barrier_wait -1
	ds_load_u16 v9, v3 offset:3072
	s_mov_b32 s47, -1
	s_mov_b32 s48, -1
	s_wait_dscnt 0x0
	s_barrier_signal -1
	s_barrier_wait -1
	v_and_b32_e32 v10, 0xff, v9
	s_delay_alu instid0(VALU_DEP_1)
	v_cmp_ne_u32_e32 vcc_lo, 0, v10
	s_cbranch_vccz .LBB120_424
.LBB120_420:                            ;   in Loop: Header=BB120_421 Depth=2
	s_and_b32 s8, exec_lo, s47
	s_delay_alu instid0(SALU_CYCLE_1) | instskip(SKIP_2) | instid1(SALU_CYCLE_1)
	s_or_b32 s16, s8, s16
	s_and_not1_b32 s8, s46, exec_lo
	s_and_b32 s46, s48, exec_lo
	s_or_b32 s46, s8, s46
	s_and_not1_b32 exec_lo, exec_lo, s16
	s_cbranch_execz .LBB120_425
.LBB120_421:                            ;   Parent Loop BB120_6 Depth=1
                                        ; =>  This Inner Loop Header: Depth=2
	s_mov_b32 s47, exec_lo
	s_delay_alu instid0(VALU_DEP_2)
	v_cmpx_gt_u64_e64 s[10:11], v[6:7]
	s_cbranch_execz .LBB120_419
; %bb.422:                              ;   in Loop: Header=BB120_421 Depth=2
	ds_load_u8 v9, v8
	s_wait_dscnt 0x0
	v_bitop3_b32 v10, v9, 0xff, v41 bitop3:0x80
	s_delay_alu instid0(VALU_DEP_1)
	v_cmp_eq_u32_e32 vcc_lo, v10, v39
	s_and_b32 exec_lo, exec_lo, vcc_lo
	s_cbranch_execz .LBB120_419
; %bb.423:                              ;   in Loop: Header=BB120_421 Depth=2
	v_lshlrev_b16 v9, 8, v9
	s_delay_alu instid0(VALU_DEP_1)
	v_or_b32_e32 v9, 1, v9
	ds_store_b16 v3, v9 offset:3072
	s_branch .LBB120_419
.LBB120_424:                            ;   in Loop: Header=BB120_421 Depth=2
	v_add_nc_u64_e32 v[6:7], s[34:35], v[6:7]
	v_add_nc_u32_e32 v8, s34, v8
	s_mov_b32 s48, 0
	s_delay_alu instid0(VALU_DEP_2)
	v_cmp_le_u64_e32 vcc_lo, s[14:15], v[6:7]
	s_or_not1_b32 s47, vcc_lo, exec_lo
	s_branch .LBB120_420
.LBB120_425:                            ;   in Loop: Header=BB120_6 Depth=1
	s_or_b32 exec_lo, exec_lo, s16
	v_and_b32_e32 v6, 0xffff, v9
	s_and_b32 s16, s46, exec_lo
	s_delay_alu instid0(VALU_DEP_1)
	v_lshrrev_b32_e32 v42, 8, v6
.LBB120_426:                            ;   in Loop: Header=BB120_6 Depth=1
	s_or_b32 exec_lo, exec_lo, s28
.LBB120_427:                            ;   in Loop: Header=BB120_6 Depth=1
	s_delay_alu instid0(SALU_CYCLE_1)
	s_and_b32 vcc_lo, exec_lo, s17
	s_cbranch_vccz .LBB120_443
; %bb.428:                              ;   in Loop: Header=BB120_6 Depth=1
	s_and_b64 s[10:11], s[56:57], 0xffffffff00000000
	s_delay_alu instid0(SALU_CYCLE_1)
	s_cmp_lg_u64 s[10:11], 0
	s_cbranch_scc0 .LBB120_430
; %bb.429:                              ;   in Loop: Header=BB120_6 Depth=1
	s_cvt_f32_u32 s10, s34
	s_sub_nc_u64 s[14:15], 0, s[34:35]
	s_delay_alu instid0(SALU_CYCLE_2) | instskip(NEXT) | instid1(SALU_CYCLE_3)
	s_fmamk_f32 s10, s92, 0x0, s10
	v_s_rcp_f32 s10, s10
	s_delay_alu instid0(TRANS32_DEP_1) | instskip(NEXT) | instid1(SALU_CYCLE_3)
	s_mul_f32 s10, s10, 0x5f7ffffc
	s_mul_f32 s11, s10, 0x2f800000
	s_delay_alu instid0(SALU_CYCLE_3) | instskip(NEXT) | instid1(SALU_CYCLE_3)
	s_trunc_f32 s11, s11
	s_fmamk_f32 s10, s11, 0xcf800000, s10
	s_cvt_u32_f32 s11, s11
	s_delay_alu instid0(SALU_CYCLE_2) | instskip(NEXT) | instid1(SALU_CYCLE_3)
	s_cvt_u32_f32 s10, s10
	s_mul_u64 s[46:47], s[14:15], s[10:11]
	s_delay_alu instid0(SALU_CYCLE_1)
	s_mul_hi_u32 s49, s10, s47
	s_mul_i32 s48, s10, s47
	s_mul_hi_u32 s28, s10, s46
	s_mul_i32 s50, s11, s46
	s_add_nc_u64 s[48:49], s[28:29], s[48:49]
	s_mul_hi_u32 s17, s11, s46
	s_mul_hi_u32 s51, s11, s47
	s_add_co_u32 s28, s48, s50
	s_add_co_ci_u32 s28, s49, s17
	s_mul_i32 s46, s11, s47
	s_add_co_ci_u32 s47, s51, 0
	s_delay_alu instid0(SALU_CYCLE_1) | instskip(NEXT) | instid1(SALU_CYCLE_1)
	s_add_nc_u64 s[46:47], s[28:29], s[46:47]
	s_add_co_u32 s10, s10, s46
	s_cselect_b32 s17, -1, 0
	s_delay_alu instid0(SALU_CYCLE_1) | instskip(SKIP_1) | instid1(SALU_CYCLE_1)
	s_cmp_lg_u32 s17, 0
	s_add_co_ci_u32 s11, s11, s47
	s_mul_u64 s[14:15], s[14:15], s[10:11]
	s_delay_alu instid0(SALU_CYCLE_1)
	s_mul_hi_u32 s47, s10, s15
	s_mul_i32 s46, s10, s15
	s_mul_hi_u32 s28, s10, s14
	s_mul_i32 s48, s11, s14
	s_add_nc_u64 s[46:47], s[28:29], s[46:47]
	s_mul_hi_u32 s17, s11, s14
	s_mul_hi_u32 s49, s11, s15
	s_mul_i32 s14, s11, s15
	s_add_co_u32 s15, s46, s48
	s_add_co_ci_u32 s28, s47, s17
	s_add_co_ci_u32 s15, s49, 0
	s_delay_alu instid0(SALU_CYCLE_1) | instskip(NEXT) | instid1(SALU_CYCLE_1)
	s_add_nc_u64 s[14:15], s[28:29], s[14:15]
	s_add_co_u32 s10, s10, s14
	s_cselect_b32 s14, -1, 0
	s_mul_hi_u32 s28, s56, s10
	s_cmp_lg_u32 s14, 0
	s_mul_hi_u32 s17, s57, s10
	s_add_co_ci_u32 s14, s11, s15
	s_mul_i32 s15, s57, s10
	s_mul_hi_u32 s11, s56, s14
	s_mul_i32 s10, s56, s14
	s_mul_hi_u32 s46, s57, s14
	s_add_nc_u64 s[10:11], s[28:29], s[10:11]
	s_mul_i32 s14, s57, s14
	s_add_co_u32 s10, s10, s15
	s_add_co_ci_u32 s28, s11, s17
	s_add_co_ci_u32 s15, s46, 0
	s_delay_alu instid0(SALU_CYCLE_1) | instskip(NEXT) | instid1(SALU_CYCLE_1)
	s_add_nc_u64 s[10:11], s[28:29], s[14:15]
	s_and_b64 s[14:15], s[10:11], 0xffffffff00000000
	s_delay_alu instid0(SALU_CYCLE_1) | instskip(NEXT) | instid1(SALU_CYCLE_1)
	s_or_b32 s14, s14, s10
	s_mul_u64 s[10:11], s[34:35], s[14:15]
	s_delay_alu instid0(SALU_CYCLE_1) | instskip(SKIP_1) | instid1(SALU_CYCLE_1)
	s_sub_co_u32 s10, s56, s10
	s_cselect_b32 s14, -1, 0
	s_cmp_lg_u32 s14, 0
	s_sub_co_ci_u32 s11, s57, s11
	s_sub_co_u32 s14, s10, s34
	s_cselect_b32 s15, -1, 0
	s_delay_alu instid0(SALU_CYCLE_1) | instskip(SKIP_3) | instid1(SALU_CYCLE_1)
	s_cmp_lg_u32 s15, 0
	s_sub_co_ci_u32 s15, s11, 0
	s_sub_co_u32 s17, s14, s34
	s_cselect_b32 s28, -1, 0
	s_cmp_lg_u32 s28, 0
	s_sub_co_ci_u32 s28, s15, 0
	s_cmp_ge_u32 s14, s34
	s_cselect_b32 s46, -1, 0
	s_cmp_eq_u32 s15, 0
	s_cselect_b32 s46, s46, -1
	s_delay_alu instid0(SALU_CYCLE_1)
	s_cmp_lg_u32 s46, 0
	s_cselect_b32 s15, s28, s15
	s_cselect_b32 s14, s17, s14
	s_cmp_ge_u32 s10, s34
	s_cselect_b32 s17, -1, 0
	s_cmp_eq_u32 s11, 0
	s_cselect_b32 s17, s17, -1
	s_delay_alu instid0(SALU_CYCLE_1)
	s_cmp_lg_u32 s17, 0
	s_cselect_b32 s11, s15, s11
	s_cselect_b32 s10, s14, s10
	s_mov_b32 s14, 0
	s_branch .LBB120_431
.LBB120_430:                            ;   in Loop: Header=BB120_6 Depth=1
	s_mov_b32 s14, -1
                                        ; implicit-def: $sgpr10_sgpr11
.LBB120_431:                            ;   in Loop: Header=BB120_6 Depth=1
	s_delay_alu instid0(SALU_CYCLE_1)
	s_and_not1_b32 vcc_lo, exec_lo, s14
	s_cbranch_vccnz .LBB120_433
; %bb.432:                              ;   in Loop: Header=BB120_6 Depth=1
	v_cvt_f32_u32_e32 v6, s34
	s_sub_co_i32 s11, 0, s34
	s_delay_alu instid0(VALU_DEP_1) | instskip(SKIP_1) | instid1(TRANS32_DEP_1)
	v_rcp_iflag_f32_e32 v6, v6
	v_nop
	v_mul_f32_e32 v6, 0x4f7ffffe, v6
	s_delay_alu instid0(VALU_DEP_1) | instskip(NEXT) | instid1(VALU_DEP_1)
	v_cvt_u32_f32_e32 v6, v6
	v_readfirstlane_b32 s10, v6
	s_mul_i32 s11, s11, s10
	s_delay_alu instid0(SALU_CYCLE_1) | instskip(NEXT) | instid1(SALU_CYCLE_1)
	s_mul_hi_u32 s11, s10, s11
	s_add_co_i32 s10, s10, s11
	s_delay_alu instid0(SALU_CYCLE_1) | instskip(NEXT) | instid1(SALU_CYCLE_1)
	s_mul_hi_u32 s10, s56, s10
	s_mul_i32 s10, s10, s34
	s_delay_alu instid0(SALU_CYCLE_1) | instskip(NEXT) | instid1(SALU_CYCLE_1)
	s_sub_co_i32 s10, s56, s10
	s_sub_co_i32 s11, s10, s34
	s_cmp_ge_u32 s10, s34
	s_cselect_b32 s10, s11, s10
	s_delay_alu instid0(SALU_CYCLE_1) | instskip(SKIP_2) | instid1(SALU_CYCLE_1)
	s_sub_co_i32 s11, s10, s34
	s_cmp_ge_u32 s10, s34
	s_cselect_b32 s28, s11, s10
	s_mov_b64 s[10:11], s[28:29]
.LBB120_433:                            ;   in Loop: Header=BB120_6 Depth=1
	s_delay_alu instid0(SALU_CYCLE_1)
	s_sub_nc_u64 s[10:11], s[56:57], s[10:11]
	s_mov_b32 s14, exec_lo
                                        ; implicit-def: $vgpr42
	v_nop
	v_cmpx_gt_u64_e64 s[10:11], v[0:1]
	s_cbranch_execz .LBB120_442
; %bb.434:                              ;   in Loop: Header=BB120_6 Depth=1
	v_mov_b64_e32 v[6:7], v[14:15]
	v_mov_b64_e32 v[8:9], v[0:1]
	s_mov_b32 s15, 0
                                        ; implicit-def: $sgpr17
	s_branch .LBB120_437
.LBB120_435:                            ;   in Loop: Header=BB120_437 Depth=2
	s_or_b32 exec_lo, exec_lo, s28
	s_wait_dscnt 0x0
	s_barrier_signal -1
	s_barrier_wait -1
	ds_load_u16 v10, v3 offset:3072
	s_mov_b32 s28, -1
	s_mov_b32 s46, -1
	s_wait_dscnt 0x0
	s_barrier_signal -1
	s_barrier_wait -1
	v_and_b32_e32 v11, 0xff, v10
	s_delay_alu instid0(VALU_DEP_1)
	v_cmp_eq_u32_e32 vcc_lo, 0, v11
	s_cbranch_vccnz .LBB120_440
.LBB120_436:                            ;   in Loop: Header=BB120_437 Depth=2
	s_and_b32 s8, exec_lo, s28
	s_delay_alu instid0(SALU_CYCLE_1) | instskip(SKIP_2) | instid1(SALU_CYCLE_1)
	s_or_b32 s15, s8, s15
	s_and_not1_b32 s8, s17, exec_lo
	s_and_b32 s17, s46, exec_lo
	s_or_b32 s17, s8, s17
	s_and_not1_b32 exec_lo, exec_lo, s15
	s_cbranch_execz .LBB120_441
.LBB120_437:                            ;   Parent Loop BB120_6 Depth=1
                                        ; =>  This Inner Loop Header: Depth=2
	s_mov_b32 s28, exec_lo
	s_delay_alu instid0(VALU_DEP_1)
	v_cmpx_gt_u64_e64 s[36:37], v[8:9]
	s_cbranch_execz .LBB120_435
; %bb.438:                              ;   in Loop: Header=BB120_437 Depth=2
	global_load_u8 v10, v[6:7], off
	s_wait_loadcnt 0x0
	v_bitop3_b32 v11, v10, 0xff, v41 bitop3:0x80
	s_delay_alu instid0(VALU_DEP_1)
	v_cmp_eq_u32_e32 vcc_lo, v11, v39
	s_and_b32 exec_lo, exec_lo, vcc_lo
	s_cbranch_execz .LBB120_435
; %bb.439:                              ;   in Loop: Header=BB120_437 Depth=2
	v_lshlrev_b16 v10, 8, v10
	s_delay_alu instid0(VALU_DEP_1)
	v_or_b32_e32 v10, 1, v10
	ds_store_b16 v3, v10 offset:3072
	s_branch .LBB120_435
.LBB120_440:                            ;   in Loop: Header=BB120_437 Depth=2
	v_add_nc_u64_e32 v[8:9], s[34:35], v[8:9]
	v_add_nc_u64_e32 v[6:7], s[40:41], v[6:7]
	s_mov_b32 s46, 0
	s_delay_alu instid0(VALU_DEP_2)
	v_cmp_le_u64_e32 vcc_lo, s[10:11], v[8:9]
	s_or_not1_b32 s28, vcc_lo, exec_lo
	s_branch .LBB120_436
.LBB120_441:                            ;   in Loop: Header=BB120_6 Depth=1
	s_or_b32 exec_lo, exec_lo, s15
	v_and_b32_e32 v6, 0xffff, v10
	s_and_not1_b32 s8, s16, exec_lo
	s_and_b32 s10, s17, exec_lo
	s_delay_alu instid0(SALU_CYCLE_1) | instskip(NEXT) | instid1(VALU_DEP_1)
	s_or_b32 s16, s8, s10
	v_lshrrev_b32_e32 v42, 8, v6
.LBB120_442:                            ;   in Loop: Header=BB120_6 Depth=1
	s_or_b32 exec_lo, exec_lo, s14
	s_mov_b32 s71, 0
	s_mov_b32 s72, -1
.LBB120_443:                            ;   in Loop: Header=BB120_6 Depth=1
	s_or_not1_b32 s11, s16, exec_lo
.LBB120_444:                            ;   in Loop: Header=BB120_6 Depth=1
	s_or_b32 exec_lo, exec_lo, s70
	s_mov_b32 s14, 0
	s_and_saveexec_b32 s10, s11
	s_cbranch_execz .LBB120_455
; %bb.445:                              ;   in Loop: Header=BB120_6 Depth=1
	v_mov_b64_e32 v[6:7], 1
	v_mov_b32_e32 v2, 1
	s_xor_b32 s14, s69, -1
	s_delay_alu instid0(SALU_CYCLE_1)
	s_and_saveexec_b32 s11, s14
	s_cbranch_execz .LBB120_454
; %bb.446:                              ;   in Loop: Header=BB120_6 Depth=1
	s_mov_b32 s14, exec_lo
	v_cmpx_ge_u64_e64 s[12:13], v[4:5]
	s_xor_b32 s14, exec_lo, s14
	s_cbranch_execz .LBB120_451
; %bb.447:                              ;   in Loop: Header=BB120_6 Depth=1
	ds_load_b64 v[6:7], v3 offset:5120
	v_and_b32_e32 v39, s25, v39
	v_or_b32_e32 v41, s24, v41
	s_wait_dscnt 0x0
	v_cmp_ne_u64_e32 vcc_lo, 0, v[6:7]
	s_cbranch_vccnz .LBB120_451
; %bb.448:                              ;   in Loop: Header=BB120_6 Depth=1
	s_and_saveexec_b32 s15, s5
; %bb.449:                              ;   in Loop: Header=BB120_6 Depth=1
	v_mov_b64_e32 v[6:7], s[12:13]
	ds_store_b64 v3, v[6:7] offset:5128
; %bb.450:                              ;   in Loop: Header=BB120_6 Depth=1
	s_or_b32 exec_lo, exec_lo, s15
	s_wait_dscnt 0x0
	s_barrier_signal -1
	s_barrier_wait -1
.LBB120_451:                            ;   in Loop: Header=BB120_6 Depth=1
	s_and_not1_saveexec_b32 s14, s14
; %bb.452:                              ;   in Loop: Header=BB120_6 Depth=1
	v_sub_nc_u64_e64 v[4:5], v[4:5], s[12:13]
; %bb.453:                              ;   in Loop: Header=BB120_6 Depth=1
	s_or_b32 exec_lo, exec_lo, s14
	s_delay_alu instid0(VALU_DEP_1)
	v_mov_b64_e32 v[6:7], v[4:5]
	v_mov_b32_e32 v2, 5
.LBB120_454:                            ;   in Loop: Header=BB120_6 Depth=1
	s_or_b32 exec_lo, exec_lo, s11
	s_delay_alu instid0(VALU_DEP_2)
	v_mov_b64_e32 v[4:5], v[6:7]
	s_mov_b32 s14, exec_lo
.LBB120_455:                            ;   in Loop: Header=BB120_6 Depth=1
	s_or_b32 exec_lo, exec_lo, s10
	s_delay_alu instid0(SALU_CYCLE_1)
	s_or_not1_b32 s10, s14, exec_lo
.LBB120_456:                            ;   in Loop: Header=BB120_6 Depth=1
	s_or_b32 exec_lo, exec_lo, s19
	s_delay_alu instid0(VALU_DEP_1)
	v_mov_b64_e32 v[6:7], v[4:5]
	s_and_not1_b32 s11, s68, exec_lo
	s_and_b32 s12, s72, exec_lo
	s_and_not1_b32 s13, s66, exec_lo
	s_and_b32 s14, s71, exec_lo
	s_or_b32 s68, s11, s12
	s_or_b32 s66, s13, s14
	s_and_b32 s11, s10, exec_lo
.LBB120_457:                            ;   in Loop: Header=BB120_6 Depth=1
	s_or_b32 exec_lo, exec_lo, s18
	s_delay_alu instid0(SALU_CYCLE_1)
	s_or_not1_b32 s10, s11, exec_lo
.LBB120_458:                            ;   in Loop: Header=BB120_6 Depth=1
	s_or_b32 exec_lo, exec_lo, s21
	v_mov_b64_e32 v[4:5], v[6:7]
	s_and_not1_b32 s11, s65, exec_lo
	s_and_b32 s12, s68, exec_lo
	s_and_not1_b32 s13, s23, exec_lo
	s_and_b32 s14, s66, exec_lo
	s_or_b32 s65, s11, s12
	s_or_b32 s23, s13, s14
	s_and_b32 s11, s10, exec_lo
.LBB120_459:                            ;   in Loop: Header=BB120_6 Depth=1
	s_or_b32 exec_lo, exec_lo, s20
	s_delay_alu instid0(SALU_CYCLE_1)
	s_or_not1_b32 s10, s11, exec_lo
.LBB120_460:                            ;   in Loop: Header=BB120_6 Depth=1
	s_or_b32 exec_lo, exec_lo, s9
	s_mov_b32 s9, s64
	s_mov_b32 s11, s27
	s_and_saveexec_b32 s12, s10
; %bb.461:                              ;   in Loop: Header=BB120_6 Depth=1
	v_cmp_ne_u32_e32 vcc_lo, 5, v2
	v_cmp_eq_u32_e64 s9, 5, v2
	s_and_not1_b32 s10, s27, exec_lo
	s_and_not1_b32 s13, s64, exec_lo
	s_and_b32 s11, vcc_lo, exec_lo
	s_and_b32 s9, s9, exec_lo
	s_or_b32 s11, s10, s11
	s_or_b32 s9, s13, s9
; %bb.462:                              ;   in Loop: Header=BB120_6 Depth=1
	s_or_b32 exec_lo, exec_lo, s12
	s_delay_alu instid0(SALU_CYCLE_1)
	s_and_not1_b32 s8, s67, exec_lo
	s_and_b32 s10, s65, exec_lo
	s_and_not1_b32 s12, s26, exec_lo
	s_and_b32 s13, s23, exec_lo
	s_or_b32 s67, s8, s10
	s_and_not1_b32 s8, s27, exec_lo
	s_and_b32 s10, s11, exec_lo
	s_and_not1_b32 s11, s64, exec_lo
	s_and_b32 s9, s9, exec_lo
	s_or_b32 s26, s12, s13
	s_or_b32 s27, s8, s10
	;; [unrolled: 1-line block ×3, first 2 shown]
.LBB120_463:                            ;   in Loop: Header=BB120_6 Depth=1
	s_or_b32 exec_lo, exec_lo, s22
	s_mov_b32 s65, 0
	s_mov_b32 s66, 0
	s_and_saveexec_b32 s9, s64
.LBB120_464:                            ;   in Loop: Header=BB120_6 Depth=1
	v_mov_b32_e32 v2, 0
	s_or_b32 s27, s27, exec_lo
.LBB120_465:                            ;   in Loop: Header=BB120_6 Depth=1
	s_or_b32 exec_lo, exec_lo, s9
	v_mov_b64_e32 v[30:31], v[4:5]
	s_and_not1_b32 s8, s102, exec_lo
	s_and_b32 s9, s67, exec_lo
	s_and_not1_b32 s11, s100, exec_lo
	s_and_b32 s12, s26, exec_lo
	s_or_b32 s102, s8, s9
	s_or_b32 s100, s11, s12
	s_and_not1_b32 s8, s104, exec_lo
	s_and_b32 s9, s66, exec_lo
	s_and_not1_b32 s11, s103, exec_lo
	s_and_b32 s12, s65, exec_lo
	s_mov_b32 s10, -1
	s_and_not1_b32 s101, s101, exec_lo
	s_or_b32 s104, s8, s9
	s_or_b32 s103, s11, s12
	s_and_saveexec_b32 s8, s27
	s_delay_alu instid0(SALU_CYCLE_1)
	s_xor_b32 s9, exec_lo, s8
	s_cbranch_execz .LBB120_5
; %bb.466:                              ;   in Loop: Header=BB120_6 Depth=1
	s_mov_b32 s11, -1
	s_mov_b32 s12, exec_lo
	v_cmpx_eq_u32_e32 0, v2
	s_cbranch_execz .LBB120_4
; %bb.467:                              ;   in Loop: Header=BB120_6 Depth=1
	s_xor_b32 s95, s95, 1
	s_add_co_i32 s13, s91, -2
	s_cmp_eq_u32 s91, 0
	s_mov_b32 s91, s13
	s_cselect_b32 s10, -1, 0
	s_xor_b32 s11, exec_lo, -1
	s_or_not1_b32 s10, s10, exec_lo
	s_branch .LBB120_4
.LBB120_468:
	s_or_b32 exec_lo, exec_lo, s93
	s_xor_b32 s7, s99, -1
	s_xor_b32 s9, s97, -1
	;; [unrolled: 1-line block ×5, first 2 shown]
	s_mov_b32 s8, 0
	s_and_saveexec_b32 s12, s11
	s_delay_alu instid0(SALU_CYCLE_1)
	s_xor_b32 s16, exec_lo, s12
	s_cbranch_execnz .LBB120_473
; %bb.469:
	s_and_not1_saveexec_b32 s0, s16
	s_cbranch_execnz .LBB120_492
.LBB120_470:
	s_or_b32 exec_lo, exec_lo, s0
	s_and_saveexec_b32 s0, s8
.LBB120_471:
	; divergent unreachable
.LBB120_472:
	s_endpgm
.LBB120_473:
	s_and_saveexec_b32 s11, s10
	s_delay_alu instid0(SALU_CYCLE_1)
	s_xor_b32 s17, exec_lo, s11
	s_cbranch_execz .LBB120_490
; %bb.474:
	s_and_saveexec_b32 s10, s9
	s_delay_alu instid0(SALU_CYCLE_1)
	s_xor_b32 s18, exec_lo, s10
	s_cbranch_execz .LBB120_488
; %bb.475:
	;; [unrolled: 5-line block ×3, first 2 shown]
	s_and_saveexec_b32 s7, s6
	s_delay_alu instid0(SALU_CYCLE_1)
	s_xor_b32 s6, exec_lo, s7
; %bb.477:
	v_mov_b32_e32 v42, v39
; %bb.478:
	s_or_b32 exec_lo, exec_lo, s6
	s_and_saveexec_b32 s6, s5
; %bb.479:
	v_mov_b64_e32 v[2:3], 0
	v_mov_b32_e32 v4, 0
	ds_store_b64 v4, v[2:3] offset:5136
; %bb.480:
	s_or_b32 exec_lo, exec_lo, s6
	v_mov_b32_e32 v13, 0
	s_wait_dscnt 0x0
	s_barrier_signal -1
	s_barrier_wait -1
	s_and_saveexec_b32 s5, s3
	s_cbranch_execz .LBB120_482
; %bb.481:
	global_load_u8 v13, v[14:15], off
.LBB120_482:
	s_wait_xcnt 0x0
	s_or_b32 exec_lo, exec_lo, s5
	s_clause 0x1
	s_load_b64 s[6:7], s[0:1], 0x368
	s_load_b64 s[8:9], s[0:1], 0x510
	v_readlane_b32 s12, v52, 4
	v_readlane_b32 s13, v52, 5
	s_wait_xcnt 0x0
	s_add_nc_u64 s[0:1], s[36:37], 31
	s_mov_b64 s[10:11], 0xffffffffffffffe0
	v_readlane_b32 s14, v52, 6
	v_readlane_b32 s15, v52, 7
	s_and_b64 s[10:11], s[0:1], s[10:11]
	v_readlane_b32 s0, v52, 0
	v_readlane_b32 s1, v52, 1
	s_mul_u64 s[12:13], s[12:13], s[44:45]
	v_cmp_gt_u64_e32 vcc_lo, s[10:11], v[0:1]
	s_add_nc_u64 s[12:13], s[14:15], s[12:13]
	v_readlane_b32 s14, v52, 2
	v_readlane_b32 s15, v52, 3
	s_mul_u64 s[0:1], s[0:1], s[44:45]
	s_mov_b32 s5, 0
	s_lshl_b64 s[0:1], s[0:1], 3
	s_delay_alu instid0(SALU_CYCLE_1)
	s_add_nc_u64 s[14:15], s[14:15], s[0:1]
	s_mov_b32 s0, -1
	s_mov_b32 s1, 0
	s_and_saveexec_b32 s20, vcc_lo
	s_cbranch_execnz .LBB120_493
; %bb.483:
	s_or_b32 exec_lo, exec_lo, s20
	s_and_saveexec_b32 s4, s0
	s_cbranch_execnz .LBB120_508
.LBB120_484:
	s_or_b32 exec_lo, exec_lo, s4
	s_and_saveexec_b32 s0, s1
	s_delay_alu instid0(SALU_CYCLE_1)
	s_xor_b32 s0, exec_lo, s0
	s_cbranch_execnz .LBB120_531
.LBB120_485:
	s_or_b32 exec_lo, exec_lo, s0
	s_wait_kmcnt 0x0
	s_and_b32 s8, s5, exec_lo
.LBB120_486:
	s_and_not1_saveexec_b32 s0, s19
	s_cbranch_execnz .LBB120_533
.LBB120_487:
	s_or_b32 exec_lo, exec_lo, s0
	s_delay_alu instid0(SALU_CYCLE_1)
	s_and_b32 s8, s8, exec_lo
.LBB120_488:
	s_and_not1_saveexec_b32 s0, s18
	s_cbranch_execnz .LBB120_532
.LBB120_489:
	s_or_b32 exec_lo, exec_lo, s0
	s_delay_alu instid0(SALU_CYCLE_1)
	s_and_b32 s8, s8, exec_lo
.LBB120_490:
	s_and_not1_saveexec_b32 s0, s17
	s_cbranch_execnz .LBB120_527
.LBB120_491:
	s_or_b32 exec_lo, exec_lo, s0
	s_delay_alu instid0(SALU_CYCLE_1)
	s_and_b32 s8, s8, exec_lo
	s_and_not1_saveexec_b32 s0, s16
	s_cbranch_execz .LBB120_470
.LBB120_492:
	s_or_b32 s8, s8, exec_lo
	s_trap 2
	s_or_b32 exec_lo, exec_lo, s0
	s_and_saveexec_b32 s0, s8
	s_cbranch_execnz .LBB120_471
	s_branch .LBB120_472
.LBB120_493:
	v_dual_mov_b32 v5, 0 :: v_dual_add_nc_u32 v4, s34, v0
	v_mov_b64_e32 v[10:11], v[0:1]
	v_and_b32_e32 v18, 0xff, v42
	s_mov_b32 s21, 0
	s_delay_alu instid0(VALU_DEP_3) | instskip(NEXT) | instid1(VALU_DEP_1)
	v_mad_nc_u64_u32 v[2:3], s30, v4, s[42:43]
                                        ; implicit-def: $sgpr22
                                        ; implicit-def: $vgpr8_vgpr9
	v_mad_u32 v3, s31, v4, v3
	s_branch .LBB120_495
.LBB120_494:                            ;   in Loop: Header=BB120_495 Depth=1
	s_or_b32 exec_lo, exec_lo, s24
	s_xor_b32 s0, s23, -1
	s_and_b32 s1, exec_lo, s1
	v_mov_b64_e32 v[10:11], v[6:7]
	v_mov_b32_e32 v13, v19
	s_or_b32 s21, s1, s21
	s_and_not1_b32 s1, s22, exec_lo
	s_and_b32 s0, s0, exec_lo
	s_delay_alu instid0(SALU_CYCLE_1)
	s_or_b32 s22, s1, s0
	s_and_not1_b32 exec_lo, exec_lo, s21
	s_cbranch_execz .LBB120_507
.LBB120_495:                            ; =>This Inner Loop Header: Depth=1
	s_delay_alu instid0(VALU_DEP_4) | instskip(SKIP_2) | instid1(VALU_DEP_2)
	v_add_nc_u64_e32 v[6:7], s[34:35], v[10:11]
	v_mov_b32_e32 v19, 0
	s_mov_b32 s1, exec_lo
	v_cmpx_gt_u64_e64 s[36:37], v[6:7]
	s_cbranch_execz .LBB120_497
; %bb.496:                              ;   in Loop: Header=BB120_495 Depth=1
	global_load_u8 v19, v[2:3], off
.LBB120_497:                            ;   in Loop: Header=BB120_495 Depth=1
	s_wait_xcnt 0x0
	s_or_b32 exec_lo, exec_lo, s1
	s_wait_loadcnt 0x0
	v_and_b32_e32 v4, 0xff, v13
	s_delay_alu instid0(VALU_DEP_1) | instskip(NEXT) | instid1(VALU_DEP_1)
	v_cmp_gt_u16_e64 s0, v4, v18
	v_cndmask_b32_e64 v16, 0, 1, s0
	v_cmp_lt_u16_e64 s0, v4, v18
	s_delay_alu instid0(VALU_DEP_1) | instskip(SKIP_1) | instid1(VALU_DEP_2)
	v_cndmask_b32_e64 v4, 0, 1, s0
	v_cmp_gt_u64_e64 s0, s[36:37], v[10:11]
	v_cndmask_b32_e64 v4, v4, v16, s4
	s_delay_alu instid0(VALU_DEP_1) | instskip(NEXT) | instid1(VALU_DEP_1)
	v_and_b32_e32 v4, 1, v4
	v_cmp_eq_u32_e64 s1, 1, v4
	s_and_b32 s23, s0, s1
	s_delay_alu instid0(SALU_CYCLE_1) | instskip(NEXT) | instid1(VALU_DEP_1)
	v_cndmask_b32_e64 v4, 0, 1, s23
	v_cmp_ne_u32_e64 s0, 0, v4
	s_cmp_lg_u32 s0, 0
	s_cselect_b32 s1, -1, 0
	s_delay_alu instid0(SALU_CYCLE_1) | instskip(NEXT) | instid1(SALU_CYCLE_1)
	s_and_b32 s1, s2, s1
	s_and_saveexec_b32 s24, s1
	s_cbranch_execz .LBB120_501
; %bb.498:                              ;   in Loop: Header=BB120_495 Depth=1
	s_mov_b32 s27, exec_lo
	s_bcnt1_i32_b32 s25, s0
	v_mbcnt_lo_u32_b32 v16, s27, 0
	s_mov_b32 s26, exec_lo
                                        ; implicit-def: $vgpr8_vgpr9
	s_delay_alu instid0(VALU_DEP_1)
	v_cmpx_eq_u32_e32 0, v16
	s_cbranch_execz .LBB120_500
; %bb.499:                              ;   in Loop: Header=BB120_495 Depth=1
	s_bcnt1_i32_b32 s1, s27
	s_delay_alu instid0(SALU_CYCLE_1) | instskip(NEXT) | instid1(SALU_CYCLE_1)
	s_mul_i32 s1, s25, s1
	v_mov_b32_e32 v4, s1
	s_wait_dscnt 0x0
	ds_add_rtn_u64 v[8:9], v5, v[4:5] offset:5136
.LBB120_500:                            ;   in Loop: Header=BB120_495 Depth=1
	s_or_b32 exec_lo, exec_lo, s26
	s_wait_dscnt 0x0
	v_readfirstlane_b32 s27, v9
	v_readfirstlane_b32 s26, v8
	s_delay_alu instid0(VALU_DEP_1)
	v_mad_nc_u64_u32 v[8:9], s25, v16, s[26:27]
.LBB120_501:                            ;   in Loop: Header=BB120_495 Depth=1
	s_or_b32 exec_lo, exec_lo, s24
	s_wait_dscnt 0x1
	ds_bpermute_b32 v8, v5, v8
	s_wait_dscnt 0x1
	ds_bpermute_b32 v9, v5, v9
	s_mov_b32 s1, -1
	s_mov_b32 s25, -1
	s_and_saveexec_b32 s24, s23
	s_cbranch_execz .LBB120_505
; %bb.502:                              ;   in Loop: Header=BB120_495 Depth=1
	v_and_b32_e32 v4, s0, v12
	s_mov_b32 s23, 0
	s_mov_b32 s25, exec_lo
	s_delay_alu instid0(VALU_DEP_1) | instskip(SKIP_1) | instid1(VALU_DEP_1)
	v_bcnt_u32_b32 v4, v4, 0
	s_wait_dscnt 0x0
	v_add_nc_u64_e32 v[16:17], v[8:9], v[4:5]
	s_delay_alu instid0(VALU_DEP_1)
	v_cmpx_gt_u64_e64 s[38:39], v[16:17]
	s_cbranch_execz .LBB120_504
; %bb.503:                              ;   in Loop: Header=BB120_495 Depth=1
	s_wait_kmcnt 0x0
	v_mul_u64_e32 v[20:21], s[8:9], v[16:17]
	v_mad_nc_u64_u32 v[22:23], v16, s6, s[12:13]
	s_mov_b32 s23, exec_lo
	s_delay_alu instid0(VALU_DEP_1) | instskip(NEXT) | instid1(VALU_DEP_1)
	v_mad_u32 v4, v17, s6, v23
	v_mad_u32 v23, v16, s7, v4
	s_delay_alu instid0(VALU_DEP_4)
	v_lshl_add_u64 v[16:17], v[20:21], 3, s[14:15]
	global_store_b8 v[22:23], v13, off
	global_store_b64 v[16:17], v[10:11], off
.LBB120_504:                            ;   in Loop: Header=BB120_495 Depth=1
	s_wait_xcnt 0x0
	s_or_b32 exec_lo, exec_lo, s25
	s_delay_alu instid0(SALU_CYCLE_1)
	s_or_not1_b32 s25, s23, exec_lo
.LBB120_505:                            ;   in Loop: Header=BB120_495 Depth=1
	s_or_b32 exec_lo, exec_lo, s24
	s_mov_b32 s23, -1
	s_and_saveexec_b32 s24, s25
	s_cbranch_execz .LBB120_494
; %bb.506:                              ;   in Loop: Header=BB120_495 Depth=1
	v_cmp_le_u64_e64 s0, s[10:11], v[6:7]
	v_add_nc_u64_e32 v[2:3], s[40:41], v[2:3]
	s_xor_b32 s23, exec_lo, -1
	s_or_not1_b32 s1, s0, exec_lo
	s_branch .LBB120_494
.LBB120_507:
	s_or_b32 exec_lo, exec_lo, s21
	s_delay_alu instid0(SALU_CYCLE_1)
	s_mov_b32 s1, exec_lo
	s_or_not1_b32 s0, s22, exec_lo
	s_or_b32 exec_lo, exec_lo, s20
	s_and_saveexec_b32 s4, s0
	s_cbranch_execz .LBB120_484
.LBB120_508:
	v_mov_b32_e32 v4, 0
	s_wait_storecnt 0x0
	s_wait_loadcnt_dscnt 0x0
	s_barrier_signal -1
	s_barrier_wait -1
	s_and_saveexec_b32 s0, s3
	s_cbranch_execz .LBB120_510
; %bb.509:
	global_load_u8 v4, v[14:15], off
.LBB120_510:
	s_wait_xcnt 0x0
	s_or_b32 exec_lo, exec_lo, s0
	s_mov_b32 s0, 0
	s_and_saveexec_b32 s3, vcc_lo
	s_cbranch_execz .LBB120_530
; %bb.511:
	v_add_nc_u32_e32 v5, s34, v0
	v_and_b32_e32 v13, 0xff, v42
	s_mov_b32 s5, 0
                                        ; implicit-def: $sgpr20
                                        ; implicit-def: $vgpr8_vgpr9
	s_delay_alu instid0(VALU_DEP_2) | instskip(NEXT) | instid1(VALU_DEP_1)
	v_mad_nc_u64_u32 v[2:3], s30, v5, s[42:43]
	v_mad_u32 v3, s31, v5, v3
	v_mov_b32_e32 v5, 0
	s_branch .LBB120_514
.LBB120_512:                            ;   in Loop: Header=BB120_514 Depth=1
	s_or_b32 exec_lo, exec_lo, s21
	s_delay_alu instid0(SALU_CYCLE_1)
	s_or_not1_b32 s23, s23, exec_lo
	s_or_not1_b32 s22, s22, exec_lo
.LBB120_513:                            ;   in Loop: Header=BB120_514 Depth=1
	s_or_b32 exec_lo, exec_lo, s0
	s_xor_b32 s0, s23, -1
	s_and_b32 s21, exec_lo, s22
	v_mov_b64_e32 v[0:1], v[6:7]
	s_or_b32 s5, s21, s5
	v_mov_b32_e32 v4, v14
	s_and_not1_b32 s20, s20, exec_lo
	s_and_b32 s0, s0, exec_lo
	s_delay_alu instid0(SALU_CYCLE_1)
	s_or_b32 s20, s20, s0
	s_and_not1_b32 exec_lo, exec_lo, s5
	s_cbranch_execz .LBB120_528
.LBB120_514:                            ; =>This Inner Loop Header: Depth=1
	v_add_nc_u64_e32 v[6:7], s[34:35], v[0:1]
	v_mov_b32_e32 v14, 0
	s_mov_b32 s0, exec_lo
	s_delay_alu instid0(VALU_DEP_2)
	v_cmpx_gt_u64_e64 s[36:37], v[6:7]
	s_cbranch_execz .LBB120_516
; %bb.515:                              ;   in Loop: Header=BB120_514 Depth=1
	global_load_u8 v14, v[2:3], off
.LBB120_516:                            ;   in Loop: Header=BB120_514 Depth=1
	s_wait_xcnt 0x0
	s_or_b32 exec_lo, exec_lo, s0
	s_wait_loadcnt 0x0
	v_and_b32_e32 v4, 0xff, v4
	v_cmp_gt_u64_e32 vcc_lo, s[36:37], v[0:1]
	s_delay_alu instid0(VALU_DEP_2) | instskip(SKIP_1) | instid1(SALU_CYCLE_1)
	v_cmp_eq_u16_e64 s0, v4, v13
	s_and_b32 s21, vcc_lo, s0
	v_cndmask_b32_e64 v4, 0, 1, s21
	s_delay_alu instid0(VALU_DEP_1) | instskip(SKIP_2) | instid1(SALU_CYCLE_1)
	v_cmp_ne_u32_e32 vcc_lo, 0, v4
	s_cmp_lg_u32 vcc_lo, 0
	s_cselect_b32 s0, -1, 0
	s_and_b32 s0, s2, s0
	s_delay_alu instid0(SALU_CYCLE_1)
	s_and_saveexec_b32 s22, s0
	s_cbranch_execz .LBB120_520
; %bb.517:                              ;   in Loop: Header=BB120_514 Depth=1
	s_mov_b32 s25, exec_lo
	s_bcnt1_i32_b32 s23, vcc_lo
	v_mbcnt_lo_u32_b32 v10, s25, 0
	s_mov_b32 s24, exec_lo
                                        ; implicit-def: $vgpr8_vgpr9
	s_delay_alu instid0(VALU_DEP_1)
	v_cmpx_eq_u32_e32 0, v10
; %bb.518:                              ;   in Loop: Header=BB120_514 Depth=1
	s_bcnt1_i32_b32 s0, s25
	s_delay_alu instid0(SALU_CYCLE_1) | instskip(NEXT) | instid1(SALU_CYCLE_1)
	s_mul_i32 s0, s23, s0
	v_mov_b32_e32 v4, s0
	ds_add_rtn_u64 v[8:9], v5, v[4:5] offset:5136
; %bb.519:                              ;   in Loop: Header=BB120_514 Depth=1
	s_or_b32 exec_lo, exec_lo, s24
	s_wait_dscnt 0x0
	v_readfirstlane_b32 s25, v9
	v_readfirstlane_b32 s24, v8
	s_delay_alu instid0(VALU_DEP_1)
	v_mad_nc_u64_u32 v[8:9], s23, v10, s[24:25]
.LBB120_520:                            ;   in Loop: Header=BB120_514 Depth=1
	s_or_b32 exec_lo, exec_lo, s22
	ds_bpermute_b32 v8, v5, v8
	ds_bpermute_b32 v9, v5, v9
	s_cmp_eq_u32 vcc_lo, 0
	s_mov_b32 s22, -1
	s_cselect_b32 s23, -1, 0
	s_wait_dscnt 0x0
	v_cmp_gt_u64_e64 s0, s[38:39], v[8:9]
	s_or_b32 s24, s23, s0
	s_mov_b32 s23, -1
	s_and_saveexec_b32 s0, s24
	s_cbranch_execz .LBB120_513
; %bb.521:                              ;   in Loop: Header=BB120_514 Depth=1
	v_and_b32_e32 v4, vcc_lo, v12
	v_sub_nc_u64_e32 v[10:11], s[38:39], v[8:9]
	s_mov_b32 s24, -1
	s_delay_alu instid0(VALU_DEP_2) | instskip(NEXT) | instid1(VALU_DEP_1)
	v_bcnt_u32_b32 v4, v4, 0
	v_bcnt_u32_b32 v4, 0, v4
	s_delay_alu instid0(VALU_DEP_1) | instskip(SKIP_1) | instid1(SALU_CYCLE_1)
	v_cmp_gt_u64_e32 vcc_lo, v[10:11], v[4:5]
	s_and_b32 s25, s21, vcc_lo
	s_and_saveexec_b32 s21, s25
	s_cbranch_execz .LBB120_525
; %bb.522:                              ;   in Loop: Header=BB120_514 Depth=1
	v_add_nc_u64_e32 v[10:11], v[8:9], v[4:5]
	s_mov_b32 s24, 0
	s_mov_b32 s23, exec_lo
	s_delay_alu instid0(VALU_DEP_1)
	v_cmpx_gt_u64_e64 s[38:39], v[10:11]
	s_cbranch_execz .LBB120_524
; %bb.523:                              ;   in Loop: Header=BB120_514 Depth=1
	s_wait_kmcnt 0x0
	v_mul_u64_e32 v[16:17], s[8:9], v[10:11]
	v_mad_nc_u64_u32 v[18:19], v10, s6, s[12:13]
	s_mov_b32 s24, exec_lo
	s_delay_alu instid0(VALU_DEP_1) | instskip(NEXT) | instid1(VALU_DEP_1)
	v_mad_u32 v4, v11, s6, v19
	v_mad_u32 v19, v10, s7, v4
	s_delay_alu instid0(VALU_DEP_4)
	v_lshl_add_u64 v[10:11], v[16:17], 3, s[14:15]
	global_store_b8 v[18:19], v42, off
	global_store_b64 v[10:11], v[0:1], off
.LBB120_524:                            ;   in Loop: Header=BB120_514 Depth=1
	s_wait_xcnt 0x0
	s_or_b32 exec_lo, exec_lo, s23
	s_delay_alu instid0(SALU_CYCLE_1)
	s_xor_b32 s23, exec_lo, -1
	s_or_not1_b32 s24, s24, exec_lo
.LBB120_525:                            ;   in Loop: Header=BB120_514 Depth=1
	s_or_b32 exec_lo, exec_lo, s21
	s_and_saveexec_b32 s21, s24
	s_cbranch_execz .LBB120_512
; %bb.526:                              ;   in Loop: Header=BB120_514 Depth=1
	v_cmp_le_u64_e32 vcc_lo, s[10:11], v[6:7]
	v_add_nc_u64_e32 v[2:3], s[40:41], v[2:3]
	s_or_b32 s23, s23, exec_lo
	s_or_not1_b32 s22, vcc_lo, exec_lo
	s_branch .LBB120_512
.LBB120_527:
	s_or_b32 s8, s8, exec_lo
	s_trap 2
	s_branch .LBB120_491
.LBB120_528:
	s_or_b32 exec_lo, exec_lo, s5
	s_mov_b32 s0, 0
	s_and_saveexec_b32 s2, s20
	s_delay_alu instid0(SALU_CYCLE_1)
	s_xor_b32 s2, exec_lo, s2
	s_cbranch_execnz .LBB120_534
.LBB120_529:
	s_or_b32 exec_lo, exec_lo, s2
	s_delay_alu instid0(SALU_CYCLE_1)
	s_and_b32 s0, s0, exec_lo
.LBB120_530:
	s_or_b32 exec_lo, exec_lo, s3
	s_delay_alu instid0(SALU_CYCLE_1) | instskip(SKIP_3) | instid1(SALU_CYCLE_1)
	s_and_b32 s5, s0, exec_lo
	s_and_not1_b32 s1, s1, exec_lo
	s_or_b32 exec_lo, exec_lo, s4
	s_and_saveexec_b32 s0, s1
	s_xor_b32 s0, exec_lo, s0
	s_cbranch_execz .LBB120_485
.LBB120_531:
	s_or_b32 s5, s5, exec_lo
	s_trap 2
	s_branch .LBB120_485
.LBB120_532:
	s_or_b32 s8, s8, exec_lo
	s_trap 2
	s_branch .LBB120_489
.LBB120_533:
	s_or_b32 s8, s8, exec_lo
	s_trap 2
	s_branch .LBB120_487
.LBB120_534:
	s_mov_b32 s0, exec_lo
	s_trap 2
	s_branch .LBB120_529
	.section	.rodata,"a",@progbits
	.p2align	6, 0x0
	.amdhsa_kernel _ZN2at6native6sbtopk10gatherTopKIhmLi1ELb0EEEvNS_4cuda6detail10TensorInfoIKT_T0_EES8_S8_bS8_S8_NS5_IS6_S8_EES8_NS5_IlS8_EES8_PS6_
		.amdhsa_group_segment_fixed_size 5152
		.amdhsa_private_segment_fixed_size 0
		.amdhsa_kernarg_size 1568
		.amdhsa_user_sgpr_count 2
		.amdhsa_user_sgpr_dispatch_ptr 0
		.amdhsa_user_sgpr_queue_ptr 0
		.amdhsa_user_sgpr_kernarg_segment_ptr 1
		.amdhsa_user_sgpr_dispatch_id 0
		.amdhsa_user_sgpr_kernarg_preload_length 0
		.amdhsa_user_sgpr_kernarg_preload_offset 0
		.amdhsa_user_sgpr_private_segment_size 0
		.amdhsa_wavefront_size32 1
		.amdhsa_uses_dynamic_stack 0
		.amdhsa_enable_private_segment 0
		.amdhsa_system_sgpr_workgroup_id_x 1
		.amdhsa_system_sgpr_workgroup_id_y 1
		.amdhsa_system_sgpr_workgroup_id_z 1
		.amdhsa_system_sgpr_workgroup_info 0
		.amdhsa_system_vgpr_workitem_id 0
		.amdhsa_next_free_vgpr 53
		.amdhsa_next_free_sgpr 105
		.amdhsa_named_barrier_count 0
		.amdhsa_reserve_vcc 1
		.amdhsa_float_round_mode_32 0
		.amdhsa_float_round_mode_16_64 0
		.amdhsa_float_denorm_mode_32 3
		.amdhsa_float_denorm_mode_16_64 3
		.amdhsa_fp16_overflow 0
		.amdhsa_memory_ordered 1
		.amdhsa_forward_progress 1
		.amdhsa_inst_pref_size 195
		.amdhsa_round_robin_scheduling 0
		.amdhsa_exception_fp_ieee_invalid_op 0
		.amdhsa_exception_fp_denorm_src 0
		.amdhsa_exception_fp_ieee_div_zero 0
		.amdhsa_exception_fp_ieee_overflow 0
		.amdhsa_exception_fp_ieee_underflow 0
		.amdhsa_exception_fp_ieee_inexact 0
		.amdhsa_exception_int_div_zero 0
	.end_amdhsa_kernel
	.section	.text._ZN2at6native6sbtopk10gatherTopKIhmLi1ELb0EEEvNS_4cuda6detail10TensorInfoIKT_T0_EES8_S8_bS8_S8_NS5_IS6_S8_EES8_NS5_IlS8_EES8_PS6_,"axG",@progbits,_ZN2at6native6sbtopk10gatherTopKIhmLi1ELb0EEEvNS_4cuda6detail10TensorInfoIKT_T0_EES8_S8_bS8_S8_NS5_IS6_S8_EES8_NS5_IlS8_EES8_PS6_,comdat
.Lfunc_end120:
	.size	_ZN2at6native6sbtopk10gatherTopKIhmLi1ELb0EEEvNS_4cuda6detail10TensorInfoIKT_T0_EES8_S8_bS8_S8_NS5_IS6_S8_EES8_NS5_IlS8_EES8_PS6_, .Lfunc_end120-_ZN2at6native6sbtopk10gatherTopKIhmLi1ELb0EEEvNS_4cuda6detail10TensorInfoIKT_T0_EES8_S8_bS8_S8_NS5_IS6_S8_EES8_NS5_IlS8_EES8_PS6_
                                        ; -- End function
	.set _ZN2at6native6sbtopk10gatherTopKIhmLi1ELb0EEEvNS_4cuda6detail10TensorInfoIKT_T0_EES8_S8_bS8_S8_NS5_IS6_S8_EES8_NS5_IlS8_EES8_PS6_.num_vgpr, 53
	.set _ZN2at6native6sbtopk10gatherTopKIhmLi1ELb0EEEvNS_4cuda6detail10TensorInfoIKT_T0_EES8_S8_bS8_S8_NS5_IS6_S8_EES8_NS5_IlS8_EES8_PS6_.num_agpr, 0
	.set _ZN2at6native6sbtopk10gatherTopKIhmLi1ELb0EEEvNS_4cuda6detail10TensorInfoIKT_T0_EES8_S8_bS8_S8_NS5_IS6_S8_EES8_NS5_IlS8_EES8_PS6_.numbered_sgpr, 105
	.set _ZN2at6native6sbtopk10gatherTopKIhmLi1ELb0EEEvNS_4cuda6detail10TensorInfoIKT_T0_EES8_S8_bS8_S8_NS5_IS6_S8_EES8_NS5_IlS8_EES8_PS6_.num_named_barrier, 0
	.set _ZN2at6native6sbtopk10gatherTopKIhmLi1ELb0EEEvNS_4cuda6detail10TensorInfoIKT_T0_EES8_S8_bS8_S8_NS5_IS6_S8_EES8_NS5_IlS8_EES8_PS6_.private_seg_size, 0
	.set _ZN2at6native6sbtopk10gatherTopKIhmLi1ELb0EEEvNS_4cuda6detail10TensorInfoIKT_T0_EES8_S8_bS8_S8_NS5_IS6_S8_EES8_NS5_IlS8_EES8_PS6_.uses_vcc, 1
	.set _ZN2at6native6sbtopk10gatherTopKIhmLi1ELb0EEEvNS_4cuda6detail10TensorInfoIKT_T0_EES8_S8_bS8_S8_NS5_IS6_S8_EES8_NS5_IlS8_EES8_PS6_.uses_flat_scratch, 0
	.set _ZN2at6native6sbtopk10gatherTopKIhmLi1ELb0EEEvNS_4cuda6detail10TensorInfoIKT_T0_EES8_S8_bS8_S8_NS5_IS6_S8_EES8_NS5_IlS8_EES8_PS6_.has_dyn_sized_stack, 0
	.set _ZN2at6native6sbtopk10gatherTopKIhmLi1ELb0EEEvNS_4cuda6detail10TensorInfoIKT_T0_EES8_S8_bS8_S8_NS5_IS6_S8_EES8_NS5_IlS8_EES8_PS6_.has_recursion, 0
	.set _ZN2at6native6sbtopk10gatherTopKIhmLi1ELb0EEEvNS_4cuda6detail10TensorInfoIKT_T0_EES8_S8_bS8_S8_NS5_IS6_S8_EES8_NS5_IlS8_EES8_PS6_.has_indirect_call, 0
	.section	.AMDGPU.csdata,"",@progbits
; Kernel info:
; codeLenInByte = 24844
; TotalNumSgprs: 107
; NumVgprs: 53
; ScratchSize: 0
; MemoryBound: 0
; FloatMode: 240
; IeeeMode: 1
; LDSByteSize: 5152 bytes/workgroup (compile time only)
; SGPRBlocks: 0
; VGPRBlocks: 3
; NumSGPRsForWavesPerEU: 107
; NumVGPRsForWavesPerEU: 53
; NamedBarCnt: 0
; Occupancy: 16
; WaveLimiterHint : 1
; COMPUTE_PGM_RSRC2:SCRATCH_EN: 0
; COMPUTE_PGM_RSRC2:USER_SGPR: 2
; COMPUTE_PGM_RSRC2:TRAP_HANDLER: 0
; COMPUTE_PGM_RSRC2:TGID_X_EN: 1
; COMPUTE_PGM_RSRC2:TGID_Y_EN: 1
; COMPUTE_PGM_RSRC2:TGID_Z_EN: 1
; COMPUTE_PGM_RSRC2:TIDIG_COMP_CNT: 0
	.section	.text._ZN2at6native6mbtopk23computeBlockDigitCountsIhmjLi2EEEvNS_4cuda6detail10TensorInfoIKT_T0_EEjPjjS8_iijT1_PSB_Ps,"axG",@progbits,_ZN2at6native6mbtopk23computeBlockDigitCountsIhmjLi2EEEvNS_4cuda6detail10TensorInfoIKT_T0_EEjPjjS8_iijT1_PSB_Ps,comdat
	.protected	_ZN2at6native6mbtopk23computeBlockDigitCountsIhmjLi2EEEvNS_4cuda6detail10TensorInfoIKT_T0_EEjPjjS8_iijT1_PSB_Ps ; -- Begin function _ZN2at6native6mbtopk23computeBlockDigitCountsIhmjLi2EEEvNS_4cuda6detail10TensorInfoIKT_T0_EEjPjjS8_iijT1_PSB_Ps
	.globl	_ZN2at6native6mbtopk23computeBlockDigitCountsIhmjLi2EEEvNS_4cuda6detail10TensorInfoIKT_T0_EEjPjjS8_iijT1_PSB_Ps
	.p2align	8
	.type	_ZN2at6native6mbtopk23computeBlockDigitCountsIhmjLi2EEEvNS_4cuda6detail10TensorInfoIKT_T0_EEjPjjS8_iijT1_PSB_Ps,@function
_ZN2at6native6mbtopk23computeBlockDigitCountsIhmjLi2EEEvNS_4cuda6detail10TensorInfoIKT_T0_EEjPjjS8_iijT1_PSB_Ps: ; @_ZN2at6native6mbtopk23computeBlockDigitCountsIhmjLi2EEEvNS_4cuda6detail10TensorInfoIKT_T0_EEjPjjS8_iijT1_PSB_Ps
; %bb.0:
	s_load_b128 s[4:7], s[0:1], 0x1c0
	s_bfe_u32 s2, ttmp6, 0x40010
	s_and_b32 s8, ttmp7, 0xffff
	s_add_co_i32 s9, s2, 1
	s_bfe_u32 s10, ttmp6, 0x40004
	s_mul_i32 s9, s8, s9
	s_load_b64 s[2:3], s[0:1], 0x1e0
	s_add_co_i32 s10, s10, s9
	s_bfe_u32 s11, ttmp6, 0x4000c
	s_bfe_u32 s13, ttmp6, 0x40014
	s_add_co_i32 s11, s11, 1
	s_and_b32 s12, ttmp6, 15
	s_mul_i32 s11, ttmp9, s11
	s_add_co_i32 s13, s13, 1
	s_add_co_i32 s12, s12, s11
	s_getreg_b32 s14, hwreg(HW_REG_IB_STS2, 6, 4)
	s_wait_kmcnt 0x0
	s_cvt_f32_u32 s9, s6
	s_delay_alu instid0(SALU_CYCLE_3) | instskip(SKIP_1) | instid1(SALU_CYCLE_1)
	v_rcp_iflag_f32_e32 v1, s9
	s_lshr_b32 s9, ttmp7, 16
	s_mul_i32 s11, s9, s13
	s_bfe_u32 s13, ttmp6, 0x40008
	s_delay_alu instid0(SALU_CYCLE_1) | instskip(SKIP_1) | instid1(TRANS32_DEP_1)
	s_add_co_i32 s13, s13, s11
	v_nop
	v_readfirstlane_b32 s15, v1
	s_cmp_eq_u32 s14, 0
	s_cselect_b32 s9, s9, s13
	s_load_b32 s13, s[0:1], 0x1b0
	s_mul_f32 s11, s15, 0x4f7ffffe
	s_mul_i32 s3, s3, s9
	s_cselect_b32 s9, ttmp9, s12
	s_cselect_b32 s8, s8, s10
	s_cvt_u32_f32 s11, s11
	s_sub_co_i32 s10, 0, s6
	s_add_co_i32 s3, s3, s8
	s_mov_b32 s15, 0
	s_mul_i32 s10, s10, s11
	s_mul_i32 s20, s3, s2
	s_mul_hi_u32 s2, s11, s10
	s_add_co_i32 s20, s20, s9
	s_add_co_i32 s11, s11, s2
	s_delay_alu instid0(SALU_CYCLE_1) | instskip(NEXT) | instid1(SALU_CYCLE_1)
	s_mul_hi_u32 s2, s20, s11
	s_mul_i32 s3, s2, s6
	s_add_co_i32 s8, s2, 1
	s_sub_co_i32 s3, s20, s3
	s_delay_alu instid0(SALU_CYCLE_1)
	s_sub_co_i32 s9, s3, s6
	s_cmp_ge_u32 s3, s6
	s_cselect_b32 s2, s8, s2
	s_cselect_b32 s3, s9, s3
	s_add_co_i32 s8, s2, 1
	s_cmp_ge_u32 s3, s6
	s_cselect_b32 s14, s8, s2
	s_wait_kmcnt 0x0
	s_cmp_ge_u32 s14, s13
	s_cbranch_scc1 .LBB121_29
; %bb.1:
	s_load_b64 s[16:17], s[0:1], 0x10
	s_mov_b64 s[18:19], 0
	s_wait_kmcnt 0x0
	v_cmp_lt_u64_e64 s2, s[14:15], s[16:17]
	s_and_b32 vcc_lo, exec_lo, s2
	s_cbranch_vccnz .LBB121_3
; %bb.2:
	v_cvt_f32_u32_e32 v1, s16
	s_sub_co_i32 s3, 0, s16
	s_mov_b32 s19, 0
	s_delay_alu instid0(VALU_DEP_1) | instskip(SKIP_1) | instid1(TRANS32_DEP_1)
	v_rcp_iflag_f32_e32 v1, v1
	v_nop
	v_mul_f32_e32 v1, 0x4f7ffffe, v1
	s_delay_alu instid0(VALU_DEP_1) | instskip(NEXT) | instid1(VALU_DEP_1)
	v_cvt_u32_f32_e32 v1, v1
	v_readfirstlane_b32 s2, v1
	s_mul_i32 s3, s3, s2
	s_delay_alu instid0(SALU_CYCLE_1) | instskip(NEXT) | instid1(SALU_CYCLE_1)
	s_mul_hi_u32 s3, s2, s3
	s_add_co_i32 s2, s2, s3
	s_delay_alu instid0(SALU_CYCLE_1) | instskip(NEXT) | instid1(SALU_CYCLE_1)
	s_mul_hi_u32 s2, s14, s2
	s_mul_i32 s3, s2, s16
	s_add_co_i32 s8, s2, 1
	s_sub_co_i32 s3, s14, s3
	s_delay_alu instid0(SALU_CYCLE_1)
	s_sub_co_i32 s9, s3, s16
	s_cmp_ge_u32 s3, s16
	s_cselect_b32 s2, s8, s2
	s_cselect_b32 s3, s9, s3
	s_add_co_i32 s8, s2, 1
	s_cmp_ge_u32 s3, s16
	s_cselect_b32 s18, s8, s2
.LBB121_3:
	v_cmp_gt_u32_e32 vcc_lo, 0x100, v0
	v_lshlrev_b32_e32 v1, 2, v0
	s_and_saveexec_b32 s2, vcc_lo
; %bb.4:
	v_mov_b32_e32 v2, 0
	ds_store_b32 v1, v2
; %bb.5:
	s_or_b32 exec_lo, exec_lo, s2
	s_clause 0x1
	s_load_b32 s21, s[0:1], 0x1a0
	s_load_b128 s[8:11], s[0:1], 0x1d0
	s_mul_i32 s2, s14, s6
	s_mov_b32 s13, 0
	s_sub_co_i32 s23, s20, s2
	s_wait_dscnt 0x0
	s_mul_i32 s2, s5, s23
	s_add_co_i32 s23, s23, 1
	s_lshl_b32 s22, s2, 8
	s_barrier_signal -1
	s_barrier_wait -1
	s_wait_kmcnt 0x0
	s_sub_co_i32 s12, s21, s22
	s_delay_alu instid0(SALU_CYCLE_1) | instskip(NEXT) | instid1(SALU_CYCLE_1)
	s_add_nc_u64 s[2:3], s[12:13], 0xff
	s_lshr_b64 s[2:3], s[2:3], 8
	s_cmp_lt_u32 s23, s6
	s_cselect_b32 s12, s5, s2
	s_delay_alu instid0(SALU_CYCLE_1)
	s_cmp_lt_i32 s12, 1
	s_cbranch_scc1 .LBB121_27
; %bb.6:
	s_clause 0x1
	s_load_b128 s[24:27], s[0:1], 0xd0
	s_load_b64 s[28:29], s[0:1], 0x0
	s_load_b32 s6, s[8:9], s14 offset:0x0 scale_offset
	s_load_b64 s[2:3], s[0:1], 0x1b8
	s_wait_xcnt 0x0
	s_mul_u64 s[0:1], s[18:19], s[16:17]
	s_delay_alu instid0(SALU_CYCLE_1)
	s_sub_nc_u64 s[0:1], s[14:15], s[0:1]
	s_wait_kmcnt 0x0
	s_mul_u64 s[8:9], s[18:19], s[24:25]
	s_mul_u64 s[14:15], s[0:1], s[26:27]
	s_add_nc_u64 s[8:9], s[28:29], s[8:9]
	s_and_b32 s1, s4, 0xff
	s_cmp_lt_u32 s12, 4
	s_add_nc_u64 s[4:5], s[8:9], s[14:15]
	s_cbranch_scc1 .LBB121_21
; %bb.7:
	v_dual_mov_b32 v3, 1 :: v_dual_add_nc_u32 v2, s22, v0
	s_and_b32 s13, s12, 0x7ffffffc
	s_mov_b32 s8, 0
	s_branch .LBB121_9
.LBB121_8:                              ;   in Loop: Header=BB121_9 Depth=1
	s_or_b32 exec_lo, exec_lo, s9
	v_add_nc_u32_e32 v2, 0x400, v2
	s_add_co_i32 s8, s8, 4
	s_delay_alu instid0(SALU_CYCLE_1)
	s_cmp_eq_u32 s13, s8
	s_cbranch_scc1 .LBB121_21
.LBB121_9:                              ; =>This Inner Loop Header: Depth=1
	s_mov_b32 s9, exec_lo
	v_cmpx_gt_u32_e64 s21, v2
	s_cbranch_execz .LBB121_12
; %bb.10:                               ;   in Loop: Header=BB121_9 Depth=1
	v_mad_nc_u64_u32 v[4:5], s2, v2, s[4:5]
	s_delay_alu instid0(VALU_DEP_1) | instskip(SKIP_4) | instid1(VALU_DEP_1)
	v_mad_u32 v5, s3, v2, v5
	global_load_u8 v4, v[4:5], off
	s_wait_loadcnt 0x0
	s_wait_xcnt 0x0
	v_bitop3_b32 v5, s6, s7, v4 bitop3:0x48
	v_cmp_eq_u32_e64 s0, 0, v5
	s_and_b32 exec_lo, exec_lo, s0
; %bb.11:                               ;   in Loop: Header=BB121_9 Depth=1
	v_lshrrev_b32_e32 v4, s1, v4
	s_delay_alu instid0(VALU_DEP_1)
	v_lshlrev_b32_e32 v4, 2, v4
	ds_add_u32 v4, v3
.LBB121_12:                             ;   in Loop: Header=BB121_9 Depth=1
	s_or_b32 exec_lo, exec_lo, s9
	v_add_nc_u32_e32 v4, 0x100, v2
	s_mov_b32 s9, exec_lo
	s_delay_alu instid0(VALU_DEP_1)
	v_cmpx_gt_u32_e64 s21, v4
	s_cbranch_execz .LBB121_15
; %bb.13:                               ;   in Loop: Header=BB121_9 Depth=1
	v_mad_nc_u64_u32 v[6:7], s2, v4, s[4:5]
	s_delay_alu instid0(VALU_DEP_1) | instskip(SKIP_3) | instid1(VALU_DEP_1)
	v_mad_u32 v7, s3, v4, v7
	global_load_u8 v4, v[6:7], off
	s_wait_loadcnt 0x0
	v_bitop3_b32 v5, s6, s7, v4 bitop3:0x48
	v_cmp_eq_u32_e64 s0, 0, v5
	s_and_b32 exec_lo, exec_lo, s0
; %bb.14:                               ;   in Loop: Header=BB121_9 Depth=1
	v_lshrrev_b32_e32 v4, s1, v4
	s_delay_alu instid0(VALU_DEP_1)
	v_lshlrev_b32_e32 v4, 2, v4
	ds_add_u32 v4, v3
.LBB121_15:                             ;   in Loop: Header=BB121_9 Depth=1
	s_or_b32 exec_lo, exec_lo, s9
	v_add_nc_u32_e32 v4, 0x200, v2
	s_mov_b32 s9, exec_lo
	s_delay_alu instid0(VALU_DEP_1)
	v_cmpx_gt_u32_e64 s21, v4
	s_cbranch_execz .LBB121_18
; %bb.16:                               ;   in Loop: Header=BB121_9 Depth=1
	v_mad_nc_u64_u32 v[6:7], s2, v4, s[4:5]
	s_delay_alu instid0(VALU_DEP_1) | instskip(SKIP_3) | instid1(VALU_DEP_1)
	v_mad_u32 v7, s3, v4, v7
	global_load_u8 v4, v[6:7], off
	s_wait_loadcnt 0x0
	v_bitop3_b32 v5, s6, s7, v4 bitop3:0x48
	v_cmp_eq_u32_e64 s0, 0, v5
	s_and_b32 exec_lo, exec_lo, s0
; %bb.17:                               ;   in Loop: Header=BB121_9 Depth=1
	v_lshrrev_b32_e32 v4, s1, v4
	s_delay_alu instid0(VALU_DEP_1)
	v_lshlrev_b32_e32 v4, 2, v4
	ds_add_u32 v4, v3
.LBB121_18:                             ;   in Loop: Header=BB121_9 Depth=1
	s_or_b32 exec_lo, exec_lo, s9
	v_add_nc_u32_e32 v4, 0x300, v2
	s_mov_b32 s9, exec_lo
	s_delay_alu instid0(VALU_DEP_1)
	v_cmpx_gt_u32_e64 s21, v4
	s_cbranch_execz .LBB121_8
; %bb.19:                               ;   in Loop: Header=BB121_9 Depth=1
	v_mad_nc_u64_u32 v[6:7], s2, v4, s[4:5]
	s_delay_alu instid0(VALU_DEP_1) | instskip(SKIP_3) | instid1(VALU_DEP_1)
	v_mad_u32 v7, s3, v4, v7
	global_load_u8 v4, v[6:7], off
	s_wait_loadcnt 0x0
	v_bitop3_b32 v5, s6, s7, v4 bitop3:0x48
	v_cmp_eq_u32_e64 s0, 0, v5
	s_and_b32 exec_lo, exec_lo, s0
	s_cbranch_execz .LBB121_8
; %bb.20:                               ;   in Loop: Header=BB121_9 Depth=1
	v_lshrrev_b32_e32 v4, s1, v4
	s_delay_alu instid0(VALU_DEP_1)
	v_lshlrev_b32_e32 v4, 2, v4
	ds_add_u32 v4, v3
	s_branch .LBB121_8
.LBB121_21:
	s_and_b32 s8, s12, 3
	s_delay_alu instid0(SALU_CYCLE_1)
	s_cmp_eq_u32 s8, 0
	s_cbranch_scc1 .LBB121_27
; %bb.22:
	s_lshl_b32 s0, s13, 8
	v_mov_b32_e32 v3, 1
	v_add3_u32 v2, s0, s22, v0
	s_branch .LBB121_24
.LBB121_23:                             ;   in Loop: Header=BB121_24 Depth=1
	s_or_b32 exec_lo, exec_lo, s9
	v_add_nc_u32_e32 v2, 0x100, v2
	s_add_co_i32 s8, s8, -1
	s_delay_alu instid0(SALU_CYCLE_1)
	s_cmp_lg_u32 s8, 0
	s_cbranch_scc0 .LBB121_27
.LBB121_24:                             ; =>This Inner Loop Header: Depth=1
	s_mov_b32 s9, exec_lo
	s_delay_alu instid0(VALU_DEP_1)
	v_cmpx_gt_u32_e64 s21, v2
	s_cbranch_execz .LBB121_23
; %bb.25:                               ;   in Loop: Header=BB121_24 Depth=1
	v_mad_nc_u64_u32 v[4:5], s2, v2, s[4:5]
	s_delay_alu instid0(VALU_DEP_1) | instskip(SKIP_3) | instid1(VALU_DEP_1)
	v_mad_u32 v5, s3, v2, v5
	global_load_u8 v4, v[4:5], off
	s_wait_loadcnt 0x0
	v_bitop3_b32 v5, s6, s7, v4 bitop3:0x48
	v_cmp_eq_u32_e64 s0, 0, v5
	s_and_b32 exec_lo, exec_lo, s0
	s_cbranch_execz .LBB121_23
; %bb.26:                               ;   in Loop: Header=BB121_24 Depth=1
	v_lshrrev_b32_e32 v4, s1, v4
	s_delay_alu instid0(VALU_DEP_1)
	v_lshlrev_b32_e32 v4, 2, v4
	ds_add_u32 v4, v3
	s_branch .LBB121_23
.LBB121_27:
	s_wait_dscnt 0x0
	s_barrier_signal -1
	s_barrier_wait -1
	s_and_saveexec_b32 s0, vcc_lo
	s_cbranch_execz .LBB121_29
; %bb.28:
	ds_load_b32 v1, v1
	v_lshl_or_b32 v0, s20, 8, v0
	s_wait_dscnt 0x0
	global_store_b16 v0, v1, s[10:11] scale_offset
.LBB121_29:
	s_endpgm
	.section	.rodata,"a",@progbits
	.p2align	6, 0x0
	.amdhsa_kernel _ZN2at6native6mbtopk23computeBlockDigitCountsIhmjLi2EEEvNS_4cuda6detail10TensorInfoIKT_T0_EEjPjjS8_iijT1_PSB_Ps
		.amdhsa_group_segment_fixed_size 1024
		.amdhsa_private_segment_fixed_size 0
		.amdhsa_kernarg_size 736
		.amdhsa_user_sgpr_count 2
		.amdhsa_user_sgpr_dispatch_ptr 0
		.amdhsa_user_sgpr_queue_ptr 0
		.amdhsa_user_sgpr_kernarg_segment_ptr 1
		.amdhsa_user_sgpr_dispatch_id 0
		.amdhsa_user_sgpr_kernarg_preload_length 0
		.amdhsa_user_sgpr_kernarg_preload_offset 0
		.amdhsa_user_sgpr_private_segment_size 0
		.amdhsa_wavefront_size32 1
		.amdhsa_uses_dynamic_stack 0
		.amdhsa_enable_private_segment 0
		.amdhsa_system_sgpr_workgroup_id_x 1
		.amdhsa_system_sgpr_workgroup_id_y 1
		.amdhsa_system_sgpr_workgroup_id_z 1
		.amdhsa_system_sgpr_workgroup_info 0
		.amdhsa_system_vgpr_workitem_id 0
		.amdhsa_next_free_vgpr 8
		.amdhsa_next_free_sgpr 30
		.amdhsa_named_barrier_count 0
		.amdhsa_reserve_vcc 1
		.amdhsa_float_round_mode_32 0
		.amdhsa_float_round_mode_16_64 0
		.amdhsa_float_denorm_mode_32 3
		.amdhsa_float_denorm_mode_16_64 3
		.amdhsa_fp16_overflow 0
		.amdhsa_memory_ordered 1
		.amdhsa_forward_progress 1
		.amdhsa_inst_pref_size 11
		.amdhsa_round_robin_scheduling 0
		.amdhsa_exception_fp_ieee_invalid_op 0
		.amdhsa_exception_fp_denorm_src 0
		.amdhsa_exception_fp_ieee_div_zero 0
		.amdhsa_exception_fp_ieee_overflow 0
		.amdhsa_exception_fp_ieee_underflow 0
		.amdhsa_exception_fp_ieee_inexact 0
		.amdhsa_exception_int_div_zero 0
	.end_amdhsa_kernel
	.section	.text._ZN2at6native6mbtopk23computeBlockDigitCountsIhmjLi2EEEvNS_4cuda6detail10TensorInfoIKT_T0_EEjPjjS8_iijT1_PSB_Ps,"axG",@progbits,_ZN2at6native6mbtopk23computeBlockDigitCountsIhmjLi2EEEvNS_4cuda6detail10TensorInfoIKT_T0_EEjPjjS8_iijT1_PSB_Ps,comdat
.Lfunc_end121:
	.size	_ZN2at6native6mbtopk23computeBlockDigitCountsIhmjLi2EEEvNS_4cuda6detail10TensorInfoIKT_T0_EEjPjjS8_iijT1_PSB_Ps, .Lfunc_end121-_ZN2at6native6mbtopk23computeBlockDigitCountsIhmjLi2EEEvNS_4cuda6detail10TensorInfoIKT_T0_EEjPjjS8_iijT1_PSB_Ps
                                        ; -- End function
	.set _ZN2at6native6mbtopk23computeBlockDigitCountsIhmjLi2EEEvNS_4cuda6detail10TensorInfoIKT_T0_EEjPjjS8_iijT1_PSB_Ps.num_vgpr, 8
	.set _ZN2at6native6mbtopk23computeBlockDigitCountsIhmjLi2EEEvNS_4cuda6detail10TensorInfoIKT_T0_EEjPjjS8_iijT1_PSB_Ps.num_agpr, 0
	.set _ZN2at6native6mbtopk23computeBlockDigitCountsIhmjLi2EEEvNS_4cuda6detail10TensorInfoIKT_T0_EEjPjjS8_iijT1_PSB_Ps.numbered_sgpr, 30
	.set _ZN2at6native6mbtopk23computeBlockDigitCountsIhmjLi2EEEvNS_4cuda6detail10TensorInfoIKT_T0_EEjPjjS8_iijT1_PSB_Ps.num_named_barrier, 0
	.set _ZN2at6native6mbtopk23computeBlockDigitCountsIhmjLi2EEEvNS_4cuda6detail10TensorInfoIKT_T0_EEjPjjS8_iijT1_PSB_Ps.private_seg_size, 0
	.set _ZN2at6native6mbtopk23computeBlockDigitCountsIhmjLi2EEEvNS_4cuda6detail10TensorInfoIKT_T0_EEjPjjS8_iijT1_PSB_Ps.uses_vcc, 1
	.set _ZN2at6native6mbtopk23computeBlockDigitCountsIhmjLi2EEEvNS_4cuda6detail10TensorInfoIKT_T0_EEjPjjS8_iijT1_PSB_Ps.uses_flat_scratch, 0
	.set _ZN2at6native6mbtopk23computeBlockDigitCountsIhmjLi2EEEvNS_4cuda6detail10TensorInfoIKT_T0_EEjPjjS8_iijT1_PSB_Ps.has_dyn_sized_stack, 0
	.set _ZN2at6native6mbtopk23computeBlockDigitCountsIhmjLi2EEEvNS_4cuda6detail10TensorInfoIKT_T0_EEjPjjS8_iijT1_PSB_Ps.has_recursion, 0
	.set _ZN2at6native6mbtopk23computeBlockDigitCountsIhmjLi2EEEvNS_4cuda6detail10TensorInfoIKT_T0_EEjPjjS8_iijT1_PSB_Ps.has_indirect_call, 0
	.section	.AMDGPU.csdata,"",@progbits
; Kernel info:
; codeLenInByte = 1344
; TotalNumSgprs: 32
; NumVgprs: 8
; ScratchSize: 0
; MemoryBound: 0
; FloatMode: 240
; IeeeMode: 1
; LDSByteSize: 1024 bytes/workgroup (compile time only)
; SGPRBlocks: 0
; VGPRBlocks: 0
; NumSGPRsForWavesPerEU: 32
; NumVGPRsForWavesPerEU: 8
; NamedBarCnt: 0
; Occupancy: 16
; WaveLimiterHint : 1
; COMPUTE_PGM_RSRC2:SCRATCH_EN: 0
; COMPUTE_PGM_RSRC2:USER_SGPR: 2
; COMPUTE_PGM_RSRC2:TRAP_HANDLER: 0
; COMPUTE_PGM_RSRC2:TGID_X_EN: 1
; COMPUTE_PGM_RSRC2:TGID_Y_EN: 1
; COMPUTE_PGM_RSRC2:TGID_Z_EN: 1
; COMPUTE_PGM_RSRC2:TIDIG_COMP_CNT: 0
	.section	.text._ZN2at6native6mbtopk10gatherTopKIhmLi2EEEvNS_4cuda6detail10TensorInfoIKT_T0_EES8_S8_bjS8_NS5_IS6_S8_EES8_NS5_IlS8_EES8_jjPS6_PjSD_j,"axG",@progbits,_ZN2at6native6mbtopk10gatherTopKIhmLi2EEEvNS_4cuda6detail10TensorInfoIKT_T0_EES8_S8_bjS8_NS5_IS6_S8_EES8_NS5_IlS8_EES8_jjPS6_PjSD_j,comdat
	.protected	_ZN2at6native6mbtopk10gatherTopKIhmLi2EEEvNS_4cuda6detail10TensorInfoIKT_T0_EES8_S8_bjS8_NS5_IS6_S8_EES8_NS5_IlS8_EES8_jjPS6_PjSD_j ; -- Begin function _ZN2at6native6mbtopk10gatherTopKIhmLi2EEEvNS_4cuda6detail10TensorInfoIKT_T0_EES8_S8_bjS8_NS5_IS6_S8_EES8_NS5_IlS8_EES8_jjPS6_PjSD_j
	.globl	_ZN2at6native6mbtopk10gatherTopKIhmLi2EEEvNS_4cuda6detail10TensorInfoIKT_T0_EES8_S8_bjS8_NS5_IS6_S8_EES8_NS5_IlS8_EES8_jjPS6_PjSD_j
	.p2align	8
	.type	_ZN2at6native6mbtopk10gatherTopKIhmLi2EEEvNS_4cuda6detail10TensorInfoIKT_T0_EES8_S8_bjS8_NS5_IS6_S8_EES8_NS5_IlS8_EES8_jjPS6_PjSD_j,@function
_ZN2at6native6mbtopk10gatherTopKIhmLi2EEEvNS_4cuda6detail10TensorInfoIKT_T0_EES8_S8_bjS8_NS5_IS6_S8_EES8_NS5_IlS8_EES8_jjPS6_PjSD_j: ; @_ZN2at6native6mbtopk10gatherTopKIhmLi2EEEvNS_4cuda6detail10TensorInfoIKT_T0_EES8_S8_bjS8_NS5_IS6_S8_EES8_NS5_IlS8_EES8_jjPS6_PjSD_j
; %bb.0:
	s_bfe_u32 s2, ttmp6, 0x40010
	s_and_b32 s4, ttmp7, 0xffff
	s_add_co_i32 s5, s2, 1
	s_clause 0x1
	s_load_b32 s6, s[0:1], 0x530
	s_load_b64 s[2:3], s[0:1], 0x538
	s_bfe_u32 s8, ttmp6, 0x4000c
	s_mul_i32 s5, s4, s5
	s_bfe_u32 s7, ttmp6, 0x40004
	s_add_co_i32 s8, s8, 1
	s_bfe_u32 s9, ttmp6, 0x40014
	s_add_co_i32 s7, s7, s5
	s_and_b32 s5, ttmp6, 15
	s_mul_i32 s8, ttmp9, s8
	s_lshr_b32 s10, ttmp7, 16
	s_add_co_i32 s9, s9, 1
	s_add_co_i32 s5, s5, s8
	s_mul_i32 s8, s10, s9
	s_bfe_u32 s9, ttmp6, 0x40008
	s_getreg_b32 s11, hwreg(HW_REG_IB_STS2, 6, 4)
	s_add_co_i32 s9, s9, s8
	s_cmp_eq_u32 s11, 0
	s_cselect_b32 s8, s10, s9
	s_cselect_b32 s4, s4, s7
	s_wait_kmcnt 0x0
	s_mul_i32 s3, s3, s8
	s_cselect_b32 s5, ttmp9, s5
	s_add_co_i32 s3, s3, s4
	s_delay_alu instid0(SALU_CYCLE_1) | instskip(NEXT) | instid1(SALU_CYCLE_1)
	s_mul_i32 s2, s3, s2
	s_add_co_i32 s2, s2, s5
	s_delay_alu instid0(SALU_CYCLE_1)
	s_cmp_ge_u32 s2, s6
	s_cbranch_scc1 .LBB122_48
; %bb.1:
	s_load_b64 s[28:29], s[0:1], 0x510
	s_wait_kmcnt 0x0
	s_cvt_f32_u32 s3, s29
	s_sub_co_i32 s4, 0, s29
	s_lshl_b32 s33, s28, 8
	s_delay_alu instid0(SALU_CYCLE_1) | instskip(SKIP_1) | instid1(TRANS32_DEP_1)
	v_rcp_iflag_f32_e32 v1, s3
	v_nop
	v_readfirstlane_b32 s3, v1
	s_mul_f32 s3, s3, 0x4f7ffffe
	s_delay_alu instid0(SALU_CYCLE_3) | instskip(NEXT) | instid1(SALU_CYCLE_3)
	s_cvt_u32_f32 s3, s3
	s_mul_i32 s4, s4, s3
	s_delay_alu instid0(SALU_CYCLE_1) | instskip(NEXT) | instid1(SALU_CYCLE_1)
	s_mul_hi_u32 s4, s3, s4
	s_add_co_i32 s3, s3, s4
	s_clause 0x1
	s_load_b128 s[4:7], s[0:1], 0x1a0
	s_load_b64 s[30:31], s[0:1], 0x10
	s_mul_hi_u32 s3, s2, s3
	s_delay_alu instid0(SALU_CYCLE_1) | instskip(SKIP_2) | instid1(SALU_CYCLE_1)
	s_mul_i32 s8, s3, s29
	s_add_co_i32 s9, s3, 1
	s_sub_co_i32 s8, s2, s8
	s_sub_co_i32 s10, s8, s29
	s_cmp_ge_u32 s8, s29
	s_cselect_b32 s3, s9, s3
	s_cselect_b32 s8, s10, s8
	s_add_co_i32 s9, s3, 1
	s_cmp_ge_u32 s8, s29
	s_cselect_b32 s34, s9, s3
	s_delay_alu instid0(SALU_CYCLE_1) | instskip(NEXT) | instid1(SALU_CYCLE_1)
	s_mul_i32 s16, s34, s29
	s_sub_co_i32 s48, s2, s16
	s_delay_alu instid0(SALU_CYCLE_1) | instskip(NEXT) | instid1(SALU_CYCLE_1)
	s_add_co_i32 s2, s48, 1
	s_cmp_lt_u32 s2, s29
	s_cbranch_scc1 .LBB122_3
; %bb.2:
	s_mul_i32 s2, s48, s33
	s_mov_b32 s3, 0
	s_wait_kmcnt 0x0
	s_sub_nc_u64 s[8:9], s[4:5], s[2:3]
	s_delay_alu instid0(SALU_CYCLE_1) | instskip(NEXT) | instid1(SALU_CYCLE_1)
	s_add_nc_u64 s[8:9], s[8:9], 0xff
	s_ashr_i32 s2, s9, 31
	s_delay_alu instid0(SALU_CYCLE_1) | instskip(NEXT) | instid1(SALU_CYCLE_1)
	s_lshr_b32 s2, s2, 24
	s_add_nc_u64 s[2:3], s[8:9], s[2:3]
	s_delay_alu instid0(SALU_CYCLE_1) | instskip(NEXT) | instid1(SALU_CYCLE_1)
	s_lshr_b64 s[2:3], s[2:3], 8
	s_mov_b32 s28, s2
.LBB122_3:
	s_load_b64 s[42:43], s[0:1], 0x1d0
	s_mov_b32 s35, 0
	s_mov_b64 s[38:39], 0
	s_wait_kmcnt 0x0
	v_cmp_lt_u64_e64 s2, s[34:35], s[30:31]
	s_mov_b64 s[36:37], 0
	s_and_b32 vcc_lo, exec_lo, s2
	s_cbranch_vccz .LBB122_20
; %bb.4:
	s_load_b64 s[40:41], s[0:1], 0x378
	v_cmp_lt_u64_e64 s2, s[34:35], s[42:43]
	s_and_b32 vcc_lo, exec_lo, s2
	s_cbranch_vccz .LBB122_21
.LBB122_5:
	s_wait_kmcnt 0x0
	v_cmp_lt_u64_e64 s2, s[34:35], s[40:41]
	s_mov_b64 s[44:45], 0
	s_and_b32 vcc_lo, exec_lo, s2
	s_cbranch_vccnz .LBB122_7
.LBB122_6:
	v_cvt_f32_u32_e32 v1, s40
	s_sub_co_i32 s3, 0, s40
	s_mov_b32 s45, 0
	s_delay_alu instid0(VALU_DEP_1) | instskip(SKIP_1) | instid1(TRANS32_DEP_1)
	v_rcp_iflag_f32_e32 v1, v1
	v_nop
	v_mul_f32_e32 v1, 0x4f7ffffe, v1
	s_delay_alu instid0(VALU_DEP_1) | instskip(NEXT) | instid1(VALU_DEP_1)
	v_cvt_u32_f32_e32 v1, v1
	v_readfirstlane_b32 s2, v1
	s_mul_i32 s3, s3, s2
	s_delay_alu instid0(SALU_CYCLE_1) | instskip(NEXT) | instid1(SALU_CYCLE_1)
	s_mul_hi_u32 s3, s2, s3
	s_add_co_i32 s2, s2, s3
	s_delay_alu instid0(SALU_CYCLE_1) | instskip(NEXT) | instid1(SALU_CYCLE_1)
	s_mul_hi_u32 s2, s34, s2
	s_mul_i32 s3, s2, s40
	s_add_co_i32 s8, s2, 1
	s_sub_co_i32 s3, s34, s3
	s_delay_alu instid0(SALU_CYCLE_1)
	s_sub_co_i32 s9, s3, s40
	s_cmp_ge_u32 s3, s40
	s_cselect_b32 s2, s8, s2
	s_cselect_b32 s3, s9, s3
	s_add_co_i32 s8, s2, 1
	s_cmp_ge_u32 s3, s40
	s_cselect_b32 s44, s8, s2
.LBB122_7:
	s_load_b128 s[8:11], s[0:1], 0x518
	v_mov_b32_e32 v1, 0
	s_mov_b32 s17, 0
	s_wait_kmcnt 0x0
	s_add_nc_u64 s[2:3], s[8:9], s[34:35]
	global_load_u8 v6, v1, s[2:3]
	s_wait_xcnt 0x0
	v_cmp_ne_u32_e64 s2, 0, v0
	v_cmp_eq_u32_e64 s3, 0, v0
	s_and_saveexec_b32 s24, s3
	s_cbranch_execz .LBB122_25
; %bb.8:
	s_load_b64 s[18:19], s[0:1], 0x528
	s_lshl_b64 s[20:21], s[16:17], 2
	s_cmp_lt_u32 s29, 4
	s_cbranch_scc1 .LBB122_22
; %bb.9:
	s_mov_b64 s[8:9], 0
	s_mov_b32 s16, 0
.LBB122_10:                             ; =>This Inner Loop Header: Depth=1
	s_add_nc_u64 s[22:23], s[10:11], s[20:21]
	s_cmp_ge_u32 s16, s48
	s_load_b128 s[12:15], s[22:23], 0x0
	s_wait_kmcnt 0x0
	s_add_nc_u64 s[22:23], s[18:19], s[20:21]
	s_cbranch_scc0 .LBB122_17
; %bb.11:                               ;   in Loop: Header=BB122_10 Depth=1
	s_add_co_i32 s25, s16, 1
	s_delay_alu instid0(SALU_CYCLE_1)
	s_cmp_ge_u32 s25, s48
	s_cbranch_scc0 .LBB122_18
.LBB122_12:                             ;   in Loop: Header=BB122_10 Depth=1
	s_add_co_i32 s25, s25, 1
	s_delay_alu instid0(SALU_CYCLE_1)
	s_cmp_ge_u32 s25, s48
	s_cbranch_scc0 .LBB122_19
.LBB122_13:                             ;   in Loop: Header=BB122_10 Depth=1
	s_add_co_i32 s25, s25, 1
	s_delay_alu instid0(SALU_CYCLE_1)
	s_cmp_ge_u32 s25, s48
	s_cbranch_scc1 .LBB122_15
.LBB122_14:                             ;   in Loop: Header=BB122_10 Depth=1
	s_load_b32 s22, s[22:23], 0xc
	s_add_co_i32 s9, s15, s9
	s_wait_kmcnt 0x0
	s_add_co_i32 s8, s22, s8
.LBB122_15:                             ;   in Loop: Header=BB122_10 Depth=1
	s_add_co_i32 s12, s12, s17
	s_add_nc_u64 s[10:11], s[10:11], 16
	s_add_co_i32 s12, s12, s13
	s_add_co_i32 s13, s25, 4
	;; [unrolled: 1-line block ×3, first 2 shown]
	s_add_nc_u64 s[18:19], s[18:19], 16
	s_add_co_i32 s17, s12, s15
	s_add_co_i32 s12, s25, 1
	s_cmp_ge_u32 s13, s29
	s_cbranch_scc1 .LBB122_23
; %bb.16:                               ;   in Loop: Header=BB122_10 Depth=1
	s_mov_b32 s16, s12
	s_branch .LBB122_10
.LBB122_17:                             ;   in Loop: Header=BB122_10 Depth=1
	s_load_b32 s25, s[22:23], 0x0
	s_add_co_i32 s9, s12, s9
	s_wait_kmcnt 0x0
	s_add_co_i32 s8, s25, s8
	s_add_co_i32 s25, s16, 1
	s_delay_alu instid0(SALU_CYCLE_1)
	s_cmp_ge_u32 s25, s48
	s_cbranch_scc1 .LBB122_12
.LBB122_18:                             ;   in Loop: Header=BB122_10 Depth=1
	s_load_b32 s26, s[22:23], 0x4
	s_add_co_i32 s9, s13, s9
	s_wait_kmcnt 0x0
	s_add_co_i32 s8, s26, s8
	s_add_co_i32 s25, s25, 1
	s_delay_alu instid0(SALU_CYCLE_1)
	s_cmp_ge_u32 s25, s48
	s_cbranch_scc1 .LBB122_13
.LBB122_19:                             ;   in Loop: Header=BB122_10 Depth=1
	s_load_b32 s26, s[22:23], 0x8
	s_add_co_i32 s9, s14, s9
	s_wait_kmcnt 0x0
	s_add_co_i32 s8, s26, s8
	s_add_co_i32 s25, s25, 1
	s_delay_alu instid0(SALU_CYCLE_1)
	s_cmp_ge_u32 s25, s48
	s_cbranch_scc0 .LBB122_14
	s_branch .LBB122_15
.LBB122_20:
	v_cvt_f32_u32_e32 v1, s30
	s_sub_co_i32 s3, 0, s30
	s_mov_b32 s37, s35
	s_delay_alu instid0(VALU_DEP_1) | instskip(SKIP_1) | instid1(TRANS32_DEP_1)
	v_rcp_iflag_f32_e32 v1, v1
	v_nop
	v_mul_f32_e32 v1, 0x4f7ffffe, v1
	s_delay_alu instid0(VALU_DEP_1) | instskip(NEXT) | instid1(VALU_DEP_1)
	v_cvt_u32_f32_e32 v1, v1
	v_readfirstlane_b32 s2, v1
	s_mul_i32 s3, s3, s2
	s_delay_alu instid0(SALU_CYCLE_1) | instskip(NEXT) | instid1(SALU_CYCLE_1)
	s_mul_hi_u32 s3, s2, s3
	s_add_co_i32 s2, s2, s3
	s_delay_alu instid0(SALU_CYCLE_1) | instskip(NEXT) | instid1(SALU_CYCLE_1)
	s_mul_hi_u32 s2, s34, s2
	s_mul_i32 s3, s2, s30
	s_add_co_i32 s8, s2, 1
	s_sub_co_i32 s3, s34, s3
	s_delay_alu instid0(SALU_CYCLE_1)
	s_sub_co_i32 s9, s3, s30
	s_cmp_ge_u32 s3, s30
	s_cselect_b32 s2, s8, s2
	s_cselect_b32 s3, s9, s3
	s_add_co_i32 s8, s2, 1
	s_cmp_ge_u32 s3, s30
	s_cselect_b32 s36, s8, s2
	s_load_b64 s[40:41], s[0:1], 0x378
	v_cmp_lt_u64_e64 s2, s[34:35], s[42:43]
	s_and_b32 vcc_lo, exec_lo, s2
	s_cbranch_vccnz .LBB122_5
.LBB122_21:
	v_cvt_f32_u32_e32 v1, s42
	s_sub_co_i32 s3, 0, s42
	s_mov_b32 s39, 0
	s_delay_alu instid0(VALU_DEP_1) | instskip(SKIP_1) | instid1(TRANS32_DEP_1)
	v_rcp_iflag_f32_e32 v1, v1
	v_nop
	v_mul_f32_e32 v1, 0x4f7ffffe, v1
	s_delay_alu instid0(VALU_DEP_1) | instskip(NEXT) | instid1(VALU_DEP_1)
	v_cvt_u32_f32_e32 v1, v1
	v_readfirstlane_b32 s2, v1
	s_mul_i32 s3, s3, s2
	s_delay_alu instid0(SALU_CYCLE_1) | instskip(NEXT) | instid1(SALU_CYCLE_1)
	s_mul_hi_u32 s3, s2, s3
	s_add_co_i32 s2, s2, s3
	s_delay_alu instid0(SALU_CYCLE_1) | instskip(NEXT) | instid1(SALU_CYCLE_1)
	s_mul_hi_u32 s2, s34, s2
	s_mul_i32 s3, s2, s42
	s_add_co_i32 s8, s2, 1
	s_sub_co_i32 s3, s34, s3
	s_delay_alu instid0(SALU_CYCLE_1)
	s_sub_co_i32 s9, s3, s42
	s_cmp_ge_u32 s3, s42
	s_cselect_b32 s2, s8, s2
	s_cselect_b32 s3, s9, s3
	s_add_co_i32 s8, s2, 1
	s_cmp_ge_u32 s3, s42
	s_cselect_b32 s38, s8, s2
	s_wait_kmcnt 0x0
	v_cmp_lt_u64_e64 s2, s[34:35], s[40:41]
	s_mov_b64 s[44:45], 0
	s_and_b32 vcc_lo, exec_lo, s2
	s_cbranch_vccz .LBB122_6
	s_branch .LBB122_7
.LBB122_22:
	s_mov_b64 s[8:9], 0
	s_add_nc_u64 s[10:11], s[10:11], s[20:21]
	s_wait_kmcnt 0x0
	s_add_nc_u64 s[12:13], s[18:19], s[20:21]
	s_mov_b32 s14, 0
	s_delay_alu instid0(SALU_CYCLE_1)
	s_cmp_ge_u32 s14, s29
	s_cbranch_scc0 .LBB122_46
	s_branch .LBB122_24
.LBB122_23:
	s_add_co_i32 s14, s16, 4
	s_add_nc_u64 s[12:13], s[18:19], s[20:21]
	s_add_nc_u64 s[10:11], s[10:11], s[20:21]
	s_cmp_ge_u32 s14, s29
	s_cbranch_scc0 .LBB122_46
.LBB122_24:
	v_dual_mov_b32 v2, s8 :: v_dual_mov_b32 v3, s17
	v_dual_mov_b32 v4, s9 :: v_dual_mov_b32 v1, 0
	ds_store_b96 v1, v[2:4] offset:1056
.LBB122_25:
	s_or_b32 exec_lo, exec_lo, s24
	s_clause 0x5
	s_load_b64 s[46:47], s[0:1], 0x0
	s_load_b128 s[16:19], s[0:1], 0xd0
	s_load_b128 s[8:11], s[0:1], 0x1b8
	s_load_b128 s[24:27], s[0:1], 0x290
	s_load_b128 s[12:15], s[0:1], 0x360
	s_load_b128 s[20:23], s[0:1], 0x438
	s_cmp_eq_u32 s28, 0
	s_wait_loadcnt_dscnt 0x0
	s_barrier_signal -1
	s_barrier_wait -1
	s_cbranch_scc1 .LBB122_48
; %bb.26:
	v_dual_mov_b32 v1, 0 :: v_dual_lshrrev_b32 v5, 3, v0
	s_mul_u64 s[42:43], s[38:39], s[42:43]
	s_mul_u64 s[30:31], s[36:37], s[30:31]
	s_sub_nc_u64 s[42:43], s[34:35], s[42:43]
	ds_load_b96 v[2:4], v1 offset:1056
	s_wait_kmcnt 0x0
	s_mul_u64 s[24:25], s[38:39], s[24:25]
	s_sub_nc_u64 s[30:31], s[34:35], s[30:31]
	s_mul_u64 s[16:17], s[36:37], s[16:17]
	s_mul_u64 s[26:27], s[42:43], s[26:27]
	;; [unrolled: 1-line block ×3, first 2 shown]
	s_add_nc_u64 s[16:17], s[46:47], s[16:17]
	s_add_nc_u64 s[24:25], s[10:11], s[24:25]
	s_mul_u64 s[20:21], s[44:45], s[20:21]
	s_add_nc_u64 s[10:11], s[16:17], s[18:19]
	s_add_nc_u64 s[16:17], s[24:25], s[26:27]
	s_load_b32 s24, s[0:1], 0x1b0
	s_lshl_b64 s[18:19], s[20:21], 3
	v_dual_add_nc_u32 v7, -1, v0 :: v_dual_bitop2_b32 v5, 28, v5 bitop3:0x40
	s_add_nc_u64 s[18:19], s[14:15], s[18:19]
	s_load_b64 s[14:15], s[0:1], 0x508
	s_mul_u64 s[38:39], s[44:45], s[40:41]
	s_delay_alu instid0(VALU_DEP_1)
	v_dual_lshrrev_b32 v8, 3, v7 :: v_dual_lshlrev_b32 v12, 5, v0
	v_lshl_add_u32 v5, v0, 2, v5
	s_wait_xcnt 0x0
	v_cmp_gt_u32_e64 s0, 32, v0
	v_and_b32_e32 v11, 0xfc, v0
	v_mad_u32 v0, s48, s33, v0
	s_wait_dscnt 0x0
	v_add_nc_u32_e32 v2, v2, v3
	v_and_b32_e32 v3, 0x1ffffffc, v8
	v_mbcnt_lo_u32_b32 v8, -1, 0
	s_sub_nc_u64 s[30:31], s[34:35], s[38:39]
	v_and_b32_e32 v10, 0xff, v6
	s_mul_u64 s[22:23], s[30:31], s[22:23]
	v_lshl_add_u32 v9, v7, 2, v3
	s_lshl_b64 s[20:21], s[22:23], 3
	v_add_nc_u32_e32 v11, v11, v12
	v_dual_add_nc_u32 v14, -1, v8 :: v_dual_bitop2_b32 v12, 15, v8 bitop3:0x40
	v_bfe_i32 v13, v8, 4, 1
	s_wait_kmcnt 0x0
	s_bitcmp1_b32 s24, 0
	s_add_nc_u64 s[18:19], s[18:19], s[20:21]
	s_cselect_b32 s1, -1, 0
                                        ; implicit-def: $vgpr15
	s_branch .LBB122_29
.LBB122_27:                             ;   in Loop: Header=BB122_29 Depth=1
	s_wait_xcnt 0x0
	s_or_b32 exec_lo, exec_lo, s20
	v_add_nc_u32_e32 v2, v3, v2
.LBB122_28:                             ;   in Loop: Header=BB122_29 Depth=1
	v_add_nc_u32_e32 v4, v16, v4
	v_add_nc_u32_e32 v0, 0x100, v0
	s_add_co_i32 s28, s28, -1
	s_delay_alu instid0(SALU_CYCLE_1)
	s_cmp_lg_u32 s28, 0
	s_cbranch_scc0 .LBB122_48
.LBB122_29:                             ; =>This Inner Loop Header: Depth=1
	v_dual_mov_b32 v3, v1 :: v_dual_mov_b32 v6, v1
	s_mov_b32 s20, exec_lo
	v_cmpx_gt_u64_e64 s[4:5], v[0:1]
	s_cbranch_execz .LBB122_31
; %bb.30:                               ;   in Loop: Header=BB122_29 Depth=1
	v_mad_nc_u64_u32 v[6:7], s8, v0, s[10:11]
	s_delay_alu instid0(VALU_DEP_1)
	v_mad_u32 v7, s9, v0, v7
	global_load_u8 v15, v[6:7], off
	s_wait_loadcnt 0x0
	v_cmp_gt_u16_e32 vcc_lo, v15, v10
	v_cndmask_b32_e64 v3, 0, 1, vcc_lo
	v_cmp_lt_u16_e32 vcc_lo, v15, v10
	s_wait_xcnt 0x0
	v_cndmask_b32_e64 v6, 0, 1, vcc_lo
	v_cmp_eq_u16_e32 vcc_lo, v15, v10
	s_delay_alu instid0(VALU_DEP_2) | instskip(SKIP_1) | instid1(VALU_DEP_2)
	v_cndmask_b32_e64 v3, v6, v3, s1
	v_cndmask_b32_e64 v6, 0, 1, vcc_lo
	v_and_b32_e32 v3, 1, v3
.LBB122_31:                             ;   in Loop: Header=BB122_29 Depth=1
	s_or_b32 exec_lo, exec_lo, s20
	ds_store_b32 v5, v3
	s_wait_dscnt 0x0
	s_barrier_signal -1
	s_barrier_wait -1
	s_and_saveexec_b32 s20, s0
	s_cbranch_execz .LBB122_33
; %bb.32:                               ;   in Loop: Header=BB122_29 Depth=1
	ds_load_2addr_b32 v[16:17], v11 offset1:1
	ds_load_2addr_b32 v[18:19], v11 offset0:2 offset1:3
	ds_load_2addr_b32 v[20:21], v11 offset0:4 offset1:5
	;; [unrolled: 1-line block ×3, first 2 shown]
	v_cmp_ne_u32_e32 vcc_lo, 0, v12
	; wave barrier
	s_wait_dscnt 0x3
	v_add_nc_u32_e32 v7, v17, v16
	s_wait_dscnt 0x2
	s_delay_alu instid0(VALU_DEP_1) | instskip(SKIP_1) | instid1(VALU_DEP_1)
	v_add3_u32 v7, v7, v18, v19
	s_wait_dscnt 0x1
	v_add3_u32 v7, v7, v20, v21
	s_wait_dscnt 0x0
	s_delay_alu instid0(VALU_DEP_1) | instskip(NEXT) | instid1(VALU_DEP_1)
	v_add3_u32 v7, v7, v22, v23
	v_mov_b32_dpp v17, v7 row_shr:1 row_mask:0xf bank_mask:0xf
	s_delay_alu instid0(VALU_DEP_1) | instskip(SKIP_1) | instid1(VALU_DEP_2)
	v_cndmask_b32_e32 v17, 0, v17, vcc_lo
	v_cmp_lt_u32_e32 vcc_lo, 1, v12
	v_add_nc_u32_e32 v7, v17, v7
	s_delay_alu instid0(VALU_DEP_1) | instskip(NEXT) | instid1(VALU_DEP_1)
	v_mov_b32_dpp v17, v7 row_shr:2 row_mask:0xf bank_mask:0xf
	v_cndmask_b32_e32 v17, 0, v17, vcc_lo
	v_cmp_lt_u32_e32 vcc_lo, 3, v12
	s_delay_alu instid0(VALU_DEP_2) | instskip(NEXT) | instid1(VALU_DEP_1)
	v_add_nc_u32_e32 v7, v7, v17
	v_mov_b32_dpp v17, v7 row_shr:4 row_mask:0xf bank_mask:0xf
	s_delay_alu instid0(VALU_DEP_1) | instskip(SKIP_1) | instid1(VALU_DEP_2)
	v_cndmask_b32_e32 v17, 0, v17, vcc_lo
	v_cmp_lt_u32_e32 vcc_lo, 7, v12
	v_add_nc_u32_e32 v7, v7, v17
	s_delay_alu instid0(VALU_DEP_1) | instskip(NEXT) | instid1(VALU_DEP_1)
	v_mov_b32_dpp v17, v7 row_shr:8 row_mask:0xf bank_mask:0xf
	v_cndmask_b32_e32 v17, 0, v17, vcc_lo
	v_cmp_gt_i32_e32 vcc_lo, 0, v14
	s_delay_alu instid0(VALU_DEP_2) | instskip(SKIP_3) | instid1(VALU_DEP_1)
	v_dual_cndmask_b32 v18, v14, v8 :: v_dual_add_nc_u32 v7, v7, v17
	ds_swizzle_b32 v17, v7 offset:swizzle(BROADCAST,32,15)
	s_wait_dscnt 0x0
	v_dual_lshlrev_b32 v18, 2, v18 :: v_dual_bitop2_b32 v17, v13, v17 bitop3:0x40
	v_add_nc_u32_e32 v7, v7, v17
	ds_bpermute_b32 v7, v18, v7
	s_wait_dscnt 0x0
	v_add_nc_u32_e32 v7, v7, v16
	s_delay_alu instid0(VALU_DEP_1)
	v_cndmask_b32_e64 v7, v7, v3, s3
	ds_store_b32 v11, v7
	; wave barrier
	ds_load_2addr_b32 v[16:17], v11 offset0:1 offset1:2
	ds_load_2addr_b32 v[18:19], v11 offset0:3 offset1:4
	;; [unrolled: 1-line block ×3, first 2 shown]
	ds_load_b32 v22, v11 offset:28
	s_wait_dscnt 0x3
	v_add_nc_u32_e32 v7, v16, v7
	s_delay_alu instid0(VALU_DEP_1) | instskip(SKIP_1) | instid1(VALU_DEP_1)
	v_add_nc_u32_e32 v16, v17, v7
	s_wait_dscnt 0x2
	v_add_nc_u32_e32 v17, v18, v16
	s_delay_alu instid0(VALU_DEP_1) | instskip(SKIP_1) | instid1(VALU_DEP_1)
	v_add_nc_u32_e32 v18, v19, v17
	;; [unrolled: 4-line block ×3, first 2 shown]
	s_wait_dscnt 0x0
	v_add_nc_u32_e32 v21, v22, v20
	ds_store_2addr_b32 v11, v7, v16 offset0:1 offset1:2
	ds_store_2addr_b32 v11, v17, v18 offset0:3 offset1:4
	;; [unrolled: 1-line block ×3, first 2 shown]
	ds_store_b32 v11, v21 offset:28
.LBB122_33:                             ;   in Loop: Header=BB122_29 Depth=1
	s_or_b32 exec_lo, exec_lo, s20
	v_mov_b32_e32 v7, 0
	s_wait_dscnt 0x0
	s_barrier_signal -1
	s_barrier_wait -1
	s_and_saveexec_b32 s20, s2
; %bb.34:                               ;   in Loop: Header=BB122_29 Depth=1
	ds_load_b32 v7, v9
; %bb.35:                               ;   in Loop: Header=BB122_29 Depth=1
	s_or_b32 exec_lo, exec_lo, s20
	ds_load_b32 v16, v1 offset:1048
	s_mov_b32 s20, exec_lo
	s_wait_dscnt 0x0
	s_barrier_signal -1
	s_barrier_wait -1
	v_cmpx_ne_u32_e32 0, v3
	s_cbranch_execz .LBB122_37
; %bb.36:                               ;   in Loop: Header=BB122_29 Depth=1
	v_dual_mov_b32 v19, v1 :: v_dual_add_nc_u32 v18, v7, v4
	s_delay_alu instid0(VALU_DEP_1) | instskip(NEXT) | instid1(VALU_DEP_2)
	v_mad_nc_u64_u32 v[22:23], s12, v18, s[16:17]
	v_mul_u64_e32 v[20:21], s[14:15], v[18:19]
	s_delay_alu instid0(VALU_DEP_2) | instskip(NEXT) | instid1(VALU_DEP_2)
	v_mad_u32 v23, s13, v18, v23
	v_lshl_add_u64 v[18:19], v[20:21], 3, s[18:19]
	global_store_b8 v[22:23], v15, off
	global_store_b64 v[18:19], v[0:1], off
.LBB122_37:                             ;   in Loop: Header=BB122_29 Depth=1
	s_wait_xcnt 0x0
	s_or_b32 exec_lo, exec_lo, s20
	v_mov_b32_e32 v3, v1
	s_delay_alu instid0(VALU_DEP_1)
	v_cmp_le_u64_e32 vcc_lo, s[6:7], v[2:3]
	s_cbranch_vccnz .LBB122_28
; %bb.38:                               ;   in Loop: Header=BB122_29 Depth=1
	ds_store_b32 v5, v6
	s_wait_storecnt_dscnt 0x0
	s_barrier_signal -1
	s_barrier_wait -1
	s_and_saveexec_b32 s20, s0
	s_cbranch_execz .LBB122_40
; %bb.39:                               ;   in Loop: Header=BB122_29 Depth=1
	ds_load_2addr_b32 v[18:19], v11 offset1:1
	ds_load_2addr_b32 v[20:21], v11 offset0:2 offset1:3
	ds_load_2addr_b32 v[22:23], v11 offset0:4 offset1:5
	;; [unrolled: 1-line block ×3, first 2 shown]
	v_cmp_ne_u32_e32 vcc_lo, 0, v12
	; wave barrier
	s_wait_dscnt 0x3
	v_add_nc_u32_e32 v3, v19, v18
	s_wait_dscnt 0x2
	s_delay_alu instid0(VALU_DEP_1) | instskip(SKIP_1) | instid1(VALU_DEP_1)
	v_add3_u32 v3, v3, v20, v21
	s_wait_dscnt 0x1
	v_add3_u32 v3, v3, v22, v23
	s_wait_dscnt 0x0
	s_delay_alu instid0(VALU_DEP_1) | instskip(NEXT) | instid1(VALU_DEP_1)
	v_add3_u32 v3, v3, v24, v25
	v_mov_b32_dpp v7, v3 row_shr:1 row_mask:0xf bank_mask:0xf
	s_delay_alu instid0(VALU_DEP_1) | instskip(SKIP_1) | instid1(VALU_DEP_2)
	v_cndmask_b32_e32 v7, 0, v7, vcc_lo
	v_cmp_lt_u32_e32 vcc_lo, 1, v12
	v_add_nc_u32_e32 v3, v7, v3
	s_delay_alu instid0(VALU_DEP_1) | instskip(NEXT) | instid1(VALU_DEP_1)
	v_mov_b32_dpp v7, v3 row_shr:2 row_mask:0xf bank_mask:0xf
	v_cndmask_b32_e32 v7, 0, v7, vcc_lo
	v_cmp_lt_u32_e32 vcc_lo, 3, v12
	s_delay_alu instid0(VALU_DEP_2) | instskip(NEXT) | instid1(VALU_DEP_1)
	v_add_nc_u32_e32 v3, v3, v7
	v_mov_b32_dpp v7, v3 row_shr:4 row_mask:0xf bank_mask:0xf
	s_delay_alu instid0(VALU_DEP_1) | instskip(SKIP_1) | instid1(VALU_DEP_2)
	v_cndmask_b32_e32 v7, 0, v7, vcc_lo
	v_cmp_lt_u32_e32 vcc_lo, 7, v12
	v_add_nc_u32_e32 v3, v3, v7
	s_delay_alu instid0(VALU_DEP_1) | instskip(NEXT) | instid1(VALU_DEP_1)
	v_mov_b32_dpp v7, v3 row_shr:8 row_mask:0xf bank_mask:0xf
	v_cndmask_b32_e32 v7, 0, v7, vcc_lo
	v_cmp_gt_i32_e32 vcc_lo, 0, v14
	s_delay_alu instid0(VALU_DEP_2) | instskip(SKIP_3) | instid1(VALU_DEP_1)
	v_dual_add_nc_u32 v3, v3, v7 :: v_dual_cndmask_b32 v17, v14, v8, vcc_lo
	ds_swizzle_b32 v7, v3 offset:swizzle(BROADCAST,32,15)
	s_wait_dscnt 0x0
	v_dual_lshlrev_b32 v17, 2, v17 :: v_dual_bitop2_b32 v7, v13, v7 bitop3:0x40
	v_add_nc_u32_e32 v3, v3, v7
	ds_bpermute_b32 v3, v17, v3
	s_wait_dscnt 0x0
	v_add_nc_u32_e32 v3, v3, v18
	s_delay_alu instid0(VALU_DEP_1)
	v_cndmask_b32_e64 v3, v3, v6, s3
	ds_store_b32 v11, v3
	; wave barrier
	ds_load_2addr_b32 v[18:19], v11 offset0:1 offset1:2
	ds_load_2addr_b32 v[20:21], v11 offset0:3 offset1:4
	;; [unrolled: 1-line block ×3, first 2 shown]
	ds_load_b32 v7, v11 offset:28
	s_wait_dscnt 0x3
	v_add_nc_u32_e32 v3, v18, v3
	s_delay_alu instid0(VALU_DEP_1) | instskip(SKIP_1) | instid1(VALU_DEP_1)
	v_add_nc_u32_e32 v17, v19, v3
	s_wait_dscnt 0x2
	v_add_nc_u32_e32 v18, v20, v17
	s_delay_alu instid0(VALU_DEP_1) | instskip(SKIP_1) | instid1(VALU_DEP_1)
	v_add_nc_u32_e32 v19, v21, v18
	;; [unrolled: 4-line block ×3, first 2 shown]
	s_wait_dscnt 0x0
	v_add_nc_u32_e32 v7, v7, v21
	ds_store_2addr_b32 v11, v3, v17 offset0:1 offset1:2
	ds_store_2addr_b32 v11, v18, v19 offset0:3 offset1:4
	;; [unrolled: 1-line block ×3, first 2 shown]
	ds_store_b32 v11, v7 offset:28
.LBB122_40:                             ;   in Loop: Header=BB122_29 Depth=1
	s_or_b32 exec_lo, exec_lo, s20
	v_mov_b32_e32 v7, 0
	s_wait_dscnt 0x0
	s_barrier_signal -1
	s_barrier_wait -1
	s_and_saveexec_b32 s20, s2
; %bb.41:                               ;   in Loop: Header=BB122_29 Depth=1
	ds_load_b32 v7, v9
; %bb.42:                               ;   in Loop: Header=BB122_29 Depth=1
	s_or_b32 exec_lo, exec_lo, s20
	ds_load_b32 v3, v1 offset:1048
	s_mov_b32 s20, exec_lo
	s_wait_dscnt 0x0
	s_barrier_signal -1
	s_barrier_wait -1
	v_cmpx_ne_u32_e32 0, v6
	s_cbranch_execz .LBB122_27
; %bb.43:                               ;   in Loop: Header=BB122_29 Depth=1
	v_dual_mov_b32 v7, v1 :: v_dual_add_nc_u32 v6, v7, v2
	s_delay_alu instid0(VALU_DEP_1)
	v_cmp_gt_u64_e32 vcc_lo, s[6:7], v[6:7]
	s_and_b32 exec_lo, exec_lo, vcc_lo
	s_cbranch_execz .LBB122_27
; %bb.44:                               ;   in Loop: Header=BB122_29 Depth=1
	v_mul_u64_e32 v[18:19], s[14:15], v[6:7]
	v_mad_nc_u64_u32 v[20:21], s12, v6, s[16:17]
	s_delay_alu instid0(VALU_DEP_1) | instskip(NEXT) | instid1(VALU_DEP_3)
	v_mad_u32 v21, s13, v6, v21
	v_lshl_add_u64 v[6:7], v[18:19], 3, s[18:19]
	global_store_b8 v[20:21], v15, off
	global_store_b64 v[6:7], v[0:1], off
	s_branch .LBB122_27
.LBB122_45:                             ;   in Loop: Header=BB122_46 Depth=1
	s_add_co_i32 s14, s14, 1
	s_wait_kmcnt 0x0
	s_add_co_i32 s17, s15, s17
	s_add_nc_u64 s[10:11], s[10:11], 4
	s_cmp_lt_u32 s14, s29
	s_add_nc_u64 s[12:13], s[12:13], 4
	s_cbranch_scc0 .LBB122_24
.LBB122_46:                             ; =>This Inner Loop Header: Depth=1
	s_load_b32 s15, s[10:11], 0x0
	s_cmp_ge_u32 s14, s48
	s_cbranch_scc1 .LBB122_45
; %bb.47:                               ;   in Loop: Header=BB122_46 Depth=1
	s_load_b32 s16, s[12:13], 0x0
	s_wait_kmcnt 0x0
	s_add_co_i32 s9, s15, s9
	s_add_co_i32 s8, s16, s8
	s_branch .LBB122_45
.LBB122_48:
	s_endpgm
	.section	.rodata,"a",@progbits
	.p2align	6, 0x0
	.amdhsa_kernel _ZN2at6native6mbtopk10gatherTopKIhmLi2EEEvNS_4cuda6detail10TensorInfoIKT_T0_EES8_S8_bjS8_NS5_IS6_S8_EES8_NS5_IlS8_EES8_jjPS6_PjSD_j
		.amdhsa_group_segment_fixed_size 1068
		.amdhsa_private_segment_fixed_size 0
		.amdhsa_kernarg_size 1592
		.amdhsa_user_sgpr_count 2
		.amdhsa_user_sgpr_dispatch_ptr 0
		.amdhsa_user_sgpr_queue_ptr 0
		.amdhsa_user_sgpr_kernarg_segment_ptr 1
		.amdhsa_user_sgpr_dispatch_id 0
		.amdhsa_user_sgpr_kernarg_preload_length 0
		.amdhsa_user_sgpr_kernarg_preload_offset 0
		.amdhsa_user_sgpr_private_segment_size 0
		.amdhsa_wavefront_size32 1
		.amdhsa_uses_dynamic_stack 0
		.amdhsa_enable_private_segment 0
		.amdhsa_system_sgpr_workgroup_id_x 1
		.amdhsa_system_sgpr_workgroup_id_y 1
		.amdhsa_system_sgpr_workgroup_id_z 1
		.amdhsa_system_sgpr_workgroup_info 0
		.amdhsa_system_vgpr_workitem_id 0
		.amdhsa_next_free_vgpr 26
		.amdhsa_next_free_sgpr 49
		.amdhsa_named_barrier_count 0
		.amdhsa_reserve_vcc 1
		.amdhsa_float_round_mode_32 0
		.amdhsa_float_round_mode_16_64 0
		.amdhsa_float_denorm_mode_32 3
		.amdhsa_float_denorm_mode_16_64 3
		.amdhsa_fp16_overflow 0
		.amdhsa_memory_ordered 1
		.amdhsa_forward_progress 1
		.amdhsa_inst_pref_size 24
		.amdhsa_round_robin_scheduling 0
		.amdhsa_exception_fp_ieee_invalid_op 0
		.amdhsa_exception_fp_denorm_src 0
		.amdhsa_exception_fp_ieee_div_zero 0
		.amdhsa_exception_fp_ieee_overflow 0
		.amdhsa_exception_fp_ieee_underflow 0
		.amdhsa_exception_fp_ieee_inexact 0
		.amdhsa_exception_int_div_zero 0
	.end_amdhsa_kernel
	.section	.text._ZN2at6native6mbtopk10gatherTopKIhmLi2EEEvNS_4cuda6detail10TensorInfoIKT_T0_EES8_S8_bjS8_NS5_IS6_S8_EES8_NS5_IlS8_EES8_jjPS6_PjSD_j,"axG",@progbits,_ZN2at6native6mbtopk10gatherTopKIhmLi2EEEvNS_4cuda6detail10TensorInfoIKT_T0_EES8_S8_bjS8_NS5_IS6_S8_EES8_NS5_IlS8_EES8_jjPS6_PjSD_j,comdat
.Lfunc_end122:
	.size	_ZN2at6native6mbtopk10gatherTopKIhmLi2EEEvNS_4cuda6detail10TensorInfoIKT_T0_EES8_S8_bjS8_NS5_IS6_S8_EES8_NS5_IlS8_EES8_jjPS6_PjSD_j, .Lfunc_end122-_ZN2at6native6mbtopk10gatherTopKIhmLi2EEEvNS_4cuda6detail10TensorInfoIKT_T0_EES8_S8_bjS8_NS5_IS6_S8_EES8_NS5_IlS8_EES8_jjPS6_PjSD_j
                                        ; -- End function
	.set _ZN2at6native6mbtopk10gatherTopKIhmLi2EEEvNS_4cuda6detail10TensorInfoIKT_T0_EES8_S8_bjS8_NS5_IS6_S8_EES8_NS5_IlS8_EES8_jjPS6_PjSD_j.num_vgpr, 26
	.set _ZN2at6native6mbtopk10gatherTopKIhmLi2EEEvNS_4cuda6detail10TensorInfoIKT_T0_EES8_S8_bjS8_NS5_IS6_S8_EES8_NS5_IlS8_EES8_jjPS6_PjSD_j.num_agpr, 0
	.set _ZN2at6native6mbtopk10gatherTopKIhmLi2EEEvNS_4cuda6detail10TensorInfoIKT_T0_EES8_S8_bjS8_NS5_IS6_S8_EES8_NS5_IlS8_EES8_jjPS6_PjSD_j.numbered_sgpr, 49
	.set _ZN2at6native6mbtopk10gatherTopKIhmLi2EEEvNS_4cuda6detail10TensorInfoIKT_T0_EES8_S8_bjS8_NS5_IS6_S8_EES8_NS5_IlS8_EES8_jjPS6_PjSD_j.num_named_barrier, 0
	.set _ZN2at6native6mbtopk10gatherTopKIhmLi2EEEvNS_4cuda6detail10TensorInfoIKT_T0_EES8_S8_bjS8_NS5_IS6_S8_EES8_NS5_IlS8_EES8_jjPS6_PjSD_j.private_seg_size, 0
	.set _ZN2at6native6mbtopk10gatherTopKIhmLi2EEEvNS_4cuda6detail10TensorInfoIKT_T0_EES8_S8_bjS8_NS5_IS6_S8_EES8_NS5_IlS8_EES8_jjPS6_PjSD_j.uses_vcc, 1
	.set _ZN2at6native6mbtopk10gatherTopKIhmLi2EEEvNS_4cuda6detail10TensorInfoIKT_T0_EES8_S8_bjS8_NS5_IS6_S8_EES8_NS5_IlS8_EES8_jjPS6_PjSD_j.uses_flat_scratch, 0
	.set _ZN2at6native6mbtopk10gatherTopKIhmLi2EEEvNS_4cuda6detail10TensorInfoIKT_T0_EES8_S8_bjS8_NS5_IS6_S8_EES8_NS5_IlS8_EES8_jjPS6_PjSD_j.has_dyn_sized_stack, 0
	.set _ZN2at6native6mbtopk10gatherTopKIhmLi2EEEvNS_4cuda6detail10TensorInfoIKT_T0_EES8_S8_bjS8_NS5_IS6_S8_EES8_NS5_IlS8_EES8_jjPS6_PjSD_j.has_recursion, 0
	.set _ZN2at6native6mbtopk10gatherTopKIhmLi2EEEvNS_4cuda6detail10TensorInfoIKT_T0_EES8_S8_bjS8_NS5_IS6_S8_EES8_NS5_IlS8_EES8_jjPS6_PjSD_j.has_indirect_call, 0
	.section	.AMDGPU.csdata,"",@progbits
; Kernel info:
; codeLenInByte = 3000
; TotalNumSgprs: 51
; NumVgprs: 26
; ScratchSize: 0
; MemoryBound: 0
; FloatMode: 240
; IeeeMode: 1
; LDSByteSize: 1068 bytes/workgroup (compile time only)
; SGPRBlocks: 0
; VGPRBlocks: 1
; NumSGPRsForWavesPerEU: 51
; NumVGPRsForWavesPerEU: 26
; NamedBarCnt: 0
; Occupancy: 16
; WaveLimiterHint : 1
; COMPUTE_PGM_RSRC2:SCRATCH_EN: 0
; COMPUTE_PGM_RSRC2:USER_SGPR: 2
; COMPUTE_PGM_RSRC2:TRAP_HANDLER: 0
; COMPUTE_PGM_RSRC2:TGID_X_EN: 1
; COMPUTE_PGM_RSRC2:TGID_Y_EN: 1
; COMPUTE_PGM_RSRC2:TGID_Z_EN: 1
; COMPUTE_PGM_RSRC2:TIDIG_COMP_CNT: 0
	.section	.text._ZN2at6native6sbtopk10gatherTopKIhmLi2ELb0EEEvNS_4cuda6detail10TensorInfoIKT_T0_EES8_S8_bS8_S8_NS5_IS6_S8_EES8_NS5_IlS8_EES8_PS6_,"axG",@progbits,_ZN2at6native6sbtopk10gatherTopKIhmLi2ELb0EEEvNS_4cuda6detail10TensorInfoIKT_T0_EES8_S8_bS8_S8_NS5_IS6_S8_EES8_NS5_IlS8_EES8_PS6_,comdat
	.protected	_ZN2at6native6sbtopk10gatherTopKIhmLi2ELb0EEEvNS_4cuda6detail10TensorInfoIKT_T0_EES8_S8_bS8_S8_NS5_IS6_S8_EES8_NS5_IlS8_EES8_PS6_ ; -- Begin function _ZN2at6native6sbtopk10gatherTopKIhmLi2ELb0EEEvNS_4cuda6detail10TensorInfoIKT_T0_EES8_S8_bS8_S8_NS5_IS6_S8_EES8_NS5_IlS8_EES8_PS6_
	.globl	_ZN2at6native6sbtopk10gatherTopKIhmLi2ELb0EEEvNS_4cuda6detail10TensorInfoIKT_T0_EES8_S8_bS8_S8_NS5_IS6_S8_EES8_NS5_IlS8_EES8_PS6_
	.p2align	8
	.type	_ZN2at6native6sbtopk10gatherTopKIhmLi2ELb0EEEvNS_4cuda6detail10TensorInfoIKT_T0_EES8_S8_bS8_S8_NS5_IS6_S8_EES8_NS5_IlS8_EES8_PS6_,@function
_ZN2at6native6sbtopk10gatherTopKIhmLi2ELb0EEEvNS_4cuda6detail10TensorInfoIKT_T0_EES8_S8_bS8_S8_NS5_IS6_S8_EES8_NS5_IlS8_EES8_PS6_: ; @_ZN2at6native6sbtopk10gatherTopKIhmLi2ELb0EEEvNS_4cuda6detail10TensorInfoIKT_T0_EES8_S8_bS8_S8_NS5_IS6_S8_EES8_NS5_IlS8_EES8_PS6_
; %bb.0:
	s_clause 0x1
	s_load_b128 s[28:31], s[0:1], 0x1b8
	s_load_b64 s[12:13], s[0:1], 0x520
	s_bfe_u32 s2, ttmp6, 0x40010
	s_and_b32 s3, ttmp7, 0xffff
	s_add_co_i32 s2, s2, 1
	s_bfe_u32 s5, ttmp6, 0x4000c
	s_mul_i32 s2, s3, s2
	s_bfe_u32 s4, ttmp6, 0x40004
	s_add_co_i32 s5, s5, 1
	s_bfe_u32 s6, ttmp6, 0x40014
	s_add_co_i32 s4, s4, s2
	s_and_b32 s2, ttmp6, 15
	s_mul_i32 s5, ttmp9, s5
	s_lshr_b32 s7, ttmp7, 16
	s_add_co_i32 s6, s6, 1
	s_add_co_i32 s2, s2, s5
	s_mul_i32 s5, s7, s6
	s_bfe_u32 s6, ttmp6, 0x40008
	s_getreg_b32 s8, hwreg(HW_REG_IB_STS2, 6, 4)
	s_add_co_i32 s6, s6, s5
	s_cmp_eq_u32 s8, 0
	s_mov_b32 s51, 0
	s_cselect_b32 s5, s7, s6
	s_cselect_b32 s3, s3, s4
	s_wait_kmcnt 0x0
	s_mul_i32 s5, s13, s5
	s_cselect_b32 s13, ttmp9, s2
	s_add_co_i32 s2, s5, s3
	s_delay_alu instid0(SALU_CYCLE_1) | instskip(NEXT) | instid1(SALU_CYCLE_1)
	s_mul_i32 s2, s2, s12
	s_add_co_i32 s50, s2, s13
	s_delay_alu instid0(SALU_CYCLE_1)
	v_cmp_le_u64_e64 s2, s[28:29], s[50:51]
	s_and_b32 vcc_lo, exec_lo, s2
	s_cbranch_vccnz .LBB123_478
; %bb.1:
	s_clause 0x1
	s_load_b64 s[2:3], s[0:1], 0x10
	s_load_b64 s[10:11], s[0:1], 0x1d8
	s_mov_b64 s[8:9], 0
	s_mov_b64 s[6:7], 0
	s_wait_kmcnt 0x0
	v_cmp_lt_u64_e64 s4, s[50:51], s[2:3]
	s_and_b32 vcc_lo, exec_lo, s4
	s_cbranch_vccnz .LBB123_3
; %bb.2:
	v_cvt_f32_u32_e32 v1, s2
	s_sub_co_i32 s5, 0, s2
	s_delay_alu instid0(VALU_DEP_1) | instskip(SKIP_1) | instid1(TRANS32_DEP_1)
	v_rcp_iflag_f32_e32 v1, v1
	v_nop
	v_mul_f32_e32 v1, 0x4f7ffffe, v1
	s_delay_alu instid0(VALU_DEP_1) | instskip(NEXT) | instid1(VALU_DEP_1)
	v_cvt_u32_f32_e32 v1, v1
	v_readfirstlane_b32 s4, v1
	s_mul_i32 s5, s5, s4
	s_delay_alu instid0(SALU_CYCLE_1) | instskip(NEXT) | instid1(SALU_CYCLE_1)
	s_mul_hi_u32 s5, s4, s5
	s_add_co_i32 s4, s4, s5
	s_delay_alu instid0(SALU_CYCLE_1) | instskip(NEXT) | instid1(SALU_CYCLE_1)
	s_mul_hi_u32 s4, s50, s4
	s_mul_i32 s5, s4, s2
	s_add_co_i32 s6, s4, 1
	s_sub_co_i32 s5, s50, s5
	s_delay_alu instid0(SALU_CYCLE_1)
	s_sub_co_i32 s7, s5, s2
	s_cmp_ge_u32 s5, s2
	s_cselect_b32 s4, s6, s4
	s_cselect_b32 s5, s7, s5
	s_add_co_i32 s6, s4, 1
	s_cmp_ge_u32 s5, s2
	s_mov_b32 s7, 0
	s_cselect_b32 s6, s6, s4
.LBB123_3:
	s_load_b64 s[56:57], s[0:1], 0x380
	v_cmp_lt_u64_e64 s4, s[50:51], s[10:11]
	s_and_b32 vcc_lo, exec_lo, s4
	s_cbranch_vccnz .LBB123_5
; %bb.4:
	v_cvt_f32_u32_e32 v1, s10
	s_sub_co_i32 s5, 0, s10
	s_delay_alu instid0(VALU_DEP_1) | instskip(SKIP_1) | instid1(TRANS32_DEP_1)
	v_rcp_iflag_f32_e32 v1, v1
	v_nop
	v_mul_f32_e32 v1, 0x4f7ffffe, v1
	s_delay_alu instid0(VALU_DEP_1) | instskip(NEXT) | instid1(VALU_DEP_1)
	v_cvt_u32_f32_e32 v1, v1
	v_readfirstlane_b32 s4, v1
	s_mul_i32 s5, s5, s4
	s_delay_alu instid0(SALU_CYCLE_1) | instskip(NEXT) | instid1(SALU_CYCLE_1)
	s_mul_hi_u32 s5, s4, s5
	s_add_co_i32 s4, s4, s5
	s_delay_alu instid0(SALU_CYCLE_1) | instskip(NEXT) | instid1(SALU_CYCLE_1)
	s_mul_hi_u32 s4, s50, s4
	s_mul_i32 s5, s4, s10
	s_add_co_i32 s8, s4, 1
	s_sub_co_i32 s5, s50, s5
	s_delay_alu instid0(SALU_CYCLE_1)
	s_sub_co_i32 s9, s5, s10
	s_cmp_ge_u32 s5, s10
	s_cselect_b32 s4, s8, s4
	s_cselect_b32 s5, s9, s5
	s_add_co_i32 s8, s4, 1
	s_cmp_ge_u32 s5, s10
	s_mov_b32 s9, 0
	s_cselect_b32 s8, s8, s4
.LBB123_5:
	s_wait_kmcnt 0x0
	v_cmp_lt_u64_e64 s4, s[50:51], s[56:57]
                                        ; implicit-def: $vgpr42 : SGPR spill to VGPR lane
	s_mov_b64 s[58:59], 0
	v_writelane_b32 v42, s8, 0
	v_writelane_b32 v42, s9, 1
	s_and_b32 vcc_lo, exec_lo, s4
	s_cbranch_vccnz .LBB123_7
; %bb.6:
	v_cvt_f32_u32_e32 v1, s56
	s_sub_co_i32 s5, 0, s56
	s_mov_b32 s59, 0
	s_delay_alu instid0(VALU_DEP_1) | instskip(SKIP_1) | instid1(TRANS32_DEP_1)
	v_rcp_iflag_f32_e32 v1, v1
	v_nop
	v_mul_f32_e32 v1, 0x4f7ffffe, v1
	s_delay_alu instid0(VALU_DEP_1) | instskip(NEXT) | instid1(VALU_DEP_1)
	v_cvt_u32_f32_e32 v1, v1
	v_readfirstlane_b32 s4, v1
	s_mul_i32 s5, s5, s4
	s_delay_alu instid0(SALU_CYCLE_1) | instskip(NEXT) | instid1(SALU_CYCLE_1)
	s_mul_hi_u32 s5, s4, s5
	s_add_co_i32 s4, s4, s5
	s_delay_alu instid0(SALU_CYCLE_1) | instskip(NEXT) | instid1(SALU_CYCLE_1)
	s_mul_hi_u32 s4, s50, s4
	s_mul_i32 s5, s4, s56
	s_add_co_i32 s8, s4, 1
	s_sub_co_i32 s5, s50, s5
	s_delay_alu instid0(SALU_CYCLE_1)
	s_sub_co_i32 s9, s5, s56
	s_cmp_ge_u32 s5, s56
	s_cselect_b32 s4, s8, s4
	s_cselect_b32 s5, s9, s5
	s_add_co_i32 s8, s4, 1
	s_cmp_ge_u32 s5, s56
	s_cselect_b32 s58, s8, s4
.LBB123_7:
	s_clause 0x2
	s_load_b128 s[8:11], s[0:1], 0xd0
	s_load_b64 s[16:17], s[0:1], 0x0
	s_load_b128 s[36:39], s[0:1], 0x1a0
	v_cmp_eq_u32_e64 s5, 0, v0
	s_add_nc_u64 s[14:15], s[0:1], 0x520
	s_mov_b32 s29, 0
	s_and_saveexec_b32 s4, s5
	s_cbranch_execz .LBB123_9
; %bb.8:
	s_wait_kmcnt 0x0
	v_dual_mov_b32 v2, 0 :: v_dual_mov_b32 v4, s36
	s_delay_alu instid0(VALU_DEP_1)
	v_dual_mov_b32 v5, s37 :: v_dual_mov_b32 v3, v2
	ds_store_b32 v2, v2 offset:5144
	ds_store_b128 v2, v[2:5] offset:5120
.LBB123_9:
	s_or_b32 exec_lo, exec_lo, s4
	s_clause 0x2
	s_load_b32 s4, s[0:1], 0x1b0
	s_load_b64 s[18:19], s[0:1], 0x1c8
	s_load_b128 s[20:23], s[0:1], 0x440
	s_mul_u64 s[2:3], s[6:7], s[2:3]
	s_wait_kmcnt 0x0
	s_mul_u64 s[6:7], s[6:7], s[8:9]
	s_load_b64 s[8:9], s[0:1], 0x370
	v_dual_mov_b32 v3, 0 :: v_dual_add_nc_u32 v2, 2, v0
	s_sub_nc_u64 s[2:3], s[50:51], s[2:3]
	s_add_nc_u64 s[6:7], s[16:17], s[6:7]
	s_mul_u64 s[2:3], s[2:3], s[10:11]
	s_wait_dscnt 0x0
	v_max_u64 v[4:5], s[36:37], v[2:3]
	s_barrier_signal -1
	s_barrier_wait -1
	s_add_nc_u64 s[34:35], s[6:7], s[2:3]
	s_load_b32 s7, s[14:15], 0xc
	v_mbcnt_lo_u32_b32 v13, -1, 0
	v_dual_mov_b32 v17, v3 :: v_dual_mov_b32 v9, -1
	v_writelane_b32 v42, s18, 2
	v_not_b32_e32 v8, v0
	v_mad_nc_u64_u32 v[14:15], s30, v0, s[34:35]
	v_cmp_gt_u32_e32 vcc_lo, 32, v0
	v_cmp_gt_i32_e64 s3, 4, v13
	v_writelane_b32 v42, s19, 3
	s_bitcmp1_b32 s4, 0
	v_dual_mov_b32 v1, v3 :: v_dual_lshlrev_b32 v16, 2, v0
	s_cselect_b32 s4, -1, 0
	v_writelane_b32 v42, s20, 4
	s_xor_b32 s33, s4, -1
	s_and_b32 s86, vcc_lo, s3
	v_lshlrev_b64_e64 v[6:7], v13, -1
	v_mad_u32 v15, s31, v0, v15
	v_writelane_b32 v42, s21, 5
	s_wait_kmcnt 0x0
	s_and_b32 s48, s7, 0xffff
	v_cmp_lt_u64_e64 s87, 0xc00, s[36:37]
	v_cmp_gt_u64_e64 s3, s[36:37], v[0:1]
	v_mov_b64_e32 v[22:23], s[38:39]
	v_writelane_b32 v42, s22, 6
	s_mov_b32 s49, s29
	v_cmp_eq_u32_e64 s2, 0, v13
	v_add_nc_u64_e32 v[4:5], v[4:5], v[8:9]
	v_cmp_gt_u32_e64 s6, 2, v0
	v_writelane_b32 v42, s23, 7
	v_not_b32_e32 v12, v6
	v_lshl_or_b32 v30, v13, 3, 0xc00
	v_dual_mov_b32 v32, 0 :: v_dual_mov_b32 v29, 0
	v_writelane_b32 v42, s8, 8
	v_dual_mov_b32 v19, v5 :: v_dual_bitop2_b32 v18, -4, v4 bitop3:0x40
	v_mov_b32_e32 v31, 0
	s_add_nc_u64 s[64:65], s[48:49], -1
	v_writelane_b32 v42, s9, 9
	s_load_b128 s[8:11], s[0:1], 0x298
	v_add_nc_u64_e32 v[20:21], v[18:19], v[0:1]
	v_cmp_ne_u64_e64 s55, v[4:5], v[18:19]
	s_add_nc_u64 s[66:67], s[64:65], s[36:37]
	s_mov_b32 s89, s30
	s_mov_b32 s90, s31
	s_mov_b32 s91, s30
	s_mov_b32 s92, s31
	s_mov_b32 s93, s30
	s_mov_b32 s94, s31
	s_mov_b32 s99, 6
	s_mov_b32 s101, 0x4f800000
	s_mov_b32 s100, 0
	s_mov_b32 s103, 0
                                        ; implicit-def: $sgpr102
                                        ; implicit-def: $sgpr60
                                        ; implicit-def: $vcc_hi
                                        ; implicit-def: $sgpr61
                                        ; implicit-def: $sgpr104
                                        ; implicit-def: $sgpr41
                                        ; implicit-def: $sgpr42
                                        ; implicit-def: $sgpr62
                                        ; implicit-def: $sgpr40
                                        ; implicit-def: $sgpr63
	s_wait_kmcnt 0x0
	v_writelane_b32 v42, s8, 10
	v_writelane_b32 v42, s9, 11
	;; [unrolled: 1-line block ×4, first 2 shown]
	s_bfe_u32 s9, s7, 0xb0005
	s_cmp_gt_u32 s48, 31
	s_movk_i32 s7, 0x3e0
	s_cselect_b32 s88, -1, 0
	s_cmp_lt_u32 s13, s12
	v_and_or_b32 v28, v0, s7, 0xc00
	s_cselect_b32 s28, 12, 18
	s_add_co_i32 s8, s9, -1
	s_bfe_u32 s95, s48, 0x30005
	s_and_b32 s8, s8, 0xffff
	v_cmp_lt_u64_e64 s7, 3, v[4:5]
	s_cmp_gt_u32 s8, 6
	s_add_nc_u64 s[68:69], s[14:15], s[28:29]
	s_cselect_b32 s96, -1, 0
	s_and_b32 s97, s9, 0x7f8
	s_cmp_lg_u32 s95, 0
	s_cselect_b32 s98, -1, 0
	s_and_b64 s[70:71], s[36:37], 0xffffffff00000000
	s_branch .LBB123_12
.LBB123_10:                             ;   in Loop: Header=BB123_12 Depth=1
	s_or_b32 exec_lo, exec_lo, s12
	v_mov_b64_e32 v[22:23], v[4:5]
	s_and_not1_b32 s8, s63, exec_lo
	s_and_b32 s11, s11, exec_lo
	s_and_not1_b32 s40, s40, exec_lo
	s_or_b32 s63, s8, s11
	s_and_not1_b32 s62, s62, exec_lo
	s_and_not1_b32 s42, s42, exec_lo
	;; [unrolled: 1-line block ×3, first 2 shown]
	s_or_not1_b32 s10, s10, exec_lo
.LBB123_11:                             ;   in Loop: Header=BB123_12 Depth=1
	s_or_b32 exec_lo, exec_lo, s9
	s_delay_alu instid0(SALU_CYCLE_1) | instskip(NEXT) | instid1(SALU_CYCLE_1)
	s_and_b32 s9, exec_lo, s10
	s_or_b32 s100, s9, s100
	s_and_not1_b32 s9, s104, exec_lo
	s_and_b32 s10, s63, exec_lo
	s_and_not1_b32 s11, s61, exec_lo
	s_or_b32 s104, s9, s10
	s_and_b32 s9, s40, exec_lo
	s_and_not1_b32 s10, vcc_hi, exec_lo
	s_and_b32 s12, s62, exec_lo
	s_or_b32 s61, s11, s9
	s_or_b32 vcc_hi, s10, s12
	s_and_not1_b32 s9, s60, exec_lo
	s_and_b32 s10, s42, exec_lo
	s_and_not1_b32 s11, s102, exec_lo
	s_and_b32 s12, s41, exec_lo
	s_or_b32 s60, s9, s10
	s_or_b32 s102, s11, s12
	s_and_not1_b32 exec_lo, exec_lo, s100
	s_cbranch_execz .LBB123_474
.LBB123_12:                             ; =>This Loop Header: Depth=1
                                        ;     Child Loop BB123_17 Depth 2
                                        ;     Child Loop BB123_31 Depth 2
	;; [unrolled: 1-line block ×25, first 2 shown]
	ds_load_b128 v[4:7], v3 offset:5120
	s_wait_dscnt 0x0
	v_readfirstlane_b32 s73, v5
	v_readfirstlane_b32 s72, v4
	s_cmp_lg_u64 s[72:73], 0
	s_cbranch_scc1 .LBB123_44
; %bb.13:                               ;   in Loop: Header=BB123_12 Depth=1
	s_and_b32 vcc_lo, exec_lo, s87
	s_cbranch_vccz .LBB123_25
; %bb.14:                               ;   in Loop: Header=BB123_12 Depth=1
	v_cmp_gt_u64_e32 vcc_lo, 0xc01, v[6:7]
	s_mov_b32 s11, 0
	s_mov_b32 s9, 0
	s_cbranch_vccz .LBB123_26
; %bb.15:                               ;   in Loop: Header=BB123_12 Depth=1
	global_load_u16 v2, v3, s[68:69]
	global_load_u8 v6, v[14:15], off
	v_mov_b64_e32 v[4:5], v[0:1]
	s_mov_b32 s12, 0
	s_wait_loadcnt 0x1
	v_and_b32_e32 v2, 0xffff, v2
	s_branch .LBB123_17
.LBB123_16:                             ;   in Loop: Header=BB123_17 Depth=2
	s_or_b32 exec_lo, exec_lo, s10
	v_mov_b32_e32 v6, v7
	s_and_not1_b32 exec_lo, exec_lo, s12
	s_cbranch_execz .LBB123_98
.LBB123_17:                             ;   Parent Loop BB123_12 Depth=1
                                        ; =>  This Inner Loop Header: Depth=2
	s_delay_alu instid0(VALU_DEP_1) | instskip(SKIP_3) | instid1(VALU_DEP_2)
	v_add_nc_u64_e32 v[4:5], v[4:5], v[2:3]
	s_wait_dscnt 0x0
	v_dual_mov_b32 v8, 0 :: v_dual_mov_b32 v7, 0
	s_mov_b32 s10, exec_lo
	v_cmp_le_u64_e32 vcc_lo, s[36:37], v[4:5]
	s_wait_xcnt 0x0
	v_cmpx_gt_u64_e64 s[36:37], v[4:5]
	s_cbranch_execz .LBB123_19
; %bb.18:                               ;   in Loop: Header=BB123_17 Depth=2
	v_mad_nc_u64_u32 v[10:11], v4, s30, s[34:35]
	s_delay_alu instid0(VALU_DEP_1) | instskip(NEXT) | instid1(VALU_DEP_1)
	v_mad_u32 v7, v5, s30, v11
	v_mad_u32 v11, v4, s31, v7
	global_load_u8 v7, v[10:11], off
.LBB123_19:                             ;   in Loop: Header=BB123_17 Depth=2
	s_wait_xcnt 0x0
	s_or_b32 exec_lo, exec_lo, s10
	s_wait_loadcnt 0x0
	v_bitop3_b32 v9, v6, 0xff, v31 bitop3:0x80
	s_delay_alu instid0(VALU_DEP_1) | instskip(SKIP_2) | instid1(SALU_CYCLE_1)
	v_cmp_eq_u32_e64 s9, v9, v29
	s_cmp_lg_u32 s9, 0
	s_cselect_b32 s10, -1, 0
	s_and_b32 s10, s2, s10
	s_delay_alu instid0(SALU_CYCLE_1)
	s_and_saveexec_b32 s13, s10
	s_cbranch_execz .LBB123_23
; %bb.20:                               ;   in Loop: Header=BB123_17 Depth=2
	s_mov_b32 s16, exec_lo
	s_bcnt1_i32_b32 s14, s9
	v_mbcnt_lo_u32_b32 v8, s16, 0
	s_mov_b32 s15, exec_lo
                                        ; implicit-def: $vgpr9
	s_delay_alu instid0(VALU_DEP_1)
	v_cmpx_eq_u32_e32 0, v8
; %bb.21:                               ;   in Loop: Header=BB123_17 Depth=2
	s_bcnt1_i32_b32 s10, s16
	s_delay_alu instid0(SALU_CYCLE_1) | instskip(NEXT) | instid1(SALU_CYCLE_1)
	s_mul_i32 s10, s14, s10
	v_mov_b32_e32 v9, s10
	ds_add_rtn_u32 v9, v3, v9 offset:5144
; %bb.22:                               ;   in Loop: Header=BB123_17 Depth=2
	s_or_b32 exec_lo, exec_lo, s15
	s_wait_dscnt 0x0
	v_readfirstlane_b32 s10, v9
	s_delay_alu instid0(VALU_DEP_1)
	v_mad_u32_u24 v8, s14, v8, s10
.LBB123_23:                             ;   in Loop: Header=BB123_17 Depth=2
	s_or_b32 exec_lo, exec_lo, s13
	ds_bpermute_b32 v8, v3, v8
	s_and_b32 s10, exec_lo, vcc_lo
	s_delay_alu instid0(SALU_CYCLE_1)
	s_or_b32 s12, s10, s12
	s_and_saveexec_b32 s10, s9
	s_cbranch_execz .LBB123_16
; %bb.24:                               ;   in Loop: Header=BB123_17 Depth=2
	v_and_b32_e32 v9, s9, v12
	s_wait_dscnt 0x0
	s_delay_alu instid0(VALU_DEP_1)
	v_bcnt_u32_b32 v8, v9, v8
	ds_store_b8 v8, v6
	s_branch .LBB123_16
.LBB123_25:                             ;   in Loop: Header=BB123_12 Depth=1
	s_mov_b32 s11, -1
	s_mov_b32 s9, 0
.LBB123_26:                             ;   in Loop: Header=BB123_12 Depth=1
	s_and_b32 vcc_lo, exec_lo, s11
	s_cbranch_vccz .LBB123_42
.LBB123_27:                             ;   in Loop: Header=BB123_12 Depth=1
	s_and_saveexec_b32 s9, s3
	s_cbranch_execz .LBB123_39
; %bb.28:                               ;   in Loop: Header=BB123_12 Depth=1
	global_load_u16 v4, v3, s[68:69]
	global_load_u8 v26, v[14:15], off
	s_mov_b32 s12, exec_lo
	v_mov_b32_e32 v8, v0
	s_wait_loadcnt 0x1
	v_and_b32_e32 v2, 0xffff, v4
	v_readfirstlane_b32 s10, v4
	s_delay_alu instid0(VALU_DEP_2) | instskip(SKIP_1) | instid1(VALU_DEP_1)
	v_add_nc_u32_e32 v2, v2, v0
	s_wait_xcnt 0x0
	v_cmpx_gt_u64_e64 s[36:37], v[2:3]
	s_cbranch_execz .LBB123_38
; %bb.29:                               ;   in Loop: Header=BB123_12 Depth=1
	s_and_b32 s28, s10, 0xffff
	v_mov_b64_e32 v[6:7], v[0:1]
	v_mov_b64_e32 v[4:5], v[2:3]
	s_cmp_eq_u32 s28, 1
	s_mov_b32 s11, -1
	s_cselect_b32 s10, -1, 0
                                        ; implicit-def: $vgpr8_vgpr9
	s_delay_alu instid0(SALU_CYCLE_1) | instskip(NEXT) | instid1(SALU_CYCLE_1)
	s_and_b32 s13, s7, s10
	s_and_saveexec_b32 s10, s13
	s_cbranch_execz .LBB123_33
; %bb.30:                               ;   in Loop: Header=BB123_12 Depth=1
	v_add_nc_u64_e32 v[8:9], 3, v[2:3]
	v_add_nc_u64_e32 v[6:7], 2, v[2:3]
	;; [unrolled: 1-line block ×3, first 2 shown]
	v_mov_b64_e32 v[24:25], v[18:19]
	s_wait_loadcnt 0x0
	v_dual_lshlrev_b32 v33, 24, v26 :: v_dual_mov_b32 v27, v0
	s_mov_b32 s11, 0
	v_mov_b64_e32 v[10:11], v[8:9]
	v_mov_b64_e32 v[8:9], v[6:7]
	;; [unrolled: 1-line block ×4, first 2 shown]
.LBB123_31:                             ;   Parent Loop BB123_12 Depth=1
                                        ; =>  This Inner Loop Header: Depth=2
	s_delay_alu instid0(VALU_DEP_2) | instskip(NEXT) | instid1(VALU_DEP_2)
	v_mad_nc_u64_u32 v[34:35], v6, s30, s[34:35]
	v_mad_nc_u64_u32 v[36:37], v4, s89, s[34:35]
	v_mad_nc_u64_u32 v[38:39], v8, s91, s[34:35]
	v_mad_nc_u64_u32 v[40:41], v10, s93, s[34:35]
	v_add_nc_u64_e32 v[24:25], -4, v[24:25]
	s_delay_alu instid0(VALU_DEP_1)
	v_cmp_eq_u64_e32 vcc_lo, 0, v[24:25]
	v_mad_u32 v26, v7, s30, v35
	v_mad_u32 v37, v5, s89, v37
	;; [unrolled: 1-line block ×4, first 2 shown]
	s_or_b32 s11, vcc_lo, s11
	s_delay_alu instid0(VALU_DEP_4) | instskip(NEXT) | instid1(VALU_DEP_4)
	v_mad_u32 v35, v6, s31, v26
	v_mad_u32 v37, v4, s90, v37
	s_delay_alu instid0(VALU_DEP_4) | instskip(NEXT) | instid1(VALU_DEP_4)
	v_mad_u32 v39, v8, s92, v39
	v_mad_u32 v41, v10, s94, v41
	v_add_nc_u64_e32 v[10:11], 4, v[10:11]
	v_add_nc_u64_e32 v[8:9], 4, v[8:9]
	;; [unrolled: 1-line block ×4, first 2 shown]
	s_clause 0x3
	global_load_u8 v34, v[34:35], off
	global_load_u8 v35, v[36:37], off
	;; [unrolled: 1-line block ×4, first 2 shown]
	s_wait_loadcnt 0x2
	v_perm_b32 v33, v33, v35, 0xc0c0007
	s_wait_loadcnt 0x1
	v_perm_b32 v37, v34, v36, 0xc0c0004
	v_perm_b32 v34, v35, v34, 0xc0c0004
	s_wait_loadcnt 0x0
	v_perm_b32 v35, v36, v26, 0xc0c0004
	s_delay_alu instid0(VALU_DEP_3) | instskip(NEXT) | instid1(VALU_DEP_2)
	v_lshl_or_b32 v33, v37, 16, v33
	v_lshl_or_b32 v34, v35, 16, v34
	ds_store_b32 v27, v33
	v_dual_add_nc_u32 v27, 4, v27 :: v_dual_mov_b32 v33, v34
	s_wait_xcnt 0x0
	s_and_not1_b32 exec_lo, exec_lo, s11
	s_cbranch_execnz .LBB123_31
; %bb.32:                               ;   in Loop: Header=BB123_12 Depth=1
	s_or_b32 exec_lo, exec_lo, s11
	v_add_nc_u64_e32 v[4:5], v[2:3], v[18:19]
	v_mov_b64_e32 v[6:7], v[20:21]
	s_or_not1_b32 s11, s55, exec_lo
	s_delay_alu instid0(VALU_DEP_2)
	v_add_nc_u64_e32 v[8:9], -1, v[4:5]
.LBB123_33:                             ;   in Loop: Header=BB123_12 Depth=1
	s_or_b32 exec_lo, exec_lo, s10
	s_and_saveexec_b32 s13, s11
	s_cbranch_execz .LBB123_37
; %bb.34:                               ;   in Loop: Header=BB123_12 Depth=1
	s_sub_nc_u64 s[10:11], 0, s[28:29]
	s_mov_b32 s14, 0
.LBB123_35:                             ;   Parent Loop BB123_12 Depth=1
                                        ; =>  This Inner Loop Header: Depth=2
	v_mov_b64_e32 v[8:9], v[4:5]
	s_wait_loadcnt 0x0
	ds_store_b8 v6, v26
	v_mad_nc_u64_u32 v[4:5], v8, s30, s[34:35]
	v_mov_b64_e32 v[6:7], v[8:9]
	s_delay_alu instid0(VALU_DEP_2) | instskip(NEXT) | instid1(VALU_DEP_1)
	v_mad_u32 v2, v9, s30, v5
	v_mad_u32 v5, v8, s31, v2
	global_load_u8 v2, v[4:5], off
	s_wait_xcnt 0x0
	v_add_nc_u64_e32 v[4:5], s[28:29], v[8:9]
	s_delay_alu instid0(VALU_DEP_1)
	v_cmp_le_u64_e32 vcc_lo, s[36:37], v[4:5]
	s_or_b32 s14, vcc_lo, s14
	s_wait_loadcnt 0x0
	v_mov_b32_e32 v26, v2
	s_and_not1_b32 exec_lo, exec_lo, s14
	s_cbranch_execnz .LBB123_35
; %bb.36:                               ;   in Loop: Header=BB123_12 Depth=1
	s_or_b32 exec_lo, exec_lo, s14
	v_add_nc_u64_e32 v[8:9], s[10:11], v[4:5]
	v_mov_b32_e32 v26, v2
.LBB123_37:                             ;   in Loop: Header=BB123_12 Depth=1
	s_or_b32 exec_lo, exec_lo, s13
.LBB123_38:                             ;   in Loop: Header=BB123_12 Depth=1
	s_delay_alu instid0(SALU_CYCLE_1)
	s_or_b32 exec_lo, exec_lo, s12
	s_wait_loadcnt 0x0
	ds_store_b8 v8, v26
.LBB123_39:                             ;   in Loop: Header=BB123_12 Depth=1
	s_or_b32 exec_lo, exec_lo, s9
	s_wait_dscnt 0x0
	s_barrier_signal -1
	s_barrier_wait -1
	s_and_saveexec_b32 s9, s5
; %bb.40:                               ;   in Loop: Header=BB123_12 Depth=1
	v_mov_b64_e32 v[4:5], s[36:37]
	ds_store_b64 v3, v[4:5] offset:5120
; %bb.41:                               ;   in Loop: Header=BB123_12 Depth=1
	s_or_b32 exec_lo, exec_lo, s9
	s_mov_b32 s9, -1
	s_wait_dscnt 0x0
	s_barrier_signal -1
	s_barrier_wait -1
.LBB123_42:                             ;   in Loop: Header=BB123_12 Depth=1
	s_and_b32 vcc_lo, exec_lo, s9
	s_mov_b64 s[72:73], 0
	s_cbranch_vccz .LBB123_44
; %bb.43:                               ;   in Loop: Header=BB123_12 Depth=1
	ds_load_b64 v[4:5], v3 offset:5120
	s_wait_dscnt 0x0
	v_readfirstlane_b32 s72, v4
	v_readfirstlane_b32 s73, v5
.LBB123_44:                             ;   in Loop: Header=BB123_12 Depth=1
	s_delay_alu instid0(VALU_DEP_2)
	s_cmp_lt_i32 s72, 1
	s_mov_b32 s9, -1
                                        ; implicit-def: $vgpr10_vgpr11
                                        ; implicit-def: $vgpr6_vgpr7
	s_cbranch_scc1 .LBB123_54
; %bb.45:                               ;   in Loop: Header=BB123_12 Depth=1
	s_and_b32 vcc_lo, exec_lo, s9
	s_cbranch_vccnz .LBB123_68
.LBB123_46:                             ;   in Loop: Header=BB123_12 Depth=1
	s_lshl_b32 s9, s103, 7
	s_and_saveexec_b32 s10, s2
	s_cbranch_execz .LBB123_48
.LBB123_47:                             ;   in Loop: Header=BB123_12 Depth=1
	v_lshl_add_u32 v2, s9, 3, v28
	ds_store_b128 v2, v[4:7]
	ds_store_b128 v2, v[8:11] offset:16
.LBB123_48:                             ;   in Loop: Header=BB123_12 Depth=1
	s_or_b32 exec_lo, exec_lo, s10
	s_wait_dscnt 0x0
	s_barrier_signal -1
	s_barrier_wait -1
	s_and_saveexec_b32 s10, s86
	s_cbranch_execz .LBB123_82
; %bb.49:                               ;   in Loop: Header=BB123_12 Depth=1
	v_mov_b64_e32 v[4:5], 0
	s_and_not1_b32 vcc_lo, exec_lo, s88
	s_cbranch_vccnz .LBB123_81
; %bb.50:                               ;   in Loop: Header=BB123_12 Depth=1
	v_mov_b64_e32 v[4:5], 0
	s_and_not1_b32 vcc_lo, exec_lo, s96
	s_cbranch_vccnz .LBB123_78
; %bb.51:                               ;   in Loop: Header=BB123_12 Depth=1
	v_lshl_add_u32 v2, s103, 10, v30
	s_mov_b32 s11, 0
.LBB123_52:                             ;   Parent Loop BB123_12 Depth=1
                                        ; =>  This Inner Loop Header: Depth=2
	ds_load_2addr_b64 v[6:9], v2 offset1:4
	ds_load_2addr_b64 v[24:27], v2 offset0:8 offset1:12
	s_add_co_i32 s11, s11, 8
	s_delay_alu instid0(SALU_CYCLE_1) | instskip(SKIP_2) | instid1(VALU_DEP_1)
	s_cmp_eq_u32 s97, s11
	s_wait_dscnt 0x1
	v_add_nc_u64_e32 v[4:5], v[6:7], v[4:5]
	v_add_nc_u64_e32 v[8:9], v[8:9], v[4:5]
	ds_load_2addr_b64 v[4:7], v2 offset0:16 offset1:20
	s_wait_dscnt 0x1
	v_add_nc_u64_e32 v[8:9], v[24:25], v[8:9]
	s_delay_alu instid0(VALU_DEP_1) | instskip(SKIP_4) | instid1(VALU_DEP_1)
	v_add_nc_u64_e32 v[24:25], v[26:27], v[8:9]
	ds_load_2addr_b64 v[8:11], v2 offset0:24 offset1:28
	v_add_nc_u32_e32 v2, 0x100, v2
	s_wait_dscnt 0x1
	v_add_nc_u64_e32 v[4:5], v[4:5], v[24:25]
	v_add_nc_u64_e32 v[4:5], v[6:7], v[4:5]
	s_wait_dscnt 0x0
	s_delay_alu instid0(VALU_DEP_1) | instskip(NEXT) | instid1(VALU_DEP_1)
	v_add_nc_u64_e32 v[4:5], v[8:9], v[4:5]
	v_add_nc_u64_e32 v[4:5], v[10:11], v[4:5]
	s_cbranch_scc0 .LBB123_52
; %bb.53:                               ;   in Loop: Header=BB123_12 Depth=1
	s_mov_b32 s11, s97
	s_and_not1_b32 vcc_lo, exec_lo, s98
	s_cbranch_vccz .LBB123_79
	s_branch .LBB123_81
.LBB123_54:                             ;   in Loop: Header=BB123_12 Depth=1
	global_load_u16 v2, v3, s[68:69]
	s_mov_b32 s19, s29
	s_wait_loadcnt 0x0
	v_readfirstlane_b32 s9, v2
	s_and_b32 s9, 0xffff, s9
	s_delay_alu instid0(SALU_CYCLE_1)
	s_lshl_b32 s18, s9, 2
	s_cmp_lg_u64 s[70:71], 0
	s_cbranch_scc0 .LBB123_77
; %bb.55:                               ;   in Loop: Header=BB123_12 Depth=1
	s_cvt_f32_u32 s9, s18
	s_sub_nc_u64 s[12:13], 0, s[18:19]
	s_delay_alu instid0(SALU_CYCLE_2) | instskip(NEXT) | instid1(SALU_CYCLE_3)
	s_fmamk_f32 s9, s101, 0x0, s9
	v_s_rcp_f32 s9, s9
	s_delay_alu instid0(TRANS32_DEP_1) | instskip(NEXT) | instid1(SALU_CYCLE_3)
	s_mul_f32 s9, s9, 0x5f7ffffc
	s_mul_f32 s10, s9, 0x2f800000
	s_delay_alu instid0(SALU_CYCLE_3) | instskip(NEXT) | instid1(SALU_CYCLE_3)
	s_trunc_f32 s10, s10
	s_fmamk_f32 s9, s10, 0xcf800000, s9
	s_cvt_u32_f32 s11, s10
	s_delay_alu instid0(SALU_CYCLE_2) | instskip(NEXT) | instid1(SALU_CYCLE_3)
	s_cvt_u32_f32 s10, s9
	s_mul_u64 s[14:15], s[12:13], s[10:11]
	s_delay_alu instid0(SALU_CYCLE_1)
	s_mul_hi_u32 s17, s10, s15
	s_mul_i32 s16, s10, s15
	s_mul_hi_u32 s28, s10, s14
	s_mul_i32 s20, s11, s14
	s_add_nc_u64 s[16:17], s[28:29], s[16:17]
	s_mul_hi_u32 s9, s11, s14
	s_mul_hi_u32 s21, s11, s15
	s_mul_i32 s14, s11, s15
	s_add_co_u32 s15, s16, s20
	s_add_co_ci_u32 s28, s17, s9
	s_add_co_ci_u32 s15, s21, 0
	s_delay_alu instid0(SALU_CYCLE_1) | instskip(NEXT) | instid1(SALU_CYCLE_1)
	s_add_nc_u64 s[14:15], s[28:29], s[14:15]
	s_add_co_u32 s10, s10, s14
	s_cselect_b32 s9, -1, 0
	s_delay_alu instid0(SALU_CYCLE_1) | instskip(SKIP_1) | instid1(SALU_CYCLE_1)
	s_cmp_lg_u32 s9, 0
	s_add_co_ci_u32 s11, s11, s15
	s_mul_u64 s[12:13], s[12:13], s[10:11]
	s_delay_alu instid0(SALU_CYCLE_1)
	s_mul_hi_u32 s15, s10, s13
	s_mul_i32 s14, s10, s13
	s_mul_hi_u32 s28, s10, s12
	s_mul_i32 s16, s11, s12
	s_add_nc_u64 s[14:15], s[28:29], s[14:15]
	s_mul_hi_u32 s9, s11, s12
	s_mul_hi_u32 s17, s11, s13
	s_mul_i32 s12, s11, s13
	s_add_co_u32 s13, s14, s16
	s_add_co_ci_u32 s28, s15, s9
	s_add_co_ci_u32 s13, s17, 0
	s_delay_alu instid0(SALU_CYCLE_1) | instskip(NEXT) | instid1(SALU_CYCLE_1)
	s_add_nc_u64 s[12:13], s[28:29], s[12:13]
	s_add_co_u32 s9, s10, s12
	s_cselect_b32 s10, -1, 0
	s_mul_hi_u32 s28, s36, s9
	s_cmp_lg_u32 s10, 0
	s_mul_hi_u32 s14, s37, s9
	s_add_co_ci_u32 s12, s11, s13
	s_mul_i32 s9, s37, s9
	s_mul_hi_u32 s11, s36, s12
	s_mul_i32 s10, s36, s12
	s_mul_hi_u32 s13, s37, s12
	s_add_nc_u64 s[10:11], s[28:29], s[10:11]
	s_mul_i32 s12, s37, s12
	s_add_co_u32 s9, s10, s9
	s_add_co_ci_u32 s28, s11, s14
	s_add_co_ci_u32 s13, s13, 0
	s_delay_alu instid0(SALU_CYCLE_1) | instskip(NEXT) | instid1(SALU_CYCLE_1)
	s_add_nc_u64 s[10:11], s[28:29], s[12:13]
	s_and_b64 s[12:13], s[10:11], 0xffffffff00000000
	s_delay_alu instid0(SALU_CYCLE_1) | instskip(NEXT) | instid1(SALU_CYCLE_1)
	s_or_b32 s12, s12, s10
	s_mul_u64 s[10:11], s[18:19], s[12:13]
	s_delay_alu instid0(SALU_CYCLE_1) | instskip(SKIP_1) | instid1(SALU_CYCLE_1)
	s_sub_co_u32 s9, s36, s10
	s_cselect_b32 s10, -1, 0
	s_cmp_lg_u32 s10, 0
	s_sub_co_ci_u32 s10, s37, s11
	s_sub_co_u32 s11, s9, s18
	s_cselect_b32 s12, -1, 0
	s_delay_alu instid0(SALU_CYCLE_1) | instskip(SKIP_3) | instid1(SALU_CYCLE_1)
	s_cmp_lg_u32 s12, 0
	s_sub_co_ci_u32 s12, s10, 0
	s_sub_co_u32 s13, s11, s18
	s_cselect_b32 s14, -1, 0
	s_cmp_lg_u32 s14, 0
	s_sub_co_ci_u32 s14, s12, 0
	s_cmp_ge_u32 s11, s18
	s_cselect_b32 s15, -1, 0
	s_cmp_eq_u32 s12, 0
	s_cselect_b32 s15, s15, -1
	s_delay_alu instid0(SALU_CYCLE_1)
	s_cmp_lg_u32 s15, 0
	s_cselect_b32 s12, s14, s12
	s_cselect_b32 s13, s13, s11
	s_cmp_ge_u32 s9, s18
	s_cselect_b32 s11, -1, 0
	s_cmp_eq_u32 s10, 0
	s_cselect_b32 s11, s11, -1
	s_delay_alu instid0(SALU_CYCLE_1)
	s_cmp_lg_u32 s11, 0
	s_cselect_b32 s11, s12, s10
	s_cselect_b32 s10, s13, s9
	s_cbranch_execnz .LBB123_57
.LBB123_56:                             ;   in Loop: Header=BB123_12 Depth=1
	v_cvt_f32_u32_e32 v4, s18
	s_sub_co_i32 s10, 0, s18
	s_delay_alu instid0(VALU_DEP_1) | instskip(SKIP_1) | instid1(TRANS32_DEP_1)
	v_rcp_iflag_f32_e32 v4, v4
	v_nop
	v_mul_f32_e32 v4, 0x4f7ffffe, v4
	s_delay_alu instid0(VALU_DEP_1) | instskip(NEXT) | instid1(VALU_DEP_1)
	v_cvt_u32_f32_e32 v4, v4
	v_readfirstlane_b32 s9, v4
	s_mul_i32 s10, s10, s9
	s_delay_alu instid0(SALU_CYCLE_1) | instskip(NEXT) | instid1(SALU_CYCLE_1)
	s_mul_hi_u32 s10, s9, s10
	s_add_co_i32 s9, s9, s10
	s_delay_alu instid0(SALU_CYCLE_1) | instskip(NEXT) | instid1(SALU_CYCLE_1)
	s_mul_hi_u32 s9, s36, s9
	s_mul_i32 s9, s9, s18
	s_delay_alu instid0(SALU_CYCLE_1) | instskip(NEXT) | instid1(SALU_CYCLE_1)
	s_sub_co_i32 s9, s36, s9
	s_sub_co_i32 s10, s9, s18
	s_cmp_ge_u32 s9, s18
	s_cselect_b32 s9, s10, s9
	s_delay_alu instid0(SALU_CYCLE_1) | instskip(SKIP_2) | instid1(SALU_CYCLE_1)
	s_sub_co_i32 s10, s9, s18
	s_cmp_ge_u32 s9, s18
	s_cselect_b32 s28, s10, s9
	s_mov_b64 s[10:11], s[28:29]
.LBB123_57:                             ;   in Loop: Header=BB123_12 Depth=1
	v_mov_b64_e32 v[4:5], 0
	v_mov_b64_e32 v[6:7], 0
	;; [unrolled: 1-line block ×4, first 2 shown]
	s_sub_nc_u64 s[20:21], s[36:37], s[10:11]
	s_mov_b32 s43, exec_lo
	s_wait_xcnt 0x0
	v_cmpx_gt_u64_e64 s[20:21], v[16:17]
	s_cbranch_execz .LBB123_61
; %bb.58:                               ;   in Loop: Header=BB123_12 Depth=1
	v_mov_b64_e32 v[24:25], v[16:17]
	s_mov_b64 s[22:23], 0
	s_mov_b32 s44, 0
	s_mov_b64 s[24:25], 0
	s_mov_b64 s[26:27], 0
	;; [unrolled: 1-line block ×3, first 2 shown]
.LBB123_59:                             ;   Parent Loop BB123_12 Depth=1
                                        ; =>  This Inner Loop Header: Depth=2
	s_delay_alu instid0(VALU_DEP_1) | instskip(NEXT) | instid1(VALU_DEP_1)
	v_mad_nc_u64_u32 v[4:5], v24, s30, s[34:35]
	v_mad_u32 v5, v25, s30, v5
	s_delay_alu instid0(VALU_DEP_1) | instskip(SKIP_1) | instid1(VALU_DEP_1)
	v_mad_u32 v5, v24, s31, v5
	v_add_nc_u64_e32 v[24:25], s[18:19], v[24:25]
	v_cmp_le_u64_e32 vcc_lo, s[20:21], v[24:25]
	global_load_u8 v6, v[4:5], off
	s_wait_xcnt 0x0
	v_add_nc_u64_e32 v[4:5], s[30:31], v[4:5]
	global_load_u8 v7, v[4:5], off
	s_wait_xcnt 0x0
	v_add_nc_u64_e32 v[4:5], s[30:31], v[4:5]
	;; [unrolled: 3-line block ×3, first 2 shown]
	global_load_u8 v4, v[4:5], off
	s_wait_loadcnt 0x3
	s_wait_xcnt 0x0
	v_and_b32_e32 v5, v31, v6
	v_bfe_u32 v6, v6, s99, 2
	s_delay_alu instid0(VALU_DEP_2) | instskip(NEXT) | instid1(VALU_DEP_2)
	v_cmp_eq_u32_e64 s9, v5, v29
	v_cmp_eq_u32_e64 s10, 0, v6
	;; [unrolled: 1-line block ×5, first 2 shown]
	s_wait_loadcnt 0x2
	v_and_b32_e32 v5, v31, v7
	v_bfe_u32 v6, v7, s99, 2
	s_and_b32 s10, s9, s10
	s_and_b32 s11, s9, s11
	;; [unrolled: 1-line block ×4, first 2 shown]
	v_cndmask_b32_e64 v7, 0, 1, s10
	v_cndmask_b32_e64 v9, 0, 1, s11
	;; [unrolled: 1-line block ×4, first 2 shown]
	v_cmp_eq_u32_e64 s9, v5, v29
	v_cmp_eq_u32_e64 s10, 0, v6
	;; [unrolled: 1-line block ×5, first 2 shown]
	s_wait_loadcnt 0x1
	v_and_b32_e32 v5, v31, v8
	v_bfe_u32 v6, v8, s99, 2
	s_and_b32 s10, s9, s10
	s_and_b32 s11, s9, s11
	;; [unrolled: 1-line block ×4, first 2 shown]
	v_cmp_ne_u32_e64 s14, 0, v7
	v_cmp_ne_u32_e64 s15, 0, v9
	;; [unrolled: 1-line block ×3, first 2 shown]
	v_cndmask_b32_e64 v7, 0, 1, s10
	v_cndmask_b32_e64 v8, 0, 1, s11
	;; [unrolled: 1-line block ×4, first 2 shown]
	v_cmp_eq_u32_e64 s9, v5, v29
	v_cmp_eq_u32_e64 s10, 0, v6
	;; [unrolled: 1-line block ×5, first 2 shown]
	s_wait_loadcnt 0x0
	v_and_b32_e32 v5, v31, v4
	v_bfe_u32 v4, v4, s99, 2
	s_bcnt1_i32_b32 s28, s14
	v_cmp_ne_u32_e64 s14, 0, v7
	s_and_b32 s10, s9, s10
	s_and_b32 s11, s9, s11
	;; [unrolled: 1-line block ×4, first 2 shown]
	s_bcnt1_i32_b32 s45, s15
	s_bcnt1_i32_b32 s46, s16
	v_cmp_ne_u32_e64 s15, 0, v8
	v_cmp_ne_u32_e64 s16, 0, v9
	v_cndmask_b32_e64 v6, 0, 1, s10
	v_cndmask_b32_e64 v9, 0, 1, s9
	v_cmp_eq_u32_e64 s9, v5, v29
	v_cmp_eq_u32_e64 s10, 0, v4
	v_cndmask_b32_e64 v7, 0, 1, s11
	v_cmp_eq_u32_e64 s11, 1, v4
	v_cndmask_b32_e64 v8, 0, 1, s12
	v_cmp_eq_u32_e64 s12, 2, v4
	v_cmp_eq_u32_e64 s13, 3, v4
	s_bcnt1_i32_b32 s14, s14
	v_cmp_ne_u32_e64 s17, 0, v11
	s_bcnt1_i32_b32 s15, s15
	s_add_co_i32 s28, s14, s28
	v_cmp_ne_u32_e64 s14, 0, v6
	s_and_b32 s10, s9, s10
	s_bcnt1_i32_b32 s16, s16
	s_add_co_i32 s45, s15, s45
	v_cmp_ne_u32_e64 s15, 0, v7
	s_and_b32 s11, s9, s11
	v_cndmask_b32_e64 v4, 0, 1, s10
	s_and_b32 s12, s9, s12
	s_and_b32 s9, s9, s13
	s_bcnt1_i32_b32 s47, s17
	v_cmp_ne_u32_e64 s17, 0, v10
	s_add_co_i32 s46, s16, s46
	v_cmp_ne_u32_e64 s16, 0, v8
	v_cndmask_b32_e64 v5, 0, 1, s11
	v_cndmask_b32_e64 v7, 0, 1, s9
	s_bcnt1_i32_b32 s9, s14
	v_cndmask_b32_e64 v6, 0, 1, s12
	s_bcnt1_i32_b32 s10, s15
	s_add_co_i32 s14, s28, s9
	v_cmp_ne_u32_e64 s9, 0, v4
	s_bcnt1_i32_b32 s17, s17
	s_bcnt1_i32_b32 s11, s16
	s_add_co_i32 s15, s45, s10
	v_cmp_ne_u32_e64 s10, 0, v5
	s_add_co_i32 s47, s17, s47
	v_cmp_ne_u32_e64 s17, 0, v9
	s_add_co_i32 s16, s46, s11
	v_cmp_ne_u32_e64 s11, 0, v6
	s_bcnt1_i32_b32 s9, s9
	v_cmp_ne_u32_e64 s12, 0, v7
	s_bcnt1_i32_b32 s10, s10
	s_add_co_i32 s28, s14, s9
	s_bcnt1_i32_b32 s13, s17
	s_bcnt1_i32_b32 s11, s11
	s_add_nc_u64 s[74:75], s[74:75], s[28:29]
	s_add_co_i32 s28, s15, s10
	s_add_co_i32 s13, s47, s13
	s_bcnt1_i32_b32 s12, s12
	s_add_nc_u64 s[26:27], s[26:27], s[28:29]
	s_add_co_i32 s28, s16, s11
	v_mov_b64_e32 v[4:5], s[74:75]
	s_add_nc_u64 s[24:25], s[24:25], s[28:29]
	s_add_co_i32 s28, s13, s12
	v_mov_b64_e32 v[6:7], s[26:27]
	s_add_nc_u64 s[22:23], s[22:23], s[28:29]
	v_mov_b64_e32 v[8:9], s[24:25]
	v_mov_b64_e32 v[10:11], s[22:23]
	s_or_b32 s44, vcc_lo, s44
	s_delay_alu instid0(SALU_CYCLE_1)
	s_and_not1_b32 exec_lo, exec_lo, s44
	s_cbranch_execnz .LBB123_59
; %bb.60:                               ;   in Loop: Header=BB123_12 Depth=1
	s_or_b32 exec_lo, exec_lo, s44
.LBB123_61:                             ;   in Loop: Header=BB123_12 Depth=1
	s_delay_alu instid0(SALU_CYCLE_1) | instskip(SKIP_3) | instid1(VALU_DEP_2)
	s_or_b32 exec_lo, exec_lo, s43
	v_add_nc_u64_e32 v[24:25], s[20:21], v[0:1]
	v_and_b32_e32 v2, 0xffff, v2
	s_mov_b32 s12, exec_lo
	v_cmpx_gt_u64_e64 s[36:37], v[24:25]
	s_cbranch_execz .LBB123_67
; %bb.62:                               ;   in Loop: Header=BB123_12 Depth=1
	v_mad_nc_u64_u32 v[26:27], v24, s30, s[34:35]
	s_mov_b32 s13, 0
	s_delay_alu instid0(VALU_DEP_1) | instskip(NEXT) | instid1(VALU_DEP_1)
	v_mad_u32 v27, v25, s30, v27
	v_mad_u32 v27, v24, s31, v27
	global_load_u8 v27, v[26:27], off
	s_branch .LBB123_64
.LBB123_63:                             ;   in Loop: Header=BB123_64 Depth=2
	s_wait_xcnt 0x0
	s_or_b32 exec_lo, exec_lo, s10
	s_wait_loadcnt 0x0
	v_and_b32_e32 v33, 0xff, v27
	v_bitop3_b32 v27, v31, v27, 0xff bitop3:0x80
	s_and_b32 s11, exec_lo, vcc_lo
	s_delay_alu instid0(SALU_CYCLE_1) | instskip(NEXT) | instid1(VALU_DEP_2)
	s_or_b32 s13, s11, s13
	v_bfe_u32 v33, v33, s99, 2
	s_delay_alu instid0(VALU_DEP_2) | instskip(NEXT) | instid1(VALU_DEP_2)
	v_cmp_eq_u32_e64 s9, v27, v29
	v_cmp_eq_u32_e64 s10, 0, v33
	v_cmp_eq_u32_e32 vcc_lo, 1, v33
	s_and_b32 s10, s9, s10
	s_and_b32 s11, s9, vcc_lo
	v_cndmask_b32_e64 v27, 0, 1, s10
	v_cmp_eq_u32_e64 s10, 2, v33
	v_cmp_eq_u32_e32 vcc_lo, 3, v33
	v_cndmask_b32_e64 v34, 0, 1, s11
	s_delay_alu instid0(VALU_DEP_4)
	v_cmp_ne_u32_e64 s11, 0, v27
	s_and_b32 s10, s9, s10
	s_and_b32 s9, s9, vcc_lo
	v_cndmask_b32_e64 v27, 0, 1, s10
	v_cndmask_b32_e64 v33, 0, 1, s9
	v_cmp_ne_u32_e64 s10, 0, v34
	s_bcnt1_i32_b32 s28, s11
	v_cmp_ne_u32_e32 vcc_lo, 0, v27
	v_cmp_ne_u32_e64 s9, 0, v33
	v_add_nc_u64_e32 v[4:5], s[28:29], v[4:5]
	s_bcnt1_i32_b32 s28, s10
	v_mov_b32_e32 v27, v26
	v_add_nc_u64_e32 v[6:7], s[28:29], v[6:7]
	s_bcnt1_i32_b32 s28, vcc_lo
	s_delay_alu instid0(SALU_CYCLE_1) | instskip(SKIP_1) | instid1(SALU_CYCLE_1)
	v_add_nc_u64_e32 v[8:9], s[28:29], v[8:9]
	s_bcnt1_i32_b32 s28, s9
	v_add_nc_u64_e32 v[10:11], s[28:29], v[10:11]
	s_and_not1_b32 exec_lo, exec_lo, s13
	s_cbranch_execz .LBB123_66
.LBB123_64:                             ;   Parent Loop BB123_12 Depth=1
                                        ; =>  This Inner Loop Header: Depth=2
	v_add_nc_u64_e32 v[24:25], v[24:25], v[2:3]
	s_wait_xcnt 0x0
	v_mov_b32_e32 v26, 0
	s_mov_b32 s10, exec_lo
	s_delay_alu instid0(VALU_DEP_2)
	v_cmp_le_u64_e32 vcc_lo, s[36:37], v[24:25]
	v_cmpx_gt_u64_e64 s[36:37], v[24:25]
	s_cbranch_execz .LBB123_63
; %bb.65:                               ;   in Loop: Header=BB123_64 Depth=2
	v_mad_nc_u64_u32 v[34:35], v24, s30, s[34:35]
	s_delay_alu instid0(VALU_DEP_1) | instskip(NEXT) | instid1(VALU_DEP_1)
	v_mad_u32 v26, v25, s30, v35
	v_mad_u32 v35, v24, s31, v26
	global_load_u8 v26, v[34:35], off
	s_branch .LBB123_63
.LBB123_66:                             ;   in Loop: Header=BB123_12 Depth=1
	s_or_b32 exec_lo, exec_lo, s13
.LBB123_67:                             ;   in Loop: Header=BB123_12 Depth=1
	s_delay_alu instid0(SALU_CYCLE_1)
	s_or_b32 exec_lo, exec_lo, s12
	s_branch .LBB123_46
.LBB123_68:                             ;   in Loop: Header=BB123_12 Depth=1
	global_load_u16 v2, v3, s[68:69]
	s_mov_b32 s75, s29
	v_mov_b64_e32 v[6:7], 0
	v_mov_b64_e32 v[8:9], 0
	;; [unrolled: 1-line block ×3, first 2 shown]
	s_mov_b32 s44, exec_lo
	s_wait_loadcnt 0x0
	v_readfirstlane_b32 s9, v2
	v_and_b32_e32 v2, 0xffff, v2
	s_and_b32 s43, 0xffff, s9
	s_delay_alu instid0(SALU_CYCLE_1) | instskip(NEXT) | instid1(SALU_CYCLE_1)
	s_lshl_b32 s76, s43, 2
	s_cvt_f32_u32 s9, s76
	s_sub_co_i32 s10, 0, s76
	s_delay_alu instid0(SALU_CYCLE_2) | instskip(SKIP_1) | instid1(TRANS32_DEP_1)
	v_rcp_iflag_f32_e32 v4, s9
	v_nop
	v_readfirstlane_b32 s9, v4
	s_mul_f32 s9, s9, 0x4f7ffffe
	s_delay_alu instid0(SALU_CYCLE_3) | instskip(NEXT) | instid1(SALU_CYCLE_3)
	s_cvt_u32_f32 s9, s9
	s_mul_i32 s10, s10, s9
	s_delay_alu instid0(SALU_CYCLE_1) | instskip(NEXT) | instid1(SALU_CYCLE_1)
	s_mul_hi_u32 s10, s9, s10
	s_add_co_i32 s9, s9, s10
	s_delay_alu instid0(SALU_CYCLE_1) | instskip(NEXT) | instid1(SALU_CYCLE_1)
	s_mul_hi_u32 s9, s72, s9
	s_mul_i32 s10, s9, s76
	s_add_co_i32 s11, s9, 1
	s_sub_co_i32 s10, s72, s10
	s_delay_alu instid0(SALU_CYCLE_1)
	s_sub_co_i32 s12, s10, s76
	s_cmp_ge_u32 s10, s76
	s_cselect_b32 s9, s11, s9
	s_cselect_b32 s10, s12, s10
	s_add_co_i32 s11, s9, 1
	s_cmp_ge_u32 s10, s76
	s_cselect_b32 s74, s11, s9
	s_delay_alu instid0(SALU_CYCLE_1) | instskip(NEXT) | instid1(VALU_DEP_1)
	v_mul_u64_e32 v[4:5], s[74:75], v[2:3]
	v_lshlrev_b64_e32 v[24:25], 2, v[4:5]
	v_mov_b64_e32 v[4:5], 0
	s_wait_xcnt 0x0
	s_delay_alu instid0(VALU_DEP_2)
	v_cmpx_gt_u64_e64 v[24:25], v[16:17]
	s_cbranch_execz .LBB123_72
; %bb.69:                               ;   in Loop: Header=BB123_12 Depth=1
	v_mov_b64_e32 v[26:27], v[16:17]
	v_mov_b32_e32 v33, v16
	s_mov_b32 s77, s29
	s_mov_b64 s[78:79], 0
	s_mov_b32 s45, 0
	s_mov_b64 s[80:81], 0
	s_mov_b64 s[82:83], 0
	s_mov_b64 s[84:85], 0
.LBB123_70:                             ;   Parent Loop BB123_12 Depth=1
                                        ; =>  This Inner Loop Header: Depth=2
	ds_load_b32 v4, v33
	v_add_nc_u32_e32 v33, s76, v33
	v_add_nc_u64_e32 v[26:27], s[76:77], v[26:27]
	s_delay_alu instid0(VALU_DEP_1)
	v_cmp_ge_u64_e32 vcc_lo, v[26:27], v[24:25]
	s_wait_dscnt 0x0
	v_dual_lshrrev_b32 v6, 8, v4 :: v_dual_lshrrev_b32 v8, 24, v4
	v_and_b32_e32 v9, 0xff, v4
	v_bfe_u32 v10, v4, 8, 8
	v_lshrrev_b32_e32 v5, 16, v4
	v_bitop3_b32 v7, v31, v4, 0xff bitop3:0x80
	v_bfe_u32 v4, v4, 16, 8
	v_bitop3_b32 v6, v31, v6, 0xff bitop3:0x80
	v_bfe_u32 v9, v9, s99, 2
	v_bfe_u32 v10, v10, s99, 2
	v_bitop3_b32 v5, v31, v5, 0xff bitop3:0x80
	v_bfe_u32 v4, v4, s99, 2
	v_cmp_eq_u32_e64 s9, v7, v29
	v_and_b32_e32 v7, v31, v8
	v_bfe_u32 v8, v8, s99, 2
	v_cmp_eq_u32_e64 s10, v6, v29
	v_cmp_eq_u32_e64 s13, 0, v9
	;; [unrolled: 1-line block ×14, first 2 shown]
	s_and_b32 s13, s9, s13
	s_and_b32 s14, s10, s14
	v_cmp_eq_u32_e64 s20, 1, v8
	v_cmp_eq_u32_e64 s23, 2, v4
	;; [unrolled: 1-line block ×3, first 2 shown]
	s_and_b32 s15, s11, s15
	s_and_b32 s17, s9, s17
	;; [unrolled: 1-line block ×3, first 2 shown]
	v_cndmask_b32_e64 v4, 0, 1, s13
	v_cndmask_b32_e64 v5, 0, 1, s14
	v_cmp_eq_u32_e64 s24, 2, v8
	v_cmp_eq_u32_e64 s28, 3, v8
	s_and_b32 s16, s12, s16
	s_and_b32 s19, s11, s19
	s_and_b32 s21, s9, s21
	s_and_b32 s22, s10, s22
	v_cndmask_b32_e64 v6, 0, 1, s15
	v_cndmask_b32_e64 v8, 0, 1, s17
	;; [unrolled: 1-line block ×3, first 2 shown]
	s_and_b32 s9, s9, s25
	s_and_b32 s10, s10, s26
	;; [unrolled: 1-line block ×4, first 2 shown]
	v_cndmask_b32_e64 v7, 0, 1, s16
	v_cndmask_b32_e64 v10, 0, 1, s19
	;; [unrolled: 1-line block ×4, first 2 shown]
	s_and_b32 s11, s11, s27
	v_cndmask_b32_e64 v38, 0, 1, s9
	v_cndmask_b32_e64 v39, 0, 1, s10
	v_cmp_ne_u32_e64 s9, 0, v4
	v_cmp_ne_u32_e64 s10, 0, v5
	s_and_b32 s24, s12, s24
	v_cndmask_b32_e64 v11, 0, 1, s20
	v_cndmask_b32_e64 v36, 0, 1, s23
	s_and_b32 s12, s12, s28
	v_cndmask_b32_e64 v40, 0, 1, s11
	v_cmp_ne_u32_e64 s11, 0, v6
	v_cmp_ne_u32_e64 s13, 0, v8
	v_cmp_ne_u32_e64 s14, 0, v9
	v_cndmask_b32_e64 v37, 0, 1, s24
	v_cndmask_b32_e64 v41, 0, 1, s12
	v_cmp_ne_u32_e64 s12, 0, v7
	v_cmp_ne_u32_e64 s15, 0, v10
	;; [unrolled: 1-line block ×4, first 2 shown]
	s_bcnt1_i32_b32 s9, s9
	s_bcnt1_i32_b32 s10, s10
	v_cmp_ne_u32_e64 s16, 0, v11
	v_cmp_ne_u32_e64 s19, 0, v36
	;; [unrolled: 1-line block ×4, first 2 shown]
	s_bcnt1_i32_b32 s11, s11
	s_bcnt1_i32_b32 s13, s13
	;; [unrolled: 1-line block ×3, first 2 shown]
	s_add_co_i32 s9, s10, s9
	v_cmp_ne_u32_e64 s20, 0, v37
	v_cmp_ne_u32_e64 s23, 0, v40
	s_bcnt1_i32_b32 s12, s12
	s_bcnt1_i32_b32 s15, s15
	;; [unrolled: 1-line block ×4, first 2 shown]
	s_add_co_i32 s10, s14, s13
	s_add_co_i32 s9, s9, s11
	v_cmp_ne_u32_e64 s24, 0, v41
	s_bcnt1_i32_b32 s16, s16
	s_bcnt1_i32_b32 s19, s19
	;; [unrolled: 1-line block ×4, first 2 shown]
	s_add_co_i32 s13, s18, s17
	s_add_co_i32 s10, s10, s15
	;; [unrolled: 1-line block ×3, first 2 shown]
	s_bcnt1_i32_b32 s20, s20
	s_bcnt1_i32_b32 s23, s23
	s_add_co_i32 s14, s22, s21
	s_add_co_i32 s11, s13, s19
	s_add_nc_u64 s[84:85], s[84:85], s[28:29]
	s_add_co_i32 s28, s10, s16
	s_bcnt1_i32_b32 s24, s24
	s_add_co_i32 s13, s14, s23
	s_add_nc_u64 s[82:83], s[82:83], s[28:29]
	s_add_co_i32 s28, s11, s20
	v_mov_b64_e32 v[4:5], s[84:85]
	s_add_nc_u64 s[80:81], s[80:81], s[28:29]
	s_add_co_i32 s28, s13, s24
	v_mov_b64_e32 v[6:7], s[82:83]
	s_add_nc_u64 s[78:79], s[78:79], s[28:29]
	v_mov_b64_e32 v[8:9], s[80:81]
	v_mov_b64_e32 v[10:11], s[78:79]
	s_or_b32 s45, vcc_lo, s45
	s_delay_alu instid0(SALU_CYCLE_1)
	s_and_not1_b32 exec_lo, exec_lo, s45
	s_cbranch_execnz .LBB123_70
; %bb.71:                               ;   in Loop: Header=BB123_12 Depth=1
	s_or_b32 exec_lo, exec_lo, s45
.LBB123_72:                             ;   in Loop: Header=BB123_12 Depth=1
	s_delay_alu instid0(SALU_CYCLE_1) | instskip(SKIP_3) | instid1(VALU_DEP_1)
	s_or_b32 exec_lo, exec_lo, s44
	v_add_nc_u64_e32 v[24:25], v[24:25], v[0:1]
	s_and_b64 s[14:15], s[72:73], 0x7fffffff
	s_mov_b32 s16, exec_lo
	v_cmpx_gt_u64_e64 s[14:15], v[24:25]
	s_cbranch_execz .LBB123_76
; %bb.73:                               ;   in Loop: Header=BB123_12 Depth=1
	s_mul_i32 s9, s74, s43
	s_mov_b32 s17, 0
	v_lshl_add_u32 v26, s9, 2, v0
.LBB123_74:                             ;   Parent Loop BB123_12 Depth=1
                                        ; =>  This Inner Loop Header: Depth=2
	ds_load_u8 v27, v26
	v_add_nc_u64_e32 v[24:25], v[24:25], v[2:3]
	v_add_nc_u32_e32 v26, s43, v26
	s_delay_alu instid0(VALU_DEP_2) | instskip(SKIP_3) | instid1(VALU_DEP_2)
	v_cmp_le_u64_e32 vcc_lo, s[14:15], v[24:25]
	s_wait_dscnt 0x0
	v_and_b32_e32 v33, v31, v27
	v_bfe_u32 v27, v27, s99, 2
	v_cmp_eq_u32_e64 s9, v33, v29
	s_delay_alu instid0(VALU_DEP_2) | instskip(SKIP_4) | instid1(SALU_CYCLE_1)
	v_cmp_eq_u32_e64 s10, 0, v27
	v_cmp_eq_u32_e64 s11, 1, v27
	;; [unrolled: 1-line block ×4, first 2 shown]
	s_and_b32 s10, s9, s10
	v_cndmask_b32_e64 v27, 0, 1, s10
	s_and_b32 s10, s9, s11
	s_delay_alu instid0(SALU_CYCLE_1)
	v_cndmask_b32_e64 v33, 0, 1, s10
	s_and_b32 s10, s9, s12
	s_and_b32 s9, s9, s13
	v_cndmask_b32_e64 v34, 0, 1, s10
	v_cndmask_b32_e64 v35, 0, 1, s9
	v_cmp_ne_u32_e64 s9, 0, v27
	v_cmp_ne_u32_e64 s10, 0, v33
	s_delay_alu instid0(VALU_DEP_4) | instskip(NEXT) | instid1(VALU_DEP_4)
	v_cmp_ne_u32_e64 s11, 0, v34
	v_cmp_ne_u32_e64 s12, 0, v35
	s_bcnt1_i32_b32 s28, s9
	s_delay_alu instid0(SALU_CYCLE_1) | instskip(SKIP_1) | instid1(SALU_CYCLE_1)
	v_add_nc_u64_e32 v[4:5], s[28:29], v[4:5]
	s_bcnt1_i32_b32 s28, s10
	v_add_nc_u64_e32 v[6:7], s[28:29], v[6:7]
	s_bcnt1_i32_b32 s28, s11
	s_delay_alu instid0(SALU_CYCLE_1)
	v_add_nc_u64_e32 v[8:9], s[28:29], v[8:9]
	s_bcnt1_i32_b32 s28, s12
	s_or_b32 s17, vcc_lo, s17
	v_add_nc_u64_e32 v[10:11], s[28:29], v[10:11]
	s_and_not1_b32 exec_lo, exec_lo, s17
	s_cbranch_execnz .LBB123_74
; %bb.75:                               ;   in Loop: Header=BB123_12 Depth=1
	s_or_b32 exec_lo, exec_lo, s17
.LBB123_76:                             ;   in Loop: Header=BB123_12 Depth=1
	s_delay_alu instid0(SALU_CYCLE_1)
	s_or_b32 exec_lo, exec_lo, s16
	s_lshl_b32 s9, s103, 7
	s_and_saveexec_b32 s10, s2
	s_cbranch_execnz .LBB123_47
	s_branch .LBB123_48
.LBB123_77:                             ;   in Loop: Header=BB123_12 Depth=1
                                        ; implicit-def: $sgpr10_sgpr11
	s_branch .LBB123_56
.LBB123_78:                             ;   in Loop: Header=BB123_12 Depth=1
	s_mov_b32 s11, 0
	s_and_not1_b32 vcc_lo, exec_lo, s98
	s_cbranch_vccnz .LBB123_81
.LBB123_79:                             ;   in Loop: Header=BB123_12 Depth=1
	s_lshl_b32 s12, s103, 10
	s_lshl_b32 s11, s11, 5
	s_delay_alu instid0(SALU_CYCLE_1)
	v_add3_u32 v2, s12, s11, v30
	s_mov_b32 s11, s95
.LBB123_80:                             ;   Parent Loop BB123_12 Depth=1
                                        ; =>  This Inner Loop Header: Depth=2
	ds_load_b64 v[6:7], v2
	v_add_nc_u32_e32 v2, 32, v2
	s_add_co_i32 s11, s11, -1
	s_delay_alu instid0(SALU_CYCLE_1)
	s_cmp_lg_u32 s11, 0
	s_wait_dscnt 0x0
	v_add_nc_u64_e32 v[4:5], v[6:7], v[4:5]
	s_cbranch_scc1 .LBB123_80
.LBB123_81:                             ;   in Loop: Header=BB123_12 Depth=1
	v_add_lshl_u32 v2, s9, v13, 3
	ds_store_b64 v2, v[4:5] offset:3072
.LBB123_82:                             ;   in Loop: Header=BB123_12 Depth=1
	s_or_b32 exec_lo, exec_lo, s10
	s_lshl_b32 s9, s9, 3
	s_wait_dscnt 0x0
	v_mov_b32_e32 v2, s9
	s_barrier_signal -1
	s_barrier_wait -1
	v_cmp_eq_u64_e64 s9, 1, v[22:23]
	ds_load_b128 v[4:7], v2 offset:3072
	ds_load_b128 v[8:11], v2 offset:3088
	s_lshl_b32 s24, 3, s99
	s_mov_b32 s74, -1
	s_not_b32 s25, s24
	s_mov_b32 s26, 0
	s_and_not1_b32 vcc_lo, exec_lo, s33
	s_mov_b32 s43, 0
	s_mov_b32 s27, 0
                                        ; implicit-def: $sgpr72
                                        ; implicit-def: $sgpr73
                                        ; implicit-def: $vgpr2
	s_wait_dscnt 0x1
	v_readfirstlane_b32 s13, v5
	v_readfirstlane_b32 s12, v4
	v_readfirstlane_b32 s15, v7
	v_readfirstlane_b32 s14, v6
	s_wait_dscnt 0x0
	v_readfirstlane_b32 s17, v9
	v_readfirstlane_b32 s16, v8
	v_readfirstlane_b32 s19, v11
	v_readfirstlane_b32 s18, v10
                                        ; implicit-def: $vgpr4_vgpr5
                                        ; implicit-def: $vgpr8
                                        ; implicit-def: $vgpr9
                                        ; implicit-def: $vgpr10
	s_cbranch_vccnz .LBB123_277
; %bb.83:                               ;   in Loop: Header=BB123_12 Depth=1
	s_cmp_eq_u64 s[12:13], 1
	v_dual_mov_b32 v8, v29 :: v_dual_mov_b32 v9, v31
	v_mov_b32_e32 v10, v32
	s_cselect_b32 s10, -1, 0
                                        ; implicit-def: $sgpr73
                                        ; implicit-def: $sgpr72
	s_delay_alu instid0(SALU_CYCLE_1)
	s_and_b32 s76, s10, s9
	s_mov_b32 s10, -1
	s_and_saveexec_b32 s27, s76
	s_cbranch_execz .LBB123_118
; %bb.84:                               ;   in Loop: Header=BB123_12 Depth=1
	ds_load_b64 v[4:5], v3 offset:5120
	s_wait_dscnt 0x0
	s_barrier_signal -1
	s_barrier_wait -1
	v_readfirstlane_b32 s10, v4
	v_readfirstlane_b32 s11, v5
	s_and_saveexec_b32 s20, s6
; %bb.85:                               ;   in Loop: Header=BB123_12 Depth=1
	ds_store_b8 v0, v3 offset:3072
; %bb.86:                               ;   in Loop: Header=BB123_12 Depth=1
	s_or_b32 exec_lo, exec_lo, s20
	v_and_b32_e32 v8, s25, v29
	v_or_b32_e32 v9, s24, v31
	s_mov_b32 s72, -1
	s_mov_b32 s73, 0
	s_cmp_eq_u64 s[10:11], 0
	s_mov_b32 s22, 0
	s_mov_b32 s23, -1
	s_wait_dscnt 0x0
	s_barrier_signal -1
	s_barrier_wait -1
                                        ; implicit-def: $vgpr10
	s_cbranch_scc1 .LBB123_103
; %bb.87:                               ;   in Loop: Header=BB123_12 Depth=1
	s_add_nc_u64 s[20:21], s[10:11], s[64:65]
	s_delay_alu instid0(SALU_CYCLE_1) | instskip(NEXT) | instid1(SALU_CYCLE_1)
	s_and_b64 s[22:23], s[20:21], 0xffffffff00000000
	s_cmp_lg_u64 s[22:23], 0
	s_cbranch_scc0 .LBB123_144
; %bb.88:                               ;   in Loop: Header=BB123_12 Depth=1
	s_cvt_f32_u32 s8, s48
	s_sub_nc_u64 s[44:45], 0, s[48:49]
	s_delay_alu instid0(SALU_CYCLE_2) | instskip(NEXT) | instid1(SALU_CYCLE_3)
	s_fmamk_f32 s8, s101, 0x0, s8
	v_s_rcp_f32 s8, s8
	s_delay_alu instid0(TRANS32_DEP_1) | instskip(NEXT) | instid1(SALU_CYCLE_3)
	s_mul_f32 s8, s8, 0x5f7ffffc
	s_mul_f32 s22, s8, 0x2f800000
	s_delay_alu instid0(SALU_CYCLE_3) | instskip(NEXT) | instid1(SALU_CYCLE_3)
	s_trunc_f32 s22, s22
	s_fmamk_f32 s8, s22, 0xcf800000, s8
	s_cvt_u32_f32 s23, s22
	s_delay_alu instid0(SALU_CYCLE_2) | instskip(NEXT) | instid1(SALU_CYCLE_3)
	s_cvt_u32_f32 s22, s8
	s_mul_u64 s[46:47], s[44:45], s[22:23]
	s_delay_alu instid0(SALU_CYCLE_1)
	s_mul_hi_u32 s53, s22, s47
	s_mul_i32 s52, s22, s47
	s_mul_hi_u32 s28, s22, s46
	s_mul_i32 s43, s23, s46
	s_add_nc_u64 s[52:53], s[28:29], s[52:53]
	s_mul_hi_u32 s8, s23, s46
	s_mul_hi_u32 s54, s23, s47
	s_add_co_u32 s28, s52, s43
	s_add_co_ci_u32 s28, s53, s8
	s_mul_i32 s46, s23, s47
	s_add_co_ci_u32 s47, s54, 0
	s_delay_alu instid0(SALU_CYCLE_1) | instskip(NEXT) | instid1(SALU_CYCLE_1)
	s_add_nc_u64 s[46:47], s[28:29], s[46:47]
	s_add_co_u32 s22, s22, s46
	s_cselect_b32 s8, -1, 0
	s_delay_alu instid0(SALU_CYCLE_1) | instskip(SKIP_1) | instid1(SALU_CYCLE_1)
	s_cmp_lg_u32 s8, 0
	s_add_co_ci_u32 s23, s23, s47
	s_mul_u64 s[44:45], s[44:45], s[22:23]
	s_delay_alu instid0(SALU_CYCLE_1)
	s_mul_hi_u32 s47, s22, s45
	s_mul_i32 s46, s22, s45
	s_mul_hi_u32 s28, s22, s44
	s_mul_i32 s43, s23, s44
	s_add_nc_u64 s[46:47], s[28:29], s[46:47]
	s_mul_hi_u32 s8, s23, s44
	s_mul_hi_u32 s52, s23, s45
	s_add_co_u32 s28, s46, s43
	s_add_co_ci_u32 s28, s47, s8
	s_mul_i32 s44, s23, s45
	s_add_co_ci_u32 s45, s52, 0
	s_delay_alu instid0(SALU_CYCLE_1) | instskip(NEXT) | instid1(SALU_CYCLE_1)
	s_add_nc_u64 s[44:45], s[28:29], s[44:45]
	s_add_co_u32 s8, s22, s44
	s_cselect_b32 s22, -1, 0
	s_mul_hi_u32 s28, s20, s8
	s_cmp_lg_u32 s22, 0
	s_mul_hi_u32 s43, s21, s8
	s_add_co_ci_u32 s44, s23, s45
	s_mul_i32 s8, s21, s8
	s_mul_hi_u32 s23, s20, s44
	s_mul_i32 s22, s20, s44
	s_mul_hi_u32 s45, s21, s44
	s_add_nc_u64 s[22:23], s[28:29], s[22:23]
	s_mul_i32 s44, s21, s44
	s_add_co_u32 s8, s22, s8
	s_add_co_ci_u32 s28, s23, s43
	s_add_co_ci_u32 s45, s45, 0
	s_delay_alu instid0(SALU_CYCLE_1) | instskip(NEXT) | instid1(SALU_CYCLE_1)
	s_add_nc_u64 s[22:23], s[28:29], s[44:45]
	s_and_b64 s[44:45], s[22:23], 0xffffffff00000000
	s_delay_alu instid0(SALU_CYCLE_1) | instskip(NEXT) | instid1(SALU_CYCLE_1)
	s_or_b32 s44, s44, s22
	s_mul_u64 s[22:23], s[48:49], s[44:45]
	s_delay_alu instid0(SALU_CYCLE_1) | instskip(SKIP_1) | instid1(SALU_CYCLE_1)
	s_sub_co_u32 s8, s20, s22
	s_cselect_b32 s22, -1, 0
	s_cmp_lg_u32 s22, 0
	s_sub_co_ci_u32 s22, s21, s23
	s_sub_co_u32 s23, s8, s48
	s_cselect_b32 s28, -1, 0
	s_delay_alu instid0(SALU_CYCLE_1) | instskip(SKIP_3) | instid1(SALU_CYCLE_1)
	s_cmp_lg_u32 s28, 0
	s_sub_co_ci_u32 s28, s22, 0
	s_sub_co_u32 s43, s23, s48
	s_cselect_b32 s44, -1, 0
	s_cmp_lg_u32 s44, 0
	s_sub_co_ci_u32 s44, s28, 0
	s_cmp_ge_u32 s23, s48
	s_cselect_b32 s45, -1, 0
	s_cmp_eq_u32 s28, 0
	s_cselect_b32 s45, s45, -1
	s_delay_alu instid0(SALU_CYCLE_1)
	s_cmp_lg_u32 s45, 0
	s_cselect_b32 s28, s44, s28
	s_cselect_b32 s43, s43, s23
	s_cmp_ge_u32 s8, s48
	s_cselect_b32 s23, -1, 0
	s_cmp_eq_u32 s22, 0
	s_cselect_b32 s23, s23, -1
	s_delay_alu instid0(SALU_CYCLE_1)
	s_cmp_lg_u32 s23, 0
	s_cselect_b32 s23, s28, s22
	s_cselect_b32 s22, s43, s8
	s_cbranch_execnz .LBB123_90
.LBB123_89:                             ;   in Loop: Header=BB123_12 Depth=1
	v_cvt_f32_u32_e32 v2, s48
	s_sub_co_i32 s22, 0, s48
	s_delay_alu instid0(VALU_DEP_1) | instskip(SKIP_1) | instid1(TRANS32_DEP_1)
	v_rcp_iflag_f32_e32 v2, v2
	v_nop
	v_mul_f32_e32 v2, 0x4f7ffffe, v2
	s_delay_alu instid0(VALU_DEP_1) | instskip(NEXT) | instid1(VALU_DEP_1)
	v_cvt_u32_f32_e32 v2, v2
	v_readfirstlane_b32 s8, v2
	s_mul_i32 s22, s22, s8
	s_delay_alu instid0(SALU_CYCLE_1) | instskip(NEXT) | instid1(SALU_CYCLE_1)
	s_mul_hi_u32 s22, s8, s22
	s_add_co_i32 s8, s8, s22
	s_delay_alu instid0(SALU_CYCLE_1) | instskip(NEXT) | instid1(SALU_CYCLE_1)
	s_mul_hi_u32 s8, s20, s8
	s_mul_i32 s8, s8, s48
	s_delay_alu instid0(SALU_CYCLE_1) | instskip(NEXT) | instid1(SALU_CYCLE_1)
	s_sub_co_i32 s8, s20, s8
	s_sub_co_i32 s22, s8, s48
	s_cmp_ge_u32 s8, s48
	s_cselect_b32 s8, s22, s8
	s_delay_alu instid0(SALU_CYCLE_1) | instskip(SKIP_2) | instid1(SALU_CYCLE_1)
	s_sub_co_i32 s22, s8, s48
	s_cmp_ge_u32 s8, s48
	s_cselect_b32 s28, s22, s8
	s_mov_b64 s[22:23], s[28:29]
.LBB123_90:                             ;   in Loop: Header=BB123_12 Depth=1
	s_delay_alu instid0(SALU_CYCLE_1)
	s_sub_nc_u64 s[20:21], s[20:21], s[22:23]
	s_mov_b32 s23, 0
	s_mov_b32 s22, 0
	s_mov_b32 s28, exec_lo
                                        ; implicit-def: $vgpr10
	v_cmpx_gt_u64_e64 s[20:21], v[0:1]
	s_cbranch_execz .LBB123_102
; %bb.91:                               ;   in Loop: Header=BB123_12 Depth=1
	v_mov_b64_e32 v[4:5], v[0:1]
	v_mov_b32_e32 v2, v0
                                        ; implicit-def: $sgpr43
	s_branch .LBB123_94
.LBB123_92:                             ;   in Loop: Header=BB123_94 Depth=2
	s_or_b32 exec_lo, exec_lo, s44
	s_wait_dscnt 0x0
	s_barrier_signal -1
	s_barrier_wait -1
	ds_load_u16 v6, v3 offset:3072
	s_mov_b32 s44, -1
	s_mov_b32 s45, -1
	s_wait_dscnt 0x0
	s_barrier_signal -1
	s_barrier_wait -1
	v_and_b32_e32 v7, 0xff, v6
	s_delay_alu instid0(VALU_DEP_1)
	v_cmp_ne_u32_e32 vcc_lo, 0, v7
	s_cbranch_vccz .LBB123_97
.LBB123_93:                             ;   in Loop: Header=BB123_94 Depth=2
	s_and_b32 s8, exec_lo, s44
	s_delay_alu instid0(SALU_CYCLE_1) | instskip(SKIP_2) | instid1(SALU_CYCLE_1)
	s_or_b32 s22, s8, s22
	s_and_not1_b32 s8, s43, exec_lo
	s_and_b32 s43, s45, exec_lo
	s_or_b32 s43, s8, s43
	s_and_not1_b32 exec_lo, exec_lo, s22
	s_cbranch_execz .LBB123_101
.LBB123_94:                             ;   Parent Loop BB123_12 Depth=1
                                        ; =>  This Inner Loop Header: Depth=2
	s_mov_b32 s44, exec_lo
	s_delay_alu instid0(VALU_DEP_2)
	v_cmpx_gt_u64_e64 s[10:11], v[4:5]
	s_cbranch_execz .LBB123_92
; %bb.95:                               ;   in Loop: Header=BB123_94 Depth=2
	ds_load_u8 v6, v2
	s_wait_dscnt 0x0
	v_bitop3_b32 v7, v6, 0xff, v9 bitop3:0x80
	s_delay_alu instid0(VALU_DEP_1)
	v_cmp_eq_u32_e32 vcc_lo, v7, v8
	s_and_b32 exec_lo, exec_lo, vcc_lo
	s_cbranch_execz .LBB123_92
; %bb.96:                               ;   in Loop: Header=BB123_94 Depth=2
	v_lshlrev_b16 v6, 8, v6
	s_delay_alu instid0(VALU_DEP_1)
	v_or_b32_e32 v6, 1, v6
	ds_store_b16 v3, v6 offset:3072
	s_branch .LBB123_92
.LBB123_97:                             ;   in Loop: Header=BB123_94 Depth=2
	v_add_nc_u64_e32 v[4:5], s[48:49], v[4:5]
	v_add_nc_u32_e32 v2, s48, v2
	s_mov_b32 s45, 0
	s_delay_alu instid0(VALU_DEP_2)
	v_cmp_le_u64_e32 vcc_lo, s[20:21], v[4:5]
	s_or_not1_b32 s44, vcc_lo, exec_lo
	s_branch .LBB123_93
.LBB123_98:                             ;   in Loop: Header=BB123_12 Depth=1
	s_or_b32 exec_lo, exec_lo, s12
	s_wait_dscnt 0x0
	s_barrier_signal -1
	s_barrier_wait -1
	s_and_saveexec_b32 s9, s5
	s_cbranch_execz .LBB123_100
; %bb.99:                               ;   in Loop: Header=BB123_12 Depth=1
	ds_load_b32 v4, v3 offset:5144
	s_wait_dscnt 0x0
	v_ashrrev_i32_e32 v5, 31, v4
	ds_store_b64 v3, v[4:5] offset:5120
.LBB123_100:                            ;   in Loop: Header=BB123_12 Depth=1
	s_or_b32 exec_lo, exec_lo, s9
	s_wait_dscnt 0x0
	s_barrier_signal -1
	s_mov_b32 s9, -1
	s_barrier_wait -1
	s_and_b32 vcc_lo, exec_lo, s11
	s_cbranch_vccnz .LBB123_27
	s_branch .LBB123_42
.LBB123_101:                            ;   in Loop: Header=BB123_12 Depth=1
	s_or_b32 exec_lo, exec_lo, s22
	v_and_b32_e32 v2, 0xffff, v6
	s_and_b32 s22, s43, exec_lo
	s_delay_alu instid0(VALU_DEP_1)
	v_lshrrev_b32_e32 v10, 8, v2
.LBB123_102:                            ;   in Loop: Header=BB123_12 Depth=1
	s_or_b32 exec_lo, exec_lo, s28
.LBB123_103:                            ;   in Loop: Header=BB123_12 Depth=1
	s_delay_alu instid0(SALU_CYCLE_1)
	s_and_b32 vcc_lo, exec_lo, s23
	s_cbranch_vccz .LBB123_117
; %bb.104:                              ;   in Loop: Header=BB123_12 Depth=1
	s_and_b64 s[10:11], s[66:67], 0xffffffff00000000
	s_delay_alu instid0(SALU_CYCLE_1)
	s_cmp_lg_u64 s[10:11], 0
	s_cbranch_scc0 .LBB123_145
; %bb.105:                              ;   in Loop: Header=BB123_12 Depth=1
	s_cvt_f32_u32 s8, s48
	s_sub_nc_u64 s[20:21], 0, s[48:49]
	s_delay_alu instid0(SALU_CYCLE_2) | instskip(NEXT) | instid1(SALU_CYCLE_3)
	s_fmamk_f32 s8, s101, 0x0, s8
	v_s_rcp_f32 s8, s8
	s_delay_alu instid0(TRANS32_DEP_1) | instskip(NEXT) | instid1(SALU_CYCLE_3)
	s_mul_f32 s8, s8, 0x5f7ffffc
	s_mul_f32 s10, s8, 0x2f800000
	s_delay_alu instid0(SALU_CYCLE_3) | instskip(NEXT) | instid1(SALU_CYCLE_3)
	s_trunc_f32 s10, s10
	s_fmamk_f32 s8, s10, 0xcf800000, s8
	s_cvt_u32_f32 s11, s10
	s_delay_alu instid0(SALU_CYCLE_2) | instskip(NEXT) | instid1(SALU_CYCLE_3)
	s_cvt_u32_f32 s10, s8
	s_mul_u64 s[44:45], s[20:21], s[10:11]
	s_delay_alu instid0(SALU_CYCLE_1)
	s_mul_hi_u32 s47, s10, s45
	s_mul_i32 s46, s10, s45
	s_mul_hi_u32 s28, s10, s44
	s_mul_i32 s23, s11, s44
	s_add_nc_u64 s[46:47], s[28:29], s[46:47]
	s_mul_hi_u32 s8, s11, s44
	s_mul_hi_u32 s43, s11, s45
	s_add_co_u32 s23, s46, s23
	s_add_co_ci_u32 s28, s47, s8
	s_mul_i32 s44, s11, s45
	s_add_co_ci_u32 s45, s43, 0
	s_delay_alu instid0(SALU_CYCLE_1) | instskip(NEXT) | instid1(SALU_CYCLE_1)
	s_add_nc_u64 s[44:45], s[28:29], s[44:45]
	s_add_co_u32 s10, s10, s44
	s_cselect_b32 s8, -1, 0
	s_delay_alu instid0(SALU_CYCLE_1) | instskip(SKIP_1) | instid1(SALU_CYCLE_1)
	s_cmp_lg_u32 s8, 0
	s_add_co_ci_u32 s11, s11, s45
	s_mul_u64 s[20:21], s[20:21], s[10:11]
	s_delay_alu instid0(SALU_CYCLE_1)
	s_mul_hi_u32 s45, s10, s21
	s_mul_i32 s44, s10, s21
	s_mul_hi_u32 s28, s10, s20
	s_mul_i32 s23, s11, s20
	s_add_nc_u64 s[44:45], s[28:29], s[44:45]
	s_mul_hi_u32 s8, s11, s20
	s_mul_hi_u32 s43, s11, s21
	s_mul_i32 s20, s11, s21
	s_add_co_u32 s21, s44, s23
	s_add_co_ci_u32 s28, s45, s8
	s_add_co_ci_u32 s21, s43, 0
	s_delay_alu instid0(SALU_CYCLE_1) | instskip(NEXT) | instid1(SALU_CYCLE_1)
	s_add_nc_u64 s[20:21], s[28:29], s[20:21]
	s_add_co_u32 s8, s10, s20
	s_cselect_b32 s10, -1, 0
	s_mul_hi_u32 s28, s66, s8
	s_cmp_lg_u32 s10, 0
	s_mul_hi_u32 s23, s67, s8
	s_add_co_ci_u32 s20, s11, s21
	s_mul_i32 s8, s67, s8
	s_mul_hi_u32 s11, s66, s20
	s_mul_i32 s10, s66, s20
	s_mul_hi_u32 s21, s67, s20
	s_add_nc_u64 s[10:11], s[28:29], s[10:11]
	s_mul_i32 s20, s67, s20
	s_add_co_u32 s8, s10, s8
	s_add_co_ci_u32 s28, s11, s23
	s_add_co_ci_u32 s21, s21, 0
	s_delay_alu instid0(SALU_CYCLE_1) | instskip(NEXT) | instid1(SALU_CYCLE_1)
	s_add_nc_u64 s[10:11], s[28:29], s[20:21]
	s_and_b64 s[20:21], s[10:11], 0xffffffff00000000
	s_delay_alu instid0(SALU_CYCLE_1) | instskip(NEXT) | instid1(SALU_CYCLE_1)
	s_or_b32 s20, s20, s10
	s_mul_u64 s[10:11], s[48:49], s[20:21]
	s_delay_alu instid0(SALU_CYCLE_1) | instskip(SKIP_1) | instid1(SALU_CYCLE_1)
	s_sub_co_u32 s8, s66, s10
	s_cselect_b32 s10, -1, 0
	s_cmp_lg_u32 s10, 0
	s_sub_co_ci_u32 s10, s67, s11
	s_sub_co_u32 s11, s8, s48
	s_cselect_b32 s20, -1, 0
	s_delay_alu instid0(SALU_CYCLE_1) | instskip(SKIP_3) | instid1(SALU_CYCLE_1)
	s_cmp_lg_u32 s20, 0
	s_sub_co_ci_u32 s20, s10, 0
	s_sub_co_u32 s21, s11, s48
	s_cselect_b32 s23, -1, 0
	s_cmp_lg_u32 s23, 0
	s_sub_co_ci_u32 s23, s20, 0
	s_cmp_ge_u32 s11, s48
	s_cselect_b32 s28, -1, 0
	s_cmp_eq_u32 s20, 0
	s_cselect_b32 s28, s28, -1
	s_delay_alu instid0(SALU_CYCLE_1)
	s_cmp_lg_u32 s28, 0
	s_cselect_b32 s20, s23, s20
	s_cselect_b32 s21, s21, s11
	s_cmp_ge_u32 s8, s48
	s_cselect_b32 s11, -1, 0
	s_cmp_eq_u32 s10, 0
	s_cselect_b32 s11, s11, -1
	s_delay_alu instid0(SALU_CYCLE_1)
	s_cmp_lg_u32 s11, 0
	s_cselect_b32 s11, s20, s10
	s_cselect_b32 s10, s21, s8
	s_cbranch_execnz .LBB123_107
.LBB123_106:                            ;   in Loop: Header=BB123_12 Depth=1
	v_cvt_f32_u32_e32 v2, s48
	s_sub_co_i32 s10, 0, s48
	s_delay_alu instid0(VALU_DEP_1) | instskip(SKIP_1) | instid1(TRANS32_DEP_1)
	v_rcp_iflag_f32_e32 v2, v2
	v_nop
	v_mul_f32_e32 v2, 0x4f7ffffe, v2
	s_delay_alu instid0(VALU_DEP_1) | instskip(NEXT) | instid1(VALU_DEP_1)
	v_cvt_u32_f32_e32 v2, v2
	v_readfirstlane_b32 s8, v2
	s_mul_i32 s10, s10, s8
	s_delay_alu instid0(SALU_CYCLE_1) | instskip(NEXT) | instid1(SALU_CYCLE_1)
	s_mul_hi_u32 s10, s8, s10
	s_add_co_i32 s8, s8, s10
	s_delay_alu instid0(SALU_CYCLE_1) | instskip(NEXT) | instid1(SALU_CYCLE_1)
	s_mul_hi_u32 s8, s66, s8
	s_mul_i32 s8, s8, s48
	s_delay_alu instid0(SALU_CYCLE_1) | instskip(NEXT) | instid1(SALU_CYCLE_1)
	s_sub_co_i32 s8, s66, s8
	s_sub_co_i32 s10, s8, s48
	s_cmp_ge_u32 s8, s48
	s_cselect_b32 s8, s10, s8
	s_delay_alu instid0(SALU_CYCLE_1) | instskip(SKIP_2) | instid1(SALU_CYCLE_1)
	s_sub_co_i32 s10, s8, s48
	s_cmp_ge_u32 s8, s48
	s_cselect_b32 s28, s10, s8
	s_mov_b64 s[10:11], s[28:29]
.LBB123_107:                            ;   in Loop: Header=BB123_12 Depth=1
	s_delay_alu instid0(SALU_CYCLE_1)
	s_sub_nc_u64 s[10:11], s[66:67], s[10:11]
	s_mov_b32 s20, exec_lo
                                        ; implicit-def: $vgpr10
	v_cmpx_gt_u64_e64 s[10:11], v[0:1]
	s_cbranch_execz .LBB123_116
; %bb.108:                              ;   in Loop: Header=BB123_12 Depth=1
	v_mov_b64_e32 v[4:5], v[0:1]
	s_mov_b32 s23, 0
                                        ; implicit-def: $sgpr21
	s_branch .LBB123_111
.LBB123_109:                            ;   in Loop: Header=BB123_111 Depth=2
	s_or_b32 exec_lo, exec_lo, s28
	s_wait_dscnt 0x0
	s_barrier_signal -1
	s_barrier_wait -1
	ds_load_u16 v2, v3 offset:3072
	s_mov_b32 s43, -1
	s_mov_b32 s28, -1
	s_wait_dscnt 0x0
	s_barrier_signal -1
	s_barrier_wait -1
	v_and_b32_e32 v6, 0xff, v2
	s_delay_alu instid0(VALU_DEP_1)
	v_cmp_ne_u32_e32 vcc_lo, 0, v6
	s_cbranch_vccz .LBB123_114
.LBB123_110:                            ;   in Loop: Header=BB123_111 Depth=2
	s_and_b32 s8, exec_lo, s43
	s_delay_alu instid0(SALU_CYCLE_1) | instskip(SKIP_2) | instid1(SALU_CYCLE_1)
	s_or_b32 s23, s8, s23
	s_and_not1_b32 s8, s21, exec_lo
	s_and_b32 s21, s28, exec_lo
	s_or_b32 s21, s8, s21
	s_and_not1_b32 exec_lo, exec_lo, s23
	s_cbranch_execz .LBB123_115
.LBB123_111:                            ;   Parent Loop BB123_12 Depth=1
                                        ; =>  This Inner Loop Header: Depth=2
	s_mov_b32 s28, exec_lo
	s_delay_alu instid0(VALU_DEP_1)
	v_cmpx_gt_u64_e64 s[36:37], v[4:5]
	s_cbranch_execz .LBB123_109
; %bb.112:                              ;   in Loop: Header=BB123_111 Depth=2
	v_mad_nc_u64_u32 v[6:7], v4, s30, s[34:35]
	s_delay_alu instid0(VALU_DEP_1) | instskip(NEXT) | instid1(VALU_DEP_1)
	v_mad_u32 v2, v5, s30, v7
	v_mad_u32 v7, v4, s31, v2
	global_load_u8 v2, v[6:7], off
	s_wait_loadcnt 0x0
	s_wait_xcnt 0x0
	v_bitop3_b32 v6, v2, 0xff, v9 bitop3:0x80
	s_delay_alu instid0(VALU_DEP_1)
	v_cmp_eq_u32_e32 vcc_lo, v6, v8
	s_and_b32 exec_lo, exec_lo, vcc_lo
	s_cbranch_execz .LBB123_109
; %bb.113:                              ;   in Loop: Header=BB123_111 Depth=2
	v_lshlrev_b16 v2, 8, v2
	s_delay_alu instid0(VALU_DEP_1)
	v_or_b32_e32 v2, 1, v2
	ds_store_b16 v3, v2 offset:3072
	s_branch .LBB123_109
.LBB123_114:                            ;   in Loop: Header=BB123_111 Depth=2
	v_add_nc_u64_e32 v[4:5], s[48:49], v[4:5]
	s_mov_b32 s28, 0
	s_delay_alu instid0(VALU_DEP_1)
	v_cmp_le_u64_e32 vcc_lo, s[10:11], v[4:5]
	s_or_not1_b32 s43, vcc_lo, exec_lo
	s_branch .LBB123_110
.LBB123_115:                            ;   in Loop: Header=BB123_12 Depth=1
	s_or_b32 exec_lo, exec_lo, s23
	v_and_b32_e32 v2, 0xffff, v2
	s_and_not1_b32 s8, s22, exec_lo
	s_and_b32 s10, s21, exec_lo
	s_delay_alu instid0(SALU_CYCLE_1) | instskip(NEXT) | instid1(VALU_DEP_1)
	s_or_b32 s22, s8, s10
	v_lshrrev_b32_e32 v10, 8, v2
.LBB123_116:                            ;   in Loop: Header=BB123_12 Depth=1
	s_or_b32 exec_lo, exec_lo, s20
	s_mov_b32 s72, 0
	s_mov_b32 s73, -1
.LBB123_117:                            ;   in Loop: Header=BB123_12 Depth=1
	s_or_not1_b32 s10, s22, exec_lo
.LBB123_118:                            ;   in Loop: Header=BB123_12 Depth=1
	s_or_b32 exec_lo, exec_lo, s27
	s_mov_b32 s74, 0
	s_mov_b32 s43, 0
	;; [unrolled: 1-line block ×3, first 2 shown]
                                        ; implicit-def: $vgpr4_vgpr5
                                        ; implicit-def: $vgpr2
	s_and_saveexec_b32 s75, s10
	s_cbranch_execz .LBB123_276
; %bb.119:                              ;   in Loop: Header=BB123_12 Depth=1
	v_mov_b64_e32 v[4:5], 1
	v_mov_b32_e32 v2, 1
	s_xor_b32 s8, s76, -1
	s_mov_b32 s11, 0
	s_and_saveexec_b32 s10, s8
	s_cbranch_execz .LBB123_128
; %bb.120:                              ;   in Loop: Header=BB123_12 Depth=1
	s_mov_b32 s8, exec_lo
	v_cmpx_ge_u64_e64 s[12:13], v[22:23]
	s_xor_b32 s11, exec_lo, s8
	s_cbranch_execz .LBB123_125
; %bb.121:                              ;   in Loop: Header=BB123_12 Depth=1
	ds_load_b64 v[4:5], v3 offset:5120
	v_and_b32_e32 v8, s25, v8
	v_or_b32_e32 v9, s24, v9
	s_wait_dscnt 0x0
	v_cmp_ne_u64_e32 vcc_lo, 0, v[4:5]
	s_cbranch_vccnz .LBB123_125
; %bb.122:                              ;   in Loop: Header=BB123_12 Depth=1
	s_and_saveexec_b32 s20, s5
; %bb.123:                              ;   in Loop: Header=BB123_12 Depth=1
	v_mov_b64_e32 v[4:5], s[12:13]
	ds_store_b64 v3, v[4:5] offset:5128
; %bb.124:                              ;   in Loop: Header=BB123_12 Depth=1
	s_or_b32 exec_lo, exec_lo, s20
	s_wait_dscnt 0x0
	s_barrier_signal -1
	s_barrier_wait -1
.LBB123_125:                            ;   in Loop: Header=BB123_12 Depth=1
	s_or_saveexec_b32 s11, s11
	v_mov_b64_e32 v[4:5], v[22:23]
	v_mov_b32_e32 v2, 8
	s_mov_b32 s20, 0
	s_xor_b32 exec_lo, exec_lo, s11
; %bb.126:                              ;   in Loop: Header=BB123_12 Depth=1
	v_sub_nc_u64_e64 v[4:5], v[22:23], s[12:13]
	v_mov_b32_e32 v2, 0
	s_mov_b32 s20, exec_lo
; %bb.127:                              ;   in Loop: Header=BB123_12 Depth=1
	s_or_b32 exec_lo, exec_lo, s11
	s_delay_alu instid0(SALU_CYCLE_1)
	s_and_b32 s11, s20, exec_lo
.LBB123_128:                            ;   in Loop: Header=BB123_12 Depth=1
	s_or_b32 exec_lo, exec_lo, s10
	s_mov_b32 s10, -1
                                        ; implicit-def: $sgpr43
                                        ; implicit-def: $sgpr76
	s_and_saveexec_b32 s8, s11
	s_delay_alu instid0(SALU_CYCLE_1)
	s_xor_b32 s27, exec_lo, s8
	s_cbranch_execz .LBB123_273
; %bb.129:                              ;   in Loop: Header=BB123_12 Depth=1
	v_cmp_eq_u64_e32 vcc_lo, 1, v[4:5]
	s_cmp_eq_u64 s[14:15], 1
                                        ; implicit-def: $sgpr76
                                        ; implicit-def: $sgpr43
	s_cselect_b32 s10, -1, 0
	s_delay_alu instid0(SALU_CYCLE_1)
	s_and_b32 s78, s10, vcc_lo
	s_mov_b32 s10, -1
	s_and_saveexec_b32 s77, s78
	s_cbranch_execz .LBB123_163
; %bb.130:                              ;   in Loop: Header=BB123_12 Depth=1
	ds_load_b64 v[6:7], v3 offset:5120
	s_wait_dscnt 0x0
	s_barrier_signal -1
	s_barrier_wait -1
	v_readfirstlane_b32 s10, v6
	v_readfirstlane_b32 s11, v7
	s_and_saveexec_b32 s20, s6
; %bb.131:                              ;   in Loop: Header=BB123_12 Depth=1
	ds_store_b8 v0, v3 offset:3072
; %bb.132:                              ;   in Loop: Header=BB123_12 Depth=1
	s_or_b32 exec_lo, exec_lo, s20
	s_lshl_b32 s20, 1, s99
	v_or_b32_e32 v9, s24, v9
	v_and_or_b32 v8, v8, s25, s20
	s_mov_b32 s43, -1
	s_mov_b32 s76, 0
	s_cmp_eq_u64 s[10:11], 0
	s_mov_b32 s22, 0
	s_mov_b32 s23, -1
	s_wait_dscnt 0x0
	s_barrier_signal -1
	s_barrier_wait -1
                                        ; implicit-def: $vgpr10
	s_cbranch_scc1 .LBB123_148
; %bb.133:                              ;   in Loop: Header=BB123_12 Depth=1
	s_add_nc_u64 s[20:21], s[10:11], s[64:65]
	s_delay_alu instid0(SALU_CYCLE_1) | instskip(NEXT) | instid1(SALU_CYCLE_1)
	s_and_b64 s[22:23], s[20:21], 0xffffffff00000000
	s_cmp_lg_u64 s[22:23], 0
	s_cbranch_scc0 .LBB123_189
; %bb.134:                              ;   in Loop: Header=BB123_12 Depth=1
	s_cvt_f32_u32 s22, s48
	s_sub_nc_u64 s[44:45], 0, s[48:49]
	s_delay_alu instid0(SALU_CYCLE_2) | instskip(NEXT) | instid1(SALU_CYCLE_3)
	s_fmamk_f32 s22, s101, 0x0, s22
	v_s_rcp_f32 s22, s22
	s_delay_alu instid0(TRANS32_DEP_1) | instskip(NEXT) | instid1(SALU_CYCLE_3)
	s_mul_f32 s22, s22, 0x5f7ffffc
	s_mul_f32 s23, s22, 0x2f800000
	s_delay_alu instid0(SALU_CYCLE_3) | instskip(NEXT) | instid1(SALU_CYCLE_3)
	s_trunc_f32 s23, s23
	s_fmamk_f32 s22, s23, 0xcf800000, s22
	s_cvt_u32_f32 s23, s23
	s_delay_alu instid0(SALU_CYCLE_2) | instskip(NEXT) | instid1(SALU_CYCLE_3)
	s_cvt_u32_f32 s22, s22
	s_mul_u64 s[46:47], s[44:45], s[22:23]
	s_delay_alu instid0(SALU_CYCLE_1)
	s_mul_hi_u32 s81, s22, s47
	s_mul_i32 s80, s22, s47
	s_mul_hi_u32 s28, s22, s46
	s_mul_i32 s53, s23, s46
	s_add_nc_u64 s[80:81], s[28:29], s[80:81]
	s_mul_hi_u32 s52, s23, s46
	s_mul_hi_u32 s54, s23, s47
	s_add_co_u32 s28, s80, s53
	s_add_co_ci_u32 s28, s81, s52
	s_mul_i32 s46, s23, s47
	s_add_co_ci_u32 s47, s54, 0
	s_delay_alu instid0(SALU_CYCLE_1) | instskip(NEXT) | instid1(SALU_CYCLE_1)
	s_add_nc_u64 s[46:47], s[28:29], s[46:47]
	s_add_co_u32 s22, s22, s46
	s_cselect_b32 s28, -1, 0
	s_delay_alu instid0(SALU_CYCLE_1) | instskip(SKIP_1) | instid1(SALU_CYCLE_1)
	s_cmp_lg_u32 s28, 0
	s_add_co_ci_u32 s23, s23, s47
	s_mul_u64 s[44:45], s[44:45], s[22:23]
	s_delay_alu instid0(SALU_CYCLE_1)
	s_mul_hi_u32 s47, s22, s45
	s_mul_i32 s46, s22, s45
	s_mul_hi_u32 s28, s22, s44
	s_mul_i32 s53, s23, s44
	s_add_nc_u64 s[46:47], s[28:29], s[46:47]
	s_mul_hi_u32 s52, s23, s44
	s_mul_hi_u32 s54, s23, s45
	s_add_co_u32 s28, s46, s53
	s_add_co_ci_u32 s28, s47, s52
	s_mul_i32 s44, s23, s45
	s_add_co_ci_u32 s45, s54, 0
	s_delay_alu instid0(SALU_CYCLE_1) | instskip(NEXT) | instid1(SALU_CYCLE_1)
	s_add_nc_u64 s[44:45], s[28:29], s[44:45]
	s_add_co_u32 s22, s22, s44
	s_cselect_b32 s44, -1, 0
	s_mul_hi_u32 s28, s20, s22
	s_cmp_lg_u32 s44, 0
	s_mul_hi_u32 s46, s21, s22
	s_add_co_ci_u32 s44, s23, s45
	s_mul_i32 s45, s21, s22
	s_mul_hi_u32 s23, s20, s44
	s_mul_i32 s22, s20, s44
	s_mul_hi_u32 s47, s21, s44
	s_add_nc_u64 s[22:23], s[28:29], s[22:23]
	s_mul_i32 s44, s21, s44
	s_add_co_u32 s22, s22, s45
	s_add_co_ci_u32 s28, s23, s46
	s_add_co_ci_u32 s45, s47, 0
	s_delay_alu instid0(SALU_CYCLE_1) | instskip(NEXT) | instid1(SALU_CYCLE_1)
	s_add_nc_u64 s[22:23], s[28:29], s[44:45]
	s_and_b64 s[44:45], s[22:23], 0xffffffff00000000
	s_delay_alu instid0(SALU_CYCLE_1) | instskip(NEXT) | instid1(SALU_CYCLE_1)
	s_or_b32 s44, s44, s22
	s_mul_u64 s[22:23], s[48:49], s[44:45]
	s_delay_alu instid0(SALU_CYCLE_1) | instskip(SKIP_1) | instid1(SALU_CYCLE_1)
	s_sub_co_u32 s22, s20, s22
	s_cselect_b32 s28, -1, 0
	s_cmp_lg_u32 s28, 0
	s_sub_co_ci_u32 s23, s21, s23
	s_sub_co_u32 s28, s22, s48
	s_cselect_b32 s44, -1, 0
	s_delay_alu instid0(SALU_CYCLE_1) | instskip(SKIP_3) | instid1(SALU_CYCLE_1)
	s_cmp_lg_u32 s44, 0
	s_sub_co_ci_u32 s44, s23, 0
	s_sub_co_u32 s45, s28, s48
	s_cselect_b32 s46, -1, 0
	s_cmp_lg_u32 s46, 0
	s_sub_co_ci_u32 s46, s44, 0
	s_cmp_ge_u32 s28, s48
	s_cselect_b32 s47, -1, 0
	s_cmp_eq_u32 s44, 0
	s_cselect_b32 s47, s47, -1
	s_delay_alu instid0(SALU_CYCLE_1)
	s_cmp_lg_u32 s47, 0
	s_cselect_b32 s44, s46, s44
	s_cselect_b32 s28, s45, s28
	s_cmp_ge_u32 s22, s48
	s_cselect_b32 s45, -1, 0
	s_cmp_eq_u32 s23, 0
	s_cselect_b32 s45, s45, -1
	s_delay_alu instid0(SALU_CYCLE_1)
	s_cmp_lg_u32 s45, 0
	s_cselect_b32 s23, s44, s23
	s_cselect_b32 s22, s28, s22
	s_cbranch_execnz .LBB123_136
.LBB123_135:                            ;   in Loop: Header=BB123_12 Depth=1
	v_cvt_f32_u32_e32 v6, s48
	s_sub_co_i32 s23, 0, s48
	s_delay_alu instid0(VALU_DEP_1) | instskip(SKIP_1) | instid1(TRANS32_DEP_1)
	v_rcp_iflag_f32_e32 v6, v6
	v_nop
	v_mul_f32_e32 v6, 0x4f7ffffe, v6
	s_delay_alu instid0(VALU_DEP_1) | instskip(NEXT) | instid1(VALU_DEP_1)
	v_cvt_u32_f32_e32 v6, v6
	v_readfirstlane_b32 s22, v6
	s_mul_i32 s23, s23, s22
	s_delay_alu instid0(SALU_CYCLE_1) | instskip(NEXT) | instid1(SALU_CYCLE_1)
	s_mul_hi_u32 s23, s22, s23
	s_add_co_i32 s22, s22, s23
	s_delay_alu instid0(SALU_CYCLE_1) | instskip(NEXT) | instid1(SALU_CYCLE_1)
	s_mul_hi_u32 s22, s20, s22
	s_mul_i32 s22, s22, s48
	s_delay_alu instid0(SALU_CYCLE_1) | instskip(NEXT) | instid1(SALU_CYCLE_1)
	s_sub_co_i32 s22, s20, s22
	s_sub_co_i32 s23, s22, s48
	s_cmp_ge_u32 s22, s48
	s_cselect_b32 s22, s23, s22
	s_delay_alu instid0(SALU_CYCLE_1) | instskip(SKIP_2) | instid1(SALU_CYCLE_1)
	s_sub_co_i32 s23, s22, s48
	s_cmp_ge_u32 s22, s48
	s_cselect_b32 s28, s23, s22
	s_mov_b64 s[22:23], s[28:29]
.LBB123_136:                            ;   in Loop: Header=BB123_12 Depth=1
	s_delay_alu instid0(SALU_CYCLE_1)
	s_sub_nc_u64 s[20:21], s[20:21], s[22:23]
	s_mov_b32 s23, 0
	s_mov_b32 s22, 0
	s_mov_b32 s28, exec_lo
                                        ; implicit-def: $vgpr10
	v_cmpx_gt_u64_e64 s[20:21], v[0:1]
	s_cbranch_execz .LBB123_147
; %bb.137:                              ;   in Loop: Header=BB123_12 Depth=1
	v_mov_b64_e32 v[6:7], v[0:1]
	v_mov_b32_e32 v10, v0
                                        ; implicit-def: $sgpr44
	s_branch .LBB123_140
.LBB123_138:                            ;   in Loop: Header=BB123_140 Depth=2
	s_or_b32 exec_lo, exec_lo, s45
	s_wait_dscnt 0x0
	s_barrier_signal -1
	s_barrier_wait -1
	ds_load_u16 v11, v3 offset:3072
	s_mov_b32 s45, -1
	s_mov_b32 s46, -1
	s_wait_dscnt 0x0
	s_barrier_signal -1
	s_barrier_wait -1
	v_and_b32_e32 v24, 0xff, v11
	s_delay_alu instid0(VALU_DEP_1)
	v_cmp_ne_u32_e32 vcc_lo, 0, v24
	s_cbranch_vccz .LBB123_143
.LBB123_139:                            ;   in Loop: Header=BB123_140 Depth=2
	s_and_b32 s8, exec_lo, s45
	s_delay_alu instid0(SALU_CYCLE_1) | instskip(SKIP_2) | instid1(SALU_CYCLE_1)
	s_or_b32 s22, s8, s22
	s_and_not1_b32 s8, s44, exec_lo
	s_and_b32 s44, s46, exec_lo
	s_or_b32 s44, s8, s44
	s_and_not1_b32 exec_lo, exec_lo, s22
	s_cbranch_execz .LBB123_146
.LBB123_140:                            ;   Parent Loop BB123_12 Depth=1
                                        ; =>  This Inner Loop Header: Depth=2
	s_mov_b32 s45, exec_lo
	s_delay_alu instid0(VALU_DEP_2)
	v_cmpx_gt_u64_e64 s[10:11], v[6:7]
	s_cbranch_execz .LBB123_138
; %bb.141:                              ;   in Loop: Header=BB123_140 Depth=2
	ds_load_u8 v11, v10
	s_wait_dscnt 0x0
	v_bitop3_b32 v24, v11, 0xff, v9 bitop3:0x80
	s_delay_alu instid0(VALU_DEP_1)
	v_cmp_eq_u32_e32 vcc_lo, v24, v8
	s_and_b32 exec_lo, exec_lo, vcc_lo
	s_cbranch_execz .LBB123_138
; %bb.142:                              ;   in Loop: Header=BB123_140 Depth=2
	v_lshlrev_b16 v11, 8, v11
	s_delay_alu instid0(VALU_DEP_1)
	v_or_b32_e32 v11, 1, v11
	ds_store_b16 v3, v11 offset:3072
	s_branch .LBB123_138
.LBB123_143:                            ;   in Loop: Header=BB123_140 Depth=2
	v_add_nc_u64_e32 v[6:7], s[48:49], v[6:7]
	v_add_nc_u32_e32 v10, s48, v10
	s_mov_b32 s46, 0
	s_delay_alu instid0(VALU_DEP_2)
	v_cmp_le_u64_e32 vcc_lo, s[20:21], v[6:7]
	s_or_not1_b32 s45, vcc_lo, exec_lo
	s_branch .LBB123_139
.LBB123_144:                            ;   in Loop: Header=BB123_12 Depth=1
                                        ; implicit-def: $sgpr22_sgpr23
	s_branch .LBB123_89
.LBB123_145:                            ;   in Loop: Header=BB123_12 Depth=1
                                        ; implicit-def: $sgpr10_sgpr11
	s_branch .LBB123_106
.LBB123_146:                            ;   in Loop: Header=BB123_12 Depth=1
	s_or_b32 exec_lo, exec_lo, s22
	v_and_b32_e32 v6, 0xffff, v11
	s_and_b32 s22, s44, exec_lo
	s_delay_alu instid0(VALU_DEP_1)
	v_lshrrev_b32_e32 v10, 8, v6
.LBB123_147:                            ;   in Loop: Header=BB123_12 Depth=1
	s_or_b32 exec_lo, exec_lo, s28
.LBB123_148:                            ;   in Loop: Header=BB123_12 Depth=1
	s_delay_alu instid0(SALU_CYCLE_1)
	s_and_b32 vcc_lo, exec_lo, s23
	s_cbranch_vccz .LBB123_162
; %bb.149:                              ;   in Loop: Header=BB123_12 Depth=1
	s_and_b64 s[10:11], s[66:67], 0xffffffff00000000
	s_delay_alu instid0(SALU_CYCLE_1)
	s_cmp_lg_u64 s[10:11], 0
	s_cbranch_scc0 .LBB123_190
; %bb.150:                              ;   in Loop: Header=BB123_12 Depth=1
	s_cvt_f32_u32 s10, s48
	s_sub_nc_u64 s[20:21], 0, s[48:49]
	s_delay_alu instid0(SALU_CYCLE_2) | instskip(NEXT) | instid1(SALU_CYCLE_3)
	s_fmamk_f32 s10, s101, 0x0, s10
	v_s_rcp_f32 s10, s10
	s_delay_alu instid0(TRANS32_DEP_1) | instskip(NEXT) | instid1(SALU_CYCLE_3)
	s_mul_f32 s10, s10, 0x5f7ffffc
	s_mul_f32 s11, s10, 0x2f800000
	s_delay_alu instid0(SALU_CYCLE_3) | instskip(NEXT) | instid1(SALU_CYCLE_3)
	s_trunc_f32 s11, s11
	s_fmamk_f32 s10, s11, 0xcf800000, s10
	s_cvt_u32_f32 s11, s11
	s_delay_alu instid0(SALU_CYCLE_2) | instskip(NEXT) | instid1(SALU_CYCLE_3)
	s_cvt_u32_f32 s10, s10
	s_mul_u64 s[44:45], s[20:21], s[10:11]
	s_delay_alu instid0(SALU_CYCLE_1)
	s_mul_hi_u32 s47, s10, s45
	s_mul_i32 s46, s10, s45
	s_mul_hi_u32 s28, s10, s44
	s_mul_i32 s43, s11, s44
	s_add_nc_u64 s[46:47], s[28:29], s[46:47]
	s_mul_hi_u32 s23, s11, s44
	s_mul_hi_u32 s52, s11, s45
	s_add_co_u32 s28, s46, s43
	s_add_co_ci_u32 s28, s47, s23
	s_mul_i32 s44, s11, s45
	s_add_co_ci_u32 s45, s52, 0
	s_delay_alu instid0(SALU_CYCLE_1) | instskip(NEXT) | instid1(SALU_CYCLE_1)
	s_add_nc_u64 s[44:45], s[28:29], s[44:45]
	s_add_co_u32 s10, s10, s44
	s_cselect_b32 s23, -1, 0
	s_delay_alu instid0(SALU_CYCLE_1) | instskip(SKIP_1) | instid1(SALU_CYCLE_1)
	s_cmp_lg_u32 s23, 0
	s_add_co_ci_u32 s11, s11, s45
	s_mul_u64 s[20:21], s[20:21], s[10:11]
	s_delay_alu instid0(SALU_CYCLE_1)
	s_mul_hi_u32 s45, s10, s21
	s_mul_i32 s44, s10, s21
	s_mul_hi_u32 s28, s10, s20
	s_mul_i32 s43, s11, s20
	s_add_nc_u64 s[44:45], s[28:29], s[44:45]
	s_mul_hi_u32 s23, s11, s20
	s_mul_hi_u32 s46, s11, s21
	s_mul_i32 s20, s11, s21
	s_add_co_u32 s21, s44, s43
	s_add_co_ci_u32 s28, s45, s23
	s_add_co_ci_u32 s21, s46, 0
	s_delay_alu instid0(SALU_CYCLE_1) | instskip(NEXT) | instid1(SALU_CYCLE_1)
	s_add_nc_u64 s[20:21], s[28:29], s[20:21]
	s_add_co_u32 s10, s10, s20
	s_cselect_b32 s20, -1, 0
	s_mul_hi_u32 s28, s66, s10
	s_cmp_lg_u32 s20, 0
	s_mul_hi_u32 s23, s67, s10
	s_add_co_ci_u32 s20, s11, s21
	s_mul_i32 s21, s67, s10
	s_mul_hi_u32 s11, s66, s20
	s_mul_i32 s10, s66, s20
	s_mul_hi_u32 s43, s67, s20
	s_add_nc_u64 s[10:11], s[28:29], s[10:11]
	s_mul_i32 s20, s67, s20
	s_add_co_u32 s10, s10, s21
	s_add_co_ci_u32 s28, s11, s23
	s_add_co_ci_u32 s21, s43, 0
	s_delay_alu instid0(SALU_CYCLE_1) | instskip(NEXT) | instid1(SALU_CYCLE_1)
	s_add_nc_u64 s[10:11], s[28:29], s[20:21]
	s_and_b64 s[20:21], s[10:11], 0xffffffff00000000
	s_delay_alu instid0(SALU_CYCLE_1) | instskip(NEXT) | instid1(SALU_CYCLE_1)
	s_or_b32 s20, s20, s10
	s_mul_u64 s[10:11], s[48:49], s[20:21]
	s_delay_alu instid0(SALU_CYCLE_1) | instskip(SKIP_1) | instid1(SALU_CYCLE_1)
	s_sub_co_u32 s10, s66, s10
	s_cselect_b32 s20, -1, 0
	s_cmp_lg_u32 s20, 0
	s_sub_co_ci_u32 s11, s67, s11
	s_sub_co_u32 s20, s10, s48
	s_cselect_b32 s21, -1, 0
	s_delay_alu instid0(SALU_CYCLE_1) | instskip(SKIP_3) | instid1(SALU_CYCLE_1)
	s_cmp_lg_u32 s21, 0
	s_sub_co_ci_u32 s21, s11, 0
	s_sub_co_u32 s23, s20, s48
	s_cselect_b32 s28, -1, 0
	s_cmp_lg_u32 s28, 0
	s_sub_co_ci_u32 s28, s21, 0
	s_cmp_ge_u32 s20, s48
	s_cselect_b32 s43, -1, 0
	s_cmp_eq_u32 s21, 0
	s_cselect_b32 s43, s43, -1
	s_delay_alu instid0(SALU_CYCLE_1)
	s_cmp_lg_u32 s43, 0
	s_cselect_b32 s21, s28, s21
	s_cselect_b32 s20, s23, s20
	s_cmp_ge_u32 s10, s48
	s_cselect_b32 s23, -1, 0
	s_cmp_eq_u32 s11, 0
	s_cselect_b32 s23, s23, -1
	s_delay_alu instid0(SALU_CYCLE_1)
	s_cmp_lg_u32 s23, 0
	s_cselect_b32 s11, s21, s11
	s_cselect_b32 s10, s20, s10
	s_cbranch_execnz .LBB123_152
.LBB123_151:                            ;   in Loop: Header=BB123_12 Depth=1
	v_cvt_f32_u32_e32 v6, s48
	s_sub_co_i32 s11, 0, s48
	s_delay_alu instid0(VALU_DEP_1) | instskip(SKIP_1) | instid1(TRANS32_DEP_1)
	v_rcp_iflag_f32_e32 v6, v6
	v_nop
	v_mul_f32_e32 v6, 0x4f7ffffe, v6
	s_delay_alu instid0(VALU_DEP_1) | instskip(NEXT) | instid1(VALU_DEP_1)
	v_cvt_u32_f32_e32 v6, v6
	v_readfirstlane_b32 s10, v6
	s_mul_i32 s11, s11, s10
	s_delay_alu instid0(SALU_CYCLE_1) | instskip(NEXT) | instid1(SALU_CYCLE_1)
	s_mul_hi_u32 s11, s10, s11
	s_add_co_i32 s10, s10, s11
	s_delay_alu instid0(SALU_CYCLE_1) | instskip(NEXT) | instid1(SALU_CYCLE_1)
	s_mul_hi_u32 s10, s66, s10
	s_mul_i32 s10, s10, s48
	s_delay_alu instid0(SALU_CYCLE_1) | instskip(NEXT) | instid1(SALU_CYCLE_1)
	s_sub_co_i32 s10, s66, s10
	s_sub_co_i32 s11, s10, s48
	s_cmp_ge_u32 s10, s48
	s_cselect_b32 s10, s11, s10
	s_delay_alu instid0(SALU_CYCLE_1) | instskip(SKIP_2) | instid1(SALU_CYCLE_1)
	s_sub_co_i32 s11, s10, s48
	s_cmp_ge_u32 s10, s48
	s_cselect_b32 s28, s11, s10
	s_mov_b64 s[10:11], s[28:29]
.LBB123_152:                            ;   in Loop: Header=BB123_12 Depth=1
	s_delay_alu instid0(SALU_CYCLE_1)
	s_sub_nc_u64 s[10:11], s[66:67], s[10:11]
	s_mov_b32 s20, exec_lo
                                        ; implicit-def: $vgpr10
	v_nop
	v_cmpx_gt_u64_e64 s[10:11], v[0:1]
	s_cbranch_execz .LBB123_161
; %bb.153:                              ;   in Loop: Header=BB123_12 Depth=1
	v_mov_b64_e32 v[6:7], v[0:1]
	s_mov_b32 s21, 0
                                        ; implicit-def: $sgpr23
	s_branch .LBB123_156
.LBB123_154:                            ;   in Loop: Header=BB123_156 Depth=2
	s_or_b32 exec_lo, exec_lo, s28
	s_wait_dscnt 0x0
	s_barrier_signal -1
	s_barrier_wait -1
	ds_load_u16 v10, v3 offset:3072
	s_mov_b32 s43, -1
	s_mov_b32 s28, -1
	s_wait_dscnt 0x0
	s_barrier_signal -1
	s_barrier_wait -1
	v_and_b32_e32 v11, 0xff, v10
	s_delay_alu instid0(VALU_DEP_1)
	v_cmp_eq_u32_e32 vcc_lo, 0, v11
	s_cbranch_vccnz .LBB123_159
.LBB123_155:                            ;   in Loop: Header=BB123_156 Depth=2
	s_and_b32 s8, exec_lo, s43
	s_delay_alu instid0(SALU_CYCLE_1) | instskip(SKIP_2) | instid1(SALU_CYCLE_1)
	s_or_b32 s21, s8, s21
	s_and_not1_b32 s8, s23, exec_lo
	s_and_b32 s23, s28, exec_lo
	s_or_b32 s23, s8, s23
	s_and_not1_b32 exec_lo, exec_lo, s21
	s_cbranch_execz .LBB123_160
.LBB123_156:                            ;   Parent Loop BB123_12 Depth=1
                                        ; =>  This Inner Loop Header: Depth=2
	s_mov_b32 s28, exec_lo
	s_delay_alu instid0(VALU_DEP_1)
	v_cmpx_gt_u64_e64 s[36:37], v[6:7]
	s_cbranch_execz .LBB123_154
; %bb.157:                              ;   in Loop: Header=BB123_156 Depth=2
	v_mad_nc_u64_u32 v[10:11], v6, s30, s[34:35]
	s_delay_alu instid0(VALU_DEP_1) | instskip(NEXT) | instid1(VALU_DEP_1)
	v_mad_u32 v11, v7, s30, v11
	v_mad_u32 v11, v6, s31, v11
	global_load_u8 v10, v[10:11], off
	s_wait_loadcnt 0x0
	s_wait_xcnt 0x0
	v_bitop3_b32 v11, v10, 0xff, v9 bitop3:0x80
	s_delay_alu instid0(VALU_DEP_1)
	v_cmp_eq_u32_e32 vcc_lo, v11, v8
	s_and_b32 exec_lo, exec_lo, vcc_lo
	s_cbranch_execz .LBB123_154
; %bb.158:                              ;   in Loop: Header=BB123_156 Depth=2
	v_lshlrev_b16 v10, 8, v10
	s_delay_alu instid0(VALU_DEP_1)
	v_or_b32_e32 v10, 1, v10
	ds_store_b16 v3, v10 offset:3072
	s_branch .LBB123_154
.LBB123_159:                            ;   in Loop: Header=BB123_156 Depth=2
	v_add_nc_u64_e32 v[6:7], s[48:49], v[6:7]
	s_mov_b32 s28, 0
	s_delay_alu instid0(VALU_DEP_1)
	v_cmp_le_u64_e32 vcc_lo, s[10:11], v[6:7]
	s_or_not1_b32 s43, vcc_lo, exec_lo
	s_branch .LBB123_155
.LBB123_160:                            ;   in Loop: Header=BB123_12 Depth=1
	s_or_b32 exec_lo, exec_lo, s21
	v_and_b32_e32 v6, 0xffff, v10
	s_and_not1_b32 s8, s22, exec_lo
	s_and_b32 s10, s23, exec_lo
	s_delay_alu instid0(SALU_CYCLE_1) | instskip(NEXT) | instid1(VALU_DEP_1)
	s_or_b32 s22, s8, s10
	v_lshrrev_b32_e32 v10, 8, v6
.LBB123_161:                            ;   in Loop: Header=BB123_12 Depth=1
	s_or_b32 exec_lo, exec_lo, s20
	s_mov_b32 s43, 0
	s_mov_b32 s76, -1
.LBB123_162:                            ;   in Loop: Header=BB123_12 Depth=1
	s_or_not1_b32 s10, s22, exec_lo
.LBB123_163:                            ;   in Loop: Header=BB123_12 Depth=1
	s_or_b32 exec_lo, exec_lo, s77
	s_mov_b32 s11, 0
	s_and_saveexec_b32 s77, s10
	s_cbranch_execz .LBB123_272
; %bb.164:                              ;   in Loop: Header=BB123_12 Depth=1
	v_mov_b64_e32 v[6:7], 1
	v_mov_b32_e32 v2, 1
	s_xor_b32 s20, s78, -1
	s_delay_alu instid0(SALU_CYCLE_1)
	s_and_saveexec_b32 s10, s20
	s_cbranch_execz .LBB123_173
; %bb.165:                              ;   in Loop: Header=BB123_12 Depth=1
	s_mov_b32 s11, exec_lo
	v_cmpx_ge_u64_e64 s[14:15], v[4:5]
	s_xor_b32 s11, exec_lo, s11
	s_cbranch_execz .LBB123_170
; %bb.166:                              ;   in Loop: Header=BB123_12 Depth=1
	ds_load_b64 v[6:7], v3 offset:5120
	s_lshl_b32 s20, 1, s99
	v_or_b32_e32 v9, s24, v9
	v_and_or_b32 v8, v8, s25, s20
	s_wait_dscnt 0x0
	v_cmp_ne_u64_e32 vcc_lo, 0, v[6:7]
	s_cbranch_vccnz .LBB123_170
; %bb.167:                              ;   in Loop: Header=BB123_12 Depth=1
	s_and_saveexec_b32 s20, s5
; %bb.168:                              ;   in Loop: Header=BB123_12 Depth=1
	v_mov_b64_e32 v[6:7], s[14:15]
	ds_store_b64 v3, v[6:7] offset:5128
; %bb.169:                              ;   in Loop: Header=BB123_12 Depth=1
	s_or_b32 exec_lo, exec_lo, s20
	s_wait_dscnt 0x0
	s_barrier_signal -1
	s_barrier_wait -1
.LBB123_170:                            ;   in Loop: Header=BB123_12 Depth=1
	s_or_saveexec_b32 s11, s11
	v_mov_b32_e32 v2, 8
	s_mov_b32 s20, 0
	s_xor_b32 exec_lo, exec_lo, s11
; %bb.171:                              ;   in Loop: Header=BB123_12 Depth=1
	v_sub_nc_u64_e64 v[4:5], v[4:5], s[14:15]
	v_mov_b32_e32 v2, 0
	s_mov_b32 s20, exec_lo
; %bb.172:                              ;   in Loop: Header=BB123_12 Depth=1
	s_or_b32 exec_lo, exec_lo, s11
	s_delay_alu instid0(VALU_DEP_2)
	v_mov_b64_e32 v[6:7], v[4:5]
	s_and_b32 s11, s20, exec_lo
.LBB123_173:                            ;   in Loop: Header=BB123_12 Depth=1
	s_or_b32 exec_lo, exec_lo, s10
	s_mov_b32 s10, -1
                                        ; implicit-def: $sgpr79
                                        ; implicit-def: $sgpr80
	s_and_saveexec_b32 s78, s11
	s_cbranch_execz .LBB123_271
; %bb.174:                              ;   in Loop: Header=BB123_12 Depth=1
	s_delay_alu instid0(VALU_DEP_1) | instskip(SKIP_2) | instid1(SALU_CYCLE_1)
	v_cmp_eq_u64_e32 vcc_lo, 1, v[6:7]
	s_cmp_eq_u64 s[16:17], 1
                                        ; implicit-def: $sgpr80
                                        ; implicit-def: $sgpr79
	s_cselect_b32 s10, -1, 0
	s_and_b32 s82, s10, vcc_lo
	s_mov_b32 s10, -1
	s_and_saveexec_b32 s81, s82
	s_cbranch_execz .LBB123_208
; %bb.175:                              ;   in Loop: Header=BB123_12 Depth=1
	ds_load_b64 v[4:5], v3 offset:5120
	s_wait_dscnt 0x0
	s_barrier_signal -1
	s_barrier_wait -1
	v_readfirstlane_b32 s10, v4
	v_readfirstlane_b32 s11, v5
	s_and_saveexec_b32 s20, s6
; %bb.176:                              ;   in Loop: Header=BB123_12 Depth=1
	ds_store_b8 v0, v3 offset:3072
; %bb.177:                              ;   in Loop: Header=BB123_12 Depth=1
	s_or_b32 exec_lo, exec_lo, s20
	s_lshl_b32 s20, 2, s99
	v_or_b32_e32 v9, s24, v9
	v_and_or_b32 v8, v8, s25, s20
	s_mov_b32 s79, -1
	s_mov_b32 s80, 0
	s_cmp_eq_u64 s[10:11], 0
	s_mov_b32 s22, 0
	s_mov_b32 s23, -1
	s_wait_dscnt 0x0
	s_barrier_signal -1
	s_barrier_wait -1
                                        ; implicit-def: $vgpr10
	s_cbranch_scc1 .LBB123_193
; %bb.178:                              ;   in Loop: Header=BB123_12 Depth=1
	s_add_nc_u64 s[20:21], s[10:11], s[64:65]
	s_delay_alu instid0(SALU_CYCLE_1) | instskip(NEXT) | instid1(SALU_CYCLE_1)
	s_and_b64 s[22:23], s[20:21], 0xffffffff00000000
	s_cmp_lg_u64 s[22:23], 0
	s_cbranch_scc0 .LBB123_225
; %bb.179:                              ;   in Loop: Header=BB123_12 Depth=1
	s_cvt_f32_u32 s22, s48
	s_sub_nc_u64 s[44:45], 0, s[48:49]
	s_delay_alu instid0(SALU_CYCLE_2) | instskip(NEXT) | instid1(SALU_CYCLE_3)
	s_fmamk_f32 s22, s101, 0x0, s22
	v_s_rcp_f32 s22, s22
	s_delay_alu instid0(TRANS32_DEP_1) | instskip(NEXT) | instid1(SALU_CYCLE_3)
	s_mul_f32 s22, s22, 0x5f7ffffc
	s_mul_f32 s23, s22, 0x2f800000
	s_delay_alu instid0(SALU_CYCLE_3) | instskip(NEXT) | instid1(SALU_CYCLE_3)
	s_trunc_f32 s23, s23
	s_fmamk_f32 s22, s23, 0xcf800000, s22
	s_cvt_u32_f32 s23, s23
	s_delay_alu instid0(SALU_CYCLE_2) | instskip(NEXT) | instid1(SALU_CYCLE_3)
	s_cvt_u32_f32 s22, s22
	s_mul_u64 s[46:47], s[44:45], s[22:23]
	s_delay_alu instid0(SALU_CYCLE_1)
	s_mul_hi_u32 s85, s22, s47
	s_mul_i32 s84, s22, s47
	s_mul_hi_u32 s28, s22, s46
	s_mul_i32 s53, s23, s46
	s_add_nc_u64 s[84:85], s[28:29], s[84:85]
	s_mul_hi_u32 s52, s23, s46
	s_mul_hi_u32 s54, s23, s47
	s_add_co_u32 s28, s84, s53
	s_add_co_ci_u32 s28, s85, s52
	s_mul_i32 s46, s23, s47
	s_add_co_ci_u32 s47, s54, 0
	s_delay_alu instid0(SALU_CYCLE_1) | instskip(NEXT) | instid1(SALU_CYCLE_1)
	s_add_nc_u64 s[46:47], s[28:29], s[46:47]
	s_add_co_u32 s22, s22, s46
	s_cselect_b32 s28, -1, 0
	s_delay_alu instid0(SALU_CYCLE_1) | instskip(SKIP_1) | instid1(SALU_CYCLE_1)
	s_cmp_lg_u32 s28, 0
	s_add_co_ci_u32 s23, s23, s47
	s_mul_u64 s[44:45], s[44:45], s[22:23]
	s_delay_alu instid0(SALU_CYCLE_1)
	s_mul_hi_u32 s47, s22, s45
	s_mul_i32 s46, s22, s45
	s_mul_hi_u32 s28, s22, s44
	s_mul_i32 s53, s23, s44
	s_add_nc_u64 s[46:47], s[28:29], s[46:47]
	s_mul_hi_u32 s52, s23, s44
	s_mul_hi_u32 s54, s23, s45
	s_add_co_u32 s28, s46, s53
	s_add_co_ci_u32 s28, s47, s52
	s_mul_i32 s44, s23, s45
	s_add_co_ci_u32 s45, s54, 0
	s_delay_alu instid0(SALU_CYCLE_1) | instskip(NEXT) | instid1(SALU_CYCLE_1)
	s_add_nc_u64 s[44:45], s[28:29], s[44:45]
	s_add_co_u32 s22, s22, s44
	s_cselect_b32 s44, -1, 0
	s_mul_hi_u32 s28, s20, s22
	s_cmp_lg_u32 s44, 0
	s_mul_hi_u32 s46, s21, s22
	s_add_co_ci_u32 s44, s23, s45
	s_mul_i32 s45, s21, s22
	s_mul_hi_u32 s23, s20, s44
	s_mul_i32 s22, s20, s44
	s_mul_hi_u32 s47, s21, s44
	s_add_nc_u64 s[22:23], s[28:29], s[22:23]
	s_mul_i32 s44, s21, s44
	s_add_co_u32 s22, s22, s45
	s_add_co_ci_u32 s28, s23, s46
	s_add_co_ci_u32 s45, s47, 0
	s_delay_alu instid0(SALU_CYCLE_1) | instskip(NEXT) | instid1(SALU_CYCLE_1)
	s_add_nc_u64 s[22:23], s[28:29], s[44:45]
	s_and_b64 s[44:45], s[22:23], 0xffffffff00000000
	s_delay_alu instid0(SALU_CYCLE_1) | instskip(NEXT) | instid1(SALU_CYCLE_1)
	s_or_b32 s44, s44, s22
	s_mul_u64 s[22:23], s[48:49], s[44:45]
	s_delay_alu instid0(SALU_CYCLE_1) | instskip(SKIP_1) | instid1(SALU_CYCLE_1)
	s_sub_co_u32 s22, s20, s22
	s_cselect_b32 s28, -1, 0
	s_cmp_lg_u32 s28, 0
	s_sub_co_ci_u32 s23, s21, s23
	s_sub_co_u32 s28, s22, s48
	s_cselect_b32 s44, -1, 0
	s_delay_alu instid0(SALU_CYCLE_1) | instskip(SKIP_3) | instid1(SALU_CYCLE_1)
	s_cmp_lg_u32 s44, 0
	s_sub_co_ci_u32 s44, s23, 0
	s_sub_co_u32 s45, s28, s48
	s_cselect_b32 s46, -1, 0
	s_cmp_lg_u32 s46, 0
	s_sub_co_ci_u32 s46, s44, 0
	s_cmp_ge_u32 s28, s48
	s_cselect_b32 s47, -1, 0
	s_cmp_eq_u32 s44, 0
	s_cselect_b32 s47, s47, -1
	s_delay_alu instid0(SALU_CYCLE_1)
	s_cmp_lg_u32 s47, 0
	s_cselect_b32 s44, s46, s44
	s_cselect_b32 s28, s45, s28
	s_cmp_ge_u32 s22, s48
	s_cselect_b32 s45, -1, 0
	s_cmp_eq_u32 s23, 0
	s_cselect_b32 s45, s45, -1
	s_delay_alu instid0(SALU_CYCLE_1)
	s_cmp_lg_u32 s45, 0
	s_cselect_b32 s23, s44, s23
	s_cselect_b32 s22, s28, s22
	s_cbranch_execnz .LBB123_181
.LBB123_180:                            ;   in Loop: Header=BB123_12 Depth=1
	v_cvt_f32_u32_e32 v4, s48
	s_sub_co_i32 s23, 0, s48
	s_delay_alu instid0(VALU_DEP_1) | instskip(SKIP_1) | instid1(TRANS32_DEP_1)
	v_rcp_iflag_f32_e32 v4, v4
	v_nop
	v_mul_f32_e32 v4, 0x4f7ffffe, v4
	s_delay_alu instid0(VALU_DEP_1) | instskip(NEXT) | instid1(VALU_DEP_1)
	v_cvt_u32_f32_e32 v4, v4
	v_readfirstlane_b32 s22, v4
	s_mul_i32 s23, s23, s22
	s_delay_alu instid0(SALU_CYCLE_1) | instskip(NEXT) | instid1(SALU_CYCLE_1)
	s_mul_hi_u32 s23, s22, s23
	s_add_co_i32 s22, s22, s23
	s_delay_alu instid0(SALU_CYCLE_1) | instskip(NEXT) | instid1(SALU_CYCLE_1)
	s_mul_hi_u32 s22, s20, s22
	s_mul_i32 s22, s22, s48
	s_delay_alu instid0(SALU_CYCLE_1) | instskip(NEXT) | instid1(SALU_CYCLE_1)
	s_sub_co_i32 s22, s20, s22
	s_sub_co_i32 s23, s22, s48
	s_cmp_ge_u32 s22, s48
	s_cselect_b32 s22, s23, s22
	s_delay_alu instid0(SALU_CYCLE_1) | instskip(SKIP_2) | instid1(SALU_CYCLE_1)
	s_sub_co_i32 s23, s22, s48
	s_cmp_ge_u32 s22, s48
	s_cselect_b32 s28, s23, s22
	s_mov_b64 s[22:23], s[28:29]
.LBB123_181:                            ;   in Loop: Header=BB123_12 Depth=1
	s_delay_alu instid0(SALU_CYCLE_1)
	s_sub_nc_u64 s[20:21], s[20:21], s[22:23]
	s_mov_b32 s23, 0
	s_mov_b32 s22, 0
	s_mov_b32 s28, exec_lo
                                        ; implicit-def: $vgpr10
	v_cmpx_gt_u64_e64 s[20:21], v[0:1]
	s_cbranch_execz .LBB123_192
; %bb.182:                              ;   in Loop: Header=BB123_12 Depth=1
	v_mov_b64_e32 v[4:5], v[0:1]
	v_mov_b32_e32 v10, v0
                                        ; implicit-def: $sgpr44
	s_branch .LBB123_185
.LBB123_183:                            ;   in Loop: Header=BB123_185 Depth=2
	s_or_b32 exec_lo, exec_lo, s45
	s_wait_dscnt 0x0
	s_barrier_signal -1
	s_barrier_wait -1
	ds_load_u16 v11, v3 offset:3072
	s_mov_b32 s45, -1
	s_mov_b32 s46, -1
	s_wait_dscnt 0x0
	s_barrier_signal -1
	s_barrier_wait -1
	v_and_b32_e32 v24, 0xff, v11
	s_delay_alu instid0(VALU_DEP_1)
	v_cmp_ne_u32_e32 vcc_lo, 0, v24
	s_cbranch_vccz .LBB123_188
.LBB123_184:                            ;   in Loop: Header=BB123_185 Depth=2
	s_and_b32 s8, exec_lo, s45
	s_delay_alu instid0(SALU_CYCLE_1) | instskip(SKIP_2) | instid1(SALU_CYCLE_1)
	s_or_b32 s22, s8, s22
	s_and_not1_b32 s8, s44, exec_lo
	s_and_b32 s44, s46, exec_lo
	s_or_b32 s44, s8, s44
	s_and_not1_b32 exec_lo, exec_lo, s22
	s_cbranch_execz .LBB123_191
.LBB123_185:                            ;   Parent Loop BB123_12 Depth=1
                                        ; =>  This Inner Loop Header: Depth=2
	s_mov_b32 s45, exec_lo
	s_delay_alu instid0(VALU_DEP_2)
	v_cmpx_gt_u64_e64 s[10:11], v[4:5]
	s_cbranch_execz .LBB123_183
; %bb.186:                              ;   in Loop: Header=BB123_185 Depth=2
	ds_load_u8 v11, v10
	s_wait_dscnt 0x0
	v_bitop3_b32 v24, v11, 0xff, v9 bitop3:0x80
	s_delay_alu instid0(VALU_DEP_1)
	v_cmp_eq_u32_e32 vcc_lo, v24, v8
	s_and_b32 exec_lo, exec_lo, vcc_lo
	s_cbranch_execz .LBB123_183
; %bb.187:                              ;   in Loop: Header=BB123_185 Depth=2
	v_lshlrev_b16 v11, 8, v11
	s_delay_alu instid0(VALU_DEP_1)
	v_or_b32_e32 v11, 1, v11
	ds_store_b16 v3, v11 offset:3072
	s_branch .LBB123_183
.LBB123_188:                            ;   in Loop: Header=BB123_185 Depth=2
	v_add_nc_u64_e32 v[4:5], s[48:49], v[4:5]
	v_add_nc_u32_e32 v10, s48, v10
	s_mov_b32 s46, 0
	s_delay_alu instid0(VALU_DEP_2)
	v_cmp_le_u64_e32 vcc_lo, s[20:21], v[4:5]
	s_or_not1_b32 s45, vcc_lo, exec_lo
	s_branch .LBB123_184
.LBB123_189:                            ;   in Loop: Header=BB123_12 Depth=1
                                        ; implicit-def: $sgpr22_sgpr23
	s_branch .LBB123_135
.LBB123_190:                            ;   in Loop: Header=BB123_12 Depth=1
                                        ; implicit-def: $sgpr10_sgpr11
	s_branch .LBB123_151
.LBB123_191:                            ;   in Loop: Header=BB123_12 Depth=1
	s_or_b32 exec_lo, exec_lo, s22
	v_and_b32_e32 v4, 0xffff, v11
	s_and_b32 s22, s44, exec_lo
	s_delay_alu instid0(VALU_DEP_1)
	v_lshrrev_b32_e32 v10, 8, v4
.LBB123_192:                            ;   in Loop: Header=BB123_12 Depth=1
	s_or_b32 exec_lo, exec_lo, s28
.LBB123_193:                            ;   in Loop: Header=BB123_12 Depth=1
	s_delay_alu instid0(SALU_CYCLE_1)
	s_and_b32 vcc_lo, exec_lo, s23
	s_cbranch_vccz .LBB123_207
; %bb.194:                              ;   in Loop: Header=BB123_12 Depth=1
	s_and_b64 s[10:11], s[66:67], 0xffffffff00000000
	s_delay_alu instid0(SALU_CYCLE_1)
	s_cmp_lg_u64 s[10:11], 0
	s_cbranch_scc0 .LBB123_226
; %bb.195:                              ;   in Loop: Header=BB123_12 Depth=1
	s_cvt_f32_u32 s10, s48
	s_sub_nc_u64 s[20:21], 0, s[48:49]
	s_delay_alu instid0(SALU_CYCLE_2) | instskip(NEXT) | instid1(SALU_CYCLE_3)
	s_fmamk_f32 s10, s101, 0x0, s10
	v_s_rcp_f32 s10, s10
	s_delay_alu instid0(TRANS32_DEP_1) | instskip(NEXT) | instid1(SALU_CYCLE_3)
	s_mul_f32 s10, s10, 0x5f7ffffc
	s_mul_f32 s11, s10, 0x2f800000
	s_delay_alu instid0(SALU_CYCLE_3) | instskip(NEXT) | instid1(SALU_CYCLE_3)
	s_trunc_f32 s11, s11
	s_fmamk_f32 s10, s11, 0xcf800000, s10
	s_cvt_u32_f32 s11, s11
	s_delay_alu instid0(SALU_CYCLE_2) | instskip(NEXT) | instid1(SALU_CYCLE_3)
	s_cvt_u32_f32 s10, s10
	s_mul_u64 s[44:45], s[20:21], s[10:11]
	s_delay_alu instid0(SALU_CYCLE_1)
	s_mul_hi_u32 s47, s10, s45
	s_mul_i32 s46, s10, s45
	s_mul_hi_u32 s28, s10, s44
	s_mul_i32 s52, s11, s44
	s_add_nc_u64 s[46:47], s[28:29], s[46:47]
	s_mul_hi_u32 s23, s11, s44
	s_mul_hi_u32 s53, s11, s45
	s_add_co_u32 s28, s46, s52
	s_add_co_ci_u32 s28, s47, s23
	s_mul_i32 s44, s11, s45
	s_add_co_ci_u32 s45, s53, 0
	s_delay_alu instid0(SALU_CYCLE_1) | instskip(NEXT) | instid1(SALU_CYCLE_1)
	s_add_nc_u64 s[44:45], s[28:29], s[44:45]
	s_add_co_u32 s10, s10, s44
	s_cselect_b32 s23, -1, 0
	s_delay_alu instid0(SALU_CYCLE_1) | instskip(SKIP_1) | instid1(SALU_CYCLE_1)
	s_cmp_lg_u32 s23, 0
	s_add_co_ci_u32 s11, s11, s45
	s_mul_u64 s[20:21], s[20:21], s[10:11]
	s_delay_alu instid0(SALU_CYCLE_1)
	s_mul_hi_u32 s45, s10, s21
	s_mul_i32 s44, s10, s21
	s_mul_hi_u32 s28, s10, s20
	s_mul_i32 s46, s11, s20
	s_add_nc_u64 s[44:45], s[28:29], s[44:45]
	s_mul_hi_u32 s23, s11, s20
	s_mul_hi_u32 s47, s11, s21
	s_mul_i32 s20, s11, s21
	s_add_co_u32 s21, s44, s46
	s_add_co_ci_u32 s28, s45, s23
	s_add_co_ci_u32 s21, s47, 0
	s_delay_alu instid0(SALU_CYCLE_1) | instskip(NEXT) | instid1(SALU_CYCLE_1)
	s_add_nc_u64 s[20:21], s[28:29], s[20:21]
	s_add_co_u32 s10, s10, s20
	s_cselect_b32 s20, -1, 0
	s_mul_hi_u32 s28, s66, s10
	s_cmp_lg_u32 s20, 0
	s_mul_hi_u32 s23, s67, s10
	s_add_co_ci_u32 s20, s11, s21
	s_mul_i32 s21, s67, s10
	s_mul_hi_u32 s11, s66, s20
	s_mul_i32 s10, s66, s20
	s_mul_hi_u32 s44, s67, s20
	s_add_nc_u64 s[10:11], s[28:29], s[10:11]
	s_mul_i32 s20, s67, s20
	s_add_co_u32 s10, s10, s21
	s_add_co_ci_u32 s28, s11, s23
	s_add_co_ci_u32 s21, s44, 0
	s_delay_alu instid0(SALU_CYCLE_1) | instskip(NEXT) | instid1(SALU_CYCLE_1)
	s_add_nc_u64 s[10:11], s[28:29], s[20:21]
	s_and_b64 s[20:21], s[10:11], 0xffffffff00000000
	s_delay_alu instid0(SALU_CYCLE_1) | instskip(NEXT) | instid1(SALU_CYCLE_1)
	s_or_b32 s20, s20, s10
	s_mul_u64 s[10:11], s[48:49], s[20:21]
	s_delay_alu instid0(SALU_CYCLE_1) | instskip(SKIP_1) | instid1(SALU_CYCLE_1)
	s_sub_co_u32 s10, s66, s10
	s_cselect_b32 s20, -1, 0
	s_cmp_lg_u32 s20, 0
	s_sub_co_ci_u32 s11, s67, s11
	s_sub_co_u32 s20, s10, s48
	s_cselect_b32 s21, -1, 0
	s_delay_alu instid0(SALU_CYCLE_1) | instskip(SKIP_3) | instid1(SALU_CYCLE_1)
	s_cmp_lg_u32 s21, 0
	s_sub_co_ci_u32 s21, s11, 0
	s_sub_co_u32 s23, s20, s48
	s_cselect_b32 s28, -1, 0
	s_cmp_lg_u32 s28, 0
	s_sub_co_ci_u32 s28, s21, 0
	s_cmp_ge_u32 s20, s48
	s_cselect_b32 s44, -1, 0
	s_cmp_eq_u32 s21, 0
	s_cselect_b32 s44, s44, -1
	s_delay_alu instid0(SALU_CYCLE_1)
	s_cmp_lg_u32 s44, 0
	s_cselect_b32 s21, s28, s21
	s_cselect_b32 s20, s23, s20
	s_cmp_ge_u32 s10, s48
	s_cselect_b32 s23, -1, 0
	s_cmp_eq_u32 s11, 0
	s_cselect_b32 s23, s23, -1
	s_delay_alu instid0(SALU_CYCLE_1)
	s_cmp_lg_u32 s23, 0
	s_cselect_b32 s11, s21, s11
	s_cselect_b32 s10, s20, s10
	s_cbranch_execnz .LBB123_197
.LBB123_196:                            ;   in Loop: Header=BB123_12 Depth=1
	v_cvt_f32_u32_e32 v4, s48
	s_sub_co_i32 s11, 0, s48
	s_delay_alu instid0(VALU_DEP_1) | instskip(SKIP_1) | instid1(TRANS32_DEP_1)
	v_rcp_iflag_f32_e32 v4, v4
	v_nop
	v_mul_f32_e32 v4, 0x4f7ffffe, v4
	s_delay_alu instid0(VALU_DEP_1) | instskip(NEXT) | instid1(VALU_DEP_1)
	v_cvt_u32_f32_e32 v4, v4
	v_readfirstlane_b32 s10, v4
	s_mul_i32 s11, s11, s10
	s_delay_alu instid0(SALU_CYCLE_1) | instskip(NEXT) | instid1(SALU_CYCLE_1)
	s_mul_hi_u32 s11, s10, s11
	s_add_co_i32 s10, s10, s11
	s_delay_alu instid0(SALU_CYCLE_1) | instskip(NEXT) | instid1(SALU_CYCLE_1)
	s_mul_hi_u32 s10, s66, s10
	s_mul_i32 s10, s10, s48
	s_delay_alu instid0(SALU_CYCLE_1) | instskip(NEXT) | instid1(SALU_CYCLE_1)
	s_sub_co_i32 s10, s66, s10
	s_sub_co_i32 s11, s10, s48
	s_cmp_ge_u32 s10, s48
	s_cselect_b32 s10, s11, s10
	s_delay_alu instid0(SALU_CYCLE_1) | instskip(SKIP_2) | instid1(SALU_CYCLE_1)
	s_sub_co_i32 s11, s10, s48
	s_cmp_ge_u32 s10, s48
	s_cselect_b32 s28, s11, s10
	s_mov_b64 s[10:11], s[28:29]
.LBB123_197:                            ;   in Loop: Header=BB123_12 Depth=1
	s_delay_alu instid0(SALU_CYCLE_1)
	s_sub_nc_u64 s[10:11], s[66:67], s[10:11]
	s_mov_b32 s20, exec_lo
                                        ; implicit-def: $vgpr10
	v_nop
	v_cmpx_gt_u64_e64 s[10:11], v[0:1]
	s_cbranch_execz .LBB123_206
; %bb.198:                              ;   in Loop: Header=BB123_12 Depth=1
	v_mov_b64_e32 v[4:5], v[0:1]
	s_mov_b32 s21, 0
                                        ; implicit-def: $sgpr23
	s_branch .LBB123_201
.LBB123_199:                            ;   in Loop: Header=BB123_201 Depth=2
	s_or_b32 exec_lo, exec_lo, s28
	s_wait_dscnt 0x0
	s_barrier_signal -1
	s_barrier_wait -1
	ds_load_u16 v10, v3 offset:3072
	s_mov_b32 s44, -1
	s_mov_b32 s28, -1
	s_wait_dscnt 0x0
	s_barrier_signal -1
	s_barrier_wait -1
	v_and_b32_e32 v11, 0xff, v10
	s_delay_alu instid0(VALU_DEP_1)
	v_cmp_eq_u32_e32 vcc_lo, 0, v11
	s_cbranch_vccnz .LBB123_204
.LBB123_200:                            ;   in Loop: Header=BB123_201 Depth=2
	s_and_b32 s8, exec_lo, s44
	s_delay_alu instid0(SALU_CYCLE_1) | instskip(SKIP_2) | instid1(SALU_CYCLE_1)
	s_or_b32 s21, s8, s21
	s_and_not1_b32 s8, s23, exec_lo
	s_and_b32 s23, s28, exec_lo
	s_or_b32 s23, s8, s23
	s_and_not1_b32 exec_lo, exec_lo, s21
	s_cbranch_execz .LBB123_205
.LBB123_201:                            ;   Parent Loop BB123_12 Depth=1
                                        ; =>  This Inner Loop Header: Depth=2
	s_mov_b32 s28, exec_lo
	s_delay_alu instid0(VALU_DEP_1)
	v_cmpx_gt_u64_e64 s[36:37], v[4:5]
	s_cbranch_execz .LBB123_199
; %bb.202:                              ;   in Loop: Header=BB123_201 Depth=2
	v_mad_nc_u64_u32 v[10:11], v4, s30, s[34:35]
	s_delay_alu instid0(VALU_DEP_1) | instskip(NEXT) | instid1(VALU_DEP_1)
	v_mad_u32 v11, v5, s30, v11
	v_mad_u32 v11, v4, s31, v11
	global_load_u8 v10, v[10:11], off
	s_wait_loadcnt 0x0
	s_wait_xcnt 0x0
	v_bitop3_b32 v11, v10, 0xff, v9 bitop3:0x80
	s_delay_alu instid0(VALU_DEP_1)
	v_cmp_eq_u32_e32 vcc_lo, v11, v8
	s_and_b32 exec_lo, exec_lo, vcc_lo
	s_cbranch_execz .LBB123_199
; %bb.203:                              ;   in Loop: Header=BB123_201 Depth=2
	v_lshlrev_b16 v10, 8, v10
	s_delay_alu instid0(VALU_DEP_1)
	v_or_b32_e32 v10, 1, v10
	ds_store_b16 v3, v10 offset:3072
	s_branch .LBB123_199
.LBB123_204:                            ;   in Loop: Header=BB123_201 Depth=2
	v_add_nc_u64_e32 v[4:5], s[48:49], v[4:5]
	s_mov_b32 s28, 0
	s_delay_alu instid0(VALU_DEP_1)
	v_cmp_le_u64_e32 vcc_lo, s[10:11], v[4:5]
	s_or_not1_b32 s44, vcc_lo, exec_lo
	s_branch .LBB123_200
.LBB123_205:                            ;   in Loop: Header=BB123_12 Depth=1
	s_or_b32 exec_lo, exec_lo, s21
	v_and_b32_e32 v4, 0xffff, v10
	s_and_not1_b32 s8, s22, exec_lo
	s_and_b32 s10, s23, exec_lo
	s_delay_alu instid0(SALU_CYCLE_1) | instskip(NEXT) | instid1(VALU_DEP_1)
	s_or_b32 s22, s8, s10
	v_lshrrev_b32_e32 v10, 8, v4
.LBB123_206:                            ;   in Loop: Header=BB123_12 Depth=1
	s_or_b32 exec_lo, exec_lo, s20
	s_mov_b32 s79, 0
	s_mov_b32 s80, -1
.LBB123_207:                            ;   in Loop: Header=BB123_12 Depth=1
	s_or_not1_b32 s10, s22, exec_lo
.LBB123_208:                            ;   in Loop: Header=BB123_12 Depth=1
	s_or_b32 exec_lo, exec_lo, s81
	s_mov_b32 s11, 0
	s_and_saveexec_b32 s81, s10
	s_cbranch_execz .LBB123_270
; %bb.209:                              ;   in Loop: Header=BB123_12 Depth=1
	v_mov_b64_e32 v[4:5], 1
	v_mov_b32_e32 v2, 1
	s_xor_b32 s20, s82, -1
	s_delay_alu instid0(SALU_CYCLE_1)
	s_and_saveexec_b32 s10, s20
	s_cbranch_execz .LBB123_218
; %bb.210:                              ;   in Loop: Header=BB123_12 Depth=1
	s_mov_b32 s11, exec_lo
	v_cmpx_ge_u64_e64 s[16:17], v[6:7]
	s_xor_b32 s11, exec_lo, s11
	s_cbranch_execz .LBB123_215
; %bb.211:                              ;   in Loop: Header=BB123_12 Depth=1
	ds_load_b64 v[4:5], v3 offset:5120
	s_lshl_b32 s20, 2, s99
	v_or_b32_e32 v9, s24, v9
	v_and_or_b32 v8, v8, s25, s20
	s_wait_dscnt 0x0
	v_cmp_ne_u64_e32 vcc_lo, 0, v[4:5]
	s_cbranch_vccnz .LBB123_215
; %bb.212:                              ;   in Loop: Header=BB123_12 Depth=1
	s_and_saveexec_b32 s20, s5
; %bb.213:                              ;   in Loop: Header=BB123_12 Depth=1
	v_mov_b64_e32 v[4:5], s[16:17]
	ds_store_b64 v3, v[4:5] offset:5128
; %bb.214:                              ;   in Loop: Header=BB123_12 Depth=1
	s_or_b32 exec_lo, exec_lo, s20
	s_wait_dscnt 0x0
	s_barrier_signal -1
	s_barrier_wait -1
.LBB123_215:                            ;   in Loop: Header=BB123_12 Depth=1
	s_or_saveexec_b32 s11, s11
	v_mov_b32_e32 v2, 8
	s_mov_b32 s20, 0
	s_xor_b32 exec_lo, exec_lo, s11
; %bb.216:                              ;   in Loop: Header=BB123_12 Depth=1
	v_sub_nc_u64_e64 v[6:7], v[6:7], s[16:17]
	v_mov_b32_e32 v2, 0
	s_mov_b32 s20, exec_lo
; %bb.217:                              ;   in Loop: Header=BB123_12 Depth=1
	s_or_b32 exec_lo, exec_lo, s11
	s_delay_alu instid0(VALU_DEP_2)
	v_mov_b64_e32 v[4:5], v[6:7]
	s_and_b32 s11, s20, exec_lo
.LBB123_218:                            ;   in Loop: Header=BB123_12 Depth=1
	s_or_b32 exec_lo, exec_lo, s10
	s_mov_b32 s10, -1
                                        ; implicit-def: $sgpr44
                                        ; implicit-def: $sgpr85
	s_and_saveexec_b32 s82, s11
	s_cbranch_execz .LBB123_269
; %bb.219:                              ;   in Loop: Header=BB123_12 Depth=1
	s_delay_alu instid0(VALU_DEP_1) | instskip(SKIP_3) | instid1(SALU_CYCLE_1)
	v_cmp_eq_u64_e32 vcc_lo, 1, v[4:5]
	s_cmp_eq_u64 s[18:19], 1
	s_mov_b32 s11, -1
	s_cselect_b32 s10, -1, 0
                                        ; implicit-def: $sgpr44
                                        ; implicit-def: $sgpr85
	s_and_b32 s83, s10, vcc_lo
	s_delay_alu instid0(SALU_CYCLE_1)
	s_and_saveexec_b32 s84, s83
	s_cbranch_execz .LBB123_257
; %bb.220:                              ;   in Loop: Header=BB123_12 Depth=1
	ds_load_b64 v[6:7], v3 offset:5120
	s_wait_dscnt 0x0
	s_barrier_signal -1
	s_barrier_wait -1
	v_readfirstlane_b32 s10, v6
	v_readfirstlane_b32 s11, v7
	s_and_saveexec_b32 s20, s6
; %bb.221:                              ;   in Loop: Header=BB123_12 Depth=1
	ds_store_b8 v0, v3 offset:3072
; %bb.222:                              ;   in Loop: Header=BB123_12 Depth=1
	s_or_b32 exec_lo, exec_lo, s20
	v_or_b32_e32 v8, s24, v8
	v_or_b32_e32 v9, s24, v9
	s_mov_b32 s85, -1
	s_mov_b32 s44, 0
	s_cmp_eq_u64 s[10:11], 0
	s_mov_b32 s22, 0
	s_mov_b32 s23, -1
	s_wait_dscnt 0x0
	s_barrier_signal -1
	s_barrier_wait -1
                                        ; implicit-def: $vgpr10
	s_cbranch_scc1 .LBB123_240
; %bb.223:                              ;   in Loop: Header=BB123_12 Depth=1
	s_add_nc_u64 s[20:21], s[10:11], s[64:65]
	s_wait_kmcnt 0x0
	s_mov_b64 s[56:57], s[58:59]
	s_and_b64 s[22:23], s[20:21], 0xffffffff00000000
	s_mov_b32 s58, s7
	s_mov_b32 s7, s55
	s_cmp_lg_u64 s[22:23], 0
	s_cbranch_scc0 .LBB123_227
; %bb.224:                              ;   in Loop: Header=BB123_12 Depth=1
	s_cvt_f32_u32 s22, s48
	s_sub_nc_u64 s[46:47], 0, s[48:49]
	s_delay_alu instid0(SALU_CYCLE_2) | instskip(NEXT) | instid1(SALU_CYCLE_3)
	s_fmamk_f32 s22, s101, 0x0, s22
	v_s_rcp_f32 s22, s22
	s_delay_alu instid0(TRANS32_DEP_1) | instskip(NEXT) | instid1(SALU_CYCLE_3)
	s_mul_f32 s22, s22, 0x5f7ffffc
	s_mul_f32 s23, s22, 0x2f800000
	s_delay_alu instid0(SALU_CYCLE_3) | instskip(NEXT) | instid1(SALU_CYCLE_3)
	s_trunc_f32 s23, s23
	s_fmamk_f32 s22, s23, 0xcf800000, s22
	s_cvt_u32_f32 s23, s23
	s_delay_alu instid0(SALU_CYCLE_2) | instskip(NEXT) | instid1(SALU_CYCLE_3)
	s_cvt_u32_f32 s22, s22
	s_mul_u64 s[52:53], s[46:47], s[22:23]
	s_delay_alu instid0(SALU_CYCLE_1)
	s_mul_hi_u32 s55, s22, s53
	s_mul_i32 s54, s22, s53
	s_mul_hi_u32 s28, s22, s52
	s_mul_i32 vcc_lo, s23, s52
	s_add_nc_u64 s[54:55], s[28:29], s[54:55]
	s_mul_hi_u32 s45, s23, s52
	s_mul_hi_u32 s8, s23, s53
	s_add_co_u32 s28, s54, vcc_lo
	s_add_co_ci_u32 s28, s55, s45
	s_mul_i32 s52, s23, s53
	s_add_co_ci_u32 s53, s8, 0
	s_delay_alu instid0(SALU_CYCLE_1) | instskip(NEXT) | instid1(SALU_CYCLE_1)
	s_add_nc_u64 s[52:53], s[28:29], s[52:53]
	s_add_co_u32 s22, s22, s52
	s_cselect_b32 s8, -1, 0
	s_delay_alu instid0(SALU_CYCLE_1) | instskip(SKIP_1) | instid1(SALU_CYCLE_1)
	s_cmp_lg_u32 s8, 0
	s_add_co_ci_u32 s23, s23, s53
	s_mul_u64 s[46:47], s[46:47], s[22:23]
	s_delay_alu instid0(SALU_CYCLE_1)
	s_mul_hi_u32 s53, s22, s47
	s_mul_i32 s52, s22, s47
	s_mul_hi_u32 s28, s22, s46
	s_mul_i32 s45, s23, s46
	s_add_nc_u64 s[52:53], s[28:29], s[52:53]
	s_mul_hi_u32 s8, s23, s46
	s_mul_hi_u32 s54, s23, s47
	s_add_co_u32 s28, s52, s45
	s_add_co_ci_u32 s28, s53, s8
	s_mul_i32 s46, s23, s47
	s_add_co_ci_u32 s47, s54, 0
	s_delay_alu instid0(SALU_CYCLE_1) | instskip(NEXT) | instid1(SALU_CYCLE_1)
	s_add_nc_u64 s[46:47], s[28:29], s[46:47]
	s_add_co_u32 s8, s22, s46
	s_cselect_b32 s22, -1, 0
	s_mul_hi_u32 s28, s20, s8
	s_cmp_lg_u32 s22, 0
	s_mul_hi_u32 s45, s21, s8
	s_add_co_ci_u32 s46, s23, s47
	s_mul_i32 s8, s21, s8
	s_mul_hi_u32 s23, s20, s46
	s_mul_i32 s22, s20, s46
	s_mul_hi_u32 s47, s21, s46
	s_add_nc_u64 s[22:23], s[28:29], s[22:23]
	s_mul_i32 s46, s21, s46
	s_add_co_u32 s8, s22, s8
	s_add_co_ci_u32 s28, s23, s45
	s_add_co_ci_u32 s47, s47, 0
	s_delay_alu instid0(SALU_CYCLE_1) | instskip(NEXT) | instid1(SALU_CYCLE_1)
	s_add_nc_u64 s[22:23], s[28:29], s[46:47]
	s_and_b64 s[46:47], s[22:23], 0xffffffff00000000
	s_delay_alu instid0(SALU_CYCLE_1) | instskip(NEXT) | instid1(SALU_CYCLE_1)
	s_or_b32 s46, s46, s22
	s_mul_u64 s[22:23], s[48:49], s[46:47]
	s_delay_alu instid0(SALU_CYCLE_1) | instskip(SKIP_1) | instid1(SALU_CYCLE_1)
	s_sub_co_u32 s8, s20, s22
	s_cselect_b32 s22, -1, 0
	s_cmp_lg_u32 s22, 0
	s_sub_co_ci_u32 s22, s21, s23
	s_sub_co_u32 s23, s8, s48
	s_cselect_b32 s28, -1, 0
	s_delay_alu instid0(SALU_CYCLE_1) | instskip(SKIP_3) | instid1(SALU_CYCLE_1)
	s_cmp_lg_u32 s28, 0
	s_sub_co_ci_u32 s28, s22, 0
	s_sub_co_u32 s45, s23, s48
	s_cselect_b32 s46, -1, 0
	s_cmp_lg_u32 s46, 0
	s_sub_co_ci_u32 s46, s28, 0
	s_cmp_ge_u32 s23, s48
	s_cselect_b32 s47, -1, 0
	s_cmp_eq_u32 s28, 0
	s_cselect_b32 s47, s47, -1
	s_delay_alu instid0(SALU_CYCLE_1)
	s_cmp_lg_u32 s47, 0
	s_cselect_b32 s28, s46, s28
	s_cselect_b32 s45, s45, s23
	s_cmp_ge_u32 s8, s48
	s_cselect_b32 s23, -1, 0
	s_cmp_eq_u32 s22, 0
	s_cselect_b32 s23, s23, -1
	s_delay_alu instid0(SALU_CYCLE_1)
	s_cmp_lg_u32 s23, 0
	s_cselect_b32 s23, s28, s22
	s_cselect_b32 s22, s45, s8
	s_mov_b32 s28, 0
	s_branch .LBB123_228
.LBB123_225:                            ;   in Loop: Header=BB123_12 Depth=1
                                        ; implicit-def: $sgpr22_sgpr23
	s_branch .LBB123_180
.LBB123_226:                            ;   in Loop: Header=BB123_12 Depth=1
                                        ; implicit-def: $sgpr10_sgpr11
	s_branch .LBB123_196
.LBB123_227:                            ;   in Loop: Header=BB123_12 Depth=1
	s_mov_b32 s28, -1
                                        ; implicit-def: $sgpr22_sgpr23
.LBB123_228:                            ;   in Loop: Header=BB123_12 Depth=1
	s_delay_alu instid0(SALU_CYCLE_1)
	s_and_not1_b32 vcc_lo, exec_lo, s28
	s_cbranch_vccnz .LBB123_230
; %bb.229:                              ;   in Loop: Header=BB123_12 Depth=1
	v_cvt_f32_u32_e32 v6, s48
	s_sub_co_i32 s23, 0, s48
	s_delay_alu instid0(VALU_DEP_1) | instskip(SKIP_1) | instid1(TRANS32_DEP_1)
	v_rcp_iflag_f32_e32 v6, v6
	v_nop
	v_mul_f32_e32 v6, 0x4f7ffffe, v6
	s_delay_alu instid0(VALU_DEP_1) | instskip(NEXT) | instid1(VALU_DEP_1)
	v_cvt_u32_f32_e32 v6, v6
	v_readfirstlane_b32 s22, v6
	s_mul_i32 s23, s23, s22
	s_delay_alu instid0(SALU_CYCLE_1) | instskip(NEXT) | instid1(SALU_CYCLE_1)
	s_mul_hi_u32 s23, s22, s23
	s_add_co_i32 s22, s22, s23
	s_delay_alu instid0(SALU_CYCLE_1) | instskip(NEXT) | instid1(SALU_CYCLE_1)
	s_mul_hi_u32 s22, s20, s22
	s_mul_i32 s22, s22, s48
	s_delay_alu instid0(SALU_CYCLE_1) | instskip(NEXT) | instid1(SALU_CYCLE_1)
	s_sub_co_i32 s22, s20, s22
	s_sub_co_i32 s23, s22, s48
	s_cmp_ge_u32 s22, s48
	s_cselect_b32 s22, s23, s22
	s_delay_alu instid0(SALU_CYCLE_1) | instskip(SKIP_2) | instid1(SALU_CYCLE_1)
	s_sub_co_i32 s23, s22, s48
	s_cmp_ge_u32 s22, s48
	s_cselect_b32 s28, s23, s22
	s_mov_b64 s[22:23], s[28:29]
.LBB123_230:                            ;   in Loop: Header=BB123_12 Depth=1
	s_delay_alu instid0(SALU_CYCLE_1)
	s_sub_nc_u64 s[20:21], s[20:21], s[22:23]
	s_mov_b32 s23, 0
	s_mov_b32 s22, 0
	s_mov_b32 s28, exec_lo
                                        ; implicit-def: $vgpr10
	v_cmpx_gt_u64_e64 s[20:21], v[0:1]
	s_mov_b32 s55, s7
	s_mov_b32 s7, s58
	s_mov_b64 s[58:59], s[56:57]
	s_load_b64 s[56:57], s[0:1], 0x380
	s_cbranch_execz .LBB123_239
; %bb.231:                              ;   in Loop: Header=BB123_12 Depth=1
	v_mov_b64_e32 v[6:7], v[0:1]
	v_mov_b32_e32 v10, v0
                                        ; implicit-def: $sgpr45
	s_branch .LBB123_234
.LBB123_232:                            ;   in Loop: Header=BB123_234 Depth=2
	s_or_b32 exec_lo, exec_lo, s46
	s_wait_dscnt 0x0
	s_barrier_signal -1
	s_barrier_wait -1
	ds_load_u16 v11, v3 offset:3072
	s_mov_b32 s46, -1
	s_mov_b32 s47, -1
	s_wait_dscnt 0x0
	s_barrier_signal -1
	s_barrier_wait -1
	v_and_b32_e32 v24, 0xff, v11
	s_delay_alu instid0(VALU_DEP_1)
	v_cmp_ne_u32_e32 vcc_lo, 0, v24
	s_cbranch_vccz .LBB123_237
.LBB123_233:                            ;   in Loop: Header=BB123_234 Depth=2
	s_and_b32 s8, exec_lo, s46
	s_delay_alu instid0(SALU_CYCLE_1) | instskip(SKIP_2) | instid1(SALU_CYCLE_1)
	s_or_b32 s22, s8, s22
	s_and_not1_b32 s8, s45, exec_lo
	s_and_b32 s45, s47, exec_lo
	s_or_b32 s45, s8, s45
	s_and_not1_b32 exec_lo, exec_lo, s22
	s_cbranch_execz .LBB123_238
.LBB123_234:                            ;   Parent Loop BB123_12 Depth=1
                                        ; =>  This Inner Loop Header: Depth=2
	s_mov_b32 s46, exec_lo
	s_delay_alu instid0(VALU_DEP_2)
	v_cmpx_gt_u64_e64 s[10:11], v[6:7]
	s_cbranch_execz .LBB123_232
; %bb.235:                              ;   in Loop: Header=BB123_234 Depth=2
	ds_load_u8 v11, v10
	s_wait_dscnt 0x0
	v_bitop3_b32 v24, v11, 0xff, v9 bitop3:0x80
	s_delay_alu instid0(VALU_DEP_1)
	v_cmp_eq_u32_e32 vcc_lo, v24, v8
	s_and_b32 exec_lo, exec_lo, vcc_lo
	s_cbranch_execz .LBB123_232
; %bb.236:                              ;   in Loop: Header=BB123_234 Depth=2
	v_lshlrev_b16 v11, 8, v11
	s_delay_alu instid0(VALU_DEP_1)
	v_or_b32_e32 v11, 1, v11
	ds_store_b16 v3, v11 offset:3072
	s_branch .LBB123_232
.LBB123_237:                            ;   in Loop: Header=BB123_234 Depth=2
	v_add_nc_u64_e32 v[6:7], s[48:49], v[6:7]
	v_add_nc_u32_e32 v10, s48, v10
	s_mov_b32 s47, 0
	s_delay_alu instid0(VALU_DEP_2)
	v_cmp_le_u64_e32 vcc_lo, s[20:21], v[6:7]
	s_or_not1_b32 s46, vcc_lo, exec_lo
	s_branch .LBB123_233
.LBB123_238:                            ;   in Loop: Header=BB123_12 Depth=1
	s_or_b32 exec_lo, exec_lo, s22
	v_and_b32_e32 v6, 0xffff, v11
	s_and_b32 s22, s45, exec_lo
	s_delay_alu instid0(VALU_DEP_1)
	v_lshrrev_b32_e32 v10, 8, v6
.LBB123_239:                            ;   in Loop: Header=BB123_12 Depth=1
	s_or_b32 exec_lo, exec_lo, s28
.LBB123_240:                            ;   in Loop: Header=BB123_12 Depth=1
	s_delay_alu instid0(SALU_CYCLE_1)
	s_and_b32 vcc_lo, exec_lo, s23
	s_cbranch_vccz .LBB123_256
; %bb.241:                              ;   in Loop: Header=BB123_12 Depth=1
	s_and_b64 s[10:11], s[66:67], 0xffffffff00000000
	s_delay_alu instid0(SALU_CYCLE_1)
	s_cmp_lg_u64 s[10:11], 0
	s_cbranch_scc0 .LBB123_243
; %bb.242:                              ;   in Loop: Header=BB123_12 Depth=1
	s_cvt_f32_u32 s8, s48
	s_sub_nc_u64 s[20:21], 0, s[48:49]
	s_delay_alu instid0(SALU_CYCLE_2) | instskip(NEXT) | instid1(SALU_CYCLE_3)
	s_fmamk_f32 s8, s101, 0x0, s8
	v_s_rcp_f32 s8, s8
	s_delay_alu instid0(TRANS32_DEP_1) | instskip(NEXT) | instid1(SALU_CYCLE_3)
	s_mul_f32 s8, s8, 0x5f7ffffc
	s_mul_f32 s10, s8, 0x2f800000
	s_delay_alu instid0(SALU_CYCLE_3) | instskip(NEXT) | instid1(SALU_CYCLE_3)
	s_trunc_f32 s10, s10
	s_fmamk_f32 s8, s10, 0xcf800000, s8
	s_cvt_u32_f32 s11, s10
	s_delay_alu instid0(SALU_CYCLE_2) | instskip(NEXT) | instid1(SALU_CYCLE_3)
	s_cvt_u32_f32 s10, s8
	s_mul_u64 s[44:45], s[20:21], s[10:11]
	s_delay_alu instid0(SALU_CYCLE_1)
	s_mul_hi_u32 s47, s10, s45
	s_mul_i32 s46, s10, s45
	s_mul_hi_u32 s28, s10, s44
	s_mul_i32 s23, s11, s44
	s_add_nc_u64 s[46:47], s[28:29], s[46:47]
	s_mul_hi_u32 s8, s11, s44
	s_mul_hi_u32 s52, s11, s45
	s_add_co_u32 s23, s46, s23
	s_add_co_ci_u32 s28, s47, s8
	s_mul_i32 s44, s11, s45
	s_add_co_ci_u32 s45, s52, 0
	s_delay_alu instid0(SALU_CYCLE_1) | instskip(NEXT) | instid1(SALU_CYCLE_1)
	s_add_nc_u64 s[44:45], s[28:29], s[44:45]
	s_add_co_u32 s10, s10, s44
	s_cselect_b32 s8, -1, 0
	s_delay_alu instid0(SALU_CYCLE_1) | instskip(SKIP_1) | instid1(SALU_CYCLE_1)
	s_cmp_lg_u32 s8, 0
	s_add_co_ci_u32 s11, s11, s45
	s_mul_u64 s[20:21], s[20:21], s[10:11]
	s_delay_alu instid0(SALU_CYCLE_1)
	s_mul_hi_u32 s45, s10, s21
	s_mul_i32 s44, s10, s21
	s_mul_hi_u32 s28, s10, s20
	s_mul_i32 s23, s11, s20
	s_add_nc_u64 s[44:45], s[28:29], s[44:45]
	s_mul_hi_u32 s8, s11, s20
	s_mul_hi_u32 s46, s11, s21
	s_mul_i32 s20, s11, s21
	s_add_co_u32 s21, s44, s23
	s_add_co_ci_u32 s28, s45, s8
	s_add_co_ci_u32 s21, s46, 0
	s_delay_alu instid0(SALU_CYCLE_1) | instskip(NEXT) | instid1(SALU_CYCLE_1)
	s_add_nc_u64 s[20:21], s[28:29], s[20:21]
	s_add_co_u32 s8, s10, s20
	s_cselect_b32 s10, -1, 0
	s_mul_hi_u32 s28, s66, s8
	s_cmp_lg_u32 s10, 0
	s_mul_hi_u32 s23, s67, s8
	s_add_co_ci_u32 s20, s11, s21
	s_mul_i32 s8, s67, s8
	s_mul_hi_u32 s11, s66, s20
	s_mul_i32 s10, s66, s20
	s_mul_hi_u32 s21, s67, s20
	s_add_nc_u64 s[10:11], s[28:29], s[10:11]
	s_mul_i32 s20, s67, s20
	s_add_co_u32 s8, s10, s8
	s_add_co_ci_u32 s28, s11, s23
	s_add_co_ci_u32 s21, s21, 0
	s_delay_alu instid0(SALU_CYCLE_1) | instskip(NEXT) | instid1(SALU_CYCLE_1)
	s_add_nc_u64 s[10:11], s[28:29], s[20:21]
	s_and_b64 s[20:21], s[10:11], 0xffffffff00000000
	s_delay_alu instid0(SALU_CYCLE_1) | instskip(NEXT) | instid1(SALU_CYCLE_1)
	s_or_b32 s20, s20, s10
	s_mul_u64 s[10:11], s[48:49], s[20:21]
	s_delay_alu instid0(SALU_CYCLE_1) | instskip(SKIP_1) | instid1(SALU_CYCLE_1)
	s_sub_co_u32 s8, s66, s10
	s_cselect_b32 s10, -1, 0
	s_cmp_lg_u32 s10, 0
	s_sub_co_ci_u32 s10, s67, s11
	s_sub_co_u32 s11, s8, s48
	s_cselect_b32 s20, -1, 0
	s_delay_alu instid0(SALU_CYCLE_1) | instskip(SKIP_3) | instid1(SALU_CYCLE_1)
	s_cmp_lg_u32 s20, 0
	s_sub_co_ci_u32 s20, s10, 0
	s_sub_co_u32 s21, s11, s48
	s_cselect_b32 s23, -1, 0
	s_cmp_lg_u32 s23, 0
	s_sub_co_ci_u32 s23, s20, 0
	s_cmp_ge_u32 s11, s48
	s_cselect_b32 s28, -1, 0
	s_cmp_eq_u32 s20, 0
	s_cselect_b32 s28, s28, -1
	s_delay_alu instid0(SALU_CYCLE_1)
	s_cmp_lg_u32 s28, 0
	s_cselect_b32 s20, s23, s20
	s_cselect_b32 s21, s21, s11
	s_cmp_ge_u32 s8, s48
	s_cselect_b32 s11, -1, 0
	s_cmp_eq_u32 s10, 0
	s_cselect_b32 s11, s11, -1
	s_delay_alu instid0(SALU_CYCLE_1)
	s_cmp_lg_u32 s11, 0
	s_cselect_b32 s11, s20, s10
	s_cselect_b32 s10, s21, s8
	s_mov_b32 s20, 0
	s_branch .LBB123_244
.LBB123_243:                            ;   in Loop: Header=BB123_12 Depth=1
	s_mov_b32 s20, -1
                                        ; implicit-def: $sgpr10_sgpr11
.LBB123_244:                            ;   in Loop: Header=BB123_12 Depth=1
	s_delay_alu instid0(SALU_CYCLE_1)
	s_and_not1_b32 vcc_lo, exec_lo, s20
	s_cbranch_vccnz .LBB123_246
; %bb.245:                              ;   in Loop: Header=BB123_12 Depth=1
	v_cvt_f32_u32_e32 v6, s48
	s_sub_co_i32 s10, 0, s48
	s_delay_alu instid0(VALU_DEP_1) | instskip(SKIP_1) | instid1(TRANS32_DEP_1)
	v_rcp_iflag_f32_e32 v6, v6
	v_nop
	v_mul_f32_e32 v6, 0x4f7ffffe, v6
	s_delay_alu instid0(VALU_DEP_1) | instskip(NEXT) | instid1(VALU_DEP_1)
	v_cvt_u32_f32_e32 v6, v6
	v_readfirstlane_b32 s8, v6
	s_mul_i32 s10, s10, s8
	s_delay_alu instid0(SALU_CYCLE_1) | instskip(NEXT) | instid1(SALU_CYCLE_1)
	s_mul_hi_u32 s10, s8, s10
	s_add_co_i32 s8, s8, s10
	s_delay_alu instid0(SALU_CYCLE_1) | instskip(NEXT) | instid1(SALU_CYCLE_1)
	s_mul_hi_u32 s8, s66, s8
	s_mul_i32 s8, s8, s48
	s_delay_alu instid0(SALU_CYCLE_1) | instskip(NEXT) | instid1(SALU_CYCLE_1)
	s_sub_co_i32 s8, s66, s8
	s_sub_co_i32 s10, s8, s48
	s_cmp_ge_u32 s8, s48
	s_cselect_b32 s8, s10, s8
	s_delay_alu instid0(SALU_CYCLE_1) | instskip(SKIP_2) | instid1(SALU_CYCLE_1)
	s_sub_co_i32 s10, s8, s48
	s_cmp_ge_u32 s8, s48
	s_cselect_b32 s28, s10, s8
	s_mov_b64 s[10:11], s[28:29]
.LBB123_246:                            ;   in Loop: Header=BB123_12 Depth=1
	s_delay_alu instid0(SALU_CYCLE_1)
	s_sub_nc_u64 s[10:11], s[66:67], s[10:11]
	s_mov_b32 s20, exec_lo
                                        ; implicit-def: $vgpr10
	v_cmpx_gt_u64_e64 s[10:11], v[0:1]
	s_cbranch_execz .LBB123_255
; %bb.247:                              ;   in Loop: Header=BB123_12 Depth=1
	v_mov_b64_e32 v[6:7], v[0:1]
	s_mov_b32 s21, 0
                                        ; implicit-def: $sgpr23
	s_branch .LBB123_250
.LBB123_248:                            ;   in Loop: Header=BB123_250 Depth=2
	s_or_b32 exec_lo, exec_lo, s28
	s_wait_dscnt 0x0
	s_barrier_signal -1
	s_barrier_wait -1
	ds_load_u16 v10, v3 offset:3072
	s_mov_b32 s44, -1
	s_mov_b32 s28, -1
	s_wait_dscnt 0x0
	s_barrier_signal -1
	s_barrier_wait -1
	v_and_b32_e32 v11, 0xff, v10
	s_delay_alu instid0(VALU_DEP_1)
	v_cmp_eq_u32_e32 vcc_lo, 0, v11
	s_cbranch_vccnz .LBB123_253
.LBB123_249:                            ;   in Loop: Header=BB123_250 Depth=2
	s_and_b32 s8, exec_lo, s44
	s_delay_alu instid0(SALU_CYCLE_1) | instskip(SKIP_2) | instid1(SALU_CYCLE_1)
	s_or_b32 s21, s8, s21
	s_and_not1_b32 s8, s23, exec_lo
	s_and_b32 s23, s28, exec_lo
	s_or_b32 s23, s8, s23
	s_and_not1_b32 exec_lo, exec_lo, s21
	s_cbranch_execz .LBB123_254
.LBB123_250:                            ;   Parent Loop BB123_12 Depth=1
                                        ; =>  This Inner Loop Header: Depth=2
	s_mov_b32 s28, exec_lo
	s_delay_alu instid0(VALU_DEP_1)
	v_cmpx_gt_u64_e64 s[36:37], v[6:7]
	s_cbranch_execz .LBB123_248
; %bb.251:                              ;   in Loop: Header=BB123_250 Depth=2
	v_mad_nc_u64_u32 v[10:11], v6, s30, s[34:35]
	s_delay_alu instid0(VALU_DEP_1) | instskip(NEXT) | instid1(VALU_DEP_1)
	v_mad_u32 v11, v7, s30, v11
	v_mad_u32 v11, v6, s31, v11
	global_load_u8 v10, v[10:11], off
	s_wait_loadcnt 0x0
	v_bitop3_b32 v11, v10, 0xff, v9 bitop3:0x80
	s_delay_alu instid0(VALU_DEP_1)
	v_cmp_eq_u32_e32 vcc_lo, v11, v8
	s_and_b32 exec_lo, exec_lo, vcc_lo
	s_cbranch_execz .LBB123_248
; %bb.252:                              ;   in Loop: Header=BB123_250 Depth=2
	v_lshlrev_b16 v10, 8, v10
	s_delay_alu instid0(VALU_DEP_1)
	v_or_b32_e32 v10, 1, v10
	ds_store_b16 v3, v10 offset:3072
	s_branch .LBB123_248
.LBB123_253:                            ;   in Loop: Header=BB123_250 Depth=2
	v_add_nc_u64_e32 v[6:7], s[48:49], v[6:7]
	s_mov_b32 s28, 0
	s_delay_alu instid0(VALU_DEP_1)
	v_cmp_le_u64_e32 vcc_lo, s[10:11], v[6:7]
	s_or_not1_b32 s44, vcc_lo, exec_lo
	s_branch .LBB123_249
.LBB123_254:                            ;   in Loop: Header=BB123_12 Depth=1
	s_or_b32 exec_lo, exec_lo, s21
	v_and_b32_e32 v6, 0xffff, v10
	s_and_not1_b32 s8, s22, exec_lo
	s_and_b32 s10, s23, exec_lo
	s_delay_alu instid0(SALU_CYCLE_1) | instskip(NEXT) | instid1(VALU_DEP_1)
	s_or_b32 s22, s8, s10
	v_lshrrev_b32_e32 v10, 8, v6
.LBB123_255:                            ;   in Loop: Header=BB123_12 Depth=1
	s_or_b32 exec_lo, exec_lo, s20
	s_mov_b32 s85, 0
	s_mov_b32 s44, -1
.LBB123_256:                            ;   in Loop: Header=BB123_12 Depth=1
	s_or_not1_b32 s11, s22, exec_lo
.LBB123_257:                            ;   in Loop: Header=BB123_12 Depth=1
	s_or_b32 exec_lo, exec_lo, s84
	s_mov_b32 s20, 0
	s_and_saveexec_b32 s10, s11
	s_cbranch_execz .LBB123_268
; %bb.258:                              ;   in Loop: Header=BB123_12 Depth=1
	v_mov_b64_e32 v[6:7], 1
	v_mov_b32_e32 v2, 1
	s_xor_b32 s8, s83, -1
	s_delay_alu instid0(SALU_CYCLE_1)
	s_and_saveexec_b32 s11, s8
	s_cbranch_execz .LBB123_267
; %bb.259:                              ;   in Loop: Header=BB123_12 Depth=1
	s_mov_b32 s8, exec_lo
	v_cmpx_ge_u64_e64 s[18:19], v[4:5]
	s_xor_b32 s20, exec_lo, s8
	s_cbranch_execz .LBB123_264
; %bb.260:                              ;   in Loop: Header=BB123_12 Depth=1
	ds_load_b64 v[6:7], v3 offset:5120
	v_or_b32_e32 v8, s24, v8
	v_or_b32_e32 v9, s24, v9
	s_wait_dscnt 0x0
	v_cmp_ne_u64_e32 vcc_lo, 0, v[6:7]
	s_cbranch_vccnz .LBB123_264
; %bb.261:                              ;   in Loop: Header=BB123_12 Depth=1
	s_and_saveexec_b32 s21, s5
; %bb.262:                              ;   in Loop: Header=BB123_12 Depth=1
	v_mov_b64_e32 v[6:7], s[18:19]
	ds_store_b64 v3, v[6:7] offset:5128
; %bb.263:                              ;   in Loop: Header=BB123_12 Depth=1
	s_or_b32 exec_lo, exec_lo, s21
	s_wait_dscnt 0x0
	s_barrier_signal -1
	s_barrier_wait -1
.LBB123_264:                            ;   in Loop: Header=BB123_12 Depth=1
	s_and_not1_saveexec_b32 s20, s20
; %bb.265:                              ;   in Loop: Header=BB123_12 Depth=1
	v_sub_nc_u64_e64 v[4:5], v[4:5], s[18:19]
; %bb.266:                              ;   in Loop: Header=BB123_12 Depth=1
	s_or_b32 exec_lo, exec_lo, s20
	s_delay_alu instid0(VALU_DEP_1)
	v_mov_b64_e32 v[6:7], v[4:5]
	v_mov_b32_e32 v2, 8
.LBB123_267:                            ;   in Loop: Header=BB123_12 Depth=1
	s_or_b32 exec_lo, exec_lo, s11
	s_delay_alu instid0(VALU_DEP_2)
	v_mov_b64_e32 v[4:5], v[6:7]
	s_mov_b32 s20, exec_lo
.LBB123_268:                            ;   in Loop: Header=BB123_12 Depth=1
	s_or_b32 exec_lo, exec_lo, s10
	s_delay_alu instid0(SALU_CYCLE_1)
	s_or_not1_b32 s10, s20, exec_lo
.LBB123_269:                            ;   in Loop: Header=BB123_12 Depth=1
	s_or_b32 exec_lo, exec_lo, s82
	s_delay_alu instid0(VALU_DEP_1)
	v_mov_b64_e32 v[6:7], v[4:5]
	s_and_not1_b32 s11, s80, exec_lo
	s_and_b32 s20, s44, exec_lo
	s_and_not1_b32 s21, s79, exec_lo
	s_and_b32 s22, s85, exec_lo
	s_or_b32 s80, s11, s20
	s_or_b32 s79, s21, s22
	s_and_b32 s11, s10, exec_lo
.LBB123_270:                            ;   in Loop: Header=BB123_12 Depth=1
	s_or_b32 exec_lo, exec_lo, s81
	s_delay_alu instid0(SALU_CYCLE_1)
	s_or_not1_b32 s10, s11, exec_lo
.LBB123_271:                            ;   in Loop: Header=BB123_12 Depth=1
	s_or_b32 exec_lo, exec_lo, s78
	v_mov_b64_e32 v[4:5], v[6:7]
	s_and_not1_b32 s11, s76, exec_lo
	s_and_b32 s20, s80, exec_lo
	s_and_not1_b32 s21, s43, exec_lo
	s_and_b32 s22, s79, exec_lo
	s_or_b32 s76, s11, s20
	s_or_b32 s43, s21, s22
	s_and_b32 s11, s10, exec_lo
.LBB123_272:                            ;   in Loop: Header=BB123_12 Depth=1
	s_or_b32 exec_lo, exec_lo, s77
	s_delay_alu instid0(SALU_CYCLE_1)
	s_or_not1_b32 s10, s11, exec_lo
.LBB123_273:                            ;   in Loop: Header=BB123_12 Depth=1
	s_or_b32 exec_lo, exec_lo, s27
	s_mov_b32 s11, 0
	s_mov_b32 s20, 0
	s_and_saveexec_b32 s21, s10
	s_delay_alu instid0(SALU_CYCLE_1)
	s_xor_b32 s21, exec_lo, s21
; %bb.274:                              ;   in Loop: Header=BB123_12 Depth=1
	v_cmp_ne_u32_e32 vcc_lo, 8, v2
	v_cmp_eq_u32_e64 s10, 8, v2
	s_and_b32 s20, vcc_lo, exec_lo
	s_and_b32 s11, s10, exec_lo
; %bb.275:                              ;   in Loop: Header=BB123_12 Depth=1
	s_or_b32 exec_lo, exec_lo, s21
	s_delay_alu instid0(SALU_CYCLE_1)
	s_and_not1_b32 s10, s73, exec_lo
	s_and_b32 s21, s76, exec_lo
	s_and_not1_b32 s22, s72, exec_lo
	s_and_b32 s23, s43, exec_lo
	s_or_b32 s73, s10, s21
	s_or_b32 s72, s22, s23
	s_and_b32 s27, s20, exec_lo
	s_and_b32 s43, s11, exec_lo
.LBB123_276:                            ;   in Loop: Header=BB123_12 Depth=1
	s_or_b32 exec_lo, exec_lo, s75
.LBB123_277:                            ;   in Loop: Header=BB123_12 Depth=1
	s_delay_alu instid0(SALU_CYCLE_1)
	s_and_b32 vcc_lo, exec_lo, s74
	s_cbranch_vccz .LBB123_293
; %bb.278:                              ;   in Loop: Header=BB123_12 Depth=1
	s_cmp_eq_u64 s[18:19], 1
                                        ; implicit-def: $sgpr74
                                        ; implicit-def: $sgpr26
	s_cselect_b32 s10, -1, 0
	s_delay_alu instid0(SALU_CYCLE_1)
	s_and_b32 s9, s10, s9
	s_mov_b32 s10, -1
	s_and_saveexec_b32 s72, s9
	s_cbranch_execz .LBB123_311
; %bb.279:                              ;   in Loop: Header=BB123_12 Depth=1
	ds_load_b64 v[4:5], v3 offset:5120
	s_wait_dscnt 0x0
	s_barrier_signal -1
	s_barrier_wait -1
	v_readfirstlane_b32 s10, v4
	v_readfirstlane_b32 s11, v5
	s_and_saveexec_b32 s20, s6
; %bb.280:                              ;   in Loop: Header=BB123_12 Depth=1
	ds_store_b8 v0, v3 offset:3072
; %bb.281:                              ;   in Loop: Header=BB123_12 Depth=1
	s_or_b32 exec_lo, exec_lo, s20
	v_or_b32_e32 v29, s24, v29
	v_or_b32_e32 v31, s24, v31
	s_mov_b32 s26, -1
	s_mov_b32 s74, 0
	s_cmp_eq_u64 s[10:11], 0
	s_mov_b32 s22, 0
	s_mov_b32 s23, -1
	s_wait_dscnt 0x0
	s_barrier_signal -1
	s_barrier_wait -1
                                        ; implicit-def: $vgpr32
	s_cbranch_scc1 .LBB123_296
; %bb.282:                              ;   in Loop: Header=BB123_12 Depth=1
	s_add_nc_u64 s[20:21], s[10:11], s[64:65]
	s_delay_alu instid0(SALU_CYCLE_1) | instskip(NEXT) | instid1(SALU_CYCLE_1)
	s_and_b64 s[22:23], s[20:21], 0xffffffff00000000
	s_cmp_lg_u64 s[22:23], 0
	s_cbranch_scc0 .LBB123_337
; %bb.283:                              ;   in Loop: Header=BB123_12 Depth=1
	s_cvt_f32_u32 s22, s48
	s_sub_nc_u64 s[44:45], 0, s[48:49]
	s_delay_alu instid0(SALU_CYCLE_2) | instskip(NEXT) | instid1(SALU_CYCLE_3)
	s_fmamk_f32 s22, s101, 0x0, s22
	v_s_rcp_f32 s22, s22
	s_delay_alu instid0(TRANS32_DEP_1) | instskip(NEXT) | instid1(SALU_CYCLE_3)
	s_mul_f32 s22, s22, 0x5f7ffffc
	s_mul_f32 s23, s22, 0x2f800000
	s_delay_alu instid0(SALU_CYCLE_3) | instskip(NEXT) | instid1(SALU_CYCLE_3)
	s_trunc_f32 s23, s23
	s_fmamk_f32 s22, s23, 0xcf800000, s22
	s_cvt_u32_f32 s23, s23
	s_delay_alu instid0(SALU_CYCLE_2) | instskip(NEXT) | instid1(SALU_CYCLE_3)
	s_cvt_u32_f32 s22, s22
	s_mul_u64 s[46:47], s[44:45], s[22:23]
	s_delay_alu instid0(SALU_CYCLE_1)
	s_mul_hi_u32 s77, s22, s47
	s_mul_i32 s76, s22, s47
	s_mul_hi_u32 s28, s22, s46
	s_mul_i32 s53, s23, s46
	s_add_nc_u64 s[76:77], s[28:29], s[76:77]
	s_mul_hi_u32 s52, s23, s46
	s_mul_hi_u32 s54, s23, s47
	s_add_co_u32 s28, s76, s53
	s_add_co_ci_u32 s28, s77, s52
	s_mul_i32 s46, s23, s47
	s_add_co_ci_u32 s47, s54, 0
	s_delay_alu instid0(SALU_CYCLE_1) | instskip(NEXT) | instid1(SALU_CYCLE_1)
	s_add_nc_u64 s[46:47], s[28:29], s[46:47]
	s_add_co_u32 s22, s22, s46
	s_cselect_b32 s28, -1, 0
	s_delay_alu instid0(SALU_CYCLE_1) | instskip(SKIP_1) | instid1(SALU_CYCLE_1)
	s_cmp_lg_u32 s28, 0
	s_add_co_ci_u32 s23, s23, s47
	s_mul_u64 s[44:45], s[44:45], s[22:23]
	s_delay_alu instid0(SALU_CYCLE_1)
	s_mul_hi_u32 s47, s22, s45
	s_mul_i32 s46, s22, s45
	s_mul_hi_u32 s28, s22, s44
	s_mul_i32 s53, s23, s44
	s_add_nc_u64 s[46:47], s[28:29], s[46:47]
	s_mul_hi_u32 s52, s23, s44
	s_mul_hi_u32 s54, s23, s45
	s_add_co_u32 s28, s46, s53
	s_add_co_ci_u32 s28, s47, s52
	s_mul_i32 s44, s23, s45
	s_add_co_ci_u32 s45, s54, 0
	s_delay_alu instid0(SALU_CYCLE_1) | instskip(NEXT) | instid1(SALU_CYCLE_1)
	s_add_nc_u64 s[44:45], s[28:29], s[44:45]
	s_add_co_u32 s22, s22, s44
	s_cselect_b32 s44, -1, 0
	s_mul_hi_u32 s28, s20, s22
	s_cmp_lg_u32 s44, 0
	s_mul_hi_u32 s46, s21, s22
	s_add_co_ci_u32 s44, s23, s45
	s_mul_i32 s45, s21, s22
	s_mul_hi_u32 s23, s20, s44
	s_mul_i32 s22, s20, s44
	s_mul_hi_u32 s47, s21, s44
	s_add_nc_u64 s[22:23], s[28:29], s[22:23]
	s_mul_i32 s44, s21, s44
	s_add_co_u32 s22, s22, s45
	s_add_co_ci_u32 s28, s23, s46
	s_add_co_ci_u32 s45, s47, 0
	s_delay_alu instid0(SALU_CYCLE_1) | instskip(NEXT) | instid1(SALU_CYCLE_1)
	s_add_nc_u64 s[22:23], s[28:29], s[44:45]
	s_and_b64 s[44:45], s[22:23], 0xffffffff00000000
	s_delay_alu instid0(SALU_CYCLE_1) | instskip(NEXT) | instid1(SALU_CYCLE_1)
	s_or_b32 s44, s44, s22
	s_mul_u64 s[22:23], s[48:49], s[44:45]
	s_delay_alu instid0(SALU_CYCLE_1) | instskip(SKIP_1) | instid1(SALU_CYCLE_1)
	s_sub_co_u32 s22, s20, s22
	s_cselect_b32 s28, -1, 0
	s_cmp_lg_u32 s28, 0
	s_sub_co_ci_u32 s23, s21, s23
	s_sub_co_u32 s28, s22, s48
	s_cselect_b32 s44, -1, 0
	s_delay_alu instid0(SALU_CYCLE_1) | instskip(SKIP_3) | instid1(SALU_CYCLE_1)
	s_cmp_lg_u32 s44, 0
	s_sub_co_ci_u32 s44, s23, 0
	s_sub_co_u32 s45, s28, s48
	s_cselect_b32 s46, -1, 0
	s_cmp_lg_u32 s46, 0
	s_sub_co_ci_u32 s46, s44, 0
	s_cmp_ge_u32 s28, s48
	s_cselect_b32 s47, -1, 0
	s_cmp_eq_u32 s44, 0
	s_cselect_b32 s47, s47, -1
	s_delay_alu instid0(SALU_CYCLE_1)
	s_cmp_lg_u32 s47, 0
	s_cselect_b32 s44, s46, s44
	s_cselect_b32 s28, s45, s28
	s_cmp_ge_u32 s22, s48
	s_cselect_b32 s45, -1, 0
	s_cmp_eq_u32 s23, 0
	s_cselect_b32 s45, s45, -1
	s_delay_alu instid0(SALU_CYCLE_1)
	s_cmp_lg_u32 s45, 0
	s_cselect_b32 s23, s44, s23
	s_cselect_b32 s22, s28, s22
	s_cbranch_execnz .LBB123_285
.LBB123_284:                            ;   in Loop: Header=BB123_12 Depth=1
	v_cvt_f32_u32_e32 v2, s48
	s_sub_co_i32 s23, 0, s48
	s_delay_alu instid0(VALU_DEP_1) | instskip(SKIP_1) | instid1(TRANS32_DEP_1)
	v_rcp_iflag_f32_e32 v2, v2
	v_nop
	v_mul_f32_e32 v2, 0x4f7ffffe, v2
	s_delay_alu instid0(VALU_DEP_1) | instskip(NEXT) | instid1(VALU_DEP_1)
	v_cvt_u32_f32_e32 v2, v2
	v_readfirstlane_b32 s22, v2
	s_mul_i32 s23, s23, s22
	s_delay_alu instid0(SALU_CYCLE_1) | instskip(NEXT) | instid1(SALU_CYCLE_1)
	s_mul_hi_u32 s23, s22, s23
	s_add_co_i32 s22, s22, s23
	s_delay_alu instid0(SALU_CYCLE_1) | instskip(NEXT) | instid1(SALU_CYCLE_1)
	s_mul_hi_u32 s22, s20, s22
	s_mul_i32 s22, s22, s48
	s_delay_alu instid0(SALU_CYCLE_1) | instskip(NEXT) | instid1(SALU_CYCLE_1)
	s_sub_co_i32 s22, s20, s22
	s_sub_co_i32 s23, s22, s48
	s_cmp_ge_u32 s22, s48
	s_cselect_b32 s22, s23, s22
	s_delay_alu instid0(SALU_CYCLE_1) | instskip(SKIP_2) | instid1(SALU_CYCLE_1)
	s_sub_co_i32 s23, s22, s48
	s_cmp_ge_u32 s22, s48
	s_cselect_b32 s28, s23, s22
	s_mov_b64 s[22:23], s[28:29]
.LBB123_285:                            ;   in Loop: Header=BB123_12 Depth=1
	s_delay_alu instid0(SALU_CYCLE_1)
	s_sub_nc_u64 s[20:21], s[20:21], s[22:23]
	s_mov_b32 s23, 0
	s_mov_b32 s22, 0
	s_mov_b32 s28, exec_lo
                                        ; implicit-def: $vgpr32
	v_cmpx_gt_u64_e64 s[20:21], v[0:1]
	s_cbranch_execz .LBB123_295
; %bb.286:                              ;   in Loop: Header=BB123_12 Depth=1
	v_mov_b64_e32 v[4:5], v[0:1]
	v_mov_b32_e32 v2, v0
                                        ; implicit-def: $sgpr44
	s_branch .LBB123_289
.LBB123_287:                            ;   in Loop: Header=BB123_289 Depth=2
	s_or_b32 exec_lo, exec_lo, s45
	s_wait_dscnt 0x0
	s_barrier_signal -1
	s_barrier_wait -1
	ds_load_u16 v6, v3 offset:3072
	s_mov_b32 s45, -1
	s_mov_b32 s46, -1
	s_wait_dscnt 0x0
	s_barrier_signal -1
	s_barrier_wait -1
	v_and_b32_e32 v7, 0xff, v6
	s_delay_alu instid0(VALU_DEP_1)
	v_cmp_ne_u32_e32 vcc_lo, 0, v7
	s_cbranch_vccz .LBB123_292
.LBB123_288:                            ;   in Loop: Header=BB123_289 Depth=2
	s_and_b32 s8, exec_lo, s45
	s_delay_alu instid0(SALU_CYCLE_1) | instskip(SKIP_2) | instid1(SALU_CYCLE_1)
	s_or_b32 s22, s8, s22
	s_and_not1_b32 s8, s44, exec_lo
	s_and_b32 s44, s46, exec_lo
	s_or_b32 s44, s8, s44
	s_and_not1_b32 exec_lo, exec_lo, s22
	s_cbranch_execz .LBB123_294
.LBB123_289:                            ;   Parent Loop BB123_12 Depth=1
                                        ; =>  This Inner Loop Header: Depth=2
	s_mov_b32 s45, exec_lo
	s_delay_alu instid0(VALU_DEP_2)
	v_cmpx_gt_u64_e64 s[10:11], v[4:5]
	s_cbranch_execz .LBB123_287
; %bb.290:                              ;   in Loop: Header=BB123_289 Depth=2
	ds_load_u8 v6, v2
	s_wait_dscnt 0x0
	v_bitop3_b32 v7, v6, 0xff, v31 bitop3:0x80
	s_delay_alu instid0(VALU_DEP_1)
	v_cmp_eq_u32_e32 vcc_lo, v7, v29
	s_and_b32 exec_lo, exec_lo, vcc_lo
	s_cbranch_execz .LBB123_287
; %bb.291:                              ;   in Loop: Header=BB123_289 Depth=2
	v_lshlrev_b16 v6, 8, v6
	s_delay_alu instid0(VALU_DEP_1)
	v_or_b32_e32 v6, 1, v6
	ds_store_b16 v3, v6 offset:3072
	s_branch .LBB123_287
.LBB123_292:                            ;   in Loop: Header=BB123_289 Depth=2
	v_add_nc_u64_e32 v[4:5], s[48:49], v[4:5]
	v_add_nc_u32_e32 v2, s48, v2
	s_mov_b32 s46, 0
	s_delay_alu instid0(VALU_DEP_2)
	v_cmp_le_u64_e32 vcc_lo, s[20:21], v[4:5]
	s_or_not1_b32 s45, vcc_lo, exec_lo
	s_branch .LBB123_288
.LBB123_293:                            ;   in Loop: Header=BB123_12 Depth=1
	v_dual_mov_b32 v29, v8 :: v_dual_mov_b32 v31, v9
	v_mov_b32_e32 v32, v10
	s_mov_b32 s74, 0
	s_and_saveexec_b32 s9, s43
	s_cbranch_execnz .LBB123_470
	s_branch .LBB123_471
.LBB123_294:                            ;   in Loop: Header=BB123_12 Depth=1
	s_or_b32 exec_lo, exec_lo, s22
	v_and_b32_e32 v2, 0xffff, v6
	s_and_b32 s22, s44, exec_lo
	s_delay_alu instid0(VALU_DEP_1)
	v_lshrrev_b32_e32 v32, 8, v2
.LBB123_295:                            ;   in Loop: Header=BB123_12 Depth=1
	s_or_b32 exec_lo, exec_lo, s28
.LBB123_296:                            ;   in Loop: Header=BB123_12 Depth=1
	s_delay_alu instid0(SALU_CYCLE_1)
	s_and_b32 vcc_lo, exec_lo, s23
	s_cbranch_vccz .LBB123_310
; %bb.297:                              ;   in Loop: Header=BB123_12 Depth=1
	s_and_b64 s[10:11], s[66:67], 0xffffffff00000000
	s_delay_alu instid0(SALU_CYCLE_1)
	s_cmp_lg_u64 s[10:11], 0
	s_cbranch_scc0 .LBB123_338
; %bb.298:                              ;   in Loop: Header=BB123_12 Depth=1
	s_cvt_f32_u32 s10, s48
	s_sub_nc_u64 s[20:21], 0, s[48:49]
	s_delay_alu instid0(SALU_CYCLE_2) | instskip(NEXT) | instid1(SALU_CYCLE_3)
	s_fmamk_f32 s10, s101, 0x0, s10
	v_s_rcp_f32 s10, s10
	s_delay_alu instid0(TRANS32_DEP_1) | instskip(NEXT) | instid1(SALU_CYCLE_3)
	s_mul_f32 s10, s10, 0x5f7ffffc
	s_mul_f32 s11, s10, 0x2f800000
	s_delay_alu instid0(SALU_CYCLE_3) | instskip(NEXT) | instid1(SALU_CYCLE_3)
	s_trunc_f32 s11, s11
	s_fmamk_f32 s10, s11, 0xcf800000, s10
	s_cvt_u32_f32 s11, s11
	s_delay_alu instid0(SALU_CYCLE_2) | instskip(NEXT) | instid1(SALU_CYCLE_3)
	s_cvt_u32_f32 s10, s10
	s_mul_u64 s[44:45], s[20:21], s[10:11]
	s_delay_alu instid0(SALU_CYCLE_1)
	s_mul_hi_u32 s47, s10, s45
	s_mul_i32 s46, s10, s45
	s_mul_hi_u32 s28, s10, s44
	s_mul_i32 s26, s11, s44
	s_add_nc_u64 s[46:47], s[28:29], s[46:47]
	s_mul_hi_u32 s23, s11, s44
	s_mul_hi_u32 s52, s11, s45
	s_add_co_u32 s26, s46, s26
	s_add_co_ci_u32 s28, s47, s23
	s_mul_i32 s44, s11, s45
	s_add_co_ci_u32 s45, s52, 0
	s_delay_alu instid0(SALU_CYCLE_1) | instskip(NEXT) | instid1(SALU_CYCLE_1)
	s_add_nc_u64 s[44:45], s[28:29], s[44:45]
	s_add_co_u32 s10, s10, s44
	s_cselect_b32 s23, -1, 0
	s_delay_alu instid0(SALU_CYCLE_1) | instskip(SKIP_1) | instid1(SALU_CYCLE_1)
	s_cmp_lg_u32 s23, 0
	s_add_co_ci_u32 s11, s11, s45
	s_mul_u64 s[20:21], s[20:21], s[10:11]
	s_delay_alu instid0(SALU_CYCLE_1)
	s_mul_hi_u32 s45, s10, s21
	s_mul_i32 s44, s10, s21
	s_mul_hi_u32 s28, s10, s20
	s_mul_i32 s26, s11, s20
	s_add_nc_u64 s[44:45], s[28:29], s[44:45]
	s_mul_hi_u32 s23, s11, s20
	s_mul_hi_u32 s46, s11, s21
	s_mul_i32 s20, s11, s21
	s_add_co_u32 s21, s44, s26
	s_add_co_ci_u32 s28, s45, s23
	s_add_co_ci_u32 s21, s46, 0
	s_delay_alu instid0(SALU_CYCLE_1) | instskip(NEXT) | instid1(SALU_CYCLE_1)
	s_add_nc_u64 s[20:21], s[28:29], s[20:21]
	s_add_co_u32 s10, s10, s20
	s_cselect_b32 s20, -1, 0
	s_mul_hi_u32 s28, s66, s10
	s_cmp_lg_u32 s20, 0
	s_mul_hi_u32 s23, s67, s10
	s_add_co_ci_u32 s20, s11, s21
	s_mul_i32 s21, s67, s10
	s_mul_hi_u32 s11, s66, s20
	s_mul_i32 s10, s66, s20
	s_mul_hi_u32 s26, s67, s20
	s_add_nc_u64 s[10:11], s[28:29], s[10:11]
	s_mul_i32 s20, s67, s20
	s_add_co_u32 s10, s10, s21
	s_add_co_ci_u32 s28, s11, s23
	s_add_co_ci_u32 s21, s26, 0
	s_delay_alu instid0(SALU_CYCLE_1) | instskip(NEXT) | instid1(SALU_CYCLE_1)
	s_add_nc_u64 s[10:11], s[28:29], s[20:21]
	s_and_b64 s[20:21], s[10:11], 0xffffffff00000000
	s_delay_alu instid0(SALU_CYCLE_1) | instskip(NEXT) | instid1(SALU_CYCLE_1)
	s_or_b32 s20, s20, s10
	s_mul_u64 s[10:11], s[48:49], s[20:21]
	s_delay_alu instid0(SALU_CYCLE_1) | instskip(SKIP_1) | instid1(SALU_CYCLE_1)
	s_sub_co_u32 s10, s66, s10
	s_cselect_b32 s20, -1, 0
	s_cmp_lg_u32 s20, 0
	s_sub_co_ci_u32 s11, s67, s11
	s_sub_co_u32 s20, s10, s48
	s_cselect_b32 s21, -1, 0
	s_delay_alu instid0(SALU_CYCLE_1) | instskip(SKIP_3) | instid1(SALU_CYCLE_1)
	s_cmp_lg_u32 s21, 0
	s_sub_co_ci_u32 s21, s11, 0
	s_sub_co_u32 s23, s20, s48
	s_cselect_b32 s26, -1, 0
	s_cmp_lg_u32 s26, 0
	s_sub_co_ci_u32 s26, s21, 0
	s_cmp_ge_u32 s20, s48
	s_cselect_b32 s28, -1, 0
	s_cmp_eq_u32 s21, 0
	s_cselect_b32 s28, s28, -1
	s_delay_alu instid0(SALU_CYCLE_1)
	s_cmp_lg_u32 s28, 0
	s_cselect_b32 s21, s26, s21
	s_cselect_b32 s20, s23, s20
	s_cmp_ge_u32 s10, s48
	s_cselect_b32 s23, -1, 0
	s_cmp_eq_u32 s11, 0
	s_cselect_b32 s23, s23, -1
	s_delay_alu instid0(SALU_CYCLE_1)
	s_cmp_lg_u32 s23, 0
	s_cselect_b32 s11, s21, s11
	s_cselect_b32 s10, s20, s10
	s_cbranch_execnz .LBB123_300
.LBB123_299:                            ;   in Loop: Header=BB123_12 Depth=1
	v_cvt_f32_u32_e32 v2, s48
	s_sub_co_i32 s11, 0, s48
	s_delay_alu instid0(VALU_DEP_1) | instskip(SKIP_1) | instid1(TRANS32_DEP_1)
	v_rcp_iflag_f32_e32 v2, v2
	v_nop
	v_mul_f32_e32 v2, 0x4f7ffffe, v2
	s_delay_alu instid0(VALU_DEP_1) | instskip(NEXT) | instid1(VALU_DEP_1)
	v_cvt_u32_f32_e32 v2, v2
	v_readfirstlane_b32 s10, v2
	s_mul_i32 s11, s11, s10
	s_delay_alu instid0(SALU_CYCLE_1) | instskip(NEXT) | instid1(SALU_CYCLE_1)
	s_mul_hi_u32 s11, s10, s11
	s_add_co_i32 s10, s10, s11
	s_delay_alu instid0(SALU_CYCLE_1) | instskip(NEXT) | instid1(SALU_CYCLE_1)
	s_mul_hi_u32 s10, s66, s10
	s_mul_i32 s10, s10, s48
	s_delay_alu instid0(SALU_CYCLE_1) | instskip(NEXT) | instid1(SALU_CYCLE_1)
	s_sub_co_i32 s10, s66, s10
	s_sub_co_i32 s11, s10, s48
	s_cmp_ge_u32 s10, s48
	s_cselect_b32 s10, s11, s10
	s_delay_alu instid0(SALU_CYCLE_1) | instskip(SKIP_2) | instid1(SALU_CYCLE_1)
	s_sub_co_i32 s11, s10, s48
	s_cmp_ge_u32 s10, s48
	s_cselect_b32 s28, s11, s10
	s_mov_b64 s[10:11], s[28:29]
.LBB123_300:                            ;   in Loop: Header=BB123_12 Depth=1
	s_delay_alu instid0(SALU_CYCLE_1)
	s_sub_nc_u64 s[10:11], s[66:67], s[10:11]
	s_mov_b32 s20, exec_lo
                                        ; implicit-def: $vgpr32
	v_nop
	v_cmpx_gt_u64_e64 s[10:11], v[0:1]
	s_cbranch_execz .LBB123_309
; %bb.301:                              ;   in Loop: Header=BB123_12 Depth=1
	v_mov_b64_e32 v[4:5], v[0:1]
	s_mov_b32 s23, 0
                                        ; implicit-def: $sgpr21
	s_branch .LBB123_304
.LBB123_302:                            ;   in Loop: Header=BB123_304 Depth=2
	s_or_b32 exec_lo, exec_lo, s26
	s_wait_dscnt 0x0
	s_barrier_signal -1
	s_barrier_wait -1
	ds_load_u16 v2, v3 offset:3072
	s_mov_b32 s28, -1
	s_mov_b32 s26, -1
	s_wait_dscnt 0x0
	s_barrier_signal -1
	s_barrier_wait -1
	v_and_b32_e32 v6, 0xff, v2
	s_delay_alu instid0(VALU_DEP_1)
	v_cmp_ne_u32_e32 vcc_lo, 0, v6
	s_cbranch_vccz .LBB123_307
.LBB123_303:                            ;   in Loop: Header=BB123_304 Depth=2
	s_and_b32 s8, exec_lo, s28
	s_delay_alu instid0(SALU_CYCLE_1) | instskip(SKIP_2) | instid1(SALU_CYCLE_1)
	s_or_b32 s23, s8, s23
	s_and_not1_b32 s8, s21, exec_lo
	s_and_b32 s21, s26, exec_lo
	s_or_b32 s21, s8, s21
	s_and_not1_b32 exec_lo, exec_lo, s23
	s_cbranch_execz .LBB123_308
.LBB123_304:                            ;   Parent Loop BB123_12 Depth=1
                                        ; =>  This Inner Loop Header: Depth=2
	s_mov_b32 s26, exec_lo
	s_delay_alu instid0(VALU_DEP_1)
	v_cmpx_gt_u64_e64 s[36:37], v[4:5]
	s_cbranch_execz .LBB123_302
; %bb.305:                              ;   in Loop: Header=BB123_304 Depth=2
	v_mad_nc_u64_u32 v[6:7], v4, s30, s[34:35]
	s_delay_alu instid0(VALU_DEP_1) | instskip(NEXT) | instid1(VALU_DEP_1)
	v_mad_u32 v2, v5, s30, v7
	v_mad_u32 v7, v4, s31, v2
	global_load_u8 v2, v[6:7], off
	s_wait_loadcnt 0x0
	v_bitop3_b32 v6, v2, 0xff, v31 bitop3:0x80
	s_delay_alu instid0(VALU_DEP_1)
	v_cmp_eq_u32_e32 vcc_lo, v6, v29
	s_and_b32 exec_lo, exec_lo, vcc_lo
	s_cbranch_execz .LBB123_302
; %bb.306:                              ;   in Loop: Header=BB123_304 Depth=2
	v_lshlrev_b16 v2, 8, v2
	s_delay_alu instid0(VALU_DEP_1)
	v_or_b32_e32 v2, 1, v2
	ds_store_b16 v3, v2 offset:3072
	s_branch .LBB123_302
.LBB123_307:                            ;   in Loop: Header=BB123_304 Depth=2
	v_add_nc_u64_e32 v[4:5], s[48:49], v[4:5]
	s_mov_b32 s26, 0
	s_delay_alu instid0(VALU_DEP_1)
	v_cmp_le_u64_e32 vcc_lo, s[10:11], v[4:5]
	s_or_not1_b32 s28, vcc_lo, exec_lo
	s_branch .LBB123_303
.LBB123_308:                            ;   in Loop: Header=BB123_12 Depth=1
	s_or_b32 exec_lo, exec_lo, s23
	v_and_b32_e32 v2, 0xffff, v2
	s_and_not1_b32 s8, s22, exec_lo
	s_and_b32 s10, s21, exec_lo
	s_delay_alu instid0(SALU_CYCLE_1) | instskip(NEXT) | instid1(VALU_DEP_1)
	s_or_b32 s22, s8, s10
	v_lshrrev_b32_e32 v32, 8, v2
.LBB123_309:                            ;   in Loop: Header=BB123_12 Depth=1
	s_or_b32 exec_lo, exec_lo, s20
	s_mov_b32 s26, 0
	s_mov_b32 s74, -1
.LBB123_310:                            ;   in Loop: Header=BB123_12 Depth=1
	s_or_not1_b32 s10, s22, exec_lo
.LBB123_311:                            ;   in Loop: Header=BB123_12 Depth=1
	s_or_b32 exec_lo, exec_lo, s72
                                        ; implicit-def: $vgpr4_vgpr5
                                        ; implicit-def: $vgpr2
	s_and_saveexec_b32 s22, s10
	s_cbranch_execz .LBB123_469
; %bb.312:                              ;   in Loop: Header=BB123_12 Depth=1
	v_mov_b64_e32 v[4:5], 1
	v_mov_b32_e32 v2, 1
	s_xor_b32 s10, s9, -1
	s_mov_b32 s11, 0
	s_and_saveexec_b32 s9, s10
	s_cbranch_execz .LBB123_321
; %bb.313:                              ;   in Loop: Header=BB123_12 Depth=1
	s_mov_b32 s10, exec_lo
	v_cmpx_ge_u64_e64 s[18:19], v[22:23]
	s_xor_b32 s10, exec_lo, s10
	s_cbranch_execz .LBB123_318
; %bb.314:                              ;   in Loop: Header=BB123_12 Depth=1
	ds_load_b64 v[4:5], v3 offset:5120
	v_or_b32_e32 v29, s24, v29
	v_or_b32_e32 v31, s24, v31
	s_wait_dscnt 0x0
	v_cmp_ne_u64_e32 vcc_lo, 0, v[4:5]
	s_cbranch_vccnz .LBB123_318
; %bb.315:                              ;   in Loop: Header=BB123_12 Depth=1
	s_and_saveexec_b32 s11, s5
; %bb.316:                              ;   in Loop: Header=BB123_12 Depth=1
	v_mov_b64_e32 v[4:5], s[18:19]
	ds_store_b64 v3, v[4:5] offset:5128
; %bb.317:                              ;   in Loop: Header=BB123_12 Depth=1
	s_or_b32 exec_lo, exec_lo, s11
	s_wait_dscnt 0x0
	s_barrier_signal -1
	s_barrier_wait -1
.LBB123_318:                            ;   in Loop: Header=BB123_12 Depth=1
	s_or_saveexec_b32 s10, s10
	v_mov_b32_e32 v2, 5
	s_mov_b32 s11, 0
	s_xor_b32 exec_lo, exec_lo, s10
; %bb.319:                              ;   in Loop: Header=BB123_12 Depth=1
	v_sub_nc_u64_e64 v[22:23], v[22:23], s[18:19]
	v_mov_b32_e32 v2, 0
	s_mov_b32 s11, exec_lo
; %bb.320:                              ;   in Loop: Header=BB123_12 Depth=1
	s_or_b32 exec_lo, exec_lo, s10
	s_delay_alu instid0(VALU_DEP_2)
	v_mov_b64_e32 v[4:5], v[22:23]
	s_and_b32 s11, s11, exec_lo
.LBB123_321:                            ;   in Loop: Header=BB123_12 Depth=1
	s_or_b32 exec_lo, exec_lo, s9
	s_mov_b32 s10, -1
                                        ; implicit-def: $sgpr23
                                        ; implicit-def: $sgpr72
	s_and_saveexec_b32 s9, s11
	s_delay_alu instid0(SALU_CYCLE_1)
	s_xor_b32 s9, exec_lo, s9
	s_cbranch_execz .LBB123_466
; %bb.322:                              ;   in Loop: Header=BB123_12 Depth=1
	v_cmp_eq_u64_e32 vcc_lo, 1, v[4:5]
	s_cmp_eq_u64 s[16:17], 1
                                        ; implicit-def: $sgpr72
                                        ; implicit-def: $sgpr23
	s_cselect_b32 s10, -1, 0
	s_delay_alu instid0(SALU_CYCLE_1)
	s_and_b32 s73, s10, vcc_lo
	s_mov_b32 s10, -1
	s_and_saveexec_b32 s75, s73
	s_cbranch_execz .LBB123_356
; %bb.323:                              ;   in Loop: Header=BB123_12 Depth=1
	ds_load_b64 v[6:7], v3 offset:5120
	s_wait_dscnt 0x0
	s_barrier_signal -1
	s_barrier_wait -1
	v_readfirstlane_b32 s10, v6
	v_readfirstlane_b32 s11, v7
	s_and_saveexec_b32 s18, s6
; %bb.324:                              ;   in Loop: Header=BB123_12 Depth=1
	ds_store_b8 v0, v3 offset:3072
; %bb.325:                              ;   in Loop: Header=BB123_12 Depth=1
	s_or_b32 exec_lo, exec_lo, s18
	s_lshl_b32 s18, 2, s99
	v_or_b32_e32 v31, s24, v31
	v_and_or_b32 v29, v29, s25, s18
	s_mov_b32 s23, -1
	s_mov_b32 s72, 0
	s_cmp_eq_u64 s[10:11], 0
	s_mov_b32 s20, 0
	s_mov_b32 s21, -1
	s_wait_dscnt 0x0
	s_barrier_signal -1
	s_barrier_wait -1
                                        ; implicit-def: $vgpr32
	s_cbranch_scc1 .LBB123_341
; %bb.326:                              ;   in Loop: Header=BB123_12 Depth=1
	s_add_nc_u64 s[18:19], s[10:11], s[64:65]
	s_delay_alu instid0(SALU_CYCLE_1) | instskip(NEXT) | instid1(SALU_CYCLE_1)
	s_and_b64 s[20:21], s[18:19], 0xffffffff00000000
	s_cmp_lg_u64 s[20:21], 0
	s_cbranch_scc0 .LBB123_382
; %bb.327:                              ;   in Loop: Header=BB123_12 Depth=1
	s_cvt_f32_u32 s20, s48
	s_sub_nc_u64 s[44:45], 0, s[48:49]
	s_delay_alu instid0(SALU_CYCLE_2) | instskip(NEXT) | instid1(SALU_CYCLE_3)
	s_fmamk_f32 s20, s101, 0x0, s20
	v_s_rcp_f32 s20, s20
	s_delay_alu instid0(TRANS32_DEP_1) | instskip(NEXT) | instid1(SALU_CYCLE_3)
	s_mul_f32 s20, s20, 0x5f7ffffc
	s_mul_f32 s21, s20, 0x2f800000
	s_delay_alu instid0(SALU_CYCLE_3) | instskip(NEXT) | instid1(SALU_CYCLE_3)
	s_trunc_f32 s21, s21
	s_fmamk_f32 s20, s21, 0xcf800000, s20
	s_cvt_u32_f32 s21, s21
	s_delay_alu instid0(SALU_CYCLE_2) | instskip(NEXT) | instid1(SALU_CYCLE_3)
	s_cvt_u32_f32 s20, s20
	s_mul_u64 s[46:47], s[44:45], s[20:21]
	s_delay_alu instid0(SALU_CYCLE_1)
	s_mul_hi_u32 s77, s20, s47
	s_mul_i32 s76, s20, s47
	s_mul_hi_u32 s28, s20, s46
	s_mul_i32 s53, s21, s46
	s_add_nc_u64 s[76:77], s[28:29], s[76:77]
	s_mul_hi_u32 s52, s21, s46
	s_mul_hi_u32 s54, s21, s47
	s_add_co_u32 s28, s76, s53
	s_add_co_ci_u32 s28, s77, s52
	s_mul_i32 s46, s21, s47
	s_add_co_ci_u32 s47, s54, 0
	s_delay_alu instid0(SALU_CYCLE_1) | instskip(NEXT) | instid1(SALU_CYCLE_1)
	s_add_nc_u64 s[46:47], s[28:29], s[46:47]
	s_add_co_u32 s20, s20, s46
	s_cselect_b32 s28, -1, 0
	s_delay_alu instid0(SALU_CYCLE_1) | instskip(SKIP_1) | instid1(SALU_CYCLE_1)
	s_cmp_lg_u32 s28, 0
	s_add_co_ci_u32 s21, s21, s47
	s_mul_u64 s[44:45], s[44:45], s[20:21]
	s_delay_alu instid0(SALU_CYCLE_1)
	s_mul_hi_u32 s47, s20, s45
	s_mul_i32 s46, s20, s45
	s_mul_hi_u32 s28, s20, s44
	s_mul_i32 s53, s21, s44
	s_add_nc_u64 s[46:47], s[28:29], s[46:47]
	s_mul_hi_u32 s52, s21, s44
	s_mul_hi_u32 s54, s21, s45
	s_add_co_u32 s28, s46, s53
	s_add_co_ci_u32 s28, s47, s52
	s_mul_i32 s44, s21, s45
	s_add_co_ci_u32 s45, s54, 0
	s_delay_alu instid0(SALU_CYCLE_1) | instskip(NEXT) | instid1(SALU_CYCLE_1)
	s_add_nc_u64 s[44:45], s[28:29], s[44:45]
	s_add_co_u32 s20, s20, s44
	s_cselect_b32 s44, -1, 0
	s_mul_hi_u32 s28, s18, s20
	s_cmp_lg_u32 s44, 0
	s_mul_hi_u32 s46, s19, s20
	s_add_co_ci_u32 s44, s21, s45
	s_mul_i32 s45, s19, s20
	s_mul_hi_u32 s21, s18, s44
	s_mul_i32 s20, s18, s44
	s_mul_hi_u32 s47, s19, s44
	s_add_nc_u64 s[20:21], s[28:29], s[20:21]
	s_mul_i32 s44, s19, s44
	s_add_co_u32 s20, s20, s45
	s_add_co_ci_u32 s28, s21, s46
	s_add_co_ci_u32 s45, s47, 0
	s_delay_alu instid0(SALU_CYCLE_1) | instskip(NEXT) | instid1(SALU_CYCLE_1)
	s_add_nc_u64 s[20:21], s[28:29], s[44:45]
	s_and_b64 s[44:45], s[20:21], 0xffffffff00000000
	s_delay_alu instid0(SALU_CYCLE_1) | instskip(NEXT) | instid1(SALU_CYCLE_1)
	s_or_b32 s44, s44, s20
	s_mul_u64 s[20:21], s[48:49], s[44:45]
	s_delay_alu instid0(SALU_CYCLE_1) | instskip(SKIP_1) | instid1(SALU_CYCLE_1)
	s_sub_co_u32 s20, s18, s20
	s_cselect_b32 s28, -1, 0
	s_cmp_lg_u32 s28, 0
	s_sub_co_ci_u32 s21, s19, s21
	s_sub_co_u32 s28, s20, s48
	s_cselect_b32 s44, -1, 0
	s_delay_alu instid0(SALU_CYCLE_1) | instskip(SKIP_3) | instid1(SALU_CYCLE_1)
	s_cmp_lg_u32 s44, 0
	s_sub_co_ci_u32 s44, s21, 0
	s_sub_co_u32 s45, s28, s48
	s_cselect_b32 s46, -1, 0
	s_cmp_lg_u32 s46, 0
	s_sub_co_ci_u32 s46, s44, 0
	s_cmp_ge_u32 s28, s48
	s_cselect_b32 s47, -1, 0
	s_cmp_eq_u32 s44, 0
	s_cselect_b32 s47, s47, -1
	s_delay_alu instid0(SALU_CYCLE_1)
	s_cmp_lg_u32 s47, 0
	s_cselect_b32 s44, s46, s44
	s_cselect_b32 s28, s45, s28
	s_cmp_ge_u32 s20, s48
	s_cselect_b32 s45, -1, 0
	s_cmp_eq_u32 s21, 0
	s_cselect_b32 s45, s45, -1
	s_delay_alu instid0(SALU_CYCLE_1)
	s_cmp_lg_u32 s45, 0
	s_cselect_b32 s21, s44, s21
	s_cselect_b32 s20, s28, s20
	s_cbranch_execnz .LBB123_329
.LBB123_328:                            ;   in Loop: Header=BB123_12 Depth=1
	v_cvt_f32_u32_e32 v6, s48
	s_sub_co_i32 s21, 0, s48
	s_delay_alu instid0(VALU_DEP_1) | instskip(SKIP_1) | instid1(TRANS32_DEP_1)
	v_rcp_iflag_f32_e32 v6, v6
	v_nop
	v_mul_f32_e32 v6, 0x4f7ffffe, v6
	s_delay_alu instid0(VALU_DEP_1) | instskip(NEXT) | instid1(VALU_DEP_1)
	v_cvt_u32_f32_e32 v6, v6
	v_readfirstlane_b32 s20, v6
	s_mul_i32 s21, s21, s20
	s_delay_alu instid0(SALU_CYCLE_1) | instskip(NEXT) | instid1(SALU_CYCLE_1)
	s_mul_hi_u32 s21, s20, s21
	s_add_co_i32 s20, s20, s21
	s_delay_alu instid0(SALU_CYCLE_1) | instskip(NEXT) | instid1(SALU_CYCLE_1)
	s_mul_hi_u32 s20, s18, s20
	s_mul_i32 s20, s20, s48
	s_delay_alu instid0(SALU_CYCLE_1) | instskip(NEXT) | instid1(SALU_CYCLE_1)
	s_sub_co_i32 s20, s18, s20
	s_sub_co_i32 s21, s20, s48
	s_cmp_ge_u32 s20, s48
	s_cselect_b32 s20, s21, s20
	s_delay_alu instid0(SALU_CYCLE_1) | instskip(SKIP_2) | instid1(SALU_CYCLE_1)
	s_sub_co_i32 s21, s20, s48
	s_cmp_ge_u32 s20, s48
	s_cselect_b32 s28, s21, s20
	s_mov_b64 s[20:21], s[28:29]
.LBB123_329:                            ;   in Loop: Header=BB123_12 Depth=1
	s_delay_alu instid0(SALU_CYCLE_1)
	s_sub_nc_u64 s[18:19], s[18:19], s[20:21]
	s_mov_b32 s21, 0
	s_mov_b32 s20, 0
	s_mov_b32 s28, exec_lo
                                        ; implicit-def: $vgpr32
	v_cmpx_gt_u64_e64 s[18:19], v[0:1]
	s_cbranch_execz .LBB123_340
; %bb.330:                              ;   in Loop: Header=BB123_12 Depth=1
	v_mov_b64_e32 v[6:7], v[0:1]
	v_mov_b32_e32 v8, v0
                                        ; implicit-def: $sgpr44
	s_branch .LBB123_333
.LBB123_331:                            ;   in Loop: Header=BB123_333 Depth=2
	s_or_b32 exec_lo, exec_lo, s45
	s_wait_dscnt 0x0
	s_barrier_signal -1
	s_barrier_wait -1
	ds_load_u16 v9, v3 offset:3072
	s_mov_b32 s45, -1
	s_mov_b32 s46, -1
	s_wait_dscnt 0x0
	s_barrier_signal -1
	s_barrier_wait -1
	v_and_b32_e32 v10, 0xff, v9
	s_delay_alu instid0(VALU_DEP_1)
	v_cmp_ne_u32_e32 vcc_lo, 0, v10
	s_cbranch_vccz .LBB123_336
.LBB123_332:                            ;   in Loop: Header=BB123_333 Depth=2
	s_and_b32 s8, exec_lo, s45
	s_delay_alu instid0(SALU_CYCLE_1) | instskip(SKIP_2) | instid1(SALU_CYCLE_1)
	s_or_b32 s20, s8, s20
	s_and_not1_b32 s8, s44, exec_lo
	s_and_b32 s44, s46, exec_lo
	s_or_b32 s44, s8, s44
	s_and_not1_b32 exec_lo, exec_lo, s20
	s_cbranch_execz .LBB123_339
.LBB123_333:                            ;   Parent Loop BB123_12 Depth=1
                                        ; =>  This Inner Loop Header: Depth=2
	s_mov_b32 s45, exec_lo
	s_delay_alu instid0(VALU_DEP_2)
	v_cmpx_gt_u64_e64 s[10:11], v[6:7]
	s_cbranch_execz .LBB123_331
; %bb.334:                              ;   in Loop: Header=BB123_333 Depth=2
	ds_load_u8 v9, v8
	s_wait_dscnt 0x0
	v_bitop3_b32 v10, v9, 0xff, v31 bitop3:0x80
	s_delay_alu instid0(VALU_DEP_1)
	v_cmp_eq_u32_e32 vcc_lo, v10, v29
	s_and_b32 exec_lo, exec_lo, vcc_lo
	s_cbranch_execz .LBB123_331
; %bb.335:                              ;   in Loop: Header=BB123_333 Depth=2
	v_lshlrev_b16 v9, 8, v9
	s_delay_alu instid0(VALU_DEP_1)
	v_or_b32_e32 v9, 1, v9
	ds_store_b16 v3, v9 offset:3072
	s_branch .LBB123_331
.LBB123_336:                            ;   in Loop: Header=BB123_333 Depth=2
	v_add_nc_u64_e32 v[6:7], s[48:49], v[6:7]
	v_add_nc_u32_e32 v8, s48, v8
	s_mov_b32 s46, 0
	s_delay_alu instid0(VALU_DEP_2)
	v_cmp_le_u64_e32 vcc_lo, s[18:19], v[6:7]
	s_or_not1_b32 s45, vcc_lo, exec_lo
	s_branch .LBB123_332
.LBB123_337:                            ;   in Loop: Header=BB123_12 Depth=1
                                        ; implicit-def: $sgpr22_sgpr23
	s_branch .LBB123_284
.LBB123_338:                            ;   in Loop: Header=BB123_12 Depth=1
                                        ; implicit-def: $sgpr10_sgpr11
	s_branch .LBB123_299
.LBB123_339:                            ;   in Loop: Header=BB123_12 Depth=1
	s_or_b32 exec_lo, exec_lo, s20
	v_and_b32_e32 v6, 0xffff, v9
	s_and_b32 s20, s44, exec_lo
	s_delay_alu instid0(VALU_DEP_1)
	v_lshrrev_b32_e32 v32, 8, v6
.LBB123_340:                            ;   in Loop: Header=BB123_12 Depth=1
	s_or_b32 exec_lo, exec_lo, s28
.LBB123_341:                            ;   in Loop: Header=BB123_12 Depth=1
	s_delay_alu instid0(SALU_CYCLE_1)
	s_and_b32 vcc_lo, exec_lo, s21
	s_cbranch_vccz .LBB123_355
; %bb.342:                              ;   in Loop: Header=BB123_12 Depth=1
	s_and_b64 s[10:11], s[66:67], 0xffffffff00000000
	s_delay_alu instid0(SALU_CYCLE_1)
	s_cmp_lg_u64 s[10:11], 0
	s_cbranch_scc0 .LBB123_383
; %bb.343:                              ;   in Loop: Header=BB123_12 Depth=1
	s_cvt_f32_u32 s10, s48
	s_sub_nc_u64 s[18:19], 0, s[48:49]
	s_delay_alu instid0(SALU_CYCLE_2) | instskip(NEXT) | instid1(SALU_CYCLE_3)
	s_fmamk_f32 s10, s101, 0x0, s10
	v_s_rcp_f32 s10, s10
	s_delay_alu instid0(TRANS32_DEP_1) | instskip(NEXT) | instid1(SALU_CYCLE_3)
	s_mul_f32 s10, s10, 0x5f7ffffc
	s_mul_f32 s11, s10, 0x2f800000
	s_delay_alu instid0(SALU_CYCLE_3) | instskip(NEXT) | instid1(SALU_CYCLE_3)
	s_trunc_f32 s11, s11
	s_fmamk_f32 s10, s11, 0xcf800000, s10
	s_cvt_u32_f32 s11, s11
	s_delay_alu instid0(SALU_CYCLE_2) | instskip(NEXT) | instid1(SALU_CYCLE_3)
	s_cvt_u32_f32 s10, s10
	s_mul_u64 s[44:45], s[18:19], s[10:11]
	s_delay_alu instid0(SALU_CYCLE_1)
	s_mul_hi_u32 s47, s10, s45
	s_mul_i32 s46, s10, s45
	s_mul_hi_u32 s28, s10, s44
	s_mul_i32 s23, s11, s44
	s_add_nc_u64 s[46:47], s[28:29], s[46:47]
	s_mul_hi_u32 s21, s11, s44
	s_mul_hi_u32 s52, s11, s45
	s_add_co_u32 s23, s46, s23
	s_add_co_ci_u32 s28, s47, s21
	s_mul_i32 s44, s11, s45
	s_add_co_ci_u32 s45, s52, 0
	s_delay_alu instid0(SALU_CYCLE_1) | instskip(NEXT) | instid1(SALU_CYCLE_1)
	s_add_nc_u64 s[44:45], s[28:29], s[44:45]
	s_add_co_u32 s10, s10, s44
	s_cselect_b32 s21, -1, 0
	s_delay_alu instid0(SALU_CYCLE_1) | instskip(SKIP_1) | instid1(SALU_CYCLE_1)
	s_cmp_lg_u32 s21, 0
	s_add_co_ci_u32 s11, s11, s45
	s_mul_u64 s[18:19], s[18:19], s[10:11]
	s_delay_alu instid0(SALU_CYCLE_1)
	s_mul_hi_u32 s45, s10, s19
	s_mul_i32 s44, s10, s19
	s_mul_hi_u32 s28, s10, s18
	s_mul_i32 s23, s11, s18
	s_add_nc_u64 s[44:45], s[28:29], s[44:45]
	s_mul_hi_u32 s21, s11, s18
	s_mul_hi_u32 s46, s11, s19
	s_mul_i32 s18, s11, s19
	s_add_co_u32 s19, s44, s23
	s_add_co_ci_u32 s28, s45, s21
	s_add_co_ci_u32 s19, s46, 0
	s_delay_alu instid0(SALU_CYCLE_1) | instskip(NEXT) | instid1(SALU_CYCLE_1)
	s_add_nc_u64 s[18:19], s[28:29], s[18:19]
	s_add_co_u32 s10, s10, s18
	s_cselect_b32 s18, -1, 0
	s_mul_hi_u32 s28, s66, s10
	s_cmp_lg_u32 s18, 0
	s_mul_hi_u32 s21, s67, s10
	s_add_co_ci_u32 s18, s11, s19
	s_mul_i32 s19, s67, s10
	s_mul_hi_u32 s11, s66, s18
	s_mul_i32 s10, s66, s18
	s_mul_hi_u32 s23, s67, s18
	s_add_nc_u64 s[10:11], s[28:29], s[10:11]
	s_mul_i32 s18, s67, s18
	s_add_co_u32 s10, s10, s19
	s_add_co_ci_u32 s28, s11, s21
	s_add_co_ci_u32 s19, s23, 0
	s_delay_alu instid0(SALU_CYCLE_1) | instskip(NEXT) | instid1(SALU_CYCLE_1)
	s_add_nc_u64 s[10:11], s[28:29], s[18:19]
	s_and_b64 s[18:19], s[10:11], 0xffffffff00000000
	s_delay_alu instid0(SALU_CYCLE_1) | instskip(NEXT) | instid1(SALU_CYCLE_1)
	s_or_b32 s18, s18, s10
	s_mul_u64 s[10:11], s[48:49], s[18:19]
	s_delay_alu instid0(SALU_CYCLE_1) | instskip(SKIP_1) | instid1(SALU_CYCLE_1)
	s_sub_co_u32 s10, s66, s10
	s_cselect_b32 s18, -1, 0
	s_cmp_lg_u32 s18, 0
	s_sub_co_ci_u32 s11, s67, s11
	s_sub_co_u32 s18, s10, s48
	s_cselect_b32 s19, -1, 0
	s_delay_alu instid0(SALU_CYCLE_1) | instskip(SKIP_3) | instid1(SALU_CYCLE_1)
	s_cmp_lg_u32 s19, 0
	s_sub_co_ci_u32 s19, s11, 0
	s_sub_co_u32 s21, s18, s48
	s_cselect_b32 s23, -1, 0
	s_cmp_lg_u32 s23, 0
	s_sub_co_ci_u32 s23, s19, 0
	s_cmp_ge_u32 s18, s48
	s_cselect_b32 s28, -1, 0
	s_cmp_eq_u32 s19, 0
	s_cselect_b32 s28, s28, -1
	s_delay_alu instid0(SALU_CYCLE_1)
	s_cmp_lg_u32 s28, 0
	s_cselect_b32 s19, s23, s19
	s_cselect_b32 s18, s21, s18
	s_cmp_ge_u32 s10, s48
	s_cselect_b32 s21, -1, 0
	s_cmp_eq_u32 s11, 0
	s_cselect_b32 s21, s21, -1
	s_delay_alu instid0(SALU_CYCLE_1)
	s_cmp_lg_u32 s21, 0
	s_cselect_b32 s11, s19, s11
	s_cselect_b32 s10, s18, s10
	s_cbranch_execnz .LBB123_345
.LBB123_344:                            ;   in Loop: Header=BB123_12 Depth=1
	v_cvt_f32_u32_e32 v6, s48
	s_sub_co_i32 s11, 0, s48
	s_delay_alu instid0(VALU_DEP_1) | instskip(SKIP_1) | instid1(TRANS32_DEP_1)
	v_rcp_iflag_f32_e32 v6, v6
	v_nop
	v_mul_f32_e32 v6, 0x4f7ffffe, v6
	s_delay_alu instid0(VALU_DEP_1) | instskip(NEXT) | instid1(VALU_DEP_1)
	v_cvt_u32_f32_e32 v6, v6
	v_readfirstlane_b32 s10, v6
	s_mul_i32 s11, s11, s10
	s_delay_alu instid0(SALU_CYCLE_1) | instskip(NEXT) | instid1(SALU_CYCLE_1)
	s_mul_hi_u32 s11, s10, s11
	s_add_co_i32 s10, s10, s11
	s_delay_alu instid0(SALU_CYCLE_1) | instskip(NEXT) | instid1(SALU_CYCLE_1)
	s_mul_hi_u32 s10, s66, s10
	s_mul_i32 s10, s10, s48
	s_delay_alu instid0(SALU_CYCLE_1) | instskip(NEXT) | instid1(SALU_CYCLE_1)
	s_sub_co_i32 s10, s66, s10
	s_sub_co_i32 s11, s10, s48
	s_cmp_ge_u32 s10, s48
	s_cselect_b32 s10, s11, s10
	s_delay_alu instid0(SALU_CYCLE_1) | instskip(SKIP_2) | instid1(SALU_CYCLE_1)
	s_sub_co_i32 s11, s10, s48
	s_cmp_ge_u32 s10, s48
	s_cselect_b32 s28, s11, s10
	s_mov_b64 s[10:11], s[28:29]
.LBB123_345:                            ;   in Loop: Header=BB123_12 Depth=1
	s_delay_alu instid0(SALU_CYCLE_1)
	s_sub_nc_u64 s[10:11], s[66:67], s[10:11]
	s_mov_b32 s18, exec_lo
                                        ; implicit-def: $vgpr32
	v_nop
	v_cmpx_gt_u64_e64 s[10:11], v[0:1]
	s_cbranch_execz .LBB123_354
; %bb.346:                              ;   in Loop: Header=BB123_12 Depth=1
	v_mov_b64_e32 v[6:7], v[0:1]
	s_mov_b32 s19, 0
                                        ; implicit-def: $sgpr21
	s_branch .LBB123_349
.LBB123_347:                            ;   in Loop: Header=BB123_349 Depth=2
	s_or_b32 exec_lo, exec_lo, s23
	s_wait_dscnt 0x0
	s_barrier_signal -1
	s_barrier_wait -1
	ds_load_u16 v8, v3 offset:3072
	s_mov_b32 s28, -1
	s_mov_b32 s23, -1
	s_wait_dscnt 0x0
	s_barrier_signal -1
	s_barrier_wait -1
	v_and_b32_e32 v9, 0xff, v8
	s_delay_alu instid0(VALU_DEP_1)
	v_cmp_eq_u32_e32 vcc_lo, 0, v9
	s_cbranch_vccnz .LBB123_352
.LBB123_348:                            ;   in Loop: Header=BB123_349 Depth=2
	s_and_b32 s8, exec_lo, s28
	s_delay_alu instid0(SALU_CYCLE_1) | instskip(SKIP_2) | instid1(SALU_CYCLE_1)
	s_or_b32 s19, s8, s19
	s_and_not1_b32 s8, s21, exec_lo
	s_and_b32 s21, s23, exec_lo
	s_or_b32 s21, s8, s21
	s_and_not1_b32 exec_lo, exec_lo, s19
	s_cbranch_execz .LBB123_353
.LBB123_349:                            ;   Parent Loop BB123_12 Depth=1
                                        ; =>  This Inner Loop Header: Depth=2
	s_mov_b32 s23, exec_lo
	s_delay_alu instid0(VALU_DEP_1)
	v_cmpx_gt_u64_e64 s[36:37], v[6:7]
	s_cbranch_execz .LBB123_347
; %bb.350:                              ;   in Loop: Header=BB123_349 Depth=2
	v_mad_nc_u64_u32 v[8:9], v6, s30, s[34:35]
	s_delay_alu instid0(VALU_DEP_1) | instskip(NEXT) | instid1(VALU_DEP_1)
	v_mad_u32 v9, v7, s30, v9
	v_mad_u32 v9, v6, s31, v9
	global_load_u8 v8, v[8:9], off
	s_wait_loadcnt 0x0
	v_bitop3_b32 v9, v8, 0xff, v31 bitop3:0x80
	s_delay_alu instid0(VALU_DEP_1)
	v_cmp_eq_u32_e32 vcc_lo, v9, v29
	s_and_b32 exec_lo, exec_lo, vcc_lo
	s_cbranch_execz .LBB123_347
; %bb.351:                              ;   in Loop: Header=BB123_349 Depth=2
	v_lshlrev_b16 v8, 8, v8
	s_delay_alu instid0(VALU_DEP_1)
	v_or_b32_e32 v8, 1, v8
	ds_store_b16 v3, v8 offset:3072
	s_branch .LBB123_347
.LBB123_352:                            ;   in Loop: Header=BB123_349 Depth=2
	v_add_nc_u64_e32 v[6:7], s[48:49], v[6:7]
	s_mov_b32 s23, 0
	s_delay_alu instid0(VALU_DEP_1)
	v_cmp_le_u64_e32 vcc_lo, s[10:11], v[6:7]
	s_or_not1_b32 s28, vcc_lo, exec_lo
	s_branch .LBB123_348
.LBB123_353:                            ;   in Loop: Header=BB123_12 Depth=1
	s_or_b32 exec_lo, exec_lo, s19
	v_and_b32_e32 v6, 0xffff, v8
	s_and_not1_b32 s8, s20, exec_lo
	s_and_b32 s10, s21, exec_lo
	s_delay_alu instid0(SALU_CYCLE_1) | instskip(NEXT) | instid1(VALU_DEP_1)
	s_or_b32 s20, s8, s10
	v_lshrrev_b32_e32 v32, 8, v6
.LBB123_354:                            ;   in Loop: Header=BB123_12 Depth=1
	s_or_b32 exec_lo, exec_lo, s18
	s_mov_b32 s23, 0
	s_mov_b32 s72, -1
.LBB123_355:                            ;   in Loop: Header=BB123_12 Depth=1
	s_or_not1_b32 s10, s20, exec_lo
.LBB123_356:                            ;   in Loop: Header=BB123_12 Depth=1
	s_or_b32 exec_lo, exec_lo, s75
	s_mov_b32 s11, 0
	s_and_saveexec_b32 s20, s10
	s_cbranch_execz .LBB123_465
; %bb.357:                              ;   in Loop: Header=BB123_12 Depth=1
	v_mov_b64_e32 v[6:7], 1
	v_mov_b32_e32 v2, 1
	s_xor_b32 s18, s73, -1
	s_delay_alu instid0(SALU_CYCLE_1)
	s_and_saveexec_b32 s10, s18
	s_cbranch_execz .LBB123_366
; %bb.358:                              ;   in Loop: Header=BB123_12 Depth=1
	s_mov_b32 s11, exec_lo
	v_cmpx_ge_u64_e64 s[16:17], v[4:5]
	s_xor_b32 s11, exec_lo, s11
	s_cbranch_execz .LBB123_363
; %bb.359:                              ;   in Loop: Header=BB123_12 Depth=1
	ds_load_b64 v[6:7], v3 offset:5120
	s_lshl_b32 s18, 2, s99
	v_or_b32_e32 v31, s24, v31
	v_and_or_b32 v29, v29, s25, s18
	s_wait_dscnt 0x0
	v_cmp_ne_u64_e32 vcc_lo, 0, v[6:7]
	s_cbranch_vccnz .LBB123_363
; %bb.360:                              ;   in Loop: Header=BB123_12 Depth=1
	s_and_saveexec_b32 s18, s5
; %bb.361:                              ;   in Loop: Header=BB123_12 Depth=1
	v_mov_b64_e32 v[6:7], s[16:17]
	ds_store_b64 v3, v[6:7] offset:5128
; %bb.362:                              ;   in Loop: Header=BB123_12 Depth=1
	s_or_b32 exec_lo, exec_lo, s18
	s_wait_dscnt 0x0
	s_barrier_signal -1
	s_barrier_wait -1
.LBB123_363:                            ;   in Loop: Header=BB123_12 Depth=1
	s_or_saveexec_b32 s11, s11
	v_mov_b32_e32 v2, 5
	s_mov_b32 s18, 0
	s_xor_b32 exec_lo, exec_lo, s11
; %bb.364:                              ;   in Loop: Header=BB123_12 Depth=1
	v_sub_nc_u64_e64 v[4:5], v[4:5], s[16:17]
	v_mov_b32_e32 v2, 0
	s_mov_b32 s18, exec_lo
; %bb.365:                              ;   in Loop: Header=BB123_12 Depth=1
	s_or_b32 exec_lo, exec_lo, s11
	s_delay_alu instid0(VALU_DEP_2)
	v_mov_b64_e32 v[6:7], v[4:5]
	s_and_b32 s11, s18, exec_lo
.LBB123_366:                            ;   in Loop: Header=BB123_12 Depth=1
	s_or_b32 exec_lo, exec_lo, s10
	s_mov_b32 s10, -1
                                        ; implicit-def: $sgpr73
                                        ; implicit-def: $sgpr75
	s_and_saveexec_b32 s21, s11
	s_cbranch_execz .LBB123_464
; %bb.367:                              ;   in Loop: Header=BB123_12 Depth=1
	s_delay_alu instid0(VALU_DEP_1) | instskip(SKIP_2) | instid1(SALU_CYCLE_1)
	v_cmp_eq_u64_e32 vcc_lo, 1, v[6:7]
	s_cmp_eq_u64 s[14:15], 1
                                        ; implicit-def: $sgpr75
                                        ; implicit-def: $sgpr73
	s_cselect_b32 s10, -1, 0
	s_and_b32 s76, s10, vcc_lo
	s_mov_b32 s10, -1
	s_and_saveexec_b32 s77, s76
	s_cbranch_execz .LBB123_401
; %bb.368:                              ;   in Loop: Header=BB123_12 Depth=1
	ds_load_b64 v[4:5], v3 offset:5120
	s_wait_dscnt 0x0
	s_barrier_signal -1
	s_barrier_wait -1
	v_readfirstlane_b32 s10, v4
	v_readfirstlane_b32 s11, v5
	s_and_saveexec_b32 s16, s6
; %bb.369:                              ;   in Loop: Header=BB123_12 Depth=1
	ds_store_b8 v0, v3 offset:3072
; %bb.370:                              ;   in Loop: Header=BB123_12 Depth=1
	s_or_b32 exec_lo, exec_lo, s16
	s_lshl_b32 s16, 1, s99
	v_or_b32_e32 v31, s24, v31
	v_and_or_b32 v29, v29, s25, s16
	s_mov_b32 s73, -1
	s_mov_b32 s75, 0
	s_cmp_eq_u64 s[10:11], 0
	s_mov_b32 s18, 0
	s_mov_b32 s19, -1
	s_wait_dscnt 0x0
	s_barrier_signal -1
	s_barrier_wait -1
                                        ; implicit-def: $vgpr32
	s_cbranch_scc1 .LBB123_386
; %bb.371:                              ;   in Loop: Header=BB123_12 Depth=1
	s_add_nc_u64 s[16:17], s[10:11], s[64:65]
	s_delay_alu instid0(SALU_CYCLE_1) | instskip(NEXT) | instid1(SALU_CYCLE_1)
	s_and_b64 s[18:19], s[16:17], 0xffffffff00000000
	s_cmp_lg_u64 s[18:19], 0
	s_cbranch_scc0 .LBB123_418
; %bb.372:                              ;   in Loop: Header=BB123_12 Depth=1
	s_cvt_f32_u32 s18, s48
	s_sub_nc_u64 s[44:45], 0, s[48:49]
	s_delay_alu instid0(SALU_CYCLE_2) | instskip(NEXT) | instid1(SALU_CYCLE_3)
	s_fmamk_f32 s18, s101, 0x0, s18
	v_s_rcp_f32 s18, s18
	s_delay_alu instid0(TRANS32_DEP_1) | instskip(NEXT) | instid1(SALU_CYCLE_3)
	s_mul_f32 s18, s18, 0x5f7ffffc
	s_mul_f32 s19, s18, 0x2f800000
	s_delay_alu instid0(SALU_CYCLE_3) | instskip(NEXT) | instid1(SALU_CYCLE_3)
	s_trunc_f32 s19, s19
	s_fmamk_f32 s18, s19, 0xcf800000, s18
	s_cvt_u32_f32 s19, s19
	s_delay_alu instid0(SALU_CYCLE_2) | instskip(NEXT) | instid1(SALU_CYCLE_3)
	s_cvt_u32_f32 s18, s18
	s_mul_u64 s[46:47], s[44:45], s[18:19]
	s_delay_alu instid0(SALU_CYCLE_1)
	s_mul_hi_u32 s79, s18, s47
	s_mul_i32 s78, s18, s47
	s_mul_hi_u32 s28, s18, s46
	s_mul_i32 s53, s19, s46
	s_add_nc_u64 s[78:79], s[28:29], s[78:79]
	s_mul_hi_u32 s52, s19, s46
	s_mul_hi_u32 s54, s19, s47
	s_add_co_u32 s28, s78, s53
	s_add_co_ci_u32 s28, s79, s52
	s_mul_i32 s46, s19, s47
	s_add_co_ci_u32 s47, s54, 0
	s_delay_alu instid0(SALU_CYCLE_1) | instskip(NEXT) | instid1(SALU_CYCLE_1)
	s_add_nc_u64 s[46:47], s[28:29], s[46:47]
	s_add_co_u32 s18, s18, s46
	s_cselect_b32 s28, -1, 0
	s_delay_alu instid0(SALU_CYCLE_1) | instskip(SKIP_1) | instid1(SALU_CYCLE_1)
	s_cmp_lg_u32 s28, 0
	s_add_co_ci_u32 s19, s19, s47
	s_mul_u64 s[44:45], s[44:45], s[18:19]
	s_delay_alu instid0(SALU_CYCLE_1)
	s_mul_hi_u32 s47, s18, s45
	s_mul_i32 s46, s18, s45
	s_mul_hi_u32 s28, s18, s44
	s_mul_i32 s53, s19, s44
	s_add_nc_u64 s[46:47], s[28:29], s[46:47]
	s_mul_hi_u32 s52, s19, s44
	s_mul_hi_u32 s54, s19, s45
	s_add_co_u32 s28, s46, s53
	s_add_co_ci_u32 s28, s47, s52
	s_mul_i32 s44, s19, s45
	s_add_co_ci_u32 s45, s54, 0
	s_delay_alu instid0(SALU_CYCLE_1) | instskip(NEXT) | instid1(SALU_CYCLE_1)
	s_add_nc_u64 s[44:45], s[28:29], s[44:45]
	s_add_co_u32 s18, s18, s44
	s_cselect_b32 s44, -1, 0
	s_mul_hi_u32 s28, s16, s18
	s_cmp_lg_u32 s44, 0
	s_mul_hi_u32 s46, s17, s18
	s_add_co_ci_u32 s44, s19, s45
	s_mul_i32 s45, s17, s18
	s_mul_hi_u32 s19, s16, s44
	s_mul_i32 s18, s16, s44
	s_mul_hi_u32 s47, s17, s44
	s_add_nc_u64 s[18:19], s[28:29], s[18:19]
	s_mul_i32 s44, s17, s44
	s_add_co_u32 s18, s18, s45
	s_add_co_ci_u32 s28, s19, s46
	s_add_co_ci_u32 s45, s47, 0
	s_delay_alu instid0(SALU_CYCLE_1) | instskip(NEXT) | instid1(SALU_CYCLE_1)
	s_add_nc_u64 s[18:19], s[28:29], s[44:45]
	s_and_b64 s[44:45], s[18:19], 0xffffffff00000000
	s_delay_alu instid0(SALU_CYCLE_1) | instskip(NEXT) | instid1(SALU_CYCLE_1)
	s_or_b32 s44, s44, s18
	s_mul_u64 s[18:19], s[48:49], s[44:45]
	s_delay_alu instid0(SALU_CYCLE_1) | instskip(SKIP_1) | instid1(SALU_CYCLE_1)
	s_sub_co_u32 s18, s16, s18
	s_cselect_b32 s28, -1, 0
	s_cmp_lg_u32 s28, 0
	s_sub_co_ci_u32 s19, s17, s19
	s_sub_co_u32 s28, s18, s48
	s_cselect_b32 s44, -1, 0
	s_delay_alu instid0(SALU_CYCLE_1) | instskip(SKIP_3) | instid1(SALU_CYCLE_1)
	s_cmp_lg_u32 s44, 0
	s_sub_co_ci_u32 s44, s19, 0
	s_sub_co_u32 s45, s28, s48
	s_cselect_b32 s46, -1, 0
	s_cmp_lg_u32 s46, 0
	s_sub_co_ci_u32 s46, s44, 0
	s_cmp_ge_u32 s28, s48
	s_cselect_b32 s47, -1, 0
	s_cmp_eq_u32 s44, 0
	s_cselect_b32 s47, s47, -1
	s_delay_alu instid0(SALU_CYCLE_1)
	s_cmp_lg_u32 s47, 0
	s_cselect_b32 s44, s46, s44
	s_cselect_b32 s28, s45, s28
	s_cmp_ge_u32 s18, s48
	s_cselect_b32 s45, -1, 0
	s_cmp_eq_u32 s19, 0
	s_cselect_b32 s45, s45, -1
	s_delay_alu instid0(SALU_CYCLE_1)
	s_cmp_lg_u32 s45, 0
	s_cselect_b32 s19, s44, s19
	s_cselect_b32 s18, s28, s18
	s_cbranch_execnz .LBB123_374
.LBB123_373:                            ;   in Loop: Header=BB123_12 Depth=1
	v_cvt_f32_u32_e32 v4, s48
	s_sub_co_i32 s19, 0, s48
	s_delay_alu instid0(VALU_DEP_1) | instskip(SKIP_1) | instid1(TRANS32_DEP_1)
	v_rcp_iflag_f32_e32 v4, v4
	v_nop
	v_mul_f32_e32 v4, 0x4f7ffffe, v4
	s_delay_alu instid0(VALU_DEP_1) | instskip(NEXT) | instid1(VALU_DEP_1)
	v_cvt_u32_f32_e32 v4, v4
	v_readfirstlane_b32 s18, v4
	s_mul_i32 s19, s19, s18
	s_delay_alu instid0(SALU_CYCLE_1) | instskip(NEXT) | instid1(SALU_CYCLE_1)
	s_mul_hi_u32 s19, s18, s19
	s_add_co_i32 s18, s18, s19
	s_delay_alu instid0(SALU_CYCLE_1) | instskip(NEXT) | instid1(SALU_CYCLE_1)
	s_mul_hi_u32 s18, s16, s18
	s_mul_i32 s18, s18, s48
	s_delay_alu instid0(SALU_CYCLE_1) | instskip(NEXT) | instid1(SALU_CYCLE_1)
	s_sub_co_i32 s18, s16, s18
	s_sub_co_i32 s19, s18, s48
	s_cmp_ge_u32 s18, s48
	s_cselect_b32 s18, s19, s18
	s_delay_alu instid0(SALU_CYCLE_1) | instskip(SKIP_2) | instid1(SALU_CYCLE_1)
	s_sub_co_i32 s19, s18, s48
	s_cmp_ge_u32 s18, s48
	s_cselect_b32 s28, s19, s18
	s_mov_b64 s[18:19], s[28:29]
.LBB123_374:                            ;   in Loop: Header=BB123_12 Depth=1
	s_delay_alu instid0(SALU_CYCLE_1)
	s_sub_nc_u64 s[16:17], s[16:17], s[18:19]
	s_mov_b32 s19, 0
	s_mov_b32 s18, 0
	s_mov_b32 s28, exec_lo
                                        ; implicit-def: $vgpr32
	v_cmpx_gt_u64_e64 s[16:17], v[0:1]
	s_cbranch_execz .LBB123_385
; %bb.375:                              ;   in Loop: Header=BB123_12 Depth=1
	v_mov_b64_e32 v[4:5], v[0:1]
	v_mov_b32_e32 v8, v0
                                        ; implicit-def: $sgpr44
	s_branch .LBB123_378
.LBB123_376:                            ;   in Loop: Header=BB123_378 Depth=2
	s_or_b32 exec_lo, exec_lo, s45
	s_wait_dscnt 0x0
	s_barrier_signal -1
	s_barrier_wait -1
	ds_load_u16 v9, v3 offset:3072
	s_mov_b32 s45, -1
	s_mov_b32 s46, -1
	s_wait_dscnt 0x0
	s_barrier_signal -1
	s_barrier_wait -1
	v_and_b32_e32 v10, 0xff, v9
	s_delay_alu instid0(VALU_DEP_1)
	v_cmp_ne_u32_e32 vcc_lo, 0, v10
	s_cbranch_vccz .LBB123_381
.LBB123_377:                            ;   in Loop: Header=BB123_378 Depth=2
	s_and_b32 s8, exec_lo, s45
	s_delay_alu instid0(SALU_CYCLE_1) | instskip(SKIP_2) | instid1(SALU_CYCLE_1)
	s_or_b32 s18, s8, s18
	s_and_not1_b32 s8, s44, exec_lo
	s_and_b32 s44, s46, exec_lo
	s_or_b32 s44, s8, s44
	s_and_not1_b32 exec_lo, exec_lo, s18
	s_cbranch_execz .LBB123_384
.LBB123_378:                            ;   Parent Loop BB123_12 Depth=1
                                        ; =>  This Inner Loop Header: Depth=2
	s_mov_b32 s45, exec_lo
	s_delay_alu instid0(VALU_DEP_2)
	v_cmpx_gt_u64_e64 s[10:11], v[4:5]
	s_cbranch_execz .LBB123_376
; %bb.379:                              ;   in Loop: Header=BB123_378 Depth=2
	ds_load_u8 v9, v8
	s_wait_dscnt 0x0
	v_bitop3_b32 v10, v9, 0xff, v31 bitop3:0x80
	s_delay_alu instid0(VALU_DEP_1)
	v_cmp_eq_u32_e32 vcc_lo, v10, v29
	s_and_b32 exec_lo, exec_lo, vcc_lo
	s_cbranch_execz .LBB123_376
; %bb.380:                              ;   in Loop: Header=BB123_378 Depth=2
	v_lshlrev_b16 v9, 8, v9
	s_delay_alu instid0(VALU_DEP_1)
	v_or_b32_e32 v9, 1, v9
	ds_store_b16 v3, v9 offset:3072
	s_branch .LBB123_376
.LBB123_381:                            ;   in Loop: Header=BB123_378 Depth=2
	v_add_nc_u64_e32 v[4:5], s[48:49], v[4:5]
	v_add_nc_u32_e32 v8, s48, v8
	s_mov_b32 s46, 0
	s_delay_alu instid0(VALU_DEP_2)
	v_cmp_le_u64_e32 vcc_lo, s[16:17], v[4:5]
	s_or_not1_b32 s45, vcc_lo, exec_lo
	s_branch .LBB123_377
.LBB123_382:                            ;   in Loop: Header=BB123_12 Depth=1
                                        ; implicit-def: $sgpr20_sgpr21
	s_branch .LBB123_328
.LBB123_383:                            ;   in Loop: Header=BB123_12 Depth=1
                                        ; implicit-def: $sgpr10_sgpr11
	s_branch .LBB123_344
.LBB123_384:                            ;   in Loop: Header=BB123_12 Depth=1
	s_or_b32 exec_lo, exec_lo, s18
	v_and_b32_e32 v4, 0xffff, v9
	s_and_b32 s18, s44, exec_lo
	s_delay_alu instid0(VALU_DEP_1)
	v_lshrrev_b32_e32 v32, 8, v4
.LBB123_385:                            ;   in Loop: Header=BB123_12 Depth=1
	s_or_b32 exec_lo, exec_lo, s28
.LBB123_386:                            ;   in Loop: Header=BB123_12 Depth=1
	s_delay_alu instid0(SALU_CYCLE_1)
	s_and_b32 vcc_lo, exec_lo, s19
	s_cbranch_vccz .LBB123_400
; %bb.387:                              ;   in Loop: Header=BB123_12 Depth=1
	s_and_b64 s[10:11], s[66:67], 0xffffffff00000000
	s_delay_alu instid0(SALU_CYCLE_1)
	s_cmp_lg_u64 s[10:11], 0
	s_cbranch_scc0 .LBB123_419
; %bb.388:                              ;   in Loop: Header=BB123_12 Depth=1
	s_cvt_f32_u32 s10, s48
	s_sub_nc_u64 s[16:17], 0, s[48:49]
	s_delay_alu instid0(SALU_CYCLE_2) | instskip(NEXT) | instid1(SALU_CYCLE_3)
	s_fmamk_f32 s10, s101, 0x0, s10
	v_s_rcp_f32 s10, s10
	s_delay_alu instid0(TRANS32_DEP_1) | instskip(NEXT) | instid1(SALU_CYCLE_3)
	s_mul_f32 s10, s10, 0x5f7ffffc
	s_mul_f32 s11, s10, 0x2f800000
	s_delay_alu instid0(SALU_CYCLE_3) | instskip(NEXT) | instid1(SALU_CYCLE_3)
	s_trunc_f32 s11, s11
	s_fmamk_f32 s10, s11, 0xcf800000, s10
	s_cvt_u32_f32 s11, s11
	s_delay_alu instid0(SALU_CYCLE_2) | instskip(NEXT) | instid1(SALU_CYCLE_3)
	s_cvt_u32_f32 s10, s10
	s_mul_u64 s[44:45], s[16:17], s[10:11]
	s_delay_alu instid0(SALU_CYCLE_1)
	s_mul_hi_u32 s47, s10, s45
	s_mul_i32 s46, s10, s45
	s_mul_hi_u32 s28, s10, s44
	s_mul_i32 s52, s11, s44
	s_add_nc_u64 s[46:47], s[28:29], s[46:47]
	s_mul_hi_u32 s19, s11, s44
	s_mul_hi_u32 s53, s11, s45
	s_add_co_u32 s28, s46, s52
	s_add_co_ci_u32 s28, s47, s19
	s_mul_i32 s44, s11, s45
	s_add_co_ci_u32 s45, s53, 0
	s_delay_alu instid0(SALU_CYCLE_1) | instskip(NEXT) | instid1(SALU_CYCLE_1)
	s_add_nc_u64 s[44:45], s[28:29], s[44:45]
	s_add_co_u32 s10, s10, s44
	s_cselect_b32 s19, -1, 0
	s_delay_alu instid0(SALU_CYCLE_1) | instskip(SKIP_1) | instid1(SALU_CYCLE_1)
	s_cmp_lg_u32 s19, 0
	s_add_co_ci_u32 s11, s11, s45
	s_mul_u64 s[16:17], s[16:17], s[10:11]
	s_delay_alu instid0(SALU_CYCLE_1)
	s_mul_hi_u32 s45, s10, s17
	s_mul_i32 s44, s10, s17
	s_mul_hi_u32 s28, s10, s16
	s_mul_i32 s46, s11, s16
	s_add_nc_u64 s[44:45], s[28:29], s[44:45]
	s_mul_hi_u32 s19, s11, s16
	s_mul_hi_u32 s47, s11, s17
	s_mul_i32 s16, s11, s17
	s_add_co_u32 s17, s44, s46
	s_add_co_ci_u32 s28, s45, s19
	s_add_co_ci_u32 s17, s47, 0
	s_delay_alu instid0(SALU_CYCLE_1) | instskip(NEXT) | instid1(SALU_CYCLE_1)
	s_add_nc_u64 s[16:17], s[28:29], s[16:17]
	s_add_co_u32 s10, s10, s16
	s_cselect_b32 s16, -1, 0
	s_mul_hi_u32 s28, s66, s10
	s_cmp_lg_u32 s16, 0
	s_mul_hi_u32 s19, s67, s10
	s_add_co_ci_u32 s16, s11, s17
	s_mul_i32 s17, s67, s10
	s_mul_hi_u32 s11, s66, s16
	s_mul_i32 s10, s66, s16
	s_mul_hi_u32 s44, s67, s16
	s_add_nc_u64 s[10:11], s[28:29], s[10:11]
	s_mul_i32 s16, s67, s16
	s_add_co_u32 s10, s10, s17
	s_add_co_ci_u32 s28, s11, s19
	s_add_co_ci_u32 s17, s44, 0
	s_delay_alu instid0(SALU_CYCLE_1) | instskip(NEXT) | instid1(SALU_CYCLE_1)
	s_add_nc_u64 s[10:11], s[28:29], s[16:17]
	s_and_b64 s[16:17], s[10:11], 0xffffffff00000000
	s_delay_alu instid0(SALU_CYCLE_1) | instskip(NEXT) | instid1(SALU_CYCLE_1)
	s_or_b32 s16, s16, s10
	s_mul_u64 s[10:11], s[48:49], s[16:17]
	s_delay_alu instid0(SALU_CYCLE_1) | instskip(SKIP_1) | instid1(SALU_CYCLE_1)
	s_sub_co_u32 s10, s66, s10
	s_cselect_b32 s16, -1, 0
	s_cmp_lg_u32 s16, 0
	s_sub_co_ci_u32 s11, s67, s11
	s_sub_co_u32 s16, s10, s48
	s_cselect_b32 s17, -1, 0
	s_delay_alu instid0(SALU_CYCLE_1) | instskip(SKIP_3) | instid1(SALU_CYCLE_1)
	s_cmp_lg_u32 s17, 0
	s_sub_co_ci_u32 s17, s11, 0
	s_sub_co_u32 s19, s16, s48
	s_cselect_b32 s28, -1, 0
	s_cmp_lg_u32 s28, 0
	s_sub_co_ci_u32 s28, s17, 0
	s_cmp_ge_u32 s16, s48
	s_cselect_b32 s44, -1, 0
	s_cmp_eq_u32 s17, 0
	s_cselect_b32 s44, s44, -1
	s_delay_alu instid0(SALU_CYCLE_1)
	s_cmp_lg_u32 s44, 0
	s_cselect_b32 s17, s28, s17
	s_cselect_b32 s16, s19, s16
	s_cmp_ge_u32 s10, s48
	s_cselect_b32 s19, -1, 0
	s_cmp_eq_u32 s11, 0
	s_cselect_b32 s19, s19, -1
	s_delay_alu instid0(SALU_CYCLE_1)
	s_cmp_lg_u32 s19, 0
	s_cselect_b32 s11, s17, s11
	s_cselect_b32 s10, s16, s10
	s_cbranch_execnz .LBB123_390
.LBB123_389:                            ;   in Loop: Header=BB123_12 Depth=1
	v_cvt_f32_u32_e32 v4, s48
	s_sub_co_i32 s11, 0, s48
	s_delay_alu instid0(VALU_DEP_1) | instskip(SKIP_1) | instid1(TRANS32_DEP_1)
	v_rcp_iflag_f32_e32 v4, v4
	v_nop
	v_mul_f32_e32 v4, 0x4f7ffffe, v4
	s_delay_alu instid0(VALU_DEP_1) | instskip(NEXT) | instid1(VALU_DEP_1)
	v_cvt_u32_f32_e32 v4, v4
	v_readfirstlane_b32 s10, v4
	s_mul_i32 s11, s11, s10
	s_delay_alu instid0(SALU_CYCLE_1) | instskip(NEXT) | instid1(SALU_CYCLE_1)
	s_mul_hi_u32 s11, s10, s11
	s_add_co_i32 s10, s10, s11
	s_delay_alu instid0(SALU_CYCLE_1) | instskip(NEXT) | instid1(SALU_CYCLE_1)
	s_mul_hi_u32 s10, s66, s10
	s_mul_i32 s10, s10, s48
	s_delay_alu instid0(SALU_CYCLE_1) | instskip(NEXT) | instid1(SALU_CYCLE_1)
	s_sub_co_i32 s10, s66, s10
	s_sub_co_i32 s11, s10, s48
	s_cmp_ge_u32 s10, s48
	s_cselect_b32 s10, s11, s10
	s_delay_alu instid0(SALU_CYCLE_1) | instskip(SKIP_2) | instid1(SALU_CYCLE_1)
	s_sub_co_i32 s11, s10, s48
	s_cmp_ge_u32 s10, s48
	s_cselect_b32 s28, s11, s10
	s_mov_b64 s[10:11], s[28:29]
.LBB123_390:                            ;   in Loop: Header=BB123_12 Depth=1
	s_delay_alu instid0(SALU_CYCLE_1)
	s_sub_nc_u64 s[10:11], s[66:67], s[10:11]
	s_mov_b32 s16, exec_lo
                                        ; implicit-def: $vgpr32
	v_nop
	v_cmpx_gt_u64_e64 s[10:11], v[0:1]
	s_cbranch_execz .LBB123_399
; %bb.391:                              ;   in Loop: Header=BB123_12 Depth=1
	v_mov_b64_e32 v[4:5], v[0:1]
	s_mov_b32 s17, 0
                                        ; implicit-def: $sgpr19
	s_branch .LBB123_394
.LBB123_392:                            ;   in Loop: Header=BB123_394 Depth=2
	s_or_b32 exec_lo, exec_lo, s28
	s_wait_dscnt 0x0
	s_barrier_signal -1
	s_barrier_wait -1
	ds_load_u16 v8, v3 offset:3072
	s_mov_b32 s44, -1
	s_mov_b32 s28, -1
	s_wait_dscnt 0x0
	s_barrier_signal -1
	s_barrier_wait -1
	v_and_b32_e32 v9, 0xff, v8
	s_delay_alu instid0(VALU_DEP_1)
	v_cmp_eq_u32_e32 vcc_lo, 0, v9
	s_cbranch_vccnz .LBB123_397
.LBB123_393:                            ;   in Loop: Header=BB123_394 Depth=2
	s_and_b32 s8, exec_lo, s44
	s_delay_alu instid0(SALU_CYCLE_1) | instskip(SKIP_2) | instid1(SALU_CYCLE_1)
	s_or_b32 s17, s8, s17
	s_and_not1_b32 s8, s19, exec_lo
	s_and_b32 s19, s28, exec_lo
	s_or_b32 s19, s8, s19
	s_and_not1_b32 exec_lo, exec_lo, s17
	s_cbranch_execz .LBB123_398
.LBB123_394:                            ;   Parent Loop BB123_12 Depth=1
                                        ; =>  This Inner Loop Header: Depth=2
	s_mov_b32 s28, exec_lo
	s_delay_alu instid0(VALU_DEP_1)
	v_cmpx_gt_u64_e64 s[36:37], v[4:5]
	s_cbranch_execz .LBB123_392
; %bb.395:                              ;   in Loop: Header=BB123_394 Depth=2
	v_mad_nc_u64_u32 v[8:9], v4, s30, s[34:35]
	s_delay_alu instid0(VALU_DEP_1) | instskip(NEXT) | instid1(VALU_DEP_1)
	v_mad_u32 v9, v5, s30, v9
	v_mad_u32 v9, v4, s31, v9
	global_load_u8 v8, v[8:9], off
	s_wait_loadcnt 0x0
	v_bitop3_b32 v9, v8, 0xff, v31 bitop3:0x80
	s_delay_alu instid0(VALU_DEP_1)
	v_cmp_eq_u32_e32 vcc_lo, v9, v29
	s_and_b32 exec_lo, exec_lo, vcc_lo
	s_cbranch_execz .LBB123_392
; %bb.396:                              ;   in Loop: Header=BB123_394 Depth=2
	v_lshlrev_b16 v8, 8, v8
	s_delay_alu instid0(VALU_DEP_1)
	v_or_b32_e32 v8, 1, v8
	ds_store_b16 v3, v8 offset:3072
	s_branch .LBB123_392
.LBB123_397:                            ;   in Loop: Header=BB123_394 Depth=2
	v_add_nc_u64_e32 v[4:5], s[48:49], v[4:5]
	s_mov_b32 s28, 0
	s_delay_alu instid0(VALU_DEP_1)
	v_cmp_le_u64_e32 vcc_lo, s[10:11], v[4:5]
	s_or_not1_b32 s44, vcc_lo, exec_lo
	s_branch .LBB123_393
.LBB123_398:                            ;   in Loop: Header=BB123_12 Depth=1
	s_or_b32 exec_lo, exec_lo, s17
	v_and_b32_e32 v4, 0xffff, v8
	s_and_not1_b32 s8, s18, exec_lo
	s_and_b32 s10, s19, exec_lo
	s_delay_alu instid0(SALU_CYCLE_1) | instskip(NEXT) | instid1(VALU_DEP_1)
	s_or_b32 s18, s8, s10
	v_lshrrev_b32_e32 v32, 8, v4
.LBB123_399:                            ;   in Loop: Header=BB123_12 Depth=1
	s_or_b32 exec_lo, exec_lo, s16
	s_mov_b32 s73, 0
	s_mov_b32 s75, -1
.LBB123_400:                            ;   in Loop: Header=BB123_12 Depth=1
	s_or_not1_b32 s10, s18, exec_lo
.LBB123_401:                            ;   in Loop: Header=BB123_12 Depth=1
	s_or_b32 exec_lo, exec_lo, s77
	s_mov_b32 s11, 0
	s_and_saveexec_b32 s18, s10
	s_cbranch_execz .LBB123_463
; %bb.402:                              ;   in Loop: Header=BB123_12 Depth=1
	v_mov_b64_e32 v[4:5], 1
	v_mov_b32_e32 v2, 1
	s_xor_b32 s16, s76, -1
	s_delay_alu instid0(SALU_CYCLE_1)
	s_and_saveexec_b32 s10, s16
	s_cbranch_execz .LBB123_411
; %bb.403:                              ;   in Loop: Header=BB123_12 Depth=1
	s_mov_b32 s11, exec_lo
	v_cmpx_ge_u64_e64 s[14:15], v[6:7]
	s_xor_b32 s11, exec_lo, s11
	s_cbranch_execz .LBB123_408
; %bb.404:                              ;   in Loop: Header=BB123_12 Depth=1
	ds_load_b64 v[4:5], v3 offset:5120
	s_lshl_b32 s16, 1, s99
	v_or_b32_e32 v31, s24, v31
	v_and_or_b32 v29, v29, s25, s16
	s_wait_dscnt 0x0
	v_cmp_ne_u64_e32 vcc_lo, 0, v[4:5]
	s_cbranch_vccnz .LBB123_408
; %bb.405:                              ;   in Loop: Header=BB123_12 Depth=1
	s_and_saveexec_b32 s16, s5
; %bb.406:                              ;   in Loop: Header=BB123_12 Depth=1
	v_mov_b64_e32 v[4:5], s[14:15]
	ds_store_b64 v3, v[4:5] offset:5128
; %bb.407:                              ;   in Loop: Header=BB123_12 Depth=1
	s_or_b32 exec_lo, exec_lo, s16
	s_wait_dscnt 0x0
	s_barrier_signal -1
	s_barrier_wait -1
.LBB123_408:                            ;   in Loop: Header=BB123_12 Depth=1
	s_or_saveexec_b32 s11, s11
	v_mov_b32_e32 v2, 5
	s_mov_b32 s16, 0
	s_xor_b32 exec_lo, exec_lo, s11
; %bb.409:                              ;   in Loop: Header=BB123_12 Depth=1
	v_sub_nc_u64_e64 v[6:7], v[6:7], s[14:15]
	v_mov_b32_e32 v2, 0
	s_mov_b32 s16, exec_lo
; %bb.410:                              ;   in Loop: Header=BB123_12 Depth=1
	s_or_b32 exec_lo, exec_lo, s11
	s_delay_alu instid0(VALU_DEP_2)
	v_mov_b64_e32 v[4:5], v[6:7]
	s_and_b32 s11, s16, exec_lo
.LBB123_411:                            ;   in Loop: Header=BB123_12 Depth=1
	s_or_b32 exec_lo, exec_lo, s10
	s_mov_b32 s10, -1
                                        ; implicit-def: $sgpr79
                                        ; implicit-def: $sgpr78
	s_and_saveexec_b32 s19, s11
	s_cbranch_execz .LBB123_462
; %bb.412:                              ;   in Loop: Header=BB123_12 Depth=1
	s_delay_alu instid0(VALU_DEP_1) | instskip(SKIP_3) | instid1(SALU_CYCLE_1)
	v_cmp_eq_u64_e32 vcc_lo, 1, v[4:5]
	s_cmp_eq_u64 s[12:13], 1
	s_mov_b32 s11, -1
	s_cselect_b32 s10, -1, 0
                                        ; implicit-def: $sgpr79
                                        ; implicit-def: $sgpr78
	s_and_b32 s76, s10, vcc_lo
	s_delay_alu instid0(SALU_CYCLE_1)
	s_and_saveexec_b32 s77, s76
	s_cbranch_execz .LBB123_450
; %bb.413:                              ;   in Loop: Header=BB123_12 Depth=1
	ds_load_b64 v[6:7], v3 offset:5120
	s_wait_dscnt 0x0
	s_barrier_signal -1
	s_barrier_wait -1
	v_readfirstlane_b32 s10, v6
	v_readfirstlane_b32 s11, v7
	s_and_saveexec_b32 s14, s6
; %bb.414:                              ;   in Loop: Header=BB123_12 Depth=1
	ds_store_b8 v0, v3 offset:3072
; %bb.415:                              ;   in Loop: Header=BB123_12 Depth=1
	s_or_b32 exec_lo, exec_lo, s14
	v_and_b32_e32 v29, s25, v29
	v_or_b32_e32 v31, s24, v31
	s_mov_b32 s78, -1
	s_mov_b32 s79, 0
	s_cmp_eq_u64 s[10:11], 0
	s_mov_b32 s16, 0
	s_mov_b32 s17, -1
	s_wait_dscnt 0x0
	s_barrier_signal -1
	s_barrier_wait -1
                                        ; implicit-def: $vgpr32
	s_cbranch_scc1 .LBB123_433
; %bb.416:                              ;   in Loop: Header=BB123_12 Depth=1
	s_add_nc_u64 s[14:15], s[10:11], s[64:65]
	s_delay_alu instid0(SALU_CYCLE_1) | instskip(NEXT) | instid1(SALU_CYCLE_1)
	s_and_b64 s[16:17], s[14:15], 0xffffffff00000000
	s_cmp_lg_u64 s[16:17], 0
	s_cbranch_scc0 .LBB123_420
; %bb.417:                              ;   in Loop: Header=BB123_12 Depth=1
	s_cvt_f32_u32 s16, s48
	s_sub_nc_u64 s[44:45], 0, s[48:49]
	s_delay_alu instid0(SALU_CYCLE_2) | instskip(NEXT) | instid1(SALU_CYCLE_3)
	s_fmamk_f32 s16, s101, 0x0, s16
	v_s_rcp_f32 s16, s16
	s_delay_alu instid0(TRANS32_DEP_1) | instskip(NEXT) | instid1(SALU_CYCLE_3)
	s_mul_f32 s16, s16, 0x5f7ffffc
	s_mul_f32 s17, s16, 0x2f800000
	s_delay_alu instid0(SALU_CYCLE_3) | instskip(NEXT) | instid1(SALU_CYCLE_3)
	s_trunc_f32 s17, s17
	s_fmamk_f32 s16, s17, 0xcf800000, s16
	s_cvt_u32_f32 s17, s17
	s_delay_alu instid0(SALU_CYCLE_2) | instskip(NEXT) | instid1(SALU_CYCLE_3)
	s_cvt_u32_f32 s16, s16
	s_mul_u64 s[46:47], s[44:45], s[16:17]
	s_delay_alu instid0(SALU_CYCLE_1)
	s_mul_hi_u32 s81, s16, s47
	s_mul_i32 s80, s16, s47
	s_mul_hi_u32 s28, s16, s46
	s_mul_i32 s53, s17, s46
	s_add_nc_u64 s[80:81], s[28:29], s[80:81]
	s_mul_hi_u32 s52, s17, s46
	s_mul_hi_u32 s54, s17, s47
	s_add_co_u32 s28, s80, s53
	s_add_co_ci_u32 s28, s81, s52
	s_mul_i32 s46, s17, s47
	s_add_co_ci_u32 s47, s54, 0
	s_delay_alu instid0(SALU_CYCLE_1) | instskip(NEXT) | instid1(SALU_CYCLE_1)
	s_add_nc_u64 s[46:47], s[28:29], s[46:47]
	s_add_co_u32 s16, s16, s46
	s_cselect_b32 s28, -1, 0
	s_delay_alu instid0(SALU_CYCLE_1) | instskip(SKIP_1) | instid1(SALU_CYCLE_1)
	s_cmp_lg_u32 s28, 0
	s_add_co_ci_u32 s17, s17, s47
	s_mul_u64 s[44:45], s[44:45], s[16:17]
	s_delay_alu instid0(SALU_CYCLE_1)
	s_mul_hi_u32 s47, s16, s45
	s_mul_i32 s46, s16, s45
	s_mul_hi_u32 s28, s16, s44
	s_mul_i32 s53, s17, s44
	s_add_nc_u64 s[46:47], s[28:29], s[46:47]
	s_mul_hi_u32 s52, s17, s44
	s_mul_hi_u32 s54, s17, s45
	s_add_co_u32 s28, s46, s53
	s_add_co_ci_u32 s28, s47, s52
	s_mul_i32 s44, s17, s45
	s_add_co_ci_u32 s45, s54, 0
	s_delay_alu instid0(SALU_CYCLE_1) | instskip(NEXT) | instid1(SALU_CYCLE_1)
	s_add_nc_u64 s[44:45], s[28:29], s[44:45]
	s_add_co_u32 s16, s16, s44
	s_cselect_b32 s44, -1, 0
	s_mul_hi_u32 s28, s14, s16
	s_cmp_lg_u32 s44, 0
	s_mul_hi_u32 s46, s15, s16
	s_add_co_ci_u32 s44, s17, s45
	s_mul_i32 s45, s15, s16
	s_mul_hi_u32 s17, s14, s44
	s_mul_i32 s16, s14, s44
	s_mul_hi_u32 s47, s15, s44
	s_add_nc_u64 s[16:17], s[28:29], s[16:17]
	s_mul_i32 s44, s15, s44
	s_add_co_u32 s16, s16, s45
	s_add_co_ci_u32 s28, s17, s46
	s_add_co_ci_u32 s45, s47, 0
	s_delay_alu instid0(SALU_CYCLE_1) | instskip(NEXT) | instid1(SALU_CYCLE_1)
	s_add_nc_u64 s[16:17], s[28:29], s[44:45]
	s_and_b64 s[44:45], s[16:17], 0xffffffff00000000
	s_delay_alu instid0(SALU_CYCLE_1) | instskip(NEXT) | instid1(SALU_CYCLE_1)
	s_or_b32 s44, s44, s16
	s_mul_u64 s[16:17], s[48:49], s[44:45]
	s_delay_alu instid0(SALU_CYCLE_1) | instskip(SKIP_1) | instid1(SALU_CYCLE_1)
	s_sub_co_u32 s16, s14, s16
	s_cselect_b32 s28, -1, 0
	s_cmp_lg_u32 s28, 0
	s_sub_co_ci_u32 s17, s15, s17
	s_sub_co_u32 s28, s16, s48
	s_cselect_b32 s44, -1, 0
	s_delay_alu instid0(SALU_CYCLE_1) | instskip(SKIP_3) | instid1(SALU_CYCLE_1)
	s_cmp_lg_u32 s44, 0
	s_sub_co_ci_u32 s44, s17, 0
	s_sub_co_u32 s45, s28, s48
	s_cselect_b32 s46, -1, 0
	s_cmp_lg_u32 s46, 0
	s_sub_co_ci_u32 s46, s44, 0
	s_cmp_ge_u32 s28, s48
	s_cselect_b32 s47, -1, 0
	s_cmp_eq_u32 s44, 0
	s_cselect_b32 s47, s47, -1
	s_delay_alu instid0(SALU_CYCLE_1)
	s_cmp_lg_u32 s47, 0
	s_cselect_b32 s44, s46, s44
	s_cselect_b32 s28, s45, s28
	s_cmp_ge_u32 s16, s48
	s_cselect_b32 s45, -1, 0
	s_cmp_eq_u32 s17, 0
	s_cselect_b32 s45, s45, -1
	s_delay_alu instid0(SALU_CYCLE_1)
	s_cmp_lg_u32 s45, 0
	s_cselect_b32 s17, s44, s17
	s_cselect_b32 s16, s28, s16
	s_mov_b32 s28, 0
	s_branch .LBB123_421
.LBB123_418:                            ;   in Loop: Header=BB123_12 Depth=1
                                        ; implicit-def: $sgpr18_sgpr19
	s_branch .LBB123_373
.LBB123_419:                            ;   in Loop: Header=BB123_12 Depth=1
                                        ; implicit-def: $sgpr10_sgpr11
	s_branch .LBB123_389
.LBB123_420:                            ;   in Loop: Header=BB123_12 Depth=1
	s_mov_b32 s28, -1
                                        ; implicit-def: $sgpr16_sgpr17
.LBB123_421:                            ;   in Loop: Header=BB123_12 Depth=1
	s_delay_alu instid0(SALU_CYCLE_1)
	s_and_not1_b32 vcc_lo, exec_lo, s28
	s_cbranch_vccnz .LBB123_423
; %bb.422:                              ;   in Loop: Header=BB123_12 Depth=1
	v_cvt_f32_u32_e32 v6, s48
	s_sub_co_i32 s17, 0, s48
	s_delay_alu instid0(VALU_DEP_1) | instskip(SKIP_1) | instid1(TRANS32_DEP_1)
	v_rcp_iflag_f32_e32 v6, v6
	v_nop
	v_mul_f32_e32 v6, 0x4f7ffffe, v6
	s_delay_alu instid0(VALU_DEP_1) | instskip(NEXT) | instid1(VALU_DEP_1)
	v_cvt_u32_f32_e32 v6, v6
	v_readfirstlane_b32 s16, v6
	s_mul_i32 s17, s17, s16
	s_delay_alu instid0(SALU_CYCLE_1) | instskip(NEXT) | instid1(SALU_CYCLE_1)
	s_mul_hi_u32 s17, s16, s17
	s_add_co_i32 s16, s16, s17
	s_delay_alu instid0(SALU_CYCLE_1) | instskip(NEXT) | instid1(SALU_CYCLE_1)
	s_mul_hi_u32 s16, s14, s16
	s_mul_i32 s16, s16, s48
	s_delay_alu instid0(SALU_CYCLE_1) | instskip(NEXT) | instid1(SALU_CYCLE_1)
	s_sub_co_i32 s16, s14, s16
	s_sub_co_i32 s17, s16, s48
	s_cmp_ge_u32 s16, s48
	s_cselect_b32 s16, s17, s16
	s_delay_alu instid0(SALU_CYCLE_1) | instskip(SKIP_2) | instid1(SALU_CYCLE_1)
	s_sub_co_i32 s17, s16, s48
	s_cmp_ge_u32 s16, s48
	s_cselect_b32 s28, s17, s16
	s_mov_b64 s[16:17], s[28:29]
.LBB123_423:                            ;   in Loop: Header=BB123_12 Depth=1
	s_delay_alu instid0(SALU_CYCLE_1)
	s_sub_nc_u64 s[14:15], s[14:15], s[16:17]
	s_mov_b32 s17, 0
	s_mov_b32 s16, 0
	s_mov_b32 s28, exec_lo
                                        ; implicit-def: $vgpr32
	v_cmpx_gt_u64_e64 s[14:15], v[0:1]
	s_cbranch_execz .LBB123_432
; %bb.424:                              ;   in Loop: Header=BB123_12 Depth=1
	v_mov_b64_e32 v[6:7], v[0:1]
	v_mov_b32_e32 v8, v0
                                        ; implicit-def: $sgpr44
	s_branch .LBB123_427
.LBB123_425:                            ;   in Loop: Header=BB123_427 Depth=2
	s_or_b32 exec_lo, exec_lo, s45
	s_wait_dscnt 0x0
	s_barrier_signal -1
	s_barrier_wait -1
	ds_load_u16 v9, v3 offset:3072
	s_mov_b32 s45, -1
	s_mov_b32 s46, -1
	s_wait_dscnt 0x0
	s_barrier_signal -1
	s_barrier_wait -1
	v_and_b32_e32 v10, 0xff, v9
	s_delay_alu instid0(VALU_DEP_1)
	v_cmp_ne_u32_e32 vcc_lo, 0, v10
	s_cbranch_vccz .LBB123_430
.LBB123_426:                            ;   in Loop: Header=BB123_427 Depth=2
	s_and_b32 s8, exec_lo, s45
	s_delay_alu instid0(SALU_CYCLE_1) | instskip(SKIP_2) | instid1(SALU_CYCLE_1)
	s_or_b32 s16, s8, s16
	s_and_not1_b32 s8, s44, exec_lo
	s_and_b32 s44, s46, exec_lo
	s_or_b32 s44, s8, s44
	s_and_not1_b32 exec_lo, exec_lo, s16
	s_cbranch_execz .LBB123_431
.LBB123_427:                            ;   Parent Loop BB123_12 Depth=1
                                        ; =>  This Inner Loop Header: Depth=2
	s_mov_b32 s45, exec_lo
	s_delay_alu instid0(VALU_DEP_2)
	v_cmpx_gt_u64_e64 s[10:11], v[6:7]
	s_cbranch_execz .LBB123_425
; %bb.428:                              ;   in Loop: Header=BB123_427 Depth=2
	ds_load_u8 v9, v8
	s_wait_dscnt 0x0
	v_bitop3_b32 v10, v9, 0xff, v31 bitop3:0x80
	s_delay_alu instid0(VALU_DEP_1)
	v_cmp_eq_u32_e32 vcc_lo, v10, v29
	s_and_b32 exec_lo, exec_lo, vcc_lo
	s_cbranch_execz .LBB123_425
; %bb.429:                              ;   in Loop: Header=BB123_427 Depth=2
	v_lshlrev_b16 v9, 8, v9
	s_delay_alu instid0(VALU_DEP_1)
	v_or_b32_e32 v9, 1, v9
	ds_store_b16 v3, v9 offset:3072
	s_branch .LBB123_425
.LBB123_430:                            ;   in Loop: Header=BB123_427 Depth=2
	v_add_nc_u64_e32 v[6:7], s[48:49], v[6:7]
	v_add_nc_u32_e32 v8, s48, v8
	s_mov_b32 s46, 0
	s_delay_alu instid0(VALU_DEP_2)
	v_cmp_le_u64_e32 vcc_lo, s[14:15], v[6:7]
	s_or_not1_b32 s45, vcc_lo, exec_lo
	s_branch .LBB123_426
.LBB123_431:                            ;   in Loop: Header=BB123_12 Depth=1
	s_or_b32 exec_lo, exec_lo, s16
	v_and_b32_e32 v6, 0xffff, v9
	s_and_b32 s16, s44, exec_lo
	s_delay_alu instid0(VALU_DEP_1)
	v_lshrrev_b32_e32 v32, 8, v6
.LBB123_432:                            ;   in Loop: Header=BB123_12 Depth=1
	s_or_b32 exec_lo, exec_lo, s28
.LBB123_433:                            ;   in Loop: Header=BB123_12 Depth=1
	s_delay_alu instid0(SALU_CYCLE_1)
	s_and_b32 vcc_lo, exec_lo, s17
	s_cbranch_vccz .LBB123_449
; %bb.434:                              ;   in Loop: Header=BB123_12 Depth=1
	s_and_b64 s[10:11], s[66:67], 0xffffffff00000000
	s_delay_alu instid0(SALU_CYCLE_1)
	s_cmp_lg_u64 s[10:11], 0
	s_cbranch_scc0 .LBB123_436
; %bb.435:                              ;   in Loop: Header=BB123_12 Depth=1
	s_cvt_f32_u32 s10, s48
	s_sub_nc_u64 s[14:15], 0, s[48:49]
	s_delay_alu instid0(SALU_CYCLE_2) | instskip(NEXT) | instid1(SALU_CYCLE_3)
	s_fmamk_f32 s10, s101, 0x0, s10
	v_s_rcp_f32 s10, s10
	s_delay_alu instid0(TRANS32_DEP_1) | instskip(NEXT) | instid1(SALU_CYCLE_3)
	s_mul_f32 s10, s10, 0x5f7ffffc
	s_mul_f32 s11, s10, 0x2f800000
	s_delay_alu instid0(SALU_CYCLE_3) | instskip(NEXT) | instid1(SALU_CYCLE_3)
	s_trunc_f32 s11, s11
	s_fmamk_f32 s10, s11, 0xcf800000, s10
	s_cvt_u32_f32 s11, s11
	s_delay_alu instid0(SALU_CYCLE_2) | instskip(NEXT) | instid1(SALU_CYCLE_3)
	s_cvt_u32_f32 s10, s10
	s_mul_u64 s[44:45], s[14:15], s[10:11]
	s_delay_alu instid0(SALU_CYCLE_1)
	s_mul_hi_u32 s47, s10, s45
	s_mul_i32 s46, s10, s45
	s_mul_hi_u32 s28, s10, s44
	s_mul_i32 s52, s11, s44
	s_add_nc_u64 s[46:47], s[28:29], s[46:47]
	s_mul_hi_u32 s17, s11, s44
	s_mul_hi_u32 s53, s11, s45
	s_add_co_u32 s28, s46, s52
	s_add_co_ci_u32 s28, s47, s17
	s_mul_i32 s44, s11, s45
	s_add_co_ci_u32 s45, s53, 0
	s_delay_alu instid0(SALU_CYCLE_1) | instskip(NEXT) | instid1(SALU_CYCLE_1)
	s_add_nc_u64 s[44:45], s[28:29], s[44:45]
	s_add_co_u32 s10, s10, s44
	s_cselect_b32 s17, -1, 0
	s_delay_alu instid0(SALU_CYCLE_1) | instskip(SKIP_1) | instid1(SALU_CYCLE_1)
	s_cmp_lg_u32 s17, 0
	s_add_co_ci_u32 s11, s11, s45
	s_mul_u64 s[14:15], s[14:15], s[10:11]
	s_delay_alu instid0(SALU_CYCLE_1)
	s_mul_hi_u32 s45, s10, s15
	s_mul_i32 s44, s10, s15
	s_mul_hi_u32 s28, s10, s14
	s_mul_i32 s46, s11, s14
	s_add_nc_u64 s[44:45], s[28:29], s[44:45]
	s_mul_hi_u32 s17, s11, s14
	s_mul_hi_u32 s47, s11, s15
	s_mul_i32 s14, s11, s15
	s_add_co_u32 s15, s44, s46
	s_add_co_ci_u32 s28, s45, s17
	s_add_co_ci_u32 s15, s47, 0
	s_delay_alu instid0(SALU_CYCLE_1) | instskip(NEXT) | instid1(SALU_CYCLE_1)
	s_add_nc_u64 s[14:15], s[28:29], s[14:15]
	s_add_co_u32 s10, s10, s14
	s_cselect_b32 s14, -1, 0
	s_mul_hi_u32 s28, s66, s10
	s_cmp_lg_u32 s14, 0
	s_mul_hi_u32 s17, s67, s10
	s_add_co_ci_u32 s14, s11, s15
	s_mul_i32 s15, s67, s10
	s_mul_hi_u32 s11, s66, s14
	s_mul_i32 s10, s66, s14
	s_mul_hi_u32 s44, s67, s14
	s_add_nc_u64 s[10:11], s[28:29], s[10:11]
	s_mul_i32 s14, s67, s14
	s_add_co_u32 s10, s10, s15
	s_add_co_ci_u32 s28, s11, s17
	s_add_co_ci_u32 s15, s44, 0
	s_delay_alu instid0(SALU_CYCLE_1) | instskip(NEXT) | instid1(SALU_CYCLE_1)
	s_add_nc_u64 s[10:11], s[28:29], s[14:15]
	s_and_b64 s[14:15], s[10:11], 0xffffffff00000000
	s_delay_alu instid0(SALU_CYCLE_1) | instskip(NEXT) | instid1(SALU_CYCLE_1)
	s_or_b32 s14, s14, s10
	s_mul_u64 s[10:11], s[48:49], s[14:15]
	s_delay_alu instid0(SALU_CYCLE_1) | instskip(SKIP_1) | instid1(SALU_CYCLE_1)
	s_sub_co_u32 s10, s66, s10
	s_cselect_b32 s14, -1, 0
	s_cmp_lg_u32 s14, 0
	s_sub_co_ci_u32 s11, s67, s11
	s_sub_co_u32 s14, s10, s48
	s_cselect_b32 s15, -1, 0
	s_delay_alu instid0(SALU_CYCLE_1) | instskip(SKIP_3) | instid1(SALU_CYCLE_1)
	s_cmp_lg_u32 s15, 0
	s_sub_co_ci_u32 s15, s11, 0
	s_sub_co_u32 s17, s14, s48
	s_cselect_b32 s28, -1, 0
	s_cmp_lg_u32 s28, 0
	s_sub_co_ci_u32 s28, s15, 0
	s_cmp_ge_u32 s14, s48
	s_cselect_b32 s44, -1, 0
	s_cmp_eq_u32 s15, 0
	s_cselect_b32 s44, s44, -1
	s_delay_alu instid0(SALU_CYCLE_1)
	s_cmp_lg_u32 s44, 0
	s_cselect_b32 s15, s28, s15
	s_cselect_b32 s14, s17, s14
	s_cmp_ge_u32 s10, s48
	s_cselect_b32 s17, -1, 0
	s_cmp_eq_u32 s11, 0
	s_cselect_b32 s17, s17, -1
	s_delay_alu instid0(SALU_CYCLE_1)
	s_cmp_lg_u32 s17, 0
	s_cselect_b32 s11, s15, s11
	s_cselect_b32 s10, s14, s10
	s_mov_b32 s14, 0
	s_branch .LBB123_437
.LBB123_436:                            ;   in Loop: Header=BB123_12 Depth=1
	s_mov_b32 s14, -1
                                        ; implicit-def: $sgpr10_sgpr11
.LBB123_437:                            ;   in Loop: Header=BB123_12 Depth=1
	s_delay_alu instid0(SALU_CYCLE_1)
	s_and_not1_b32 vcc_lo, exec_lo, s14
	s_cbranch_vccnz .LBB123_439
; %bb.438:                              ;   in Loop: Header=BB123_12 Depth=1
	v_cvt_f32_u32_e32 v6, s48
	s_sub_co_i32 s11, 0, s48
	s_delay_alu instid0(VALU_DEP_1) | instskip(SKIP_1) | instid1(TRANS32_DEP_1)
	v_rcp_iflag_f32_e32 v6, v6
	v_nop
	v_mul_f32_e32 v6, 0x4f7ffffe, v6
	s_delay_alu instid0(VALU_DEP_1) | instskip(NEXT) | instid1(VALU_DEP_1)
	v_cvt_u32_f32_e32 v6, v6
	v_readfirstlane_b32 s10, v6
	s_mul_i32 s11, s11, s10
	s_delay_alu instid0(SALU_CYCLE_1) | instskip(NEXT) | instid1(SALU_CYCLE_1)
	s_mul_hi_u32 s11, s10, s11
	s_add_co_i32 s10, s10, s11
	s_delay_alu instid0(SALU_CYCLE_1) | instskip(NEXT) | instid1(SALU_CYCLE_1)
	s_mul_hi_u32 s10, s66, s10
	s_mul_i32 s10, s10, s48
	s_delay_alu instid0(SALU_CYCLE_1) | instskip(NEXT) | instid1(SALU_CYCLE_1)
	s_sub_co_i32 s10, s66, s10
	s_sub_co_i32 s11, s10, s48
	s_cmp_ge_u32 s10, s48
	s_cselect_b32 s10, s11, s10
	s_delay_alu instid0(SALU_CYCLE_1) | instskip(SKIP_2) | instid1(SALU_CYCLE_1)
	s_sub_co_i32 s11, s10, s48
	s_cmp_ge_u32 s10, s48
	s_cselect_b32 s28, s11, s10
	s_mov_b64 s[10:11], s[28:29]
.LBB123_439:                            ;   in Loop: Header=BB123_12 Depth=1
	s_delay_alu instid0(SALU_CYCLE_1)
	s_sub_nc_u64 s[10:11], s[66:67], s[10:11]
	s_mov_b32 s14, exec_lo
                                        ; implicit-def: $vgpr32
	v_nop
	v_cmpx_gt_u64_e64 s[10:11], v[0:1]
	s_cbranch_execz .LBB123_448
; %bb.440:                              ;   in Loop: Header=BB123_12 Depth=1
	v_mov_b64_e32 v[6:7], v[0:1]
	s_mov_b32 s15, 0
                                        ; implicit-def: $sgpr17
	s_branch .LBB123_443
.LBB123_441:                            ;   in Loop: Header=BB123_443 Depth=2
	s_or_b32 exec_lo, exec_lo, s28
	s_wait_dscnt 0x0
	s_barrier_signal -1
	s_barrier_wait -1
	ds_load_u16 v8, v3 offset:3072
	s_mov_b32 s44, -1
	s_mov_b32 s28, -1
	s_wait_dscnt 0x0
	s_barrier_signal -1
	s_barrier_wait -1
	v_and_b32_e32 v9, 0xff, v8
	s_delay_alu instid0(VALU_DEP_1)
	v_cmp_eq_u32_e32 vcc_lo, 0, v9
	s_cbranch_vccnz .LBB123_446
.LBB123_442:                            ;   in Loop: Header=BB123_443 Depth=2
	s_and_b32 s8, exec_lo, s44
	s_delay_alu instid0(SALU_CYCLE_1) | instskip(SKIP_2) | instid1(SALU_CYCLE_1)
	s_or_b32 s15, s8, s15
	s_and_not1_b32 s8, s17, exec_lo
	s_and_b32 s17, s28, exec_lo
	s_or_b32 s17, s8, s17
	s_and_not1_b32 exec_lo, exec_lo, s15
	s_cbranch_execz .LBB123_447
.LBB123_443:                            ;   Parent Loop BB123_12 Depth=1
                                        ; =>  This Inner Loop Header: Depth=2
	s_mov_b32 s28, exec_lo
	s_delay_alu instid0(VALU_DEP_1)
	v_cmpx_gt_u64_e64 s[36:37], v[6:7]
	s_cbranch_execz .LBB123_441
; %bb.444:                              ;   in Loop: Header=BB123_443 Depth=2
	v_mad_nc_u64_u32 v[8:9], v6, s30, s[34:35]
	s_delay_alu instid0(VALU_DEP_1) | instskip(NEXT) | instid1(VALU_DEP_1)
	v_mad_u32 v9, v7, s30, v9
	v_mad_u32 v9, v6, s31, v9
	global_load_u8 v8, v[8:9], off
	s_wait_loadcnt 0x0
	v_bitop3_b32 v9, v8, 0xff, v31 bitop3:0x80
	s_delay_alu instid0(VALU_DEP_1)
	v_cmp_eq_u32_e32 vcc_lo, v9, v29
	s_and_b32 exec_lo, exec_lo, vcc_lo
	s_cbranch_execz .LBB123_441
; %bb.445:                              ;   in Loop: Header=BB123_443 Depth=2
	v_lshlrev_b16 v8, 8, v8
	s_delay_alu instid0(VALU_DEP_1)
	v_or_b32_e32 v8, 1, v8
	ds_store_b16 v3, v8 offset:3072
	s_branch .LBB123_441
.LBB123_446:                            ;   in Loop: Header=BB123_443 Depth=2
	v_add_nc_u64_e32 v[6:7], s[48:49], v[6:7]
	s_mov_b32 s28, 0
	s_delay_alu instid0(VALU_DEP_1)
	v_cmp_le_u64_e32 vcc_lo, s[10:11], v[6:7]
	s_or_not1_b32 s44, vcc_lo, exec_lo
	s_branch .LBB123_442
.LBB123_447:                            ;   in Loop: Header=BB123_12 Depth=1
	s_or_b32 exec_lo, exec_lo, s15
	v_and_b32_e32 v6, 0xffff, v8
	s_and_not1_b32 s8, s16, exec_lo
	s_and_b32 s10, s17, exec_lo
	s_delay_alu instid0(SALU_CYCLE_1) | instskip(NEXT) | instid1(VALU_DEP_1)
	s_or_b32 s16, s8, s10
	v_lshrrev_b32_e32 v32, 8, v6
.LBB123_448:                            ;   in Loop: Header=BB123_12 Depth=1
	s_or_b32 exec_lo, exec_lo, s14
	s_mov_b32 s78, 0
	s_mov_b32 s79, -1
.LBB123_449:                            ;   in Loop: Header=BB123_12 Depth=1
	s_or_not1_b32 s11, s16, exec_lo
.LBB123_450:                            ;   in Loop: Header=BB123_12 Depth=1
	s_or_b32 exec_lo, exec_lo, s77
	s_mov_b32 s14, 0
	s_and_saveexec_b32 s10, s11
	s_cbranch_execz .LBB123_461
; %bb.451:                              ;   in Loop: Header=BB123_12 Depth=1
	v_mov_b64_e32 v[6:7], 1
	v_mov_b32_e32 v2, 1
	s_xor_b32 s14, s76, -1
	s_delay_alu instid0(SALU_CYCLE_1)
	s_and_saveexec_b32 s11, s14
	s_cbranch_execz .LBB123_460
; %bb.452:                              ;   in Loop: Header=BB123_12 Depth=1
	s_mov_b32 s14, exec_lo
	v_cmpx_ge_u64_e64 s[12:13], v[4:5]
	s_xor_b32 s14, exec_lo, s14
	s_cbranch_execz .LBB123_457
; %bb.453:                              ;   in Loop: Header=BB123_12 Depth=1
	ds_load_b64 v[6:7], v3 offset:5120
	v_and_b32_e32 v29, s25, v29
	v_or_b32_e32 v31, s24, v31
	s_wait_dscnt 0x0
	v_cmp_ne_u64_e32 vcc_lo, 0, v[6:7]
	s_cbranch_vccnz .LBB123_457
; %bb.454:                              ;   in Loop: Header=BB123_12 Depth=1
	s_and_saveexec_b32 s15, s5
; %bb.455:                              ;   in Loop: Header=BB123_12 Depth=1
	v_mov_b64_e32 v[6:7], s[12:13]
	ds_store_b64 v3, v[6:7] offset:5128
; %bb.456:                              ;   in Loop: Header=BB123_12 Depth=1
	s_or_b32 exec_lo, exec_lo, s15
	s_wait_dscnt 0x0
	s_barrier_signal -1
	s_barrier_wait -1
.LBB123_457:                            ;   in Loop: Header=BB123_12 Depth=1
	s_and_not1_saveexec_b32 s14, s14
; %bb.458:                              ;   in Loop: Header=BB123_12 Depth=1
	v_sub_nc_u64_e64 v[4:5], v[4:5], s[12:13]
; %bb.459:                              ;   in Loop: Header=BB123_12 Depth=1
	s_or_b32 exec_lo, exec_lo, s14
	s_delay_alu instid0(VALU_DEP_1)
	v_mov_b64_e32 v[6:7], v[4:5]
	v_mov_b32_e32 v2, 5
.LBB123_460:                            ;   in Loop: Header=BB123_12 Depth=1
	s_or_b32 exec_lo, exec_lo, s11
	s_delay_alu instid0(VALU_DEP_2)
	v_mov_b64_e32 v[4:5], v[6:7]
	s_mov_b32 s14, exec_lo
.LBB123_461:                            ;   in Loop: Header=BB123_12 Depth=1
	s_or_b32 exec_lo, exec_lo, s10
	s_delay_alu instid0(SALU_CYCLE_1)
	s_or_not1_b32 s10, s14, exec_lo
.LBB123_462:                            ;   in Loop: Header=BB123_12 Depth=1
	s_or_b32 exec_lo, exec_lo, s19
	s_delay_alu instid0(VALU_DEP_1)
	v_mov_b64_e32 v[6:7], v[4:5]
	s_and_not1_b32 s11, s75, exec_lo
	s_and_b32 s12, s79, exec_lo
	s_and_not1_b32 s13, s73, exec_lo
	s_and_b32 s14, s78, exec_lo
	s_or_b32 s75, s11, s12
	s_or_b32 s73, s13, s14
	s_and_b32 s11, s10, exec_lo
.LBB123_463:                            ;   in Loop: Header=BB123_12 Depth=1
	s_or_b32 exec_lo, exec_lo, s18
	s_delay_alu instid0(SALU_CYCLE_1)
	s_or_not1_b32 s10, s11, exec_lo
.LBB123_464:                            ;   in Loop: Header=BB123_12 Depth=1
	s_or_b32 exec_lo, exec_lo, s21
	v_mov_b64_e32 v[4:5], v[6:7]
	s_and_not1_b32 s11, s72, exec_lo
	s_and_b32 s12, s75, exec_lo
	s_and_not1_b32 s13, s23, exec_lo
	s_and_b32 s14, s73, exec_lo
	s_or_b32 s72, s11, s12
	s_or_b32 s23, s13, s14
	s_and_b32 s11, s10, exec_lo
.LBB123_465:                            ;   in Loop: Header=BB123_12 Depth=1
	s_or_b32 exec_lo, exec_lo, s20
	s_delay_alu instid0(SALU_CYCLE_1)
	s_or_not1_b32 s10, s11, exec_lo
.LBB123_466:                            ;   in Loop: Header=BB123_12 Depth=1
	s_or_b32 exec_lo, exec_lo, s9
	s_mov_b32 s9, s43
	s_mov_b32 s11, s27
	s_and_saveexec_b32 s12, s10
; %bb.467:                              ;   in Loop: Header=BB123_12 Depth=1
	v_cmp_ne_u32_e32 vcc_lo, 5, v2
	v_cmp_eq_u32_e64 s9, 5, v2
	s_and_not1_b32 s10, s27, exec_lo
	s_and_not1_b32 s13, s43, exec_lo
	s_and_b32 s11, vcc_lo, exec_lo
	s_and_b32 s9, s9, exec_lo
	s_or_b32 s11, s10, s11
	s_or_b32 s9, s13, s9
; %bb.468:                              ;   in Loop: Header=BB123_12 Depth=1
	s_or_b32 exec_lo, exec_lo, s12
	s_delay_alu instid0(SALU_CYCLE_1)
	s_and_not1_b32 s8, s74, exec_lo
	s_and_b32 s10, s72, exec_lo
	s_and_not1_b32 s12, s26, exec_lo
	s_and_b32 s13, s23, exec_lo
	s_or_b32 s74, s8, s10
	s_and_not1_b32 s8, s27, exec_lo
	s_and_b32 s10, s11, exec_lo
	s_and_not1_b32 s11, s43, exec_lo
	s_and_b32 s9, s9, exec_lo
	s_or_b32 s26, s12, s13
	s_or_b32 s27, s8, s10
	s_or_b32 s43, s11, s9
.LBB123_469:                            ;   in Loop: Header=BB123_12 Depth=1
	s_or_b32 exec_lo, exec_lo, s22
	s_mov_b32 s72, 0
	s_mov_b32 s73, 0
	s_and_saveexec_b32 s9, s43
.LBB123_470:                            ;   in Loop: Header=BB123_12 Depth=1
	v_mov_b32_e32 v2, 0
	s_or_b32 s27, s27, exec_lo
.LBB123_471:                            ;   in Loop: Header=BB123_12 Depth=1
	s_or_b32 exec_lo, exec_lo, s9
	v_mov_b64_e32 v[22:23], v[4:5]
	s_and_not1_b32 s8, s40, exec_lo
	s_and_b32 s9, s74, exec_lo
	s_and_not1_b32 s11, s62, exec_lo
	s_and_b32 s12, s26, exec_lo
	s_or_b32 s40, s8, s9
	s_or_b32 s62, s11, s12
	s_and_not1_b32 s8, s42, exec_lo
	s_and_b32 s9, s73, exec_lo
	s_and_not1_b32 s11, s41, exec_lo
	s_and_b32 s12, s72, exec_lo
	s_mov_b32 s10, -1
	s_and_not1_b32 s63, s63, exec_lo
	s_or_b32 s42, s8, s9
	s_or_b32 s41, s11, s12
	s_and_saveexec_b32 s8, s27
	s_delay_alu instid0(SALU_CYCLE_1)
	s_xor_b32 s9, exec_lo, s8
	s_cbranch_execz .LBB123_11
; %bb.472:                              ;   in Loop: Header=BB123_12 Depth=1
	s_mov_b32 s11, -1
	s_mov_b32 s12, exec_lo
	v_cmpx_eq_u32_e32 0, v2
	s_cbranch_execz .LBB123_10
; %bb.473:                              ;   in Loop: Header=BB123_12 Depth=1
	s_xor_b32 s103, s103, 1
	s_add_co_i32 s13, s99, -2
	s_cmp_eq_u32 s99, 0
	s_mov_b32 s99, s13
	s_cselect_b32 s10, -1, 0
	s_xor_b32 s11, exec_lo, -1
	s_or_not1_b32 s10, s10, exec_lo
	s_branch .LBB123_10
.LBB123_474:
	s_or_b32 exec_lo, exec_lo, s100
	s_xor_b32 s7, s61, -1
	s_xor_b32 s9, vcc_hi, -1
	s_xor_b32 s10, s60, -1
	s_xor_b32 s11, s102, -1
	s_xor_b32 s6, s104, -1
	s_mov_b32 s8, 0
	s_and_saveexec_b32 s12, s11
	s_delay_alu instid0(SALU_CYCLE_1)
	s_xor_b32 s16, exec_lo, s12
	s_cbranch_execnz .LBB123_479
; %bb.475:
	s_wait_xcnt 0x0
	s_and_not1_saveexec_b32 s0, s16
	s_cbranch_execnz .LBB123_498
.LBB123_476:
	s_or_b32 exec_lo, exec_lo, s0
	s_and_saveexec_b32 s0, s8
.LBB123_477:
	; divergent unreachable
.LBB123_478:
	s_endpgm
.LBB123_479:
	s_and_saveexec_b32 s11, s10
	s_delay_alu instid0(SALU_CYCLE_1)
	s_xor_b32 s17, exec_lo, s11
	s_cbranch_execz .LBB123_496
; %bb.480:
	s_and_saveexec_b32 s10, s9
	s_delay_alu instid0(SALU_CYCLE_1)
	s_xor_b32 s18, exec_lo, s10
	s_cbranch_execz .LBB123_494
; %bb.481:
	;; [unrolled: 5-line block ×3, first 2 shown]
	s_and_saveexec_b32 s7, s6
	s_delay_alu instid0(SALU_CYCLE_1)
	s_xor_b32 s6, exec_lo, s7
; %bb.483:
	v_mov_b32_e32 v32, v29
; %bb.484:
	s_or_b32 exec_lo, exec_lo, s6
	s_and_saveexec_b32 s6, s5
; %bb.485:
	v_mov_b64_e32 v[2:3], 0
	v_mov_b32_e32 v4, 0
	ds_store_b64 v4, v[2:3] offset:5136
; %bb.486:
	s_or_b32 exec_lo, exec_lo, s6
	v_mov_b32_e32 v13, 0
	s_wait_dscnt 0x0
	s_barrier_signal -1
	s_barrier_wait -1
	s_and_saveexec_b32 s5, s3
	s_cbranch_execz .LBB123_488
; %bb.487:
	global_load_u8 v13, v[14:15], off
.LBB123_488:
	s_wait_xcnt 0x0
	s_or_b32 exec_lo, exec_lo, s5
	s_load_b64 s[6:7], s[0:1], 0x1d8
	v_readlane_b32 s20, v42, 0
	v_readlane_b32 s21, v42, 1
	;; [unrolled: 1-line block ×4, first 2 shown]
	s_add_nc_u64 s[10:11], s[36:37], 31
	s_mov_b64 s[12:13], 0xffffffffffffffe0
	v_readlane_b32 s26, v42, 12
	s_and_b64 s[10:11], s[10:11], s[12:13]
	s_wait_kmcnt 0x0
	s_mul_u64 s[12:13], s[58:59], s[56:57]
	v_readlane_b32 s27, v42, 13
	s_sub_nc_u64 s[12:13], s[50:51], s[12:13]
	v_cmp_gt_u64_e32 vcc_lo, s[10:11], v[0:1]
	s_mov_b32 s5, 0
	s_mul_u64 s[14:15], s[20:21], s[6:7]
	s_clause 0x1
	s_load_b64 s[6:7], s[0:1], 0x368
	s_load_b64 s[8:9], s[0:1], 0x510
	s_wait_xcnt 0x0
	s_sub_nc_u64 s[0:1], s[50:51], s[14:15]
	s_mul_u64 s[14:15], s[20:21], s[24:25]
	v_readlane_b32 s20, v42, 4
	v_readlane_b32 s22, v42, 6
	v_readlane_b32 s23, v42, 7
	v_readlane_b32 s21, v42, 5
	s_mul_u64 s[0:1], s[0:1], s[26:27]
	s_mul_u64 s[12:13], s[12:13], s[22:23]
	v_readlane_b32 s22, v42, 2
	v_readlane_b32 s23, v42, 3
	s_mul_u64 s[20:21], s[58:59], s[20:21]
	s_delay_alu instid0(SALU_CYCLE_1)
	s_lshl_b64 s[20:21], s[20:21], 3
	s_add_nc_u64 s[14:15], s[22:23], s[14:15]
	v_readlane_b32 s22, v42, 8
	v_readlane_b32 s23, v42, 9
	s_add_nc_u64 s[20:21], s[22:23], s[20:21]
	s_lshl_b64 s[22:23], s[12:13], 3
	s_add_nc_u64 s[12:13], s[14:15], s[0:1]
	s_add_nc_u64 s[14:15], s[20:21], s[22:23]
	s_mov_b32 s0, -1
	s_mov_b32 s1, 0
	s_and_saveexec_b32 s20, vcc_lo
	s_cbranch_execnz .LBB123_499
; %bb.489:
	s_or_b32 exec_lo, exec_lo, s20
	s_and_saveexec_b32 s4, s0
	s_cbranch_execnz .LBB123_514
.LBB123_490:
	s_or_b32 exec_lo, exec_lo, s4
	s_and_saveexec_b32 s0, s1
	s_delay_alu instid0(SALU_CYCLE_1)
	s_xor_b32 s0, exec_lo, s0
	s_cbranch_execnz .LBB123_537
.LBB123_491:
	s_or_b32 exec_lo, exec_lo, s0
	s_wait_kmcnt 0x0
	s_and_b32 s8, s5, exec_lo
.LBB123_492:
	s_wait_xcnt 0x0
	s_and_not1_saveexec_b32 s0, s19
	s_cbranch_execnz .LBB123_539
.LBB123_493:
	s_or_b32 exec_lo, exec_lo, s0
	s_delay_alu instid0(SALU_CYCLE_1)
	s_and_b32 s8, s8, exec_lo
.LBB123_494:
	s_wait_xcnt 0x0
	s_and_not1_saveexec_b32 s0, s18
	s_cbranch_execnz .LBB123_538
.LBB123_495:
	s_or_b32 exec_lo, exec_lo, s0
	s_delay_alu instid0(SALU_CYCLE_1)
	s_and_b32 s8, s8, exec_lo
.LBB123_496:
	s_wait_xcnt 0x0
	s_and_not1_saveexec_b32 s0, s17
	s_cbranch_execnz .LBB123_533
.LBB123_497:
	s_or_b32 exec_lo, exec_lo, s0
	s_delay_alu instid0(SALU_CYCLE_1)
	s_and_b32 s8, s8, exec_lo
	s_and_not1_saveexec_b32 s0, s16
	s_cbranch_execz .LBB123_476
.LBB123_498:
	s_or_b32 s8, s8, exec_lo
	s_trap 2
	s_or_b32 exec_lo, exec_lo, s0
	s_and_saveexec_b32 s0, s8
	s_cbranch_execnz .LBB123_477
	s_branch .LBB123_478
.LBB123_499:
	v_mov_b64_e32 v[8:9], v[0:1]
	v_and_b32_e32 v16, 0xff, v32
	v_mov_b32_e32 v3, 0
	s_mov_b32 s21, 0
                                        ; implicit-def: $sgpr22
                                        ; implicit-def: $vgpr6_vgpr7
	s_branch .LBB123_501
.LBB123_500:                            ;   in Loop: Header=BB123_501 Depth=1
	s_or_b32 exec_lo, exec_lo, s24
	s_xor_b32 s0, s23, -1
	s_and_b32 s1, exec_lo, s1
	v_mov_b64_e32 v[8:9], v[4:5]
	v_mov_b32_e32 v13, v17
	s_or_b32 s21, s1, s21
	s_and_not1_b32 s1, s22, exec_lo
	s_and_b32 s0, s0, exec_lo
	s_delay_alu instid0(SALU_CYCLE_1)
	s_or_b32 s22, s1, s0
	s_and_not1_b32 exec_lo, exec_lo, s21
	s_cbranch_execz .LBB123_513
.LBB123_501:                            ; =>This Inner Loop Header: Depth=1
	s_delay_alu instid0(VALU_DEP_3) | instskip(SKIP_2) | instid1(VALU_DEP_2)
	v_add_nc_u64_e32 v[4:5], s[48:49], v[8:9]
	v_mov_b32_e32 v17, 0
	s_mov_b32 s1, exec_lo
	v_cmpx_gt_u64_e64 s[36:37], v[4:5]
	s_cbranch_execz .LBB123_503
; %bb.502:                              ;   in Loop: Header=BB123_501 Depth=1
	v_mad_nc_u64_u32 v[10:11], v4, s30, s[34:35]
	s_delay_alu instid0(VALU_DEP_1) | instskip(NEXT) | instid1(VALU_DEP_1)
	v_mad_u32 v2, v5, s30, v11
	v_mad_u32 v11, v4, s31, v2
	global_load_u8 v17, v[10:11], off
.LBB123_503:                            ;   in Loop: Header=BB123_501 Depth=1
	s_wait_xcnt 0x0
	s_or_b32 exec_lo, exec_lo, s1
	s_wait_loadcnt 0x0
	v_and_b32_e32 v2, 0xff, v13
	s_delay_alu instid0(VALU_DEP_1) | instskip(NEXT) | instid1(VALU_DEP_1)
	v_cmp_gt_u16_e64 s0, v2, v16
	v_cndmask_b32_e64 v10, 0, 1, s0
	v_cmp_lt_u16_e64 s0, v2, v16
	s_delay_alu instid0(VALU_DEP_1) | instskip(SKIP_1) | instid1(VALU_DEP_2)
	v_cndmask_b32_e64 v2, 0, 1, s0
	v_cmp_gt_u64_e64 s0, s[36:37], v[8:9]
	v_cndmask_b32_e64 v2, v2, v10, s4
	s_delay_alu instid0(VALU_DEP_1) | instskip(NEXT) | instid1(VALU_DEP_1)
	v_and_b32_e32 v2, 1, v2
	v_cmp_eq_u32_e64 s1, 1, v2
	s_and_b32 s23, s0, s1
	s_delay_alu instid0(SALU_CYCLE_1) | instskip(NEXT) | instid1(VALU_DEP_1)
	v_cndmask_b32_e64 v2, 0, 1, s23
	v_cmp_ne_u32_e64 s0, 0, v2
	s_cmp_lg_u32 s0, 0
	s_cselect_b32 s1, -1, 0
	s_delay_alu instid0(SALU_CYCLE_1) | instskip(NEXT) | instid1(SALU_CYCLE_1)
	s_and_b32 s1, s2, s1
	s_and_saveexec_b32 s24, s1
	s_cbranch_execz .LBB123_507
; %bb.504:                              ;   in Loop: Header=BB123_501 Depth=1
	s_mov_b32 s27, exec_lo
	s_bcnt1_i32_b32 s25, s0
	v_mbcnt_lo_u32_b32 v10, s27, 0
	s_mov_b32 s26, exec_lo
                                        ; implicit-def: $vgpr6_vgpr7
	s_delay_alu instid0(VALU_DEP_1)
	v_cmpx_eq_u32_e32 0, v10
	s_cbranch_execz .LBB123_506
; %bb.505:                              ;   in Loop: Header=BB123_501 Depth=1
	s_bcnt1_i32_b32 s1, s27
	s_delay_alu instid0(SALU_CYCLE_1) | instskip(NEXT) | instid1(SALU_CYCLE_1)
	s_mul_i32 s1, s25, s1
	v_mov_b32_e32 v2, s1
	s_wait_dscnt 0x0
	ds_add_rtn_u64 v[6:7], v3, v[2:3] offset:5136
.LBB123_506:                            ;   in Loop: Header=BB123_501 Depth=1
	s_or_b32 exec_lo, exec_lo, s26
	s_wait_dscnt 0x0
	v_readfirstlane_b32 s27, v7
	v_readfirstlane_b32 s26, v6
	s_delay_alu instid0(VALU_DEP_1)
	v_mad_nc_u64_u32 v[6:7], s25, v10, s[26:27]
.LBB123_507:                            ;   in Loop: Header=BB123_501 Depth=1
	s_or_b32 exec_lo, exec_lo, s24
	s_wait_dscnt 0x1
	ds_bpermute_b32 v6, v3, v6
	s_wait_dscnt 0x1
	ds_bpermute_b32 v7, v3, v7
	s_mov_b32 s1, -1
	s_mov_b32 s25, -1
	s_and_saveexec_b32 s24, s23
	s_cbranch_execz .LBB123_511
; %bb.508:                              ;   in Loop: Header=BB123_501 Depth=1
	v_and_b32_e32 v2, s0, v12
	s_mov_b32 s23, 0
	s_mov_b32 s25, exec_lo
	s_delay_alu instid0(VALU_DEP_1) | instskip(SKIP_1) | instid1(VALU_DEP_1)
	v_bcnt_u32_b32 v2, v2, 0
	s_wait_dscnt 0x0
	v_add_nc_u64_e32 v[10:11], v[6:7], v[2:3]
	s_delay_alu instid0(VALU_DEP_1)
	v_cmpx_gt_u64_e64 s[38:39], v[10:11]
	s_cbranch_execz .LBB123_510
; %bb.509:                              ;   in Loop: Header=BB123_501 Depth=1
	s_wait_kmcnt 0x0
	v_mul_u64_e32 v[18:19], s[8:9], v[10:11]
	v_mad_nc_u64_u32 v[20:21], v10, s6, s[12:13]
	s_mov_b32 s23, exec_lo
	s_delay_alu instid0(VALU_DEP_1) | instskip(NEXT) | instid1(VALU_DEP_1)
	v_mad_u32 v2, v11, s6, v21
	v_mad_u32 v21, v10, s7, v2
	s_delay_alu instid0(VALU_DEP_4)
	v_lshl_add_u64 v[10:11], v[18:19], 3, s[14:15]
	global_store_b8 v[20:21], v13, off
	global_store_b64 v[10:11], v[8:9], off
.LBB123_510:                            ;   in Loop: Header=BB123_501 Depth=1
	s_wait_xcnt 0x0
	s_or_b32 exec_lo, exec_lo, s25
	s_delay_alu instid0(SALU_CYCLE_1)
	s_or_not1_b32 s25, s23, exec_lo
.LBB123_511:                            ;   in Loop: Header=BB123_501 Depth=1
	s_or_b32 exec_lo, exec_lo, s24
	s_mov_b32 s23, -1
	s_and_saveexec_b32 s24, s25
	s_cbranch_execz .LBB123_500
; %bb.512:                              ;   in Loop: Header=BB123_501 Depth=1
	v_cmp_le_u64_e64 s0, s[10:11], v[4:5]
	s_xor_b32 s23, exec_lo, -1
	s_or_not1_b32 s1, s0, exec_lo
	s_branch .LBB123_500
.LBB123_513:
	s_or_b32 exec_lo, exec_lo, s21
	s_delay_alu instid0(SALU_CYCLE_1)
	s_mov_b32 s1, exec_lo
	s_or_not1_b32 s0, s22, exec_lo
	s_or_b32 exec_lo, exec_lo, s20
	s_and_saveexec_b32 s4, s0
	s_cbranch_execz .LBB123_490
.LBB123_514:
	v_mov_b32_e32 v2, 0
	s_wait_storecnt 0x0
	s_wait_loadcnt_dscnt 0x0
	s_barrier_signal -1
	s_barrier_wait -1
	s_and_saveexec_b32 s0, s3
	s_cbranch_execz .LBB123_516
; %bb.515:
	global_load_u8 v2, v[14:15], off
.LBB123_516:
	s_wait_xcnt 0x0
	s_or_b32 exec_lo, exec_lo, s0
	s_mov_b32 s0, 0
	s_and_saveexec_b32 s3, vcc_lo
	s_cbranch_execz .LBB123_536
; %bb.517:
	v_and_b32_e32 v10, 0xff, v32
	v_mov_b32_e32 v3, 0
	s_mov_b32 s5, 0
                                        ; implicit-def: $sgpr20
                                        ; implicit-def: $vgpr6_vgpr7
	s_branch .LBB123_520
.LBB123_518:                            ;   in Loop: Header=BB123_520 Depth=1
	s_or_b32 exec_lo, exec_lo, s21
	s_delay_alu instid0(SALU_CYCLE_1)
	s_or_not1_b32 s23, s23, exec_lo
	s_or_not1_b32 s22, s22, exec_lo
.LBB123_519:                            ;   in Loop: Header=BB123_520 Depth=1
	s_or_b32 exec_lo, exec_lo, s0
	s_xor_b32 s0, s23, -1
	s_and_b32 s21, exec_lo, s22
	v_mov_b64_e32 v[0:1], v[4:5]
	s_or_b32 s5, s21, s5
	v_mov_b32_e32 v2, v11
	s_and_not1_b32 s20, s20, exec_lo
	s_and_b32 s0, s0, exec_lo
	s_delay_alu instid0(SALU_CYCLE_1)
	s_or_b32 s20, s20, s0
	s_and_not1_b32 exec_lo, exec_lo, s5
	s_cbranch_execz .LBB123_534
.LBB123_520:                            ; =>This Inner Loop Header: Depth=1
	v_add_nc_u64_e32 v[4:5], s[48:49], v[0:1]
	v_mov_b32_e32 v11, 0
	s_mov_b32 s0, exec_lo
	s_delay_alu instid0(VALU_DEP_2)
	v_cmpx_gt_u64_e64 s[36:37], v[4:5]
	s_cbranch_execz .LBB123_522
; %bb.521:                              ;   in Loop: Header=BB123_520 Depth=1
	v_mad_nc_u64_u32 v[8:9], v4, s30, s[34:35]
	s_delay_alu instid0(VALU_DEP_1) | instskip(NEXT) | instid1(VALU_DEP_1)
	v_mad_u32 v9, v5, s30, v9
	v_mad_u32 v9, v4, s31, v9
	global_load_u8 v11, v[8:9], off
.LBB123_522:                            ;   in Loop: Header=BB123_520 Depth=1
	s_wait_xcnt 0x0
	s_or_b32 exec_lo, exec_lo, s0
	s_wait_loadcnt 0x0
	v_and_b32_e32 v2, 0xff, v2
	v_cmp_gt_u64_e32 vcc_lo, s[36:37], v[0:1]
	s_delay_alu instid0(VALU_DEP_2) | instskip(SKIP_1) | instid1(SALU_CYCLE_1)
	v_cmp_eq_u16_e64 s0, v2, v10
	s_and_b32 s21, vcc_lo, s0
	v_cndmask_b32_e64 v2, 0, 1, s21
	s_delay_alu instid0(VALU_DEP_1) | instskip(SKIP_2) | instid1(SALU_CYCLE_1)
	v_cmp_ne_u32_e32 vcc_lo, 0, v2
	s_cmp_lg_u32 vcc_lo, 0
	s_cselect_b32 s0, -1, 0
	s_and_b32 s0, s2, s0
	s_delay_alu instid0(SALU_CYCLE_1)
	s_and_saveexec_b32 s22, s0
	s_cbranch_execz .LBB123_526
; %bb.523:                              ;   in Loop: Header=BB123_520 Depth=1
	s_mov_b32 s25, exec_lo
	s_bcnt1_i32_b32 s23, vcc_lo
	v_mbcnt_lo_u32_b32 v8, s25, 0
	s_mov_b32 s24, exec_lo
                                        ; implicit-def: $vgpr6_vgpr7
	s_delay_alu instid0(VALU_DEP_1)
	v_cmpx_eq_u32_e32 0, v8
; %bb.524:                              ;   in Loop: Header=BB123_520 Depth=1
	s_bcnt1_i32_b32 s0, s25
	s_delay_alu instid0(SALU_CYCLE_1) | instskip(NEXT) | instid1(SALU_CYCLE_1)
	s_mul_i32 s0, s23, s0
	v_mov_b32_e32 v2, s0
	ds_add_rtn_u64 v[6:7], v3, v[2:3] offset:5136
; %bb.525:                              ;   in Loop: Header=BB123_520 Depth=1
	s_or_b32 exec_lo, exec_lo, s24
	s_wait_dscnt 0x0
	v_readfirstlane_b32 s25, v7
	v_readfirstlane_b32 s24, v6
	s_delay_alu instid0(VALU_DEP_1)
	v_mad_nc_u64_u32 v[6:7], s23, v8, s[24:25]
.LBB123_526:                            ;   in Loop: Header=BB123_520 Depth=1
	s_or_b32 exec_lo, exec_lo, s22
	ds_bpermute_b32 v6, v3, v6
	ds_bpermute_b32 v7, v3, v7
	s_cmp_eq_u32 vcc_lo, 0
	s_mov_b32 s22, -1
	s_cselect_b32 s23, -1, 0
	s_wait_dscnt 0x0
	v_cmp_gt_u64_e64 s0, s[38:39], v[6:7]
	s_or_b32 s24, s23, s0
	s_mov_b32 s23, -1
	s_and_saveexec_b32 s0, s24
	s_cbranch_execz .LBB123_519
; %bb.527:                              ;   in Loop: Header=BB123_520 Depth=1
	v_and_b32_e32 v2, vcc_lo, v12
	v_sub_nc_u64_e32 v[8:9], s[38:39], v[6:7]
	s_mov_b32 s24, -1
	s_delay_alu instid0(VALU_DEP_2) | instskip(NEXT) | instid1(VALU_DEP_1)
	v_bcnt_u32_b32 v2, v2, 0
	v_bcnt_u32_b32 v2, 0, v2
	s_delay_alu instid0(VALU_DEP_1) | instskip(SKIP_1) | instid1(SALU_CYCLE_1)
	v_cmp_gt_u64_e32 vcc_lo, v[8:9], v[2:3]
	s_and_b32 s25, s21, vcc_lo
	s_and_saveexec_b32 s21, s25
	s_cbranch_execz .LBB123_531
; %bb.528:                              ;   in Loop: Header=BB123_520 Depth=1
	v_add_nc_u64_e32 v[8:9], v[6:7], v[2:3]
	s_mov_b32 s24, 0
	s_mov_b32 s23, exec_lo
	s_delay_alu instid0(VALU_DEP_1)
	v_cmpx_gt_u64_e64 s[38:39], v[8:9]
	s_cbranch_execz .LBB123_530
; %bb.529:                              ;   in Loop: Header=BB123_520 Depth=1
	s_wait_kmcnt 0x0
	v_mul_u64_e32 v[14:15], s[8:9], v[8:9]
	v_mad_nc_u64_u32 v[16:17], v8, s6, s[12:13]
	s_mov_b32 s24, exec_lo
	s_delay_alu instid0(VALU_DEP_1) | instskip(NEXT) | instid1(VALU_DEP_1)
	v_mad_u32 v2, v9, s6, v17
	v_mad_u32 v17, v8, s7, v2
	s_delay_alu instid0(VALU_DEP_4)
	v_lshl_add_u64 v[8:9], v[14:15], 3, s[14:15]
	global_store_b8 v[16:17], v32, off
	global_store_b64 v[8:9], v[0:1], off
.LBB123_530:                            ;   in Loop: Header=BB123_520 Depth=1
	s_wait_xcnt 0x0
	s_or_b32 exec_lo, exec_lo, s23
	s_delay_alu instid0(SALU_CYCLE_1)
	s_xor_b32 s23, exec_lo, -1
	s_or_not1_b32 s24, s24, exec_lo
.LBB123_531:                            ;   in Loop: Header=BB123_520 Depth=1
	s_or_b32 exec_lo, exec_lo, s21
	s_and_saveexec_b32 s21, s24
	s_cbranch_execz .LBB123_518
; %bb.532:                              ;   in Loop: Header=BB123_520 Depth=1
	v_cmp_le_u64_e32 vcc_lo, s[10:11], v[4:5]
	s_or_b32 s23, s23, exec_lo
	s_or_not1_b32 s22, vcc_lo, exec_lo
	s_branch .LBB123_518
.LBB123_533:
	s_or_b32 s8, s8, exec_lo
	s_trap 2
	s_branch .LBB123_497
.LBB123_534:
	s_or_b32 exec_lo, exec_lo, s5
	s_mov_b32 s0, 0
	s_and_saveexec_b32 s2, s20
	s_delay_alu instid0(SALU_CYCLE_1)
	s_xor_b32 s2, exec_lo, s2
	s_cbranch_execnz .LBB123_540
.LBB123_535:
	s_or_b32 exec_lo, exec_lo, s2
	s_delay_alu instid0(SALU_CYCLE_1)
	s_and_b32 s0, s0, exec_lo
.LBB123_536:
	s_or_b32 exec_lo, exec_lo, s3
	s_delay_alu instid0(SALU_CYCLE_1) | instskip(SKIP_3) | instid1(SALU_CYCLE_1)
	s_and_b32 s5, s0, exec_lo
	s_and_not1_b32 s1, s1, exec_lo
	s_or_b32 exec_lo, exec_lo, s4
	s_and_saveexec_b32 s0, s1
	s_xor_b32 s0, exec_lo, s0
	s_cbranch_execz .LBB123_491
.LBB123_537:
	s_or_b32 s5, s5, exec_lo
	s_trap 2
	s_branch .LBB123_491
.LBB123_538:
	s_or_b32 s8, s8, exec_lo
	s_trap 2
	s_branch .LBB123_495
.LBB123_539:
	s_or_b32 s8, s8, exec_lo
	s_trap 2
	s_branch .LBB123_493
.LBB123_540:
	s_mov_b32 s0, exec_lo
	s_trap 2
	s_branch .LBB123_535
	.section	.rodata,"a",@progbits
	.p2align	6, 0x0
	.amdhsa_kernel _ZN2at6native6sbtopk10gatherTopKIhmLi2ELb0EEEvNS_4cuda6detail10TensorInfoIKT_T0_EES8_S8_bS8_S8_NS5_IS6_S8_EES8_NS5_IlS8_EES8_PS6_
		.amdhsa_group_segment_fixed_size 5152
		.amdhsa_private_segment_fixed_size 0
		.amdhsa_kernarg_size 1568
		.amdhsa_user_sgpr_count 2
		.amdhsa_user_sgpr_dispatch_ptr 0
		.amdhsa_user_sgpr_queue_ptr 0
		.amdhsa_user_sgpr_kernarg_segment_ptr 1
		.amdhsa_user_sgpr_dispatch_id 0
		.amdhsa_user_sgpr_kernarg_preload_length 0
		.amdhsa_user_sgpr_kernarg_preload_offset 0
		.amdhsa_user_sgpr_private_segment_size 0
		.amdhsa_wavefront_size32 1
		.amdhsa_uses_dynamic_stack 0
		.amdhsa_enable_private_segment 0
		.amdhsa_system_sgpr_workgroup_id_x 1
		.amdhsa_system_sgpr_workgroup_id_y 1
		.amdhsa_system_sgpr_workgroup_id_z 1
		.amdhsa_system_sgpr_workgroup_info 0
		.amdhsa_system_vgpr_workitem_id 0
		.amdhsa_next_free_vgpr 43
		.amdhsa_next_free_sgpr 105
		.amdhsa_named_barrier_count 0
		.amdhsa_reserve_vcc 1
		.amdhsa_float_round_mode_32 0
		.amdhsa_float_round_mode_16_64 0
		.amdhsa_float_denorm_mode_32 3
		.amdhsa_float_denorm_mode_16_64 3
		.amdhsa_fp16_overflow 0
		.amdhsa_memory_ordered 1
		.amdhsa_forward_progress 1
		.amdhsa_inst_pref_size 201
		.amdhsa_round_robin_scheduling 0
		.amdhsa_exception_fp_ieee_invalid_op 0
		.amdhsa_exception_fp_denorm_src 0
		.amdhsa_exception_fp_ieee_div_zero 0
		.amdhsa_exception_fp_ieee_overflow 0
		.amdhsa_exception_fp_ieee_underflow 0
		.amdhsa_exception_fp_ieee_inexact 0
		.amdhsa_exception_int_div_zero 0
	.end_amdhsa_kernel
	.section	.text._ZN2at6native6sbtopk10gatherTopKIhmLi2ELb0EEEvNS_4cuda6detail10TensorInfoIKT_T0_EES8_S8_bS8_S8_NS5_IS6_S8_EES8_NS5_IlS8_EES8_PS6_,"axG",@progbits,_ZN2at6native6sbtopk10gatherTopKIhmLi2ELb0EEEvNS_4cuda6detail10TensorInfoIKT_T0_EES8_S8_bS8_S8_NS5_IS6_S8_EES8_NS5_IlS8_EES8_PS6_,comdat
.Lfunc_end123:
	.size	_ZN2at6native6sbtopk10gatherTopKIhmLi2ELb0EEEvNS_4cuda6detail10TensorInfoIKT_T0_EES8_S8_bS8_S8_NS5_IS6_S8_EES8_NS5_IlS8_EES8_PS6_, .Lfunc_end123-_ZN2at6native6sbtopk10gatherTopKIhmLi2ELb0EEEvNS_4cuda6detail10TensorInfoIKT_T0_EES8_S8_bS8_S8_NS5_IS6_S8_EES8_NS5_IlS8_EES8_PS6_
                                        ; -- End function
	.set _ZN2at6native6sbtopk10gatherTopKIhmLi2ELb0EEEvNS_4cuda6detail10TensorInfoIKT_T0_EES8_S8_bS8_S8_NS5_IS6_S8_EES8_NS5_IlS8_EES8_PS6_.num_vgpr, 43
	.set _ZN2at6native6sbtopk10gatherTopKIhmLi2ELb0EEEvNS_4cuda6detail10TensorInfoIKT_T0_EES8_S8_bS8_S8_NS5_IS6_S8_EES8_NS5_IlS8_EES8_PS6_.num_agpr, 0
	.set _ZN2at6native6sbtopk10gatherTopKIhmLi2ELb0EEEvNS_4cuda6detail10TensorInfoIKT_T0_EES8_S8_bS8_S8_NS5_IS6_S8_EES8_NS5_IlS8_EES8_PS6_.numbered_sgpr, 105
	.set _ZN2at6native6sbtopk10gatherTopKIhmLi2ELb0EEEvNS_4cuda6detail10TensorInfoIKT_T0_EES8_S8_bS8_S8_NS5_IS6_S8_EES8_NS5_IlS8_EES8_PS6_.num_named_barrier, 0
	.set _ZN2at6native6sbtopk10gatherTopKIhmLi2ELb0EEEvNS_4cuda6detail10TensorInfoIKT_T0_EES8_S8_bS8_S8_NS5_IS6_S8_EES8_NS5_IlS8_EES8_PS6_.private_seg_size, 0
	.set _ZN2at6native6sbtopk10gatherTopKIhmLi2ELb0EEEvNS_4cuda6detail10TensorInfoIKT_T0_EES8_S8_bS8_S8_NS5_IS6_S8_EES8_NS5_IlS8_EES8_PS6_.uses_vcc, 1
	.set _ZN2at6native6sbtopk10gatherTopKIhmLi2ELb0EEEvNS_4cuda6detail10TensorInfoIKT_T0_EES8_S8_bS8_S8_NS5_IS6_S8_EES8_NS5_IlS8_EES8_PS6_.uses_flat_scratch, 0
	.set _ZN2at6native6sbtopk10gatherTopKIhmLi2ELb0EEEvNS_4cuda6detail10TensorInfoIKT_T0_EES8_S8_bS8_S8_NS5_IS6_S8_EES8_NS5_IlS8_EES8_PS6_.has_dyn_sized_stack, 0
	.set _ZN2at6native6sbtopk10gatherTopKIhmLi2ELb0EEEvNS_4cuda6detail10TensorInfoIKT_T0_EES8_S8_bS8_S8_NS5_IS6_S8_EES8_NS5_IlS8_EES8_PS6_.has_recursion, 0
	.set _ZN2at6native6sbtopk10gatherTopKIhmLi2ELb0EEEvNS_4cuda6detail10TensorInfoIKT_T0_EES8_S8_bS8_S8_NS5_IS6_S8_EES8_NS5_IlS8_EES8_PS6_.has_indirect_call, 0
	.section	.AMDGPU.csdata,"",@progbits
; Kernel info:
; codeLenInByte = 25628
; TotalNumSgprs: 107
; NumVgprs: 43
; ScratchSize: 0
; MemoryBound: 0
; FloatMode: 240
; IeeeMode: 1
; LDSByteSize: 5152 bytes/workgroup (compile time only)
; SGPRBlocks: 0
; VGPRBlocks: 2
; NumSGPRsForWavesPerEU: 107
; NumVGPRsForWavesPerEU: 43
; NamedBarCnt: 0
; Occupancy: 16
; WaveLimiterHint : 1
; COMPUTE_PGM_RSRC2:SCRATCH_EN: 0
; COMPUTE_PGM_RSRC2:USER_SGPR: 2
; COMPUTE_PGM_RSRC2:TRAP_HANDLER: 0
; COMPUTE_PGM_RSRC2:TGID_X_EN: 1
; COMPUTE_PGM_RSRC2:TGID_Y_EN: 1
; COMPUTE_PGM_RSRC2:TGID_Z_EN: 1
; COMPUTE_PGM_RSRC2:TIDIG_COMP_CNT: 0
	.section	.text._ZN2at6native6mbtopk23computeBlockDigitCountsIhmjLi3EEEvNS_4cuda6detail10TensorInfoIKT_T0_EEjPjjS8_iijT1_PSB_Ps,"axG",@progbits,_ZN2at6native6mbtopk23computeBlockDigitCountsIhmjLi3EEEvNS_4cuda6detail10TensorInfoIKT_T0_EEjPjjS8_iijT1_PSB_Ps,comdat
	.protected	_ZN2at6native6mbtopk23computeBlockDigitCountsIhmjLi3EEEvNS_4cuda6detail10TensorInfoIKT_T0_EEjPjjS8_iijT1_PSB_Ps ; -- Begin function _ZN2at6native6mbtopk23computeBlockDigitCountsIhmjLi3EEEvNS_4cuda6detail10TensorInfoIKT_T0_EEjPjjS8_iijT1_PSB_Ps
	.globl	_ZN2at6native6mbtopk23computeBlockDigitCountsIhmjLi3EEEvNS_4cuda6detail10TensorInfoIKT_T0_EEjPjjS8_iijT1_PSB_Ps
	.p2align	8
	.type	_ZN2at6native6mbtopk23computeBlockDigitCountsIhmjLi3EEEvNS_4cuda6detail10TensorInfoIKT_T0_EEjPjjS8_iijT1_PSB_Ps,@function
_ZN2at6native6mbtopk23computeBlockDigitCountsIhmjLi3EEEvNS_4cuda6detail10TensorInfoIKT_T0_EEjPjjS8_iijT1_PSB_Ps: ; @_ZN2at6native6mbtopk23computeBlockDigitCountsIhmjLi3EEEvNS_4cuda6detail10TensorInfoIKT_T0_EEjPjjS8_iijT1_PSB_Ps
; %bb.0:
	s_load_b128 s[4:7], s[0:1], 0x1c0
	s_bfe_u32 s2, ttmp6, 0x40010
	s_and_b32 s8, ttmp7, 0xffff
	s_add_co_i32 s9, s2, 1
	s_bfe_u32 s10, ttmp6, 0x40004
	s_mul_i32 s9, s8, s9
	s_load_b64 s[2:3], s[0:1], 0x1e0
	s_add_co_i32 s10, s10, s9
	s_bfe_u32 s11, ttmp6, 0x4000c
	s_bfe_u32 s13, ttmp6, 0x40014
	s_add_co_i32 s11, s11, 1
	s_and_b32 s12, ttmp6, 15
	s_mul_i32 s11, ttmp9, s11
	s_add_co_i32 s13, s13, 1
	s_add_co_i32 s12, s12, s11
	s_getreg_b32 s14, hwreg(HW_REG_IB_STS2, 6, 4)
	s_mov_b32 s19, 0
	s_wait_kmcnt 0x0
	s_cvt_f32_u32 s9, s6
	s_delay_alu instid0(SALU_CYCLE_3) | instskip(SKIP_1) | instid1(SALU_CYCLE_1)
	v_rcp_iflag_f32_e32 v1, s9
	s_lshr_b32 s9, ttmp7, 16
	s_mul_i32 s11, s9, s13
	s_bfe_u32 s13, ttmp6, 0x40008
	s_delay_alu instid0(SALU_CYCLE_1) | instskip(SKIP_1) | instid1(TRANS32_DEP_1)
	s_add_co_i32 s13, s13, s11
	v_nop
	v_readfirstlane_b32 s15, v1
	s_cmp_eq_u32 s14, 0
	s_cselect_b32 s9, s9, s13
	s_load_b32 s13, s[0:1], 0x1b0
	s_mul_f32 s11, s15, 0x4f7ffffe
	s_mul_i32 s3, s3, s9
	s_cselect_b32 s9, ttmp9, s12
	s_cselect_b32 s8, s8, s10
	s_cvt_u32_f32 s11, s11
	s_sub_co_i32 s10, 0, s6
	s_add_co_i32 s3, s3, s8
	s_delay_alu instid0(SALU_CYCLE_1) | instskip(SKIP_3) | instid1(SALU_CYCLE_1)
	s_mul_i32 s24, s3, s2
	s_mul_i32 s10, s10, s11
	s_add_co_i32 s24, s24, s9
	s_mul_hi_u32 s2, s11, s10
	s_add_co_i32 s11, s11, s2
	s_delay_alu instid0(SALU_CYCLE_1) | instskip(NEXT) | instid1(SALU_CYCLE_1)
	s_mul_hi_u32 s2, s24, s11
	s_mul_i32 s3, s2, s6
	s_add_co_i32 s8, s2, 1
	s_sub_co_i32 s3, s24, s3
	s_delay_alu instid0(SALU_CYCLE_1)
	s_sub_co_i32 s9, s3, s6
	s_cmp_ge_u32 s3, s6
	s_cselect_b32 s2, s8, s2
	s_cselect_b32 s3, s9, s3
	s_add_co_i32 s8, s2, 1
	s_cmp_ge_u32 s3, s6
	s_cselect_b32 s18, s8, s2
	s_wait_kmcnt 0x0
	s_cmp_ge_u32 s18, s13
	s_cbranch_scc1 .LBB124_29
; %bb.1:
	s_load_b128 s[12:15], s[0:1], 0x10
	s_mov_b64 s[20:21], 0
	s_mov_b64 s[22:23], 0
	s_wait_kmcnt 0x0
	v_cmp_lt_u64_e64 s2, s[18:19], s[14:15]
	s_and_b32 vcc_lo, exec_lo, s2
	s_cbranch_vccz .LBB124_30
; %bb.2:
	v_cmp_lt_u64_e64 s2, s[22:23], s[12:13]
	s_and_b32 vcc_lo, exec_lo, s2
	s_cbranch_vccz .LBB124_31
.LBB124_3:
	v_cmp_gt_u32_e32 vcc_lo, 0x100, v0
	v_lshlrev_b32_e32 v1, 2, v0
	s_and_saveexec_b32 s2, vcc_lo
.LBB124_4:
	v_mov_b32_e32 v2, 0
	ds_store_b32 v1, v2
.LBB124_5:
	s_or_b32 exec_lo, exec_lo, s2
	s_clause 0x1
	s_load_b32 s25, s[0:1], 0x1a0
	s_load_b128 s[8:11], s[0:1], 0x1d0
	s_mul_i32 s2, s18, s6
	s_mov_b32 s17, 0
	s_sub_co_i32 s27, s24, s2
	s_wait_dscnt 0x0
	s_mul_i32 s2, s5, s27
	s_add_co_i32 s27, s27, 1
	s_lshl_b32 s26, s2, 8
	s_barrier_signal -1
	s_barrier_wait -1
	s_wait_kmcnt 0x0
	s_sub_co_i32 s16, s25, s26
	s_delay_alu instid0(SALU_CYCLE_1) | instskip(NEXT) | instid1(SALU_CYCLE_1)
	s_add_nc_u64 s[2:3], s[16:17], 0xff
	s_lshr_b64 s[2:3], s[2:3], 8
	s_cmp_lt_u32 s27, s6
	s_cselect_b32 s16, s5, s2
	s_delay_alu instid0(SALU_CYCLE_1)
	s_cmp_lt_i32 s16, 1
	s_cbranch_scc1 .LBB124_27
; %bb.6:
	s_clause 0x2
	s_load_b128 s[28:31], s[0:1], 0xd0
	s_load_b64 s[34:35], s[0:1], 0x0
	s_load_b64 s[36:37], s[0:1], 0xe0
	s_load_b32 s6, s[8:9], s18 offset:0x0 scale_offset
	s_load_b64 s[2:3], s[0:1], 0x1b8
	s_wait_xcnt 0x0
	s_mul_u64 s[8:9], s[20:21], s[12:13]
	s_mul_u64 s[0:1], s[22:23], s[14:15]
	s_sub_nc_u64 s[8:9], s[22:23], s[8:9]
	s_sub_nc_u64 s[0:1], s[18:19], s[0:1]
	s_wait_kmcnt 0x0
	s_mul_u64 s[12:13], s[20:21], s[28:29]
	s_mul_u64 s[8:9], s[8:9], s[30:31]
	s_add_nc_u64 s[12:13], s[34:35], s[12:13]
	s_mul_u64 s[14:15], s[0:1], s[36:37]
	s_add_nc_u64 s[8:9], s[12:13], s[8:9]
	s_and_b32 s1, s4, 0xff
	s_cmp_lt_u32 s16, 4
	s_add_nc_u64 s[4:5], s[8:9], s[14:15]
	s_cbranch_scc1 .LBB124_21
; %bb.7:
	v_dual_mov_b32 v3, 1 :: v_dual_add_nc_u32 v2, s26, v0
	s_and_b32 s17, s16, 0x7ffffffc
	s_mov_b32 s8, 0
	s_branch .LBB124_9
.LBB124_8:                              ;   in Loop: Header=BB124_9 Depth=1
	s_or_b32 exec_lo, exec_lo, s9
	v_add_nc_u32_e32 v2, 0x400, v2
	s_add_co_i32 s8, s8, 4
	s_delay_alu instid0(SALU_CYCLE_1)
	s_cmp_eq_u32 s17, s8
	s_cbranch_scc1 .LBB124_21
.LBB124_9:                              ; =>This Inner Loop Header: Depth=1
	s_mov_b32 s9, exec_lo
	v_cmpx_gt_u32_e64 s25, v2
	s_cbranch_execz .LBB124_12
; %bb.10:                               ;   in Loop: Header=BB124_9 Depth=1
	v_mad_nc_u64_u32 v[4:5], s2, v2, s[4:5]
	s_delay_alu instid0(VALU_DEP_1) | instskip(SKIP_4) | instid1(VALU_DEP_1)
	v_mad_u32 v5, s3, v2, v5
	global_load_u8 v4, v[4:5], off
	s_wait_loadcnt 0x0
	s_wait_xcnt 0x0
	v_bitop3_b32 v5, s6, s7, v4 bitop3:0x48
	v_cmp_eq_u32_e64 s0, 0, v5
	s_and_b32 exec_lo, exec_lo, s0
; %bb.11:                               ;   in Loop: Header=BB124_9 Depth=1
	v_lshrrev_b32_e32 v4, s1, v4
	s_delay_alu instid0(VALU_DEP_1)
	v_lshlrev_b32_e32 v4, 2, v4
	ds_add_u32 v4, v3
.LBB124_12:                             ;   in Loop: Header=BB124_9 Depth=1
	s_or_b32 exec_lo, exec_lo, s9
	v_add_nc_u32_e32 v4, 0x100, v2
	s_mov_b32 s9, exec_lo
	s_delay_alu instid0(VALU_DEP_1)
	v_cmpx_gt_u32_e64 s25, v4
	s_cbranch_execz .LBB124_15
; %bb.13:                               ;   in Loop: Header=BB124_9 Depth=1
	v_mad_nc_u64_u32 v[6:7], s2, v4, s[4:5]
	s_delay_alu instid0(VALU_DEP_1) | instskip(SKIP_3) | instid1(VALU_DEP_1)
	v_mad_u32 v7, s3, v4, v7
	global_load_u8 v4, v[6:7], off
	s_wait_loadcnt 0x0
	v_bitop3_b32 v5, s6, s7, v4 bitop3:0x48
	v_cmp_eq_u32_e64 s0, 0, v5
	s_and_b32 exec_lo, exec_lo, s0
; %bb.14:                               ;   in Loop: Header=BB124_9 Depth=1
	v_lshrrev_b32_e32 v4, s1, v4
	s_delay_alu instid0(VALU_DEP_1)
	v_lshlrev_b32_e32 v4, 2, v4
	ds_add_u32 v4, v3
.LBB124_15:                             ;   in Loop: Header=BB124_9 Depth=1
	s_or_b32 exec_lo, exec_lo, s9
	v_add_nc_u32_e32 v4, 0x200, v2
	s_mov_b32 s9, exec_lo
	s_delay_alu instid0(VALU_DEP_1)
	v_cmpx_gt_u32_e64 s25, v4
	s_cbranch_execz .LBB124_18
; %bb.16:                               ;   in Loop: Header=BB124_9 Depth=1
	v_mad_nc_u64_u32 v[6:7], s2, v4, s[4:5]
	s_delay_alu instid0(VALU_DEP_1) | instskip(SKIP_3) | instid1(VALU_DEP_1)
	v_mad_u32 v7, s3, v4, v7
	global_load_u8 v4, v[6:7], off
	s_wait_loadcnt 0x0
	v_bitop3_b32 v5, s6, s7, v4 bitop3:0x48
	v_cmp_eq_u32_e64 s0, 0, v5
	s_and_b32 exec_lo, exec_lo, s0
; %bb.17:                               ;   in Loop: Header=BB124_9 Depth=1
	v_lshrrev_b32_e32 v4, s1, v4
	s_delay_alu instid0(VALU_DEP_1)
	v_lshlrev_b32_e32 v4, 2, v4
	ds_add_u32 v4, v3
.LBB124_18:                             ;   in Loop: Header=BB124_9 Depth=1
	s_or_b32 exec_lo, exec_lo, s9
	v_add_nc_u32_e32 v4, 0x300, v2
	s_mov_b32 s9, exec_lo
	s_delay_alu instid0(VALU_DEP_1)
	v_cmpx_gt_u32_e64 s25, v4
	s_cbranch_execz .LBB124_8
; %bb.19:                               ;   in Loop: Header=BB124_9 Depth=1
	v_mad_nc_u64_u32 v[6:7], s2, v4, s[4:5]
	s_delay_alu instid0(VALU_DEP_1) | instskip(SKIP_3) | instid1(VALU_DEP_1)
	v_mad_u32 v7, s3, v4, v7
	global_load_u8 v4, v[6:7], off
	s_wait_loadcnt 0x0
	v_bitop3_b32 v5, s6, s7, v4 bitop3:0x48
	v_cmp_eq_u32_e64 s0, 0, v5
	s_and_b32 exec_lo, exec_lo, s0
	s_cbranch_execz .LBB124_8
; %bb.20:                               ;   in Loop: Header=BB124_9 Depth=1
	v_lshrrev_b32_e32 v4, s1, v4
	s_delay_alu instid0(VALU_DEP_1)
	v_lshlrev_b32_e32 v4, 2, v4
	ds_add_u32 v4, v3
	s_branch .LBB124_8
.LBB124_21:
	s_and_b32 s8, s16, 3
	s_delay_alu instid0(SALU_CYCLE_1)
	s_cmp_eq_u32 s8, 0
	s_cbranch_scc1 .LBB124_27
; %bb.22:
	s_lshl_b32 s0, s17, 8
	v_mov_b32_e32 v3, 1
	v_add3_u32 v2, s0, s26, v0
	s_branch .LBB124_24
.LBB124_23:                             ;   in Loop: Header=BB124_24 Depth=1
	s_or_b32 exec_lo, exec_lo, s9
	v_add_nc_u32_e32 v2, 0x100, v2
	s_add_co_i32 s8, s8, -1
	s_delay_alu instid0(SALU_CYCLE_1)
	s_cmp_lg_u32 s8, 0
	s_cbranch_scc0 .LBB124_27
.LBB124_24:                             ; =>This Inner Loop Header: Depth=1
	s_mov_b32 s9, exec_lo
	s_delay_alu instid0(VALU_DEP_1)
	v_cmpx_gt_u32_e64 s25, v2
	s_cbranch_execz .LBB124_23
; %bb.25:                               ;   in Loop: Header=BB124_24 Depth=1
	v_mad_nc_u64_u32 v[4:5], s2, v2, s[4:5]
	s_delay_alu instid0(VALU_DEP_1) | instskip(SKIP_3) | instid1(VALU_DEP_1)
	v_mad_u32 v5, s3, v2, v5
	global_load_u8 v4, v[4:5], off
	s_wait_loadcnt 0x0
	v_bitop3_b32 v5, s6, s7, v4 bitop3:0x48
	v_cmp_eq_u32_e64 s0, 0, v5
	s_and_b32 exec_lo, exec_lo, s0
	s_cbranch_execz .LBB124_23
; %bb.26:                               ;   in Loop: Header=BB124_24 Depth=1
	v_lshrrev_b32_e32 v4, s1, v4
	s_delay_alu instid0(VALU_DEP_1)
	v_lshlrev_b32_e32 v4, 2, v4
	ds_add_u32 v4, v3
	s_branch .LBB124_23
.LBB124_27:
	s_wait_dscnt 0x0
	s_barrier_signal -1
	s_barrier_wait -1
	s_and_saveexec_b32 s0, vcc_lo
	s_cbranch_execz .LBB124_29
; %bb.28:
	ds_load_b32 v1, v1
	v_lshl_or_b32 v0, s24, 8, v0
	s_wait_dscnt 0x0
	global_store_b16 v0, v1, s[10:11] scale_offset
.LBB124_29:
	s_endpgm
.LBB124_30:
	v_cvt_f32_u32_e32 v1, s14
	s_sub_co_i32 s3, 0, s14
	s_mov_b32 s23, 0
	s_delay_alu instid0(VALU_DEP_1) | instskip(SKIP_1) | instid1(TRANS32_DEP_1)
	v_rcp_iflag_f32_e32 v1, v1
	v_nop
	v_mul_f32_e32 v1, 0x4f7ffffe, v1
	s_delay_alu instid0(VALU_DEP_1) | instskip(NEXT) | instid1(VALU_DEP_1)
	v_cvt_u32_f32_e32 v1, v1
	v_readfirstlane_b32 s2, v1
	s_mul_i32 s3, s3, s2
	s_delay_alu instid0(SALU_CYCLE_1) | instskip(NEXT) | instid1(SALU_CYCLE_1)
	s_mul_hi_u32 s3, s2, s3
	s_add_co_i32 s2, s2, s3
	s_delay_alu instid0(SALU_CYCLE_1) | instskip(NEXT) | instid1(SALU_CYCLE_1)
	s_mul_hi_u32 s2, s18, s2
	s_mul_i32 s3, s2, s14
	s_add_co_i32 s8, s2, 1
	s_sub_co_i32 s3, s18, s3
	s_delay_alu instid0(SALU_CYCLE_1)
	s_sub_co_i32 s9, s3, s14
	s_cmp_ge_u32 s3, s14
	s_cselect_b32 s2, s8, s2
	s_cselect_b32 s3, s9, s3
	s_add_co_i32 s8, s2, 1
	s_cmp_ge_u32 s3, s14
	s_cselect_b32 s22, s8, s2
	s_delay_alu instid0(SALU_CYCLE_1)
	v_cmp_lt_u64_e64 s2, s[22:23], s[12:13]
	s_and_b32 vcc_lo, exec_lo, s2
	s_cbranch_vccnz .LBB124_3
.LBB124_31:
	v_cvt_f32_u32_e32 v1, s12
	s_sub_co_i32 s3, 0, s12
	s_mov_b32 s21, 0
	s_delay_alu instid0(VALU_DEP_1) | instskip(SKIP_1) | instid1(TRANS32_DEP_1)
	v_rcp_iflag_f32_e32 v1, v1
	v_nop
	v_mul_f32_e32 v1, 0x4f7ffffe, v1
	s_delay_alu instid0(VALU_DEP_1) | instskip(NEXT) | instid1(VALU_DEP_1)
	v_cvt_u32_f32_e32 v1, v1
	v_readfirstlane_b32 s2, v1
	s_mul_i32 s3, s3, s2
	s_delay_alu instid0(SALU_CYCLE_1) | instskip(NEXT) | instid1(SALU_CYCLE_1)
	s_mul_hi_u32 s3, s2, s3
	s_add_co_i32 s2, s2, s3
	s_delay_alu instid0(SALU_CYCLE_1) | instskip(NEXT) | instid1(SALU_CYCLE_1)
	s_mul_hi_u32 s2, s22, s2
	s_mul_i32 s3, s2, s12
	s_add_co_i32 s8, s2, 1
	s_sub_co_i32 s3, s22, s3
	s_delay_alu instid0(SALU_CYCLE_1)
	s_sub_co_i32 s9, s3, s12
	s_cmp_ge_u32 s3, s12
	s_cselect_b32 s2, s8, s2
	s_cselect_b32 s3, s9, s3
	s_add_co_i32 s8, s2, 1
	s_cmp_ge_u32 s3, s12
	s_cselect_b32 s20, s8, s2
	v_cmp_gt_u32_e32 vcc_lo, 0x100, v0
	v_lshlrev_b32_e32 v1, 2, v0
	s_and_saveexec_b32 s2, vcc_lo
	s_cbranch_execnz .LBB124_4
	s_branch .LBB124_5
	.section	.rodata,"a",@progbits
	.p2align	6, 0x0
	.amdhsa_kernel _ZN2at6native6mbtopk23computeBlockDigitCountsIhmjLi3EEEvNS_4cuda6detail10TensorInfoIKT_T0_EEjPjjS8_iijT1_PSB_Ps
		.amdhsa_group_segment_fixed_size 1024
		.amdhsa_private_segment_fixed_size 0
		.amdhsa_kernarg_size 736
		.amdhsa_user_sgpr_count 2
		.amdhsa_user_sgpr_dispatch_ptr 0
		.amdhsa_user_sgpr_queue_ptr 0
		.amdhsa_user_sgpr_kernarg_segment_ptr 1
		.amdhsa_user_sgpr_dispatch_id 0
		.amdhsa_user_sgpr_kernarg_preload_length 0
		.amdhsa_user_sgpr_kernarg_preload_offset 0
		.amdhsa_user_sgpr_private_segment_size 0
		.amdhsa_wavefront_size32 1
		.amdhsa_uses_dynamic_stack 0
		.amdhsa_enable_private_segment 0
		.amdhsa_system_sgpr_workgroup_id_x 1
		.amdhsa_system_sgpr_workgroup_id_y 1
		.amdhsa_system_sgpr_workgroup_id_z 1
		.amdhsa_system_sgpr_workgroup_info 0
		.amdhsa_system_vgpr_workitem_id 0
		.amdhsa_next_free_vgpr 8
		.amdhsa_next_free_sgpr 38
		.amdhsa_named_barrier_count 0
		.amdhsa_reserve_vcc 1
		.amdhsa_float_round_mode_32 0
		.amdhsa_float_round_mode_16_64 0
		.amdhsa_float_denorm_mode_32 3
		.amdhsa_float_denorm_mode_16_64 3
		.amdhsa_fp16_overflow 0
		.amdhsa_memory_ordered 1
		.amdhsa_forward_progress 1
		.amdhsa_inst_pref_size 13
		.amdhsa_round_robin_scheduling 0
		.amdhsa_exception_fp_ieee_invalid_op 0
		.amdhsa_exception_fp_denorm_src 0
		.amdhsa_exception_fp_ieee_div_zero 0
		.amdhsa_exception_fp_ieee_overflow 0
		.amdhsa_exception_fp_ieee_underflow 0
		.amdhsa_exception_fp_ieee_inexact 0
		.amdhsa_exception_int_div_zero 0
	.end_amdhsa_kernel
	.section	.text._ZN2at6native6mbtopk23computeBlockDigitCountsIhmjLi3EEEvNS_4cuda6detail10TensorInfoIKT_T0_EEjPjjS8_iijT1_PSB_Ps,"axG",@progbits,_ZN2at6native6mbtopk23computeBlockDigitCountsIhmjLi3EEEvNS_4cuda6detail10TensorInfoIKT_T0_EEjPjjS8_iijT1_PSB_Ps,comdat
.Lfunc_end124:
	.size	_ZN2at6native6mbtopk23computeBlockDigitCountsIhmjLi3EEEvNS_4cuda6detail10TensorInfoIKT_T0_EEjPjjS8_iijT1_PSB_Ps, .Lfunc_end124-_ZN2at6native6mbtopk23computeBlockDigitCountsIhmjLi3EEEvNS_4cuda6detail10TensorInfoIKT_T0_EEjPjjS8_iijT1_PSB_Ps
                                        ; -- End function
	.set _ZN2at6native6mbtopk23computeBlockDigitCountsIhmjLi3EEEvNS_4cuda6detail10TensorInfoIKT_T0_EEjPjjS8_iijT1_PSB_Ps.num_vgpr, 8
	.set _ZN2at6native6mbtopk23computeBlockDigitCountsIhmjLi3EEEvNS_4cuda6detail10TensorInfoIKT_T0_EEjPjjS8_iijT1_PSB_Ps.num_agpr, 0
	.set _ZN2at6native6mbtopk23computeBlockDigitCountsIhmjLi3EEEvNS_4cuda6detail10TensorInfoIKT_T0_EEjPjjS8_iijT1_PSB_Ps.numbered_sgpr, 38
	.set _ZN2at6native6mbtopk23computeBlockDigitCountsIhmjLi3EEEvNS_4cuda6detail10TensorInfoIKT_T0_EEjPjjS8_iijT1_PSB_Ps.num_named_barrier, 0
	.set _ZN2at6native6mbtopk23computeBlockDigitCountsIhmjLi3EEEvNS_4cuda6detail10TensorInfoIKT_T0_EEjPjjS8_iijT1_PSB_Ps.private_seg_size, 0
	.set _ZN2at6native6mbtopk23computeBlockDigitCountsIhmjLi3EEEvNS_4cuda6detail10TensorInfoIKT_T0_EEjPjjS8_iijT1_PSB_Ps.uses_vcc, 1
	.set _ZN2at6native6mbtopk23computeBlockDigitCountsIhmjLi3EEEvNS_4cuda6detail10TensorInfoIKT_T0_EEjPjjS8_iijT1_PSB_Ps.uses_flat_scratch, 0
	.set _ZN2at6native6mbtopk23computeBlockDigitCountsIhmjLi3EEEvNS_4cuda6detail10TensorInfoIKT_T0_EEjPjjS8_iijT1_PSB_Ps.has_dyn_sized_stack, 0
	.set _ZN2at6native6mbtopk23computeBlockDigitCountsIhmjLi3EEEvNS_4cuda6detail10TensorInfoIKT_T0_EEjPjjS8_iijT1_PSB_Ps.has_recursion, 0
	.set _ZN2at6native6mbtopk23computeBlockDigitCountsIhmjLi3EEEvNS_4cuda6detail10TensorInfoIKT_T0_EEjPjjS8_iijT1_PSB_Ps.has_indirect_call, 0
	.section	.AMDGPU.csdata,"",@progbits
; Kernel info:
; codeLenInByte = 1544
; TotalNumSgprs: 40
; NumVgprs: 8
; ScratchSize: 0
; MemoryBound: 0
; FloatMode: 240
; IeeeMode: 1
; LDSByteSize: 1024 bytes/workgroup (compile time only)
; SGPRBlocks: 0
; VGPRBlocks: 0
; NumSGPRsForWavesPerEU: 40
; NumVGPRsForWavesPerEU: 8
; NamedBarCnt: 0
; Occupancy: 16
; WaveLimiterHint : 1
; COMPUTE_PGM_RSRC2:SCRATCH_EN: 0
; COMPUTE_PGM_RSRC2:USER_SGPR: 2
; COMPUTE_PGM_RSRC2:TRAP_HANDLER: 0
; COMPUTE_PGM_RSRC2:TGID_X_EN: 1
; COMPUTE_PGM_RSRC2:TGID_Y_EN: 1
; COMPUTE_PGM_RSRC2:TGID_Z_EN: 1
; COMPUTE_PGM_RSRC2:TIDIG_COMP_CNT: 0
	.section	.text._ZN2at6native6mbtopk10gatherTopKIhmLi3EEEvNS_4cuda6detail10TensorInfoIKT_T0_EES8_S8_bjS8_NS5_IS6_S8_EES8_NS5_IlS8_EES8_jjPS6_PjSD_j,"axG",@progbits,_ZN2at6native6mbtopk10gatherTopKIhmLi3EEEvNS_4cuda6detail10TensorInfoIKT_T0_EES8_S8_bjS8_NS5_IS6_S8_EES8_NS5_IlS8_EES8_jjPS6_PjSD_j,comdat
	.protected	_ZN2at6native6mbtopk10gatherTopKIhmLi3EEEvNS_4cuda6detail10TensorInfoIKT_T0_EES8_S8_bjS8_NS5_IS6_S8_EES8_NS5_IlS8_EES8_jjPS6_PjSD_j ; -- Begin function _ZN2at6native6mbtopk10gatherTopKIhmLi3EEEvNS_4cuda6detail10TensorInfoIKT_T0_EES8_S8_bjS8_NS5_IS6_S8_EES8_NS5_IlS8_EES8_jjPS6_PjSD_j
	.globl	_ZN2at6native6mbtopk10gatherTopKIhmLi3EEEvNS_4cuda6detail10TensorInfoIKT_T0_EES8_S8_bjS8_NS5_IS6_S8_EES8_NS5_IlS8_EES8_jjPS6_PjSD_j
	.p2align	8
	.type	_ZN2at6native6mbtopk10gatherTopKIhmLi3EEEvNS_4cuda6detail10TensorInfoIKT_T0_EES8_S8_bjS8_NS5_IS6_S8_EES8_NS5_IlS8_EES8_jjPS6_PjSD_j,@function
_ZN2at6native6mbtopk10gatherTopKIhmLi3EEEvNS_4cuda6detail10TensorInfoIKT_T0_EES8_S8_bjS8_NS5_IS6_S8_EES8_NS5_IlS8_EES8_jjPS6_PjSD_j: ; @_ZN2at6native6mbtopk10gatherTopKIhmLi3EEEvNS_4cuda6detail10TensorInfoIKT_T0_EES8_S8_bjS8_NS5_IS6_S8_EES8_NS5_IlS8_EES8_jjPS6_PjSD_j
; %bb.0:
	s_bfe_u32 s2, ttmp6, 0x40010
	s_and_b32 s4, ttmp7, 0xffff
	s_add_co_i32 s5, s2, 1
	s_clause 0x1
	s_load_b32 s6, s[0:1], 0x530
	s_load_b64 s[2:3], s[0:1], 0x538
	s_bfe_u32 s8, ttmp6, 0x4000c
	s_mul_i32 s5, s4, s5
	s_bfe_u32 s7, ttmp6, 0x40004
	s_add_co_i32 s8, s8, 1
	s_bfe_u32 s9, ttmp6, 0x40014
	s_add_co_i32 s7, s7, s5
	s_and_b32 s5, ttmp6, 15
	s_mul_i32 s8, ttmp9, s8
	s_lshr_b32 s10, ttmp7, 16
	s_add_co_i32 s9, s9, 1
	s_add_co_i32 s5, s5, s8
	s_mul_i32 s8, s10, s9
	s_bfe_u32 s9, ttmp6, 0x40008
	s_getreg_b32 s11, hwreg(HW_REG_IB_STS2, 6, 4)
	s_add_co_i32 s9, s9, s8
	s_cmp_eq_u32 s11, 0
	s_cselect_b32 s8, s10, s9
	s_cselect_b32 s4, s4, s7
	s_wait_kmcnt 0x0
	s_mul_i32 s3, s3, s8
	s_cselect_b32 s5, ttmp9, s5
	s_add_co_i32 s3, s3, s4
	s_delay_alu instid0(SALU_CYCLE_1) | instskip(NEXT) | instid1(SALU_CYCLE_1)
	s_mul_i32 s2, s3, s2
	s_add_co_i32 s2, s2, s5
	s_delay_alu instid0(SALU_CYCLE_1)
	s_cmp_ge_u32 s2, s6
	s_cbranch_scc1 .LBB125_54
; %bb.1:
	s_load_b64 s[34:35], s[0:1], 0x510
	s_wait_kmcnt 0x0
	s_cvt_f32_u32 s3, s35
	s_sub_co_i32 s4, 0, s35
	s_lshl_b32 s33, s34, 8
	s_delay_alu instid0(SALU_CYCLE_1) | instskip(SKIP_1) | instid1(TRANS32_DEP_1)
	v_rcp_iflag_f32_e32 v1, s3
	v_nop
	v_readfirstlane_b32 s3, v1
	s_mul_f32 s3, s3, 0x4f7ffffe
	s_delay_alu instid0(SALU_CYCLE_3) | instskip(NEXT) | instid1(SALU_CYCLE_3)
	s_cvt_u32_f32 s3, s3
	s_mul_i32 s4, s4, s3
	s_delay_alu instid0(SALU_CYCLE_1) | instskip(NEXT) | instid1(SALU_CYCLE_1)
	s_mul_hi_u32 s4, s3, s4
	s_add_co_i32 s3, s3, s4
	s_clause 0x1
	s_load_b128 s[4:7], s[0:1], 0x1a0
	s_load_b128 s[8:11], s[0:1], 0x10
	s_mul_hi_u32 s3, s2, s3
	s_delay_alu instid0(SALU_CYCLE_1) | instskip(SKIP_2) | instid1(SALU_CYCLE_1)
	s_mul_i32 s12, s3, s35
	s_add_co_i32 s13, s3, 1
	s_sub_co_i32 s12, s2, s12
	s_sub_co_i32 s14, s12, s35
	s_cmp_ge_u32 s12, s35
	s_cselect_b32 s3, s13, s3
	s_cselect_b32 s12, s14, s12
	s_add_co_i32 s13, s3, 1
	s_cmp_ge_u32 s12, s35
	s_cselect_b32 s44, s13, s3
	s_delay_alu instid0(SALU_CYCLE_1) | instskip(NEXT) | instid1(SALU_CYCLE_1)
	s_mul_i32 s50, s44, s35
	s_sub_co_i32 s72, s2, s50
	s_delay_alu instid0(SALU_CYCLE_1) | instskip(NEXT) | instid1(SALU_CYCLE_1)
	s_add_co_i32 s2, s72, 1
	s_cmp_lt_u32 s2, s35
	s_cbranch_scc1 .LBB125_3
; %bb.2:
	s_mul_i32 s2, s72, s33
	s_mov_b32 s3, 0
	s_wait_kmcnt 0x0
	s_sub_nc_u64 s[12:13], s[4:5], s[2:3]
	s_delay_alu instid0(SALU_CYCLE_1) | instskip(NEXT) | instid1(SALU_CYCLE_1)
	s_add_nc_u64 s[12:13], s[12:13], 0xff
	s_ashr_i32 s2, s13, 31
	s_delay_alu instid0(SALU_CYCLE_1) | instskip(NEXT) | instid1(SALU_CYCLE_1)
	s_lshr_b32 s2, s2, 24
	s_add_nc_u64 s[2:3], s[12:13], s[2:3]
	s_delay_alu instid0(SALU_CYCLE_1) | instskip(NEXT) | instid1(SALU_CYCLE_1)
	s_lshr_b64 s[2:3], s[2:3], 8
	s_mov_b32 s34, s2
.LBB125_3:
	s_mov_b32 s45, 0
	s_mov_b64 s[48:49], 0
	s_wait_kmcnt 0x0
	v_cmp_lt_u64_e64 s2, s[44:45], s[10:11]
	s_mov_b64 s[46:47], 0
	s_and_b32 vcc_lo, exec_lo, s2
	s_cbranch_vccnz .LBB125_5
; %bb.4:
	v_cvt_f32_u32_e32 v1, s10
	s_sub_co_i32 s3, 0, s10
	s_mov_b32 s47, s45
	s_delay_alu instid0(VALU_DEP_1) | instskip(SKIP_1) | instid1(TRANS32_DEP_1)
	v_rcp_iflag_f32_e32 v1, v1
	v_nop
	v_mul_f32_e32 v1, 0x4f7ffffe, v1
	s_delay_alu instid0(VALU_DEP_1) | instskip(NEXT) | instid1(VALU_DEP_1)
	v_cvt_u32_f32_e32 v1, v1
	v_readfirstlane_b32 s2, v1
	s_mul_i32 s3, s3, s2
	s_delay_alu instid0(SALU_CYCLE_1) | instskip(NEXT) | instid1(SALU_CYCLE_1)
	s_mul_hi_u32 s3, s2, s3
	s_add_co_i32 s2, s2, s3
	s_delay_alu instid0(SALU_CYCLE_1) | instskip(NEXT) | instid1(SALU_CYCLE_1)
	s_mul_hi_u32 s2, s44, s2
	s_mul_i32 s3, s2, s10
	s_add_co_i32 s12, s2, 1
	s_sub_co_i32 s3, s44, s3
	s_delay_alu instid0(SALU_CYCLE_1)
	s_sub_co_i32 s13, s3, s10
	s_cmp_ge_u32 s3, s10
	s_cselect_b32 s2, s12, s2
	s_cselect_b32 s3, s13, s3
	s_add_co_i32 s12, s2, 1
	s_cmp_ge_u32 s3, s10
	s_cselect_b32 s46, s12, s2
.LBB125_5:
	s_load_b128 s[20:23], s[0:1], 0x1d0
	v_cmp_lt_u64_e64 s2, s[46:47], s[8:9]
	s_and_b32 vcc_lo, exec_lo, s2
	s_cbranch_vccnz .LBB125_7
; %bb.6:
	v_cvt_f32_u32_e32 v1, s8
	s_sub_co_i32 s3, 0, s8
	s_mov_b32 s49, 0
	s_delay_alu instid0(VALU_DEP_1) | instskip(SKIP_1) | instid1(TRANS32_DEP_1)
	v_rcp_iflag_f32_e32 v1, v1
	v_nop
	v_mul_f32_e32 v1, 0x4f7ffffe, v1
	s_delay_alu instid0(VALU_DEP_1) | instskip(NEXT) | instid1(VALU_DEP_1)
	v_cvt_u32_f32_e32 v1, v1
	v_readfirstlane_b32 s2, v1
	s_mul_i32 s3, s3, s2
	s_delay_alu instid0(SALU_CYCLE_1) | instskip(NEXT) | instid1(SALU_CYCLE_1)
	s_mul_hi_u32 s3, s2, s3
	s_add_co_i32 s2, s2, s3
	s_delay_alu instid0(SALU_CYCLE_1) | instskip(NEXT) | instid1(SALU_CYCLE_1)
	s_mul_hi_u32 s2, s46, s2
	s_mul_i32 s3, s2, s8
	s_add_co_i32 s12, s2, 1
	s_sub_co_i32 s3, s46, s3
	s_delay_alu instid0(SALU_CYCLE_1)
	s_sub_co_i32 s13, s3, s8
	s_cmp_ge_u32 s3, s8
	s_cselect_b32 s2, s12, s2
	s_cselect_b32 s3, s13, s3
	s_add_co_i32 s12, s2, 1
	s_cmp_ge_u32 s3, s8
	s_cselect_b32 s48, s12, s2
.LBB125_7:
	s_wait_kmcnt 0x0
	v_cmp_lt_u64_e64 s2, s[44:45], s[22:23]
	s_mov_b64 s[54:55], 0
	s_mov_b64 s[52:53], 0
	s_and_b32 vcc_lo, exec_lo, s2
	s_cbranch_vccnz .LBB125_9
; %bb.8:
	v_cvt_f32_u32_e32 v1, s22
	s_sub_co_i32 s3, 0, s22
	s_mov_b32 s53, 0
	s_delay_alu instid0(VALU_DEP_1) | instskip(SKIP_1) | instid1(TRANS32_DEP_1)
	v_rcp_iflag_f32_e32 v1, v1
	v_nop
	v_mul_f32_e32 v1, 0x4f7ffffe, v1
	s_delay_alu instid0(VALU_DEP_1) | instskip(NEXT) | instid1(VALU_DEP_1)
	v_cvt_u32_f32_e32 v1, v1
	v_readfirstlane_b32 s2, v1
	s_mul_i32 s3, s3, s2
	s_delay_alu instid0(SALU_CYCLE_1) | instskip(NEXT) | instid1(SALU_CYCLE_1)
	s_mul_hi_u32 s3, s2, s3
	s_add_co_i32 s2, s2, s3
	s_delay_alu instid0(SALU_CYCLE_1) | instskip(NEXT) | instid1(SALU_CYCLE_1)
	s_mul_hi_u32 s2, s44, s2
	s_mul_i32 s3, s2, s22
	s_add_co_i32 s12, s2, 1
	s_sub_co_i32 s3, s44, s3
	s_delay_alu instid0(SALU_CYCLE_1)
	s_sub_co_i32 s13, s3, s22
	s_cmp_ge_u32 s3, s22
	s_cselect_b32 s2, s12, s2
	s_cselect_b32 s3, s13, s3
	s_add_co_i32 s12, s2, 1
	s_cmp_ge_u32 s3, s22
	s_cselect_b32 s52, s12, s2
.LBB125_9:
	s_load_b128 s[24:27], s[0:1], 0x378
	v_cmp_lt_u64_e64 s2, s[52:53], s[20:21]
	s_and_b32 vcc_lo, exec_lo, s2
	s_cbranch_vccnz .LBB125_11
; %bb.10:
	v_cvt_f32_u32_e32 v1, s20
	s_sub_co_i32 s3, 0, s20
	s_mov_b32 s55, 0
	s_delay_alu instid0(VALU_DEP_1) | instskip(SKIP_1) | instid1(TRANS32_DEP_1)
	v_rcp_iflag_f32_e32 v1, v1
	v_nop
	v_mul_f32_e32 v1, 0x4f7ffffe, v1
	s_delay_alu instid0(VALU_DEP_1) | instskip(NEXT) | instid1(VALU_DEP_1)
	v_cvt_u32_f32_e32 v1, v1
	v_readfirstlane_b32 s2, v1
	s_mul_i32 s3, s3, s2
	s_delay_alu instid0(SALU_CYCLE_1) | instskip(NEXT) | instid1(SALU_CYCLE_1)
	s_mul_hi_u32 s3, s2, s3
	s_add_co_i32 s2, s2, s3
	s_delay_alu instid0(SALU_CYCLE_1) | instskip(NEXT) | instid1(SALU_CYCLE_1)
	s_mul_hi_u32 s2, s52, s2
	s_mul_i32 s3, s2, s20
	s_add_co_i32 s12, s2, 1
	s_sub_co_i32 s3, s52, s3
	s_delay_alu instid0(SALU_CYCLE_1)
	s_sub_co_i32 s13, s3, s20
	s_cmp_ge_u32 s3, s20
	s_cselect_b32 s2, s12, s2
	s_cselect_b32 s3, s13, s3
	s_add_co_i32 s12, s2, 1
	s_cmp_ge_u32 s3, s20
	s_cselect_b32 s54, s12, s2
.LBB125_11:
	s_wait_kmcnt 0x0
	v_cmp_lt_u64_e64 s2, s[44:45], s[26:27]
	s_mov_b64 s[56:57], 0
	s_mov_b64 s[58:59], 0
	s_and_b32 vcc_lo, exec_lo, s2
	s_cbranch_vccnz .LBB125_13
; %bb.12:
	v_cvt_f32_u32_e32 v1, s26
	s_sub_co_i32 s3, 0, s26
	s_mov_b32 s59, 0
	s_delay_alu instid0(VALU_DEP_1) | instskip(SKIP_1) | instid1(TRANS32_DEP_1)
	v_rcp_iflag_f32_e32 v1, v1
	v_nop
	v_mul_f32_e32 v1, 0x4f7ffffe, v1
	s_delay_alu instid0(VALU_DEP_1) | instskip(NEXT) | instid1(VALU_DEP_1)
	v_cvt_u32_f32_e32 v1, v1
	v_readfirstlane_b32 s2, v1
	s_mul_i32 s3, s3, s2
	s_delay_alu instid0(SALU_CYCLE_1) | instskip(NEXT) | instid1(SALU_CYCLE_1)
	s_mul_hi_u32 s3, s2, s3
	s_add_co_i32 s2, s2, s3
	s_delay_alu instid0(SALU_CYCLE_1) | instskip(NEXT) | instid1(SALU_CYCLE_1)
	s_mul_hi_u32 s2, s44, s2
	s_mul_i32 s3, s2, s26
	s_add_co_i32 s12, s2, 1
	s_sub_co_i32 s3, s44, s3
	s_delay_alu instid0(SALU_CYCLE_1)
	s_sub_co_i32 s13, s3, s26
	s_cmp_ge_u32 s3, s26
	s_cselect_b32 s2, s12, s2
	s_cselect_b32 s3, s13, s3
	s_add_co_i32 s12, s2, 1
	s_cmp_ge_u32 s3, s26
	s_cselect_b32 s58, s12, s2
.LBB125_13:
	s_clause 0x5
	s_load_b64 s[60:61], s[0:1], 0xe0
	s_load_b128 s[36:39], s[0:1], 0xd0
	s_load_b64 s[62:63], s[0:1], 0x2a0
	s_load_b128 s[40:43], s[0:1], 0x290
	;; [unrolled: 2-line block ×3, first 2 shown]
	v_cmp_lt_u64_e64 s2, s[58:59], s[24:25]
	s_and_b32 vcc_lo, exec_lo, s2
	s_cbranch_vccnz .LBB125_15
; %bb.14:
	v_cvt_f32_u32_e32 v1, s24
	s_sub_co_i32 s3, 0, s24
	s_mov_b32 s57, 0
	s_delay_alu instid0(VALU_DEP_1) | instskip(SKIP_1) | instid1(TRANS32_DEP_1)
	v_rcp_iflag_f32_e32 v1, v1
	v_nop
	v_mul_f32_e32 v1, 0x4f7ffffe, v1
	s_delay_alu instid0(VALU_DEP_1) | instskip(NEXT) | instid1(VALU_DEP_1)
	v_cvt_u32_f32_e32 v1, v1
	v_readfirstlane_b32 s2, v1
	s_mul_i32 s3, s3, s2
	s_delay_alu instid0(SALU_CYCLE_1) | instskip(NEXT) | instid1(SALU_CYCLE_1)
	s_mul_hi_u32 s3, s2, s3
	s_add_co_i32 s2, s2, s3
	s_delay_alu instid0(SALU_CYCLE_1) | instskip(NEXT) | instid1(SALU_CYCLE_1)
	s_mul_hi_u32 s2, s58, s2
	s_mul_i32 s3, s2, s24
	s_add_co_i32 s12, s2, 1
	s_sub_co_i32 s3, s58, s3
	s_delay_alu instid0(SALU_CYCLE_1)
	s_sub_co_i32 s13, s3, s24
	s_cmp_ge_u32 s3, s24
	s_cselect_b32 s2, s12, s2
	s_cselect_b32 s3, s13, s3
	s_add_co_i32 s12, s2, 1
	s_cmp_ge_u32 s3, s24
	s_cselect_b32 s56, s12, s2
.LBB125_15:
	s_load_b128 s[12:15], s[0:1], 0x518
	v_mov_b32_e32 v1, 0
	s_mov_b32 s51, 0
	s_wait_kmcnt 0x0
	s_add_nc_u64 s[2:3], s[12:13], s[44:45]
	global_load_u8 v6, v1, s[2:3]
	s_wait_xcnt 0x0
	v_cmp_ne_u32_e64 s2, 0, v0
	v_cmp_eq_u32_e64 s3, 0, v0
	s_and_saveexec_b32 s73, s3
	s_cbranch_execz .LBB125_31
; %bb.16:
	s_load_b64 s[66:67], s[0:1], 0x528
	s_lshl_b64 s[68:69], s[50:51], 2
	s_cmp_lt_u32 s35, 4
	s_cbranch_scc1 .LBB125_28
; %bb.17:
	s_mov_b64 s[12:13], 0
	s_mov_b32 s50, 0
.LBB125_18:                             ; =>This Inner Loop Header: Depth=1
	s_add_nc_u64 s[70:71], s[14:15], s[68:69]
	s_cmp_ge_u32 s50, s72
	s_load_b128 s[16:19], s[70:71], 0x0
	s_wait_kmcnt 0x0
	s_add_nc_u64 s[70:71], s[66:67], s[68:69]
	s_cbranch_scc0 .LBB125_25
; %bb.19:                               ;   in Loop: Header=BB125_18 Depth=1
	s_add_co_i32 s74, s50, 1
	s_delay_alu instid0(SALU_CYCLE_1)
	s_cmp_ge_u32 s74, s72
	s_cbranch_scc0 .LBB125_26
.LBB125_20:                             ;   in Loop: Header=BB125_18 Depth=1
	s_add_co_i32 s74, s74, 1
	s_delay_alu instid0(SALU_CYCLE_1)
	s_cmp_ge_u32 s74, s72
	s_cbranch_scc0 .LBB125_27
.LBB125_21:                             ;   in Loop: Header=BB125_18 Depth=1
	s_add_co_i32 s74, s74, 1
	s_delay_alu instid0(SALU_CYCLE_1)
	s_cmp_ge_u32 s74, s72
	s_cbranch_scc1 .LBB125_23
.LBB125_22:                             ;   in Loop: Header=BB125_18 Depth=1
	s_load_b32 s70, s[70:71], 0xc
	s_add_co_i32 s13, s19, s13
	s_wait_kmcnt 0x0
	s_add_co_i32 s12, s70, s12
.LBB125_23:                             ;   in Loop: Header=BB125_18 Depth=1
	s_add_co_i32 s16, s16, s51
	s_add_nc_u64 s[14:15], s[14:15], 16
	s_add_co_i32 s16, s16, s17
	s_add_co_i32 s17, s74, 4
	;; [unrolled: 1-line block ×3, first 2 shown]
	s_add_nc_u64 s[66:67], s[66:67], 16
	s_add_co_i32 s51, s16, s19
	s_add_co_i32 s16, s74, 1
	s_cmp_ge_u32 s17, s35
	s_cbranch_scc1 .LBB125_29
; %bb.24:                               ;   in Loop: Header=BB125_18 Depth=1
	s_mov_b32 s50, s16
	s_branch .LBB125_18
.LBB125_25:                             ;   in Loop: Header=BB125_18 Depth=1
	s_load_b32 s74, s[70:71], 0x0
	s_add_co_i32 s13, s16, s13
	s_wait_kmcnt 0x0
	s_add_co_i32 s12, s74, s12
	s_add_co_i32 s74, s50, 1
	s_delay_alu instid0(SALU_CYCLE_1)
	s_cmp_ge_u32 s74, s72
	s_cbranch_scc1 .LBB125_20
.LBB125_26:                             ;   in Loop: Header=BB125_18 Depth=1
	s_load_b32 s75, s[70:71], 0x4
	s_add_co_i32 s13, s17, s13
	s_wait_kmcnt 0x0
	s_add_co_i32 s12, s75, s12
	s_add_co_i32 s74, s74, 1
	s_delay_alu instid0(SALU_CYCLE_1)
	s_cmp_ge_u32 s74, s72
	s_cbranch_scc1 .LBB125_21
.LBB125_27:                             ;   in Loop: Header=BB125_18 Depth=1
	s_load_b32 s75, s[70:71], 0x8
	s_add_co_i32 s13, s18, s13
	s_wait_kmcnt 0x0
	s_add_co_i32 s12, s75, s12
	s_add_co_i32 s74, s74, 1
	s_delay_alu instid0(SALU_CYCLE_1)
	s_cmp_ge_u32 s74, s72
	s_cbranch_scc0 .LBB125_22
	s_branch .LBB125_23
.LBB125_28:
	s_mov_b64 s[12:13], 0
	s_add_nc_u64 s[14:15], s[14:15], s[68:69]
	s_wait_kmcnt 0x0
	s_add_nc_u64 s[16:17], s[66:67], s[68:69]
	s_mov_b32 s18, 0
	s_delay_alu instid0(SALU_CYCLE_1)
	s_cmp_ge_u32 s18, s35
	s_cbranch_scc0 .LBB125_52
	s_branch .LBB125_30
.LBB125_29:
	s_add_co_i32 s18, s50, 4
	s_add_nc_u64 s[16:17], s[66:67], s[68:69]
	s_add_nc_u64 s[14:15], s[14:15], s[68:69]
	s_cmp_ge_u32 s18, s35
	s_cbranch_scc0 .LBB125_52
.LBB125_30:
	v_dual_mov_b32 v2, s12 :: v_dual_mov_b32 v3, s51
	v_dual_mov_b32 v4, s13 :: v_dual_mov_b32 v1, 0
	ds_store_b96 v1, v[2:4] offset:1056
.LBB125_31:
	s_or_b32 exec_lo, exec_lo, s73
	s_clause 0x2
	s_load_b128 s[12:15], s[0:1], 0x360
	s_load_b128 s[16:19], s[0:1], 0x1b8
	s_load_b64 s[50:51], s[0:1], 0x0
	s_cmp_eq_u32 s34, 0
	s_wait_loadcnt_dscnt 0x0
	s_barrier_signal -1
	s_barrier_wait -1
	s_cbranch_scc1 .LBB125_54
; %bb.32:
	v_dual_mov_b32 v1, 0 :: v_dual_lshrrev_b32 v5, 3, v0
	s_mul_u64 s[8:9], s[48:49], s[8:9]
	s_mul_u64 s[24:25], s[56:57], s[24:25]
	;; [unrolled: 1-line block ×3, first 2 shown]
	s_sub_nc_u64 s[8:9], s[46:47], s[8:9]
	s_mul_u64 s[36:37], s[48:49], s[36:37]
	s_mul_u64 s[10:11], s[46:47], s[10:11]
	s_sub_nc_u64 s[24:25], s[58:59], s[24:25]
	s_sub_nc_u64 s[20:21], s[52:53], s[20:21]
	s_mul_u64 s[40:41], s[54:55], s[40:41]
	s_mul_u64 s[22:23], s[52:53], s[22:23]
	;; [unrolled: 1-line block ×3, first 2 shown]
	s_sub_nc_u64 s[10:11], s[44:45], s[10:11]
	ds_load_b96 v[2:4], v1 offset:1056
	s_mul_u64 s[24:25], s[24:25], s[30:31]
	s_wait_kmcnt 0x0
	s_add_nc_u64 s[30:31], s[50:51], s[36:37]
	s_mul_u64 s[20:21], s[20:21], s[42:43]
	s_sub_nc_u64 s[22:23], s[44:45], s[22:23]
	s_mul_u64 s[10:11], s[10:11], s[60:61]
	s_add_nc_u64 s[8:9], s[30:31], s[8:9]
	s_add_nc_u64 s[18:19], s[18:19], s[40:41]
	s_mul_u64 s[22:23], s[22:23], s[62:63]
	s_mul_u64 s[28:29], s[56:57], s[28:29]
	s_add_nc_u64 s[8:9], s[8:9], s[10:11]
	s_add_nc_u64 s[10:11], s[18:19], s[20:21]
	s_lshl_b64 s[18:19], s[28:29], 3
	s_add_nc_u64 s[10:11], s[10:11], s[22:23]
	s_load_b32 s22, s[0:1], 0x1b0
	s_add_nc_u64 s[14:15], s[14:15], s[18:19]
	s_lshl_b64 s[18:19], s[24:25], 3
	v_dual_add_nc_u32 v7, -1, v0 :: v_dual_bitop2_b32 v5, 28, v5 bitop3:0x40
	s_add_nc_u64 s[18:19], s[14:15], s[18:19]
	s_load_b64 s[14:15], s[0:1], 0x508
	s_mul_u64 s[26:27], s[58:59], s[26:27]
	s_delay_alu instid0(VALU_DEP_1)
	v_dual_lshrrev_b32 v8, 3, v7 :: v_dual_lshlrev_b32 v12, 5, v0
	v_lshl_add_u32 v5, v0, 2, v5
	s_wait_xcnt 0x0
	v_cmp_gt_u32_e64 s0, 32, v0
	v_and_b32_e32 v11, 0xfc, v0
	v_mad_u32 v0, s72, s33, v0
	s_wait_dscnt 0x0
	v_add_nc_u32_e32 v2, v2, v3
	v_and_b32_e32 v3, 0x1ffffffc, v8
	v_mbcnt_lo_u32_b32 v8, -1, 0
	s_sub_nc_u64 s[26:27], s[44:45], s[26:27]
	v_and_b32_e32 v10, 0xff, v6
	s_mul_u64 s[26:27], s[26:27], s[64:65]
	v_lshl_add_u32 v9, v7, 2, v3
	s_lshl_b64 s[20:21], s[26:27], 3
	v_add_nc_u32_e32 v11, v11, v12
	v_dual_add_nc_u32 v14, -1, v8 :: v_dual_bitop2_b32 v12, 15, v8 bitop3:0x40
	v_bfe_i32 v13, v8, 4, 1
	s_wait_kmcnt 0x0
	s_bitcmp1_b32 s22, 0
	s_add_nc_u64 s[18:19], s[18:19], s[20:21]
	s_cselect_b32 s1, -1, 0
                                        ; implicit-def: $vgpr15
	s_branch .LBB125_35
.LBB125_33:                             ;   in Loop: Header=BB125_35 Depth=1
	s_wait_xcnt 0x0
	s_or_b32 exec_lo, exec_lo, s20
	v_add_nc_u32_e32 v2, v3, v2
.LBB125_34:                             ;   in Loop: Header=BB125_35 Depth=1
	v_add_nc_u32_e32 v4, v16, v4
	v_add_nc_u32_e32 v0, 0x100, v0
	s_add_co_i32 s34, s34, -1
	s_delay_alu instid0(SALU_CYCLE_1)
	s_cmp_lg_u32 s34, 0
	s_cbranch_scc0 .LBB125_54
.LBB125_35:                             ; =>This Inner Loop Header: Depth=1
	v_dual_mov_b32 v3, v1 :: v_dual_mov_b32 v6, v1
	s_mov_b32 s20, exec_lo
	v_cmpx_gt_u64_e64 s[4:5], v[0:1]
	s_cbranch_execz .LBB125_37
; %bb.36:                               ;   in Loop: Header=BB125_35 Depth=1
	v_mad_nc_u64_u32 v[6:7], s16, v0, s[8:9]
	s_delay_alu instid0(VALU_DEP_1)
	v_mad_u32 v7, s17, v0, v7
	global_load_u8 v15, v[6:7], off
	s_wait_loadcnt 0x0
	v_cmp_gt_u16_e32 vcc_lo, v15, v10
	v_cndmask_b32_e64 v3, 0, 1, vcc_lo
	v_cmp_lt_u16_e32 vcc_lo, v15, v10
	s_wait_xcnt 0x0
	v_cndmask_b32_e64 v6, 0, 1, vcc_lo
	v_cmp_eq_u16_e32 vcc_lo, v15, v10
	s_delay_alu instid0(VALU_DEP_2) | instskip(SKIP_1) | instid1(VALU_DEP_2)
	v_cndmask_b32_e64 v3, v6, v3, s1
	v_cndmask_b32_e64 v6, 0, 1, vcc_lo
	v_and_b32_e32 v3, 1, v3
.LBB125_37:                             ;   in Loop: Header=BB125_35 Depth=1
	s_or_b32 exec_lo, exec_lo, s20
	ds_store_b32 v5, v3
	s_wait_dscnt 0x0
	s_barrier_signal -1
	s_barrier_wait -1
	s_and_saveexec_b32 s20, s0
	s_cbranch_execz .LBB125_39
; %bb.38:                               ;   in Loop: Header=BB125_35 Depth=1
	ds_load_2addr_b32 v[16:17], v11 offset1:1
	ds_load_2addr_b32 v[18:19], v11 offset0:2 offset1:3
	ds_load_2addr_b32 v[20:21], v11 offset0:4 offset1:5
	;; [unrolled: 1-line block ×3, first 2 shown]
	v_cmp_ne_u32_e32 vcc_lo, 0, v12
	; wave barrier
	s_wait_dscnt 0x3
	v_add_nc_u32_e32 v7, v17, v16
	s_wait_dscnt 0x2
	s_delay_alu instid0(VALU_DEP_1) | instskip(SKIP_1) | instid1(VALU_DEP_1)
	v_add3_u32 v7, v7, v18, v19
	s_wait_dscnt 0x1
	v_add3_u32 v7, v7, v20, v21
	s_wait_dscnt 0x0
	s_delay_alu instid0(VALU_DEP_1) | instskip(NEXT) | instid1(VALU_DEP_1)
	v_add3_u32 v7, v7, v22, v23
	v_mov_b32_dpp v17, v7 row_shr:1 row_mask:0xf bank_mask:0xf
	s_delay_alu instid0(VALU_DEP_1) | instskip(SKIP_1) | instid1(VALU_DEP_2)
	v_cndmask_b32_e32 v17, 0, v17, vcc_lo
	v_cmp_lt_u32_e32 vcc_lo, 1, v12
	v_add_nc_u32_e32 v7, v17, v7
	s_delay_alu instid0(VALU_DEP_1) | instskip(NEXT) | instid1(VALU_DEP_1)
	v_mov_b32_dpp v17, v7 row_shr:2 row_mask:0xf bank_mask:0xf
	v_cndmask_b32_e32 v17, 0, v17, vcc_lo
	v_cmp_lt_u32_e32 vcc_lo, 3, v12
	s_delay_alu instid0(VALU_DEP_2) | instskip(NEXT) | instid1(VALU_DEP_1)
	v_add_nc_u32_e32 v7, v7, v17
	v_mov_b32_dpp v17, v7 row_shr:4 row_mask:0xf bank_mask:0xf
	s_delay_alu instid0(VALU_DEP_1) | instskip(SKIP_1) | instid1(VALU_DEP_2)
	v_cndmask_b32_e32 v17, 0, v17, vcc_lo
	v_cmp_lt_u32_e32 vcc_lo, 7, v12
	v_add_nc_u32_e32 v7, v7, v17
	s_delay_alu instid0(VALU_DEP_1) | instskip(NEXT) | instid1(VALU_DEP_1)
	v_mov_b32_dpp v17, v7 row_shr:8 row_mask:0xf bank_mask:0xf
	v_cndmask_b32_e32 v17, 0, v17, vcc_lo
	v_cmp_gt_i32_e32 vcc_lo, 0, v14
	s_delay_alu instid0(VALU_DEP_2) | instskip(SKIP_3) | instid1(VALU_DEP_1)
	v_dual_cndmask_b32 v18, v14, v8 :: v_dual_add_nc_u32 v7, v7, v17
	ds_swizzle_b32 v17, v7 offset:swizzle(BROADCAST,32,15)
	s_wait_dscnt 0x0
	v_dual_lshlrev_b32 v18, 2, v18 :: v_dual_bitop2_b32 v17, v13, v17 bitop3:0x40
	v_add_nc_u32_e32 v7, v7, v17
	ds_bpermute_b32 v7, v18, v7
	s_wait_dscnt 0x0
	v_add_nc_u32_e32 v7, v7, v16
	s_delay_alu instid0(VALU_DEP_1)
	v_cndmask_b32_e64 v7, v7, v3, s3
	ds_store_b32 v11, v7
	; wave barrier
	ds_load_2addr_b32 v[16:17], v11 offset0:1 offset1:2
	ds_load_2addr_b32 v[18:19], v11 offset0:3 offset1:4
	;; [unrolled: 1-line block ×3, first 2 shown]
	ds_load_b32 v22, v11 offset:28
	s_wait_dscnt 0x3
	v_add_nc_u32_e32 v7, v16, v7
	s_delay_alu instid0(VALU_DEP_1) | instskip(SKIP_1) | instid1(VALU_DEP_1)
	v_add_nc_u32_e32 v16, v17, v7
	s_wait_dscnt 0x2
	v_add_nc_u32_e32 v17, v18, v16
	s_delay_alu instid0(VALU_DEP_1) | instskip(SKIP_1) | instid1(VALU_DEP_1)
	v_add_nc_u32_e32 v18, v19, v17
	;; [unrolled: 4-line block ×3, first 2 shown]
	s_wait_dscnt 0x0
	v_add_nc_u32_e32 v21, v22, v20
	ds_store_2addr_b32 v11, v7, v16 offset0:1 offset1:2
	ds_store_2addr_b32 v11, v17, v18 offset0:3 offset1:4
	;; [unrolled: 1-line block ×3, first 2 shown]
	ds_store_b32 v11, v21 offset:28
.LBB125_39:                             ;   in Loop: Header=BB125_35 Depth=1
	s_or_b32 exec_lo, exec_lo, s20
	v_mov_b32_e32 v7, 0
	s_wait_dscnt 0x0
	s_barrier_signal -1
	s_barrier_wait -1
	s_and_saveexec_b32 s20, s2
; %bb.40:                               ;   in Loop: Header=BB125_35 Depth=1
	ds_load_b32 v7, v9
; %bb.41:                               ;   in Loop: Header=BB125_35 Depth=1
	s_or_b32 exec_lo, exec_lo, s20
	ds_load_b32 v16, v1 offset:1048
	s_mov_b32 s20, exec_lo
	s_wait_dscnt 0x0
	s_barrier_signal -1
	s_barrier_wait -1
	v_cmpx_ne_u32_e32 0, v3
	s_cbranch_execz .LBB125_43
; %bb.42:                               ;   in Loop: Header=BB125_35 Depth=1
	v_dual_mov_b32 v19, v1 :: v_dual_add_nc_u32 v18, v7, v4
	s_delay_alu instid0(VALU_DEP_1) | instskip(NEXT) | instid1(VALU_DEP_2)
	v_mad_nc_u64_u32 v[22:23], s12, v18, s[10:11]
	v_mul_u64_e32 v[20:21], s[14:15], v[18:19]
	s_delay_alu instid0(VALU_DEP_2) | instskip(NEXT) | instid1(VALU_DEP_2)
	v_mad_u32 v23, s13, v18, v23
	v_lshl_add_u64 v[18:19], v[20:21], 3, s[18:19]
	global_store_b8 v[22:23], v15, off
	global_store_b64 v[18:19], v[0:1], off
.LBB125_43:                             ;   in Loop: Header=BB125_35 Depth=1
	s_wait_xcnt 0x0
	s_or_b32 exec_lo, exec_lo, s20
	v_mov_b32_e32 v3, v1
	s_delay_alu instid0(VALU_DEP_1)
	v_cmp_le_u64_e32 vcc_lo, s[6:7], v[2:3]
	s_cbranch_vccnz .LBB125_34
; %bb.44:                               ;   in Loop: Header=BB125_35 Depth=1
	ds_store_b32 v5, v6
	s_wait_storecnt_dscnt 0x0
	s_barrier_signal -1
	s_barrier_wait -1
	s_and_saveexec_b32 s20, s0
	s_cbranch_execz .LBB125_46
; %bb.45:                               ;   in Loop: Header=BB125_35 Depth=1
	ds_load_2addr_b32 v[18:19], v11 offset1:1
	ds_load_2addr_b32 v[20:21], v11 offset0:2 offset1:3
	ds_load_2addr_b32 v[22:23], v11 offset0:4 offset1:5
	;; [unrolled: 1-line block ×3, first 2 shown]
	v_cmp_ne_u32_e32 vcc_lo, 0, v12
	; wave barrier
	s_wait_dscnt 0x3
	v_add_nc_u32_e32 v3, v19, v18
	s_wait_dscnt 0x2
	s_delay_alu instid0(VALU_DEP_1) | instskip(SKIP_1) | instid1(VALU_DEP_1)
	v_add3_u32 v3, v3, v20, v21
	s_wait_dscnt 0x1
	v_add3_u32 v3, v3, v22, v23
	s_wait_dscnt 0x0
	s_delay_alu instid0(VALU_DEP_1) | instskip(NEXT) | instid1(VALU_DEP_1)
	v_add3_u32 v3, v3, v24, v25
	v_mov_b32_dpp v7, v3 row_shr:1 row_mask:0xf bank_mask:0xf
	s_delay_alu instid0(VALU_DEP_1) | instskip(SKIP_1) | instid1(VALU_DEP_2)
	v_cndmask_b32_e32 v7, 0, v7, vcc_lo
	v_cmp_lt_u32_e32 vcc_lo, 1, v12
	v_add_nc_u32_e32 v3, v7, v3
	s_delay_alu instid0(VALU_DEP_1) | instskip(NEXT) | instid1(VALU_DEP_1)
	v_mov_b32_dpp v7, v3 row_shr:2 row_mask:0xf bank_mask:0xf
	v_cndmask_b32_e32 v7, 0, v7, vcc_lo
	v_cmp_lt_u32_e32 vcc_lo, 3, v12
	s_delay_alu instid0(VALU_DEP_2) | instskip(NEXT) | instid1(VALU_DEP_1)
	v_add_nc_u32_e32 v3, v3, v7
	v_mov_b32_dpp v7, v3 row_shr:4 row_mask:0xf bank_mask:0xf
	s_delay_alu instid0(VALU_DEP_1) | instskip(SKIP_1) | instid1(VALU_DEP_2)
	v_cndmask_b32_e32 v7, 0, v7, vcc_lo
	v_cmp_lt_u32_e32 vcc_lo, 7, v12
	v_add_nc_u32_e32 v3, v3, v7
	s_delay_alu instid0(VALU_DEP_1) | instskip(NEXT) | instid1(VALU_DEP_1)
	v_mov_b32_dpp v7, v3 row_shr:8 row_mask:0xf bank_mask:0xf
	v_cndmask_b32_e32 v7, 0, v7, vcc_lo
	v_cmp_gt_i32_e32 vcc_lo, 0, v14
	s_delay_alu instid0(VALU_DEP_2) | instskip(SKIP_3) | instid1(VALU_DEP_1)
	v_dual_add_nc_u32 v3, v3, v7 :: v_dual_cndmask_b32 v17, v14, v8, vcc_lo
	ds_swizzle_b32 v7, v3 offset:swizzle(BROADCAST,32,15)
	s_wait_dscnt 0x0
	v_dual_lshlrev_b32 v17, 2, v17 :: v_dual_bitop2_b32 v7, v13, v7 bitop3:0x40
	v_add_nc_u32_e32 v3, v3, v7
	ds_bpermute_b32 v3, v17, v3
	s_wait_dscnt 0x0
	v_add_nc_u32_e32 v3, v3, v18
	s_delay_alu instid0(VALU_DEP_1)
	v_cndmask_b32_e64 v3, v3, v6, s3
	ds_store_b32 v11, v3
	; wave barrier
	ds_load_2addr_b32 v[18:19], v11 offset0:1 offset1:2
	ds_load_2addr_b32 v[20:21], v11 offset0:3 offset1:4
	;; [unrolled: 1-line block ×3, first 2 shown]
	ds_load_b32 v7, v11 offset:28
	s_wait_dscnt 0x3
	v_add_nc_u32_e32 v3, v18, v3
	s_delay_alu instid0(VALU_DEP_1) | instskip(SKIP_1) | instid1(VALU_DEP_1)
	v_add_nc_u32_e32 v17, v19, v3
	s_wait_dscnt 0x2
	v_add_nc_u32_e32 v18, v20, v17
	s_delay_alu instid0(VALU_DEP_1) | instskip(SKIP_1) | instid1(VALU_DEP_1)
	v_add_nc_u32_e32 v19, v21, v18
	;; [unrolled: 4-line block ×3, first 2 shown]
	s_wait_dscnt 0x0
	v_add_nc_u32_e32 v7, v7, v21
	ds_store_2addr_b32 v11, v3, v17 offset0:1 offset1:2
	ds_store_2addr_b32 v11, v18, v19 offset0:3 offset1:4
	;; [unrolled: 1-line block ×3, first 2 shown]
	ds_store_b32 v11, v7 offset:28
.LBB125_46:                             ;   in Loop: Header=BB125_35 Depth=1
	s_or_b32 exec_lo, exec_lo, s20
	v_mov_b32_e32 v7, 0
	s_wait_dscnt 0x0
	s_barrier_signal -1
	s_barrier_wait -1
	s_and_saveexec_b32 s20, s2
; %bb.47:                               ;   in Loop: Header=BB125_35 Depth=1
	ds_load_b32 v7, v9
; %bb.48:                               ;   in Loop: Header=BB125_35 Depth=1
	s_or_b32 exec_lo, exec_lo, s20
	ds_load_b32 v3, v1 offset:1048
	s_mov_b32 s20, exec_lo
	s_wait_dscnt 0x0
	s_barrier_signal -1
	s_barrier_wait -1
	v_cmpx_ne_u32_e32 0, v6
	s_cbranch_execz .LBB125_33
; %bb.49:                               ;   in Loop: Header=BB125_35 Depth=1
	v_dual_mov_b32 v7, v1 :: v_dual_add_nc_u32 v6, v7, v2
	s_delay_alu instid0(VALU_DEP_1)
	v_cmp_gt_u64_e32 vcc_lo, s[6:7], v[6:7]
	s_and_b32 exec_lo, exec_lo, vcc_lo
	s_cbranch_execz .LBB125_33
; %bb.50:                               ;   in Loop: Header=BB125_35 Depth=1
	v_mul_u64_e32 v[18:19], s[14:15], v[6:7]
	v_mad_nc_u64_u32 v[20:21], s12, v6, s[10:11]
	s_delay_alu instid0(VALU_DEP_1) | instskip(NEXT) | instid1(VALU_DEP_3)
	v_mad_u32 v21, s13, v6, v21
	v_lshl_add_u64 v[6:7], v[18:19], 3, s[18:19]
	global_store_b8 v[20:21], v15, off
	global_store_b64 v[6:7], v[0:1], off
	s_branch .LBB125_33
.LBB125_51:                             ;   in Loop: Header=BB125_52 Depth=1
	s_add_co_i32 s18, s18, 1
	s_wait_kmcnt 0x0
	s_add_co_i32 s51, s19, s51
	s_add_nc_u64 s[14:15], s[14:15], 4
	s_cmp_lt_u32 s18, s35
	s_add_nc_u64 s[16:17], s[16:17], 4
	s_cbranch_scc0 .LBB125_30
.LBB125_52:                             ; =>This Inner Loop Header: Depth=1
	s_load_b32 s19, s[14:15], 0x0
	s_cmp_ge_u32 s18, s72
	s_cbranch_scc1 .LBB125_51
; %bb.53:                               ;   in Loop: Header=BB125_52 Depth=1
	s_load_b32 s50, s[16:17], 0x0
	s_wait_kmcnt 0x0
	s_add_co_i32 s13, s19, s13
	s_add_co_i32 s12, s50, s12
	s_branch .LBB125_51
.LBB125_54:
	s_endpgm
	.section	.rodata,"a",@progbits
	.p2align	6, 0x0
	.amdhsa_kernel _ZN2at6native6mbtopk10gatherTopKIhmLi3EEEvNS_4cuda6detail10TensorInfoIKT_T0_EES8_S8_bjS8_NS5_IS6_S8_EES8_NS5_IlS8_EES8_jjPS6_PjSD_j
		.amdhsa_group_segment_fixed_size 1068
		.amdhsa_private_segment_fixed_size 0
		.amdhsa_kernarg_size 1592
		.amdhsa_user_sgpr_count 2
		.amdhsa_user_sgpr_dispatch_ptr 0
		.amdhsa_user_sgpr_queue_ptr 0
		.amdhsa_user_sgpr_kernarg_segment_ptr 1
		.amdhsa_user_sgpr_dispatch_id 0
		.amdhsa_user_sgpr_kernarg_preload_length 0
		.amdhsa_user_sgpr_kernarg_preload_offset 0
		.amdhsa_user_sgpr_private_segment_size 0
		.amdhsa_wavefront_size32 1
		.amdhsa_uses_dynamic_stack 0
		.amdhsa_enable_private_segment 0
		.amdhsa_system_sgpr_workgroup_id_x 1
		.amdhsa_system_sgpr_workgroup_id_y 1
		.amdhsa_system_sgpr_workgroup_id_z 1
		.amdhsa_system_sgpr_workgroup_info 0
		.amdhsa_system_vgpr_workitem_id 0
		.amdhsa_next_free_vgpr 26
		.amdhsa_next_free_sgpr 76
		.amdhsa_named_barrier_count 0
		.amdhsa_reserve_vcc 1
		.amdhsa_float_round_mode_32 0
		.amdhsa_float_round_mode_16_64 0
		.amdhsa_float_denorm_mode_32 3
		.amdhsa_float_denorm_mode_16_64 3
		.amdhsa_fp16_overflow 0
		.amdhsa_memory_ordered 1
		.amdhsa_forward_progress 1
		.amdhsa_inst_pref_size 27
		.amdhsa_round_robin_scheduling 0
		.amdhsa_exception_fp_ieee_invalid_op 0
		.amdhsa_exception_fp_denorm_src 0
		.amdhsa_exception_fp_ieee_div_zero 0
		.amdhsa_exception_fp_ieee_overflow 0
		.amdhsa_exception_fp_ieee_underflow 0
		.amdhsa_exception_fp_ieee_inexact 0
		.amdhsa_exception_int_div_zero 0
	.end_amdhsa_kernel
	.section	.text._ZN2at6native6mbtopk10gatherTopKIhmLi3EEEvNS_4cuda6detail10TensorInfoIKT_T0_EES8_S8_bjS8_NS5_IS6_S8_EES8_NS5_IlS8_EES8_jjPS6_PjSD_j,"axG",@progbits,_ZN2at6native6mbtopk10gatherTopKIhmLi3EEEvNS_4cuda6detail10TensorInfoIKT_T0_EES8_S8_bjS8_NS5_IS6_S8_EES8_NS5_IlS8_EES8_jjPS6_PjSD_j,comdat
.Lfunc_end125:
	.size	_ZN2at6native6mbtopk10gatherTopKIhmLi3EEEvNS_4cuda6detail10TensorInfoIKT_T0_EES8_S8_bjS8_NS5_IS6_S8_EES8_NS5_IlS8_EES8_jjPS6_PjSD_j, .Lfunc_end125-_ZN2at6native6mbtopk10gatherTopKIhmLi3EEEvNS_4cuda6detail10TensorInfoIKT_T0_EES8_S8_bjS8_NS5_IS6_S8_EES8_NS5_IlS8_EES8_jjPS6_PjSD_j
                                        ; -- End function
	.set _ZN2at6native6mbtopk10gatherTopKIhmLi3EEEvNS_4cuda6detail10TensorInfoIKT_T0_EES8_S8_bjS8_NS5_IS6_S8_EES8_NS5_IlS8_EES8_jjPS6_PjSD_j.num_vgpr, 26
	.set _ZN2at6native6mbtopk10gatherTopKIhmLi3EEEvNS_4cuda6detail10TensorInfoIKT_T0_EES8_S8_bjS8_NS5_IS6_S8_EES8_NS5_IlS8_EES8_jjPS6_PjSD_j.num_agpr, 0
	.set _ZN2at6native6mbtopk10gatherTopKIhmLi3EEEvNS_4cuda6detail10TensorInfoIKT_T0_EES8_S8_bjS8_NS5_IS6_S8_EES8_NS5_IlS8_EES8_jjPS6_PjSD_j.numbered_sgpr, 76
	.set _ZN2at6native6mbtopk10gatherTopKIhmLi3EEEvNS_4cuda6detail10TensorInfoIKT_T0_EES8_S8_bjS8_NS5_IS6_S8_EES8_NS5_IlS8_EES8_jjPS6_PjSD_j.num_named_barrier, 0
	.set _ZN2at6native6mbtopk10gatherTopKIhmLi3EEEvNS_4cuda6detail10TensorInfoIKT_T0_EES8_S8_bjS8_NS5_IS6_S8_EES8_NS5_IlS8_EES8_jjPS6_PjSD_j.private_seg_size, 0
	.set _ZN2at6native6mbtopk10gatherTopKIhmLi3EEEvNS_4cuda6detail10TensorInfoIKT_T0_EES8_S8_bjS8_NS5_IS6_S8_EES8_NS5_IlS8_EES8_jjPS6_PjSD_j.uses_vcc, 1
	.set _ZN2at6native6mbtopk10gatherTopKIhmLi3EEEvNS_4cuda6detail10TensorInfoIKT_T0_EES8_S8_bjS8_NS5_IS6_S8_EES8_NS5_IlS8_EES8_jjPS6_PjSD_j.uses_flat_scratch, 0
	.set _ZN2at6native6mbtopk10gatherTopKIhmLi3EEEvNS_4cuda6detail10TensorInfoIKT_T0_EES8_S8_bjS8_NS5_IS6_S8_EES8_NS5_IlS8_EES8_jjPS6_PjSD_j.has_dyn_sized_stack, 0
	.set _ZN2at6native6mbtopk10gatherTopKIhmLi3EEEvNS_4cuda6detail10TensorInfoIKT_T0_EES8_S8_bjS8_NS5_IS6_S8_EES8_NS5_IlS8_EES8_jjPS6_PjSD_j.has_recursion, 0
	.set _ZN2at6native6mbtopk10gatherTopKIhmLi3EEEvNS_4cuda6detail10TensorInfoIKT_T0_EES8_S8_bjS8_NS5_IS6_S8_EES8_NS5_IlS8_EES8_jjPS6_PjSD_j.has_indirect_call, 0
	.section	.AMDGPU.csdata,"",@progbits
; Kernel info:
; codeLenInByte = 3428
; TotalNumSgprs: 78
; NumVgprs: 26
; ScratchSize: 0
; MemoryBound: 0
; FloatMode: 240
; IeeeMode: 1
; LDSByteSize: 1068 bytes/workgroup (compile time only)
; SGPRBlocks: 0
; VGPRBlocks: 1
; NumSGPRsForWavesPerEU: 78
; NumVGPRsForWavesPerEU: 26
; NamedBarCnt: 0
; Occupancy: 16
; WaveLimiterHint : 1
; COMPUTE_PGM_RSRC2:SCRATCH_EN: 0
; COMPUTE_PGM_RSRC2:USER_SGPR: 2
; COMPUTE_PGM_RSRC2:TRAP_HANDLER: 0
; COMPUTE_PGM_RSRC2:TGID_X_EN: 1
; COMPUTE_PGM_RSRC2:TGID_Y_EN: 1
; COMPUTE_PGM_RSRC2:TGID_Z_EN: 1
; COMPUTE_PGM_RSRC2:TIDIG_COMP_CNT: 0
	.section	.text._ZN2at6native6sbtopk10gatherTopKIhmLi3ELb0EEEvNS_4cuda6detail10TensorInfoIKT_T0_EES8_S8_bS8_S8_NS5_IS6_S8_EES8_NS5_IlS8_EES8_PS6_,"axG",@progbits,_ZN2at6native6sbtopk10gatherTopKIhmLi3ELb0EEEvNS_4cuda6detail10TensorInfoIKT_T0_EES8_S8_bS8_S8_NS5_IS6_S8_EES8_NS5_IlS8_EES8_PS6_,comdat
	.protected	_ZN2at6native6sbtopk10gatherTopKIhmLi3ELb0EEEvNS_4cuda6detail10TensorInfoIKT_T0_EES8_S8_bS8_S8_NS5_IS6_S8_EES8_NS5_IlS8_EES8_PS6_ ; -- Begin function _ZN2at6native6sbtopk10gatherTopKIhmLi3ELb0EEEvNS_4cuda6detail10TensorInfoIKT_T0_EES8_S8_bS8_S8_NS5_IS6_S8_EES8_NS5_IlS8_EES8_PS6_
	.globl	_ZN2at6native6sbtopk10gatherTopKIhmLi3ELb0EEEvNS_4cuda6detail10TensorInfoIKT_T0_EES8_S8_bS8_S8_NS5_IS6_S8_EES8_NS5_IlS8_EES8_PS6_
	.p2align	8
	.type	_ZN2at6native6sbtopk10gatherTopKIhmLi3ELb0EEEvNS_4cuda6detail10TensorInfoIKT_T0_EES8_S8_bS8_S8_NS5_IS6_S8_EES8_NS5_IlS8_EES8_PS6_,@function
_ZN2at6native6sbtopk10gatherTopKIhmLi3ELb0EEEvNS_4cuda6detail10TensorInfoIKT_T0_EES8_S8_bS8_S8_NS5_IS6_S8_EES8_NS5_IlS8_EES8_PS6_: ; @_ZN2at6native6sbtopk10gatherTopKIhmLi3ELb0EEEvNS_4cuda6detail10TensorInfoIKT_T0_EES8_S8_bS8_S8_NS5_IS6_S8_EES8_NS5_IlS8_EES8_PS6_
; %bb.0:
	s_clause 0x1
	s_load_b128 s[28:31], s[0:1], 0x1b8
	s_load_b64 s[16:17], s[0:1], 0x520
	s_bfe_u32 s2, ttmp6, 0x40010
	s_and_b32 s3, ttmp7, 0xffff
	s_add_co_i32 s2, s2, 1
	s_bfe_u32 s5, ttmp6, 0x4000c
	s_mul_i32 s2, s3, s2
	s_bfe_u32 s4, ttmp6, 0x40004
	s_add_co_i32 s5, s5, 1
	s_bfe_u32 s6, ttmp6, 0x40014
	s_add_co_i32 s4, s4, s2
	s_and_b32 s2, ttmp6, 15
	s_mul_i32 s5, ttmp9, s5
	s_lshr_b32 s7, ttmp7, 16
	s_add_co_i32 s6, s6, 1
	s_add_co_i32 s2, s2, s5
	s_mul_i32 s5, s7, s6
	s_bfe_u32 s6, ttmp6, 0x40008
	s_getreg_b32 s8, hwreg(HW_REG_IB_STS2, 6, 4)
	s_add_co_i32 s6, s6, s5
	s_cmp_eq_u32 s8, 0
	s_mov_b32 s59, 0
	s_cselect_b32 s5, s7, s6
	s_cselect_b32 s3, s3, s4
	s_wait_kmcnt 0x0
	s_mul_i32 s5, s17, s5
	s_cselect_b32 s17, ttmp9, s2
	s_add_co_i32 s2, s5, s3
	s_delay_alu instid0(SALU_CYCLE_1) | instskip(NEXT) | instid1(SALU_CYCLE_1)
	s_mul_i32 s2, s2, s16
	s_add_co_i32 s58, s2, s17
	s_delay_alu instid0(SALU_CYCLE_1)
	v_cmp_le_u64_e64 s2, s[28:29], s[58:59]
	s_and_b32 vcc_lo, exec_lo, s2
	s_cbranch_vccnz .LBB126_484
; %bb.1:
	s_load_b128 s[8:11], s[0:1], 0x10
	s_mov_b64 s[6:7], 0
	s_wait_kmcnt 0x0
	v_cmp_lt_u64_e64 s2, s[58:59], s[10:11]
	s_and_b32 vcc_lo, exec_lo, s2
	s_mov_b64 s[2:3], 0
	s_cbranch_vccnz .LBB126_3
; %bb.2:
	v_cvt_f32_u32_e32 v1, s10
	s_sub_co_i32 s3, 0, s10
	s_delay_alu instid0(VALU_DEP_1) | instskip(SKIP_1) | instid1(TRANS32_DEP_1)
	v_rcp_iflag_f32_e32 v1, v1
	v_nop
	v_mul_f32_e32 v1, 0x4f7ffffe, v1
	s_delay_alu instid0(VALU_DEP_1) | instskip(NEXT) | instid1(VALU_DEP_1)
	v_cvt_u32_f32_e32 v1, v1
	v_readfirstlane_b32 s2, v1
	s_mul_i32 s3, s3, s2
	s_delay_alu instid0(SALU_CYCLE_1) | instskip(NEXT) | instid1(SALU_CYCLE_1)
	s_mul_hi_u32 s3, s2, s3
	s_add_co_i32 s2, s2, s3
	s_delay_alu instid0(SALU_CYCLE_1) | instskip(NEXT) | instid1(SALU_CYCLE_1)
	s_mul_hi_u32 s2, s58, s2
	s_mul_i32 s3, s2, s10
	s_add_co_i32 s4, s2, 1
	s_sub_co_i32 s3, s58, s3
	s_delay_alu instid0(SALU_CYCLE_1)
	s_sub_co_i32 s5, s3, s10
	s_cmp_ge_u32 s3, s10
	s_cselect_b32 s2, s4, s2
	s_cselect_b32 s3, s5, s3
	s_add_co_i32 s4, s2, 1
	s_cmp_ge_u32 s3, s10
	s_mov_b32 s3, 0
	s_cselect_b32 s2, s4, s2
.LBB126_3:
	s_load_b128 s[20:23], s[0:1], 0x1d8
	v_cmp_lt_u64_e64 s4, s[2:3], s[8:9]
	s_and_b32 vcc_lo, exec_lo, s4
	s_cbranch_vccnz .LBB126_5
; %bb.4:
	v_cvt_f32_u32_e32 v1, s8
	s_sub_co_i32 s5, 0, s8
	s_delay_alu instid0(VALU_DEP_1) | instskip(SKIP_1) | instid1(TRANS32_DEP_1)
	v_rcp_iflag_f32_e32 v1, v1
	v_nop
	v_mul_f32_e32 v1, 0x4f7ffffe, v1
	s_delay_alu instid0(VALU_DEP_1) | instskip(NEXT) | instid1(VALU_DEP_1)
	v_cvt_u32_f32_e32 v1, v1
	v_readfirstlane_b32 s4, v1
	s_mul_i32 s5, s5, s4
	s_delay_alu instid0(SALU_CYCLE_1) | instskip(NEXT) | instid1(SALU_CYCLE_1)
	s_mul_hi_u32 s5, s4, s5
	s_add_co_i32 s4, s4, s5
	s_delay_alu instid0(SALU_CYCLE_1) | instskip(NEXT) | instid1(SALU_CYCLE_1)
	s_mul_hi_u32 s4, s2, s4
	s_mul_i32 s5, s4, s8
	s_add_co_i32 s6, s4, 1
	s_sub_co_i32 s5, s2, s5
	s_delay_alu instid0(SALU_CYCLE_1)
	s_sub_co_i32 s7, s5, s8
	s_cmp_ge_u32 s5, s8
	s_cselect_b32 s4, s6, s4
	s_cselect_b32 s5, s7, s5
	s_add_co_i32 s6, s4, 1
	s_cmp_ge_u32 s5, s8
	s_mov_b32 s7, 0
	s_cselect_b32 s6, s6, s4
.LBB126_5:
	s_wait_kmcnt 0x0
	v_cmp_lt_u64_e64 s4, s[58:59], s[22:23]
	s_mov_b64 s[18:19], 0
	s_mov_b64 s[14:15], 0
	s_and_b32 vcc_lo, exec_lo, s4
	s_cbranch_vccnz .LBB126_7
; %bb.6:
	v_cvt_f32_u32_e32 v1, s22
	s_sub_co_i32 s5, 0, s22
	s_mov_b32 s15, 0
	s_delay_alu instid0(VALU_DEP_1) | instskip(SKIP_1) | instid1(TRANS32_DEP_1)
	v_rcp_iflag_f32_e32 v1, v1
	v_nop
	v_mul_f32_e32 v1, 0x4f7ffffe, v1
	s_delay_alu instid0(VALU_DEP_1) | instskip(NEXT) | instid1(VALU_DEP_1)
	v_cvt_u32_f32_e32 v1, v1
	v_readfirstlane_b32 s4, v1
	s_mul_i32 s5, s5, s4
	s_delay_alu instid0(SALU_CYCLE_1) | instskip(NEXT) | instid1(SALU_CYCLE_1)
	s_mul_hi_u32 s5, s4, s5
	s_add_co_i32 s4, s4, s5
	s_delay_alu instid0(SALU_CYCLE_1) | instskip(NEXT) | instid1(SALU_CYCLE_1)
	s_mul_hi_u32 s4, s58, s4
	s_mul_i32 s5, s4, s22
	s_add_co_i32 s12, s4, 1
	s_sub_co_i32 s5, s58, s5
	s_delay_alu instid0(SALU_CYCLE_1)
	s_sub_co_i32 s13, s5, s22
	s_cmp_ge_u32 s5, s22
	s_cselect_b32 s4, s12, s4
	s_cselect_b32 s5, s13, s5
	s_add_co_i32 s12, s4, 1
	s_cmp_ge_u32 s5, s22
	s_cselect_b32 s14, s12, s4
.LBB126_7:
	s_load_b128 s[44:47], s[0:1], 0x380
	v_cmp_lt_u64_e64 s4, s[14:15], s[20:21]
	s_and_b32 vcc_lo, exec_lo, s4
	s_cbranch_vccnz .LBB126_9
; %bb.8:
	v_cvt_f32_u32_e32 v1, s20
	s_sub_co_i32 s5, 0, s20
	s_mov_b32 s19, 0
	s_delay_alu instid0(VALU_DEP_1) | instskip(SKIP_1) | instid1(TRANS32_DEP_1)
	v_rcp_iflag_f32_e32 v1, v1
	v_nop
	v_mul_f32_e32 v1, 0x4f7ffffe, v1
	s_delay_alu instid0(VALU_DEP_1) | instskip(NEXT) | instid1(VALU_DEP_1)
	v_cvt_u32_f32_e32 v1, v1
	v_readfirstlane_b32 s4, v1
	s_mul_i32 s5, s5, s4
	s_delay_alu instid0(SALU_CYCLE_1) | instskip(NEXT) | instid1(SALU_CYCLE_1)
	s_mul_hi_u32 s5, s4, s5
	s_add_co_i32 s4, s4, s5
	s_delay_alu instid0(SALU_CYCLE_1) | instskip(NEXT) | instid1(SALU_CYCLE_1)
	s_mul_hi_u32 s4, s14, s4
	s_mul_i32 s5, s4, s20
	s_add_co_i32 s12, s4, 1
	s_sub_co_i32 s5, s14, s5
	s_delay_alu instid0(SALU_CYCLE_1)
	s_sub_co_i32 s13, s5, s20
	s_cmp_ge_u32 s5, s20
	s_cselect_b32 s4, s12, s4
	s_cselect_b32 s5, s13, s5
	s_add_co_i32 s12, s4, 1
	s_cmp_ge_u32 s5, s20
	s_cselect_b32 s18, s12, s4
.LBB126_9:
                                        ; implicit-def: $vgpr42 : SGPR spill to VGPR lane
	s_wait_kmcnt 0x0
	v_cmp_lt_u64_e64 s4, s[58:59], s[46:47]
	v_writelane_b32 v42, s18, 0
	s_mov_b64 s[22:23], 0
	s_mov_b64 s[64:65], 0
	v_writelane_b32 v42, s19, 1
	s_and_b32 vcc_lo, exec_lo, s4
	v_writelane_b32 v42, s14, 2
	v_writelane_b32 v42, s15, 3
	s_clause 0x1
	s_load_b64 s[20:21], s[0:1], 0xe0
	s_load_b128 s[12:15], s[0:1], 0xd0
	s_cbranch_vccnz .LBB126_11
; %bb.10:
	v_cvt_f32_u32_e32 v1, s46
	s_sub_co_i32 s5, 0, s46
	s_mov_b32 s65, 0
	s_delay_alu instid0(VALU_DEP_1) | instskip(SKIP_1) | instid1(TRANS32_DEP_1)
	v_rcp_iflag_f32_e32 v1, v1
	v_nop
	v_mul_f32_e32 v1, 0x4f7ffffe, v1
	s_delay_alu instid0(VALU_DEP_1) | instskip(NEXT) | instid1(VALU_DEP_1)
	v_cvt_u32_f32_e32 v1, v1
	v_readfirstlane_b32 s4, v1
	s_mul_i32 s5, s5, s4
	s_delay_alu instid0(SALU_CYCLE_1) | instskip(NEXT) | instid1(SALU_CYCLE_1)
	s_mul_hi_u32 s5, s4, s5
	s_add_co_i32 s4, s4, s5
	s_delay_alu instid0(SALU_CYCLE_1) | instskip(NEXT) | instid1(SALU_CYCLE_1)
	s_mul_hi_u32 s4, s58, s4
	s_mul_i32 s5, s4, s46
	s_add_co_i32 s18, s4, 1
	s_sub_co_i32 s5, s58, s5
	s_delay_alu instid0(SALU_CYCLE_1)
	s_sub_co_i32 s19, s5, s46
	s_cmp_ge_u32 s5, s46
	s_cselect_b32 s4, s18, s4
	s_cselect_b32 s5, s19, s5
	s_add_co_i32 s18, s4, 1
	s_cmp_ge_u32 s5, s46
	s_cselect_b32 s64, s18, s4
.LBB126_11:
	s_clause 0x1
	s_load_b128 s[24:27], s[0:1], 0x440
	s_load_b64 s[4:5], s[0:1], 0x2a8
	s_wait_kmcnt 0x0
	v_writelane_b32 v42, s24, 4
	v_writelane_b32 v42, s25, 5
	;; [unrolled: 1-line block ×6, first 2 shown]
	v_cmp_lt_u64_e64 s4, s[64:65], s[44:45]
	s_and_b32 vcc_lo, exec_lo, s4
	s_cbranch_vccnz .LBB126_13
; %bb.12:
	v_cvt_f32_u32_e32 v1, s44
	s_sub_co_i32 s5, 0, s44
	s_mov_b32 s23, 0
	s_delay_alu instid0(VALU_DEP_1) | instskip(SKIP_1) | instid1(TRANS32_DEP_1)
	v_rcp_iflag_f32_e32 v1, v1
	v_nop
	v_mul_f32_e32 v1, 0x4f7ffffe, v1
	s_delay_alu instid0(VALU_DEP_1) | instskip(NEXT) | instid1(VALU_DEP_1)
	v_cvt_u32_f32_e32 v1, v1
	v_readfirstlane_b32 s4, v1
	s_mul_i32 s5, s5, s4
	s_delay_alu instid0(SALU_CYCLE_1) | instskip(NEXT) | instid1(SALU_CYCLE_1)
	s_mul_hi_u32 s5, s4, s5
	s_add_co_i32 s4, s4, s5
	s_delay_alu instid0(SALU_CYCLE_1) | instskip(NEXT) | instid1(SALU_CYCLE_1)
	s_mul_hi_u32 s4, s64, s4
	s_mul_i32 s5, s4, s44
	s_add_co_i32 s18, s4, 1
	s_sub_co_i32 s5, s64, s5
	s_delay_alu instid0(SALU_CYCLE_1)
	s_sub_co_i32 s19, s5, s44
	s_cmp_ge_u32 s5, s44
	s_cselect_b32 s4, s18, s4
	s_cselect_b32 s5, s19, s5
	s_add_co_i32 s18, s4, 1
	s_cmp_ge_u32 s5, s44
	s_cselect_b32 s22, s18, s4
.LBB126_13:
	s_delay_alu instid0(SALU_CYCLE_1)
	v_writelane_b32 v42, s22, 10
	v_cmp_eq_u32_e64 s5, 0, v0
	s_add_nc_u64 s[18:19], s[0:1], 0x520
	s_mov_b32 s29, 0
	v_writelane_b32 v42, s23, 11
	s_clause 0x1
	s_load_b64 s[22:23], s[0:1], 0x0
	s_load_b128 s[36:39], s[0:1], 0x1a0
	s_and_saveexec_b32 s4, s5
	s_cbranch_execz .LBB126_15
; %bb.14:
	s_wait_kmcnt 0x0
	v_dual_mov_b32 v2, 0 :: v_dual_mov_b32 v4, s36
	s_delay_alu instid0(VALU_DEP_1)
	v_dual_mov_b32 v5, s37 :: v_dual_mov_b32 v3, v2
	ds_store_b32 v2, v2 offset:5144
	ds_store_b128 v2, v[2:5] offset:5120
.LBB126_15:
	s_or_b32 exec_lo, exec_lo, s4
	s_mul_u64 s[8:9], s[6:7], s[8:9]
	s_mul_u64 s[6:7], s[6:7], s[12:13]
	;; [unrolled: 1-line block ×3, first 2 shown]
	v_dual_mov_b32 v3, 0 :: v_dual_add_nc_u32 v2, 2, v0
	s_sub_nc_u64 s[2:3], s[2:3], s[8:9]
	s_sub_nc_u64 s[8:9], s[58:59], s[10:11]
	s_wait_kmcnt 0x0
	s_add_nc_u64 s[6:7], s[22:23], s[6:7]
	s_mul_u64 s[2:3], s[2:3], s[14:15]
	s_mul_u64 s[8:9], s[8:9], s[20:21]
	s_add_nc_u64 s[2:3], s[6:7], s[2:3]
	v_max_u64 v[4:5], s[36:37], v[2:3]
	s_load_b32 s4, s[0:1], 0x1b0
	s_add_nc_u64 s[34:35], s[2:3], s[8:9]
	s_clause 0x1
	s_load_b64 s[2:3], s[0:1], 0x1c8
	s_load_b64 s[8:9], s[0:1], 0x370
	s_wait_dscnt 0x0
	s_barrier_signal -1
	s_barrier_wait -1
	s_load_b32 s7, s[18:19], 0xc
	v_dual_mov_b32 v17, v3 :: v_dual_mov_b32 v9, -1
	v_not_b32_e32 v8, v0
	v_mbcnt_lo_u32_b32 v13, -1, 0
	v_mad_nc_u64_u32 v[14:15], s30, v0, s[34:35]
	v_cmp_gt_u32_e32 vcc_lo, 32, v0
	v_dual_mov_b32 v1, v3 :: v_dual_lshlrev_b32 v16, 2, v0
	s_delay_alu instid0(VALU_DEP_4)
	v_lshlrev_b64_e64 v[6:7], v13, -1
	v_cmp_lt_u64_e64 s97, 0xc00, s[36:37]
	v_mov_b64_e32 v[22:23], s[38:39]
	s_wait_kmcnt 0x0
	s_bitcmp1_b32 s4, 0
	s_mov_b32 s57, s29
	v_writelane_b32 v42, s2, 12
	v_cmp_gt_u32_e64 s6, 2, v0
	v_mad_u32 v15, s31, v0, v15
	v_not_b32_e32 v12, v6
	v_lshl_or_b32 v30, v13, 3, 0xc00
	v_writelane_b32 v42, s3, 13
	v_cmp_gt_i32_e64 s3, 4, v13
	s_cselect_b32 s2, -1, 0
	s_and_b32 s56, s7, 0xffff
	v_add_nc_u64_e32 v[4:5], v[4:5], v[8:9]
	v_writelane_b32 v42, s8, 14
	s_bfe_u32 s4, s7, 0xb0005
	s_movk_i32 s7, 0x3e0
	s_xor_b32 s33, s2, -1
	v_and_or_b32 v28, v0, s7, 0xc00
	v_writelane_b32 v42, s9, 15
	v_cmp_lt_u64_e64 s7, 3, v[4:5]
	s_and_b32 s96, vcc_lo, s3
	s_cmp_gt_u32 s56, 31
	v_dual_mov_b32 v19, v5 :: v_dual_bitop2_b32 v18, -4, v4 bitop3:0x40
	v_writelane_b32 v42, s2, 16
	s_cselect_b32 s98, -1, 0
	s_cmp_lt_u32 s17, s16
	v_cmp_gt_u64_e64 s3, s[36:37], v[0:1]
	s_cselect_b32 s28, 12, 18
	v_writelane_b32 v42, s7, 17
	s_add_co_i32 s7, s4, -1
	s_bfe_u32 vcc_hi, s56, 0x30005
	s_and_b32 s7, s7, 0xffff
	v_add_nc_u64_e32 v[20:21], v[18:19], v[0:1]
	s_cmp_gt_u32 s7, 6
	v_cmp_ne_u64_e64 s7, v[4:5], v[18:19]
	v_cmp_eq_u32_e64 s2, 0, v13
	s_cselect_b32 s68, -1, 0
	s_and_b32 s69, s4, 0x7f8
	v_dual_mov_b32 v32, 0 :: v_dual_mov_b32 v29, 0
	v_mov_b32_e32 v31, 0
	s_add_nc_u64 s[74:75], s[56:57], -1
	s_cmp_lg_u32 vcc_hi, 0
	s_add_nc_u64 s[76:77], s[74:75], s[36:37]
	s_mov_b32 s99, s30
	s_mov_b32 s100, s31
	;; [unrolled: 1-line block ×7, first 2 shown]
	s_cselect_b32 s70, -1, 0
	s_and_b64 s[78:79], s[36:37], 0xffffffff00000000
	s_mov_b32 s71, 0x4f800000
	s_add_nc_u64 s[80:81], s[18:19], s[28:29]
	s_mov_b32 s73, 0
	s_mov_b32 s49, 0
	v_writelane_b32 v42, s7, 18
                                        ; implicit-def: $sgpr48
                                        ; implicit-def: $sgpr52
                                        ; implicit-def: $sgpr51
                                        ; implicit-def: $sgpr53
                                        ; implicit-def: $sgpr50
                                        ; implicit-def: $sgpr7
                                        ; implicit-def: $sgpr62
                                        ; implicit-def: $sgpr54
                                        ; implicit-def: $sgpr8
                                        ; implicit-def: $sgpr55
	s_branch .LBB126_18
.LBB126_16:                             ;   in Loop: Header=BB126_18 Depth=1
	s_or_b32 exec_lo, exec_lo, s4
	v_mov_b64_e32 v[22:23], v[4:5]
	s_and_not1_b32 s4, s55, exec_lo
	s_and_b32 s11, s11, exec_lo
	s_and_not1_b32 s8, s8, exec_lo
	s_or_b32 s55, s4, s11
	s_and_not1_b32 s54, s54, exec_lo
	s_and_not1_b32 s62, s62, exec_lo
	;; [unrolled: 1-line block ×3, first 2 shown]
	s_or_not1_b32 s10, s10, exec_lo
.LBB126_17:                             ;   in Loop: Header=BB126_18 Depth=1
	s_or_b32 exec_lo, exec_lo, s9
	s_delay_alu instid0(SALU_CYCLE_1) | instskip(NEXT) | instid1(SALU_CYCLE_1)
	s_and_b32 s4, exec_lo, s10
	s_or_b32 s73, s4, s73
	s_and_not1_b32 s4, s50, exec_lo
	s_and_b32 s9, s55, exec_lo
	s_and_not1_b32 s10, s53, exec_lo
	s_or_b32 s50, s4, s9
	s_and_b32 s4, s8, exec_lo
	s_and_not1_b32 s9, s51, exec_lo
	s_and_b32 s11, s54, exec_lo
	s_or_b32 s53, s10, s4
	s_or_b32 s51, s9, s11
	s_and_not1_b32 s4, s52, exec_lo
	s_and_b32 s9, s62, exec_lo
	s_and_not1_b32 s10, s48, exec_lo
	s_and_b32 s11, s7, exec_lo
	s_or_b32 s52, s4, s9
	s_or_b32 s48, s10, s11
	s_and_not1_b32 exec_lo, exec_lo, s73
	s_cbranch_execz .LBB126_480
.LBB126_18:                             ; =>This Loop Header: Depth=1
                                        ;     Child Loop BB126_23 Depth 2
                                        ;     Child Loop BB126_37 Depth 2
	;; [unrolled: 1-line block ×25, first 2 shown]
	ds_load_b128 v[4:7], v3 offset:5120
	s_wait_dscnt 0x0
	v_readfirstlane_b32 s83, v5
	v_readfirstlane_b32 s82, v4
	s_cmp_lg_u64 s[82:83], 0
	s_cbranch_scc1 .LBB126_50
; %bb.19:                               ;   in Loop: Header=BB126_18 Depth=1
	s_and_b32 vcc_lo, exec_lo, s97
	s_cbranch_vccz .LBB126_31
; %bb.20:                               ;   in Loop: Header=BB126_18 Depth=1
	v_cmp_gt_u64_e32 vcc_lo, 0xc01, v[6:7]
	s_mov_b32 s11, 0
	s_mov_b32 s9, 0
	s_cbranch_vccz .LBB126_32
; %bb.21:                               ;   in Loop: Header=BB126_18 Depth=1
	global_load_u16 v2, v3, s[80:81]
	global_load_u8 v6, v[14:15], off
	v_mov_b64_e32 v[4:5], v[0:1]
	s_mov_b32 s12, 0
	s_wait_loadcnt 0x1
	v_and_b32_e32 v2, 0xffff, v2
	s_branch .LBB126_23
.LBB126_22:                             ;   in Loop: Header=BB126_23 Depth=2
	s_or_b32 exec_lo, exec_lo, s4
	v_mov_b32_e32 v6, v7
	s_and_not1_b32 exec_lo, exec_lo, s12
	s_cbranch_execz .LBB126_104
.LBB126_23:                             ;   Parent Loop BB126_18 Depth=1
                                        ; =>  This Inner Loop Header: Depth=2
	s_delay_alu instid0(VALU_DEP_1) | instskip(SKIP_3) | instid1(VALU_DEP_2)
	v_add_nc_u64_e32 v[4:5], v[4:5], v[2:3]
	s_wait_dscnt 0x0
	v_dual_mov_b32 v8, 0 :: v_dual_mov_b32 v7, 0
	s_mov_b32 s4, exec_lo
	v_cmp_le_u64_e32 vcc_lo, s[36:37], v[4:5]
	s_wait_xcnt 0x0
	v_cmpx_gt_u64_e64 s[36:37], v[4:5]
	s_cbranch_execz .LBB126_25
; %bb.24:                               ;   in Loop: Header=BB126_23 Depth=2
	v_mad_nc_u64_u32 v[10:11], v4, s30, s[34:35]
	s_delay_alu instid0(VALU_DEP_1) | instskip(NEXT) | instid1(VALU_DEP_1)
	v_mad_u32 v7, v5, s30, v11
	v_mad_u32 v11, v4, s31, v7
	global_load_u8 v7, v[10:11], off
.LBB126_25:                             ;   in Loop: Header=BB126_23 Depth=2
	s_wait_xcnt 0x0
	s_or_b32 exec_lo, exec_lo, s4
	s_wait_loadcnt 0x0
	v_bitop3_b32 v9, v6, 0xff, v31 bitop3:0x80
	s_delay_alu instid0(VALU_DEP_1) | instskip(SKIP_2) | instid1(SALU_CYCLE_1)
	v_cmp_eq_u32_e64 s9, v9, v29
	s_cmp_lg_u32 s9, 0
	s_cselect_b32 s4, -1, 0
	s_and_b32 s4, s2, s4
	s_delay_alu instid0(SALU_CYCLE_1)
	s_and_saveexec_b32 s13, s4
	s_cbranch_execz .LBB126_29
; %bb.26:                               ;   in Loop: Header=BB126_23 Depth=2
	s_mov_b32 s15, exec_lo
	s_bcnt1_i32_b32 s4, s9
	v_mbcnt_lo_u32_b32 v8, s15, 0
	s_mov_b32 s14, exec_lo
                                        ; implicit-def: $vgpr9
	s_delay_alu instid0(VALU_DEP_1)
	v_cmpx_eq_u32_e32 0, v8
; %bb.27:                               ;   in Loop: Header=BB126_23 Depth=2
	s_bcnt1_i32_b32 s10, s15
	s_delay_alu instid0(SALU_CYCLE_1) | instskip(NEXT) | instid1(SALU_CYCLE_1)
	s_mul_i32 s10, s4, s10
	v_mov_b32_e32 v9, s10
	ds_add_rtn_u32 v9, v3, v9 offset:5144
; %bb.28:                               ;   in Loop: Header=BB126_23 Depth=2
	s_or_b32 exec_lo, exec_lo, s14
	s_wait_dscnt 0x0
	v_readfirstlane_b32 s10, v9
	s_delay_alu instid0(VALU_DEP_1)
	v_mad_u32_u24 v8, s4, v8, s10
.LBB126_29:                             ;   in Loop: Header=BB126_23 Depth=2
	s_or_b32 exec_lo, exec_lo, s13
	ds_bpermute_b32 v8, v3, v8
	s_and_b32 s4, exec_lo, vcc_lo
	s_delay_alu instid0(SALU_CYCLE_1)
	s_or_b32 s12, s4, s12
	s_and_saveexec_b32 s4, s9
	s_cbranch_execz .LBB126_22
; %bb.30:                               ;   in Loop: Header=BB126_23 Depth=2
	v_and_b32_e32 v9, s9, v12
	s_wait_dscnt 0x0
	s_delay_alu instid0(VALU_DEP_1)
	v_bcnt_u32_b32 v8, v9, v8
	ds_store_b8 v8, v6
	s_branch .LBB126_22
.LBB126_31:                             ;   in Loop: Header=BB126_18 Depth=1
	s_mov_b32 s11, -1
	s_mov_b32 s9, 0
.LBB126_32:                             ;   in Loop: Header=BB126_18 Depth=1
	s_and_b32 vcc_lo, exec_lo, s11
	s_cbranch_vccz .LBB126_48
.LBB126_33:                             ;   in Loop: Header=BB126_18 Depth=1
	s_and_saveexec_b32 s9, s3
	s_cbranch_execz .LBB126_45
; %bb.34:                               ;   in Loop: Header=BB126_18 Depth=1
	global_load_u16 v4, v3, s[80:81]
	global_load_u8 v26, v[14:15], off
	s_mov_b32 s12, exec_lo
	v_mov_b32_e32 v8, v0
	s_wait_loadcnt 0x1
	v_and_b32_e32 v2, 0xffff, v4
	v_readfirstlane_b32 s4, v4
	s_delay_alu instid0(VALU_DEP_2) | instskip(SKIP_1) | instid1(VALU_DEP_1)
	v_add_nc_u32_e32 v2, v2, v0
	s_wait_xcnt 0x0
	v_cmpx_gt_u64_e64 s[36:37], v[2:3]
	s_cbranch_execz .LBB126_44
; %bb.35:                               ;   in Loop: Header=BB126_18 Depth=1
	s_and_b32 s28, s4, 0xffff
	v_mov_b64_e32 v[6:7], v[0:1]
	v_mov_b64_e32 v[4:5], v[2:3]
	v_readlane_b32 s10, v42, 17
	s_cmp_eq_u32 s28, 1
	s_mov_b32 s11, -1
	s_cselect_b32 s4, -1, 0
                                        ; implicit-def: $vgpr8_vgpr9
	s_delay_alu instid0(SALU_CYCLE_1) | instskip(NEXT) | instid1(SALU_CYCLE_1)
	s_and_b32 s4, s10, s4
	s_and_saveexec_b32 s10, s4
	s_cbranch_execz .LBB126_39
; %bb.36:                               ;   in Loop: Header=BB126_18 Depth=1
	v_add_nc_u64_e32 v[8:9], 3, v[2:3]
	v_add_nc_u64_e32 v[6:7], 2, v[2:3]
	;; [unrolled: 1-line block ×3, first 2 shown]
	v_mov_b64_e32 v[24:25], v[18:19]
	s_wait_loadcnt 0x0
	v_dual_lshlrev_b32 v33, 24, v26 :: v_dual_mov_b32 v27, v0
	s_mov_b32 s11, 0
	v_mov_b64_e32 v[10:11], v[8:9]
	v_mov_b64_e32 v[8:9], v[6:7]
	;; [unrolled: 1-line block ×4, first 2 shown]
.LBB126_37:                             ;   Parent Loop BB126_18 Depth=1
                                        ; =>  This Inner Loop Header: Depth=2
	s_delay_alu instid0(VALU_DEP_2) | instskip(NEXT) | instid1(VALU_DEP_2)
	v_mad_nc_u64_u32 v[34:35], v6, s30, s[34:35]
	v_mad_nc_u64_u32 v[36:37], v4, s99, s[34:35]
	;; [unrolled: 1-line block ×4, first 2 shown]
	v_add_nc_u64_e32 v[24:25], -4, v[24:25]
	s_delay_alu instid0(VALU_DEP_1)
	v_cmp_eq_u64_e32 vcc_lo, 0, v[24:25]
	v_mad_u32 v26, v7, s30, v35
	v_mad_u32 v37, v5, s99, v37
	;; [unrolled: 1-line block ×4, first 2 shown]
	s_or_b32 s11, vcc_lo, s11
	s_delay_alu instid0(VALU_DEP_4) | instskip(NEXT) | instid1(VALU_DEP_4)
	v_mad_u32 v35, v6, s31, v26
	v_mad_u32 v37, v4, s100, v37
	s_delay_alu instid0(VALU_DEP_4) | instskip(NEXT) | instid1(VALU_DEP_4)
	v_mad_u32 v39, v8, s102, v39
	v_mad_u32 v41, v10, s104, v41
	v_add_nc_u64_e32 v[10:11], 4, v[10:11]
	v_add_nc_u64_e32 v[8:9], 4, v[8:9]
	;; [unrolled: 1-line block ×4, first 2 shown]
	s_clause 0x3
	global_load_u8 v34, v[34:35], off
	global_load_u8 v35, v[36:37], off
	;; [unrolled: 1-line block ×4, first 2 shown]
	s_wait_loadcnt 0x2
	v_perm_b32 v33, v33, v35, 0xc0c0007
	s_wait_loadcnt 0x1
	v_perm_b32 v37, v34, v36, 0xc0c0004
	v_perm_b32 v34, v35, v34, 0xc0c0004
	s_wait_loadcnt 0x0
	v_perm_b32 v35, v36, v26, 0xc0c0004
	s_delay_alu instid0(VALU_DEP_3) | instskip(NEXT) | instid1(VALU_DEP_2)
	v_lshl_or_b32 v33, v37, 16, v33
	v_lshl_or_b32 v34, v35, 16, v34
	ds_store_b32 v27, v33
	v_dual_add_nc_u32 v27, 4, v27 :: v_dual_mov_b32 v33, v34
	s_wait_xcnt 0x0
	s_and_not1_b32 exec_lo, exec_lo, s11
	s_cbranch_execnz .LBB126_37
; %bb.38:                               ;   in Loop: Header=BB126_18 Depth=1
	s_or_b32 exec_lo, exec_lo, s11
	v_add_nc_u64_e32 v[4:5], v[2:3], v[18:19]
	v_mov_b64_e32 v[6:7], v[20:21]
	v_readlane_b32 s4, v42, 18
	s_or_not1_b32 s11, s4, exec_lo
	v_add_nc_u64_e32 v[8:9], -1, v[4:5]
.LBB126_39:                             ;   in Loop: Header=BB126_18 Depth=1
	s_or_b32 exec_lo, exec_lo, s10
	s_and_saveexec_b32 s13, s11
	s_cbranch_execz .LBB126_43
; %bb.40:                               ;   in Loop: Header=BB126_18 Depth=1
	s_sub_nc_u64 s[10:11], 0, s[28:29]
	s_mov_b32 s14, 0
.LBB126_41:                             ;   Parent Loop BB126_18 Depth=1
                                        ; =>  This Inner Loop Header: Depth=2
	v_mov_b64_e32 v[8:9], v[4:5]
	s_wait_loadcnt 0x0
	ds_store_b8 v6, v26
	v_mad_nc_u64_u32 v[4:5], v8, s30, s[34:35]
	v_mov_b64_e32 v[6:7], v[8:9]
	s_delay_alu instid0(VALU_DEP_2) | instskip(NEXT) | instid1(VALU_DEP_1)
	v_mad_u32 v2, v9, s30, v5
	v_mad_u32 v5, v8, s31, v2
	global_load_u8 v2, v[4:5], off
	s_wait_xcnt 0x0
	v_add_nc_u64_e32 v[4:5], s[28:29], v[8:9]
	s_delay_alu instid0(VALU_DEP_1)
	v_cmp_le_u64_e32 vcc_lo, s[36:37], v[4:5]
	s_or_b32 s14, vcc_lo, s14
	s_wait_loadcnt 0x0
	v_mov_b32_e32 v26, v2
	s_and_not1_b32 exec_lo, exec_lo, s14
	s_cbranch_execnz .LBB126_41
; %bb.42:                               ;   in Loop: Header=BB126_18 Depth=1
	s_or_b32 exec_lo, exec_lo, s14
	v_add_nc_u64_e32 v[8:9], s[10:11], v[4:5]
	v_mov_b32_e32 v26, v2
.LBB126_43:                             ;   in Loop: Header=BB126_18 Depth=1
	s_or_b32 exec_lo, exec_lo, s13
.LBB126_44:                             ;   in Loop: Header=BB126_18 Depth=1
	s_delay_alu instid0(SALU_CYCLE_1)
	s_or_b32 exec_lo, exec_lo, s12
	s_wait_loadcnt 0x0
	ds_store_b8 v8, v26
.LBB126_45:                             ;   in Loop: Header=BB126_18 Depth=1
	s_or_b32 exec_lo, exec_lo, s9
	s_wait_dscnt 0x0
	s_barrier_signal -1
	s_barrier_wait -1
	s_and_saveexec_b32 s4, s5
; %bb.46:                               ;   in Loop: Header=BB126_18 Depth=1
	v_mov_b64_e32 v[4:5], s[36:37]
	ds_store_b64 v3, v[4:5] offset:5120
; %bb.47:                               ;   in Loop: Header=BB126_18 Depth=1
	s_or_b32 exec_lo, exec_lo, s4
	s_mov_b32 s9, -1
	s_wait_dscnt 0x0
	s_barrier_signal -1
	s_barrier_wait -1
.LBB126_48:                             ;   in Loop: Header=BB126_18 Depth=1
	s_and_b32 vcc_lo, exec_lo, s9
	s_mov_b64 s[82:83], 0
	s_cbranch_vccz .LBB126_50
; %bb.49:                               ;   in Loop: Header=BB126_18 Depth=1
	ds_load_b64 v[4:5], v3 offset:5120
	s_wait_dscnt 0x0
	v_readfirstlane_b32 s82, v4
	v_readfirstlane_b32 s83, v5
.LBB126_50:                             ;   in Loop: Header=BB126_18 Depth=1
	s_delay_alu instid0(VALU_DEP_2)
	s_cmp_lt_i32 s82, 1
	s_mov_b32 s9, -1
                                        ; implicit-def: $vgpr10_vgpr11
                                        ; implicit-def: $vgpr6_vgpr7
	s_cbranch_scc1 .LBB126_60
; %bb.51:                               ;   in Loop: Header=BB126_18 Depth=1
	s_and_b32 vcc_lo, exec_lo, s9
	s_cbranch_vccnz .LBB126_74
.LBB126_52:                             ;   in Loop: Header=BB126_18 Depth=1
	s_lshl_b32 s9, s49, 7
	s_and_saveexec_b32 s4, s2
	s_cbranch_execz .LBB126_54
.LBB126_53:                             ;   in Loop: Header=BB126_18 Depth=1
	v_lshl_add_u32 v2, s9, 3, v28
	ds_store_b128 v2, v[4:7]
	ds_store_b128 v2, v[8:11] offset:16
.LBB126_54:                             ;   in Loop: Header=BB126_18 Depth=1
	s_or_b32 exec_lo, exec_lo, s4
	s_wait_dscnt 0x0
	s_barrier_signal -1
	s_barrier_wait -1
	s_and_saveexec_b32 s10, s96
	s_cbranch_execz .LBB126_88
; %bb.55:                               ;   in Loop: Header=BB126_18 Depth=1
	v_mov_b64_e32 v[4:5], 0
	s_and_not1_b32 vcc_lo, exec_lo, s98
	s_cbranch_vccnz .LBB126_87
; %bb.56:                               ;   in Loop: Header=BB126_18 Depth=1
	v_mov_b64_e32 v[4:5], 0
	s_and_not1_b32 vcc_lo, exec_lo, s68
	s_cbranch_vccnz .LBB126_84
; %bb.57:                               ;   in Loop: Header=BB126_18 Depth=1
	v_lshl_add_u32 v2, s49, 10, v30
	s_mov_b32 s11, 0
.LBB126_58:                             ;   Parent Loop BB126_18 Depth=1
                                        ; =>  This Inner Loop Header: Depth=2
	ds_load_2addr_b64 v[6:9], v2 offset1:4
	ds_load_2addr_b64 v[24:27], v2 offset0:8 offset1:12
	s_add_co_i32 s11, s11, 8
	s_delay_alu instid0(SALU_CYCLE_1) | instskip(SKIP_2) | instid1(VALU_DEP_1)
	s_cmp_eq_u32 s69, s11
	s_wait_dscnt 0x1
	v_add_nc_u64_e32 v[4:5], v[6:7], v[4:5]
	v_add_nc_u64_e32 v[8:9], v[8:9], v[4:5]
	ds_load_2addr_b64 v[4:7], v2 offset0:16 offset1:20
	s_wait_dscnt 0x1
	v_add_nc_u64_e32 v[8:9], v[24:25], v[8:9]
	s_delay_alu instid0(VALU_DEP_1) | instskip(SKIP_4) | instid1(VALU_DEP_1)
	v_add_nc_u64_e32 v[24:25], v[26:27], v[8:9]
	ds_load_2addr_b64 v[8:11], v2 offset0:24 offset1:28
	v_add_nc_u32_e32 v2, 0x100, v2
	s_wait_dscnt 0x1
	v_add_nc_u64_e32 v[4:5], v[4:5], v[24:25]
	v_add_nc_u64_e32 v[4:5], v[6:7], v[4:5]
	s_wait_dscnt 0x0
	s_delay_alu instid0(VALU_DEP_1) | instskip(NEXT) | instid1(VALU_DEP_1)
	v_add_nc_u64_e32 v[4:5], v[8:9], v[4:5]
	v_add_nc_u64_e32 v[4:5], v[10:11], v[4:5]
	s_cbranch_scc0 .LBB126_58
; %bb.59:                               ;   in Loop: Header=BB126_18 Depth=1
	s_mov_b32 s11, s69
	s_and_not1_b32 vcc_lo, exec_lo, s70
	s_cbranch_vccz .LBB126_85
	s_branch .LBB126_87
.LBB126_60:                             ;   in Loop: Header=BB126_18 Depth=1
	global_load_u16 v2, v3, s[80:81]
	s_mov_b32 s19, s29
	s_wait_loadcnt 0x0
	v_readfirstlane_b32 s4, v2
	s_and_b32 s4, 0xffff, s4
	s_delay_alu instid0(SALU_CYCLE_1)
	s_lshl_b32 s18, s4, 2
	s_cmp_lg_u64 s[78:79], 0
	s_cbranch_scc0 .LBB126_83
; %bb.61:                               ;   in Loop: Header=BB126_18 Depth=1
	s_cvt_f32_u32 s4, s18
	s_sub_nc_u64 s[12:13], 0, s[18:19]
	s_delay_alu instid0(SALU_CYCLE_2) | instskip(NEXT) | instid1(SALU_CYCLE_3)
	s_fmamk_f32 s4, s71, 0x0, s4
	v_s_rcp_f32 s4, s4
	s_delay_alu instid0(TRANS32_DEP_1) | instskip(NEXT) | instid1(SALU_CYCLE_3)
	s_mul_f32 s4, s4, 0x5f7ffffc
	s_mul_f32 s9, s4, 0x2f800000
	s_delay_alu instid0(SALU_CYCLE_3) | instskip(NEXT) | instid1(SALU_CYCLE_3)
	s_trunc_f32 s9, s9
	s_fmamk_f32 s4, s9, 0xcf800000, s4
	s_cvt_u32_f32 s11, s9
	s_delay_alu instid0(SALU_CYCLE_2) | instskip(NEXT) | instid1(SALU_CYCLE_3)
	s_cvt_u32_f32 s10, s4
	s_mul_u64 s[14:15], s[12:13], s[10:11]
	s_delay_alu instid0(SALU_CYCLE_1)
	s_mul_hi_u32 s17, s10, s15
	s_mul_i32 s16, s10, s15
	s_mul_hi_u32 s28, s10, s14
	s_mul_i32 s9, s11, s14
	s_add_nc_u64 s[16:17], s[28:29], s[16:17]
	s_mul_hi_u32 s4, s11, s14
	s_mul_hi_u32 s20, s11, s15
	s_add_co_u32 s9, s16, s9
	s_add_co_ci_u32 s28, s17, s4
	s_mul_i32 s14, s11, s15
	s_add_co_ci_u32 s15, s20, 0
	s_delay_alu instid0(SALU_CYCLE_1) | instskip(NEXT) | instid1(SALU_CYCLE_1)
	s_add_nc_u64 s[14:15], s[28:29], s[14:15]
	s_add_co_u32 s10, s10, s14
	s_cselect_b32 s4, -1, 0
	s_delay_alu instid0(SALU_CYCLE_1) | instskip(SKIP_1) | instid1(SALU_CYCLE_1)
	s_cmp_lg_u32 s4, 0
	s_add_co_ci_u32 s11, s11, s15
	s_mul_u64 s[12:13], s[12:13], s[10:11]
	s_delay_alu instid0(SALU_CYCLE_1)
	s_mul_hi_u32 s15, s10, s13
	s_mul_i32 s14, s10, s13
	s_mul_hi_u32 s28, s10, s12
	s_mul_i32 s9, s11, s12
	s_add_nc_u64 s[14:15], s[28:29], s[14:15]
	s_mul_hi_u32 s4, s11, s12
	s_mul_hi_u32 s16, s11, s13
	s_add_co_u32 s9, s14, s9
	s_add_co_ci_u32 s28, s15, s4
	s_mul_i32 s12, s11, s13
	s_add_co_ci_u32 s13, s16, 0
	s_delay_alu instid0(SALU_CYCLE_1) | instskip(NEXT) | instid1(SALU_CYCLE_1)
	s_add_nc_u64 s[12:13], s[28:29], s[12:13]
	s_add_co_u32 s4, s10, s12
	s_cselect_b32 s9, -1, 0
	s_mul_hi_u32 s28, s36, s4
	s_cmp_lg_u32 s9, 0
	s_mul_hi_u32 s9, s37, s4
	s_add_co_ci_u32 s12, s11, s13
	s_mul_i32 s4, s37, s4
	s_mul_hi_u32 s11, s36, s12
	s_mul_i32 s10, s36, s12
	s_mul_hi_u32 s13, s37, s12
	s_add_nc_u64 s[10:11], s[28:29], s[10:11]
	s_mul_i32 s12, s37, s12
	s_add_co_u32 s4, s10, s4
	s_add_co_ci_u32 s28, s11, s9
	s_add_co_ci_u32 s13, s13, 0
	s_delay_alu instid0(SALU_CYCLE_1) | instskip(NEXT) | instid1(SALU_CYCLE_1)
	s_add_nc_u64 s[10:11], s[28:29], s[12:13]
	s_and_b64 s[12:13], s[10:11], 0xffffffff00000000
	s_delay_alu instid0(SALU_CYCLE_1) | instskip(NEXT) | instid1(SALU_CYCLE_1)
	s_or_b32 s12, s12, s10
	s_mul_u64 s[10:11], s[18:19], s[12:13]
	s_delay_alu instid0(SALU_CYCLE_1) | instskip(SKIP_1) | instid1(SALU_CYCLE_1)
	s_sub_co_u32 s4, s36, s10
	s_cselect_b32 s9, -1, 0
	s_cmp_lg_u32 s9, 0
	s_sub_co_ci_u32 s9, s37, s11
	s_sub_co_u32 s10, s4, s18
	s_cselect_b32 s11, -1, 0
	s_delay_alu instid0(SALU_CYCLE_1) | instskip(SKIP_3) | instid1(SALU_CYCLE_1)
	s_cmp_lg_u32 s11, 0
	s_sub_co_ci_u32 s11, s9, 0
	s_sub_co_u32 s12, s10, s18
	s_cselect_b32 s13, -1, 0
	s_cmp_lg_u32 s13, 0
	s_sub_co_ci_u32 s13, s11, 0
	s_cmp_ge_u32 s10, s18
	s_cselect_b32 s14, -1, 0
	s_cmp_eq_u32 s11, 0
	s_cselect_b32 s14, s14, -1
	s_delay_alu instid0(SALU_CYCLE_1)
	s_cmp_lg_u32 s14, 0
	s_cselect_b32 s11, s13, s11
	s_cselect_b32 s10, s12, s10
	s_cmp_ge_u32 s4, s18
	s_cselect_b32 s12, -1, 0
	s_cmp_eq_u32 s9, 0
	s_cselect_b32 s12, s12, -1
	s_delay_alu instid0(SALU_CYCLE_1)
	s_cmp_lg_u32 s12, 0
	s_cselect_b32 s11, s11, s9
	s_cselect_b32 s10, s10, s4
	s_cbranch_execnz .LBB126_63
.LBB126_62:                             ;   in Loop: Header=BB126_18 Depth=1
	v_cvt_f32_u32_e32 v4, s18
	s_sub_co_i32 s9, 0, s18
	s_delay_alu instid0(VALU_DEP_1) | instskip(SKIP_1) | instid1(TRANS32_DEP_1)
	v_rcp_iflag_f32_e32 v4, v4
	v_nop
	v_mul_f32_e32 v4, 0x4f7ffffe, v4
	s_delay_alu instid0(VALU_DEP_1) | instskip(NEXT) | instid1(VALU_DEP_1)
	v_cvt_u32_f32_e32 v4, v4
	v_readfirstlane_b32 s4, v4
	s_mul_i32 s9, s9, s4
	s_delay_alu instid0(SALU_CYCLE_1) | instskip(NEXT) | instid1(SALU_CYCLE_1)
	s_mul_hi_u32 s9, s4, s9
	s_add_co_i32 s4, s4, s9
	s_delay_alu instid0(SALU_CYCLE_1) | instskip(NEXT) | instid1(SALU_CYCLE_1)
	s_mul_hi_u32 s4, s36, s4
	s_mul_i32 s4, s4, s18
	s_delay_alu instid0(SALU_CYCLE_1) | instskip(NEXT) | instid1(SALU_CYCLE_1)
	s_sub_co_i32 s4, s36, s4
	s_sub_co_i32 s9, s4, s18
	s_cmp_ge_u32 s4, s18
	s_cselect_b32 s4, s9, s4
	s_delay_alu instid0(SALU_CYCLE_1) | instskip(SKIP_2) | instid1(SALU_CYCLE_1)
	s_sub_co_i32 s9, s4, s18
	s_cmp_ge_u32 s4, s18
	s_cselect_b32 s28, s9, s4
	s_mov_b64 s[10:11], s[28:29]
.LBB126_63:                             ;   in Loop: Header=BB126_18 Depth=1
	v_mov_b64_e32 v[4:5], 0
	v_mov_b64_e32 v[6:7], 0
	;; [unrolled: 1-line block ×4, first 2 shown]
	s_sub_nc_u64 s[20:21], s[36:37], s[10:11]
	s_mov_b32 s63, exec_lo
	v_cmpx_gt_u64_e64 s[20:21], v[16:17]
	s_cbranch_execz .LBB126_67
; %bb.64:                               ;   in Loop: Header=BB126_18 Depth=1
	v_mov_b64_e32 v[24:25], v[16:17]
	s_mov_b64 s[22:23], 0
	s_mov_b32 s66, 0
	s_mov_b64 s[24:25], 0
	s_mov_b64 s[26:27], 0
	;; [unrolled: 1-line block ×3, first 2 shown]
.LBB126_65:                             ;   Parent Loop BB126_18 Depth=1
                                        ; =>  This Inner Loop Header: Depth=2
	s_delay_alu instid0(VALU_DEP_1) | instskip(NEXT) | instid1(VALU_DEP_1)
	v_mad_nc_u64_u32 v[4:5], v24, s30, s[34:35]
	v_mad_u32 v5, v25, s30, v5
	s_delay_alu instid0(VALU_DEP_1) | instskip(SKIP_1) | instid1(VALU_DEP_1)
	v_mad_u32 v5, v24, s31, v5
	v_add_nc_u64_e32 v[24:25], s[18:19], v[24:25]
	v_cmp_le_u64_e32 vcc_lo, s[20:21], v[24:25]
	global_load_u8 v6, v[4:5], off
	s_wait_xcnt 0x0
	v_add_nc_u64_e32 v[4:5], s[30:31], v[4:5]
	global_load_u8 v7, v[4:5], off
	s_wait_xcnt 0x0
	v_add_nc_u64_e32 v[4:5], s[30:31], v[4:5]
	;; [unrolled: 3-line block ×3, first 2 shown]
	global_load_u8 v4, v[4:5], off
	s_wait_loadcnt 0x3
	s_wait_xcnt 0x0
	v_and_b32_e32 v5, v31, v6
	v_bfe_u32 v6, v6, s72, 2
	s_delay_alu instid0(VALU_DEP_2) | instskip(NEXT) | instid1(VALU_DEP_2)
	v_cmp_eq_u32_e64 s9, v5, v29
	v_cmp_eq_u32_e64 s10, 0, v6
	v_cmp_eq_u32_e64 s11, 1, v6
	v_cmp_eq_u32_e64 s12, 2, v6
	v_cmp_eq_u32_e64 s13, 3, v6
	s_wait_loadcnt 0x2
	v_and_b32_e32 v5, v31, v7
	s_and_b32 s4, s9, s10
	v_bfe_u32 v6, v7, s72, 2
	v_cndmask_b32_e64 v7, 0, 1, s4
	s_and_b32 s4, s9, s11
	s_delay_alu instid0(SALU_CYCLE_1)
	v_cndmask_b32_e64 v9, 0, 1, s4
	s_and_b32 s4, s9, s12
	v_cmp_eq_u32_e64 s10, 0, v6
	v_cndmask_b32_e64 v10, 0, 1, s4
	s_and_b32 s4, s9, s13
	v_cmp_eq_u32_e64 s9, v5, v29
	v_cmp_eq_u32_e64 s11, 1, v6
	;; [unrolled: 1-line block ×3, first 2 shown]
	v_cndmask_b32_e64 v11, 0, 1, s4
	v_cmp_eq_u32_e64 s13, 3, v6
	s_and_b32 s4, s9, s10
	s_wait_loadcnt 0x1
	v_and_b32_e32 v5, v31, v8
	v_bfe_u32 v6, v8, s72, 2
	v_cmp_ne_u32_e64 s14, 0, v7
	v_cndmask_b32_e64 v7, 0, 1, s4
	s_and_b32 s4, s9, s11
	v_cmp_ne_u32_e64 s15, 0, v9
	v_cndmask_b32_e64 v8, 0, 1, s4
	s_and_b32 s4, s9, s12
	v_cmp_eq_u32_e64 s10, 0, v6
	v_cndmask_b32_e64 v9, 0, 1, s4
	s_and_b32 s4, s9, s13
	v_cmp_eq_u32_e64 s9, v5, v29
	v_cmp_eq_u32_e64 s11, 1, v6
	;; [unrolled: 1-line block ×4, first 2 shown]
	v_cmp_ne_u32_e64 s16, 0, v10
	s_and_b32 s10, s9, s10
	s_wait_loadcnt 0x0
	v_and_b32_e32 v5, v31, v4
	v_bfe_u32 v4, v4, s72, 2
	v_cndmask_b32_e64 v6, 0, 1, s10
	s_and_b32 s10, s9, s11
	v_cndmask_b32_e64 v10, 0, 1, s4
	s_bcnt1_i32_b32 s4, s14
	v_cmp_ne_u32_e64 s14, 0, v7
	v_cndmask_b32_e64 v7, 0, 1, s10
	s_and_b32 s10, s9, s12
	s_and_b32 s9, s9, s13
	s_bcnt1_i32_b32 s28, s15
	s_bcnt1_i32_b32 s40, s16
	v_cmp_ne_u32_e64 s15, 0, v8
	v_cmp_ne_u32_e64 s16, 0, v9
	v_cndmask_b32_e64 v8, 0, 1, s10
	v_cndmask_b32_e64 v9, 0, 1, s9
	v_cmp_eq_u32_e64 s9, v5, v29
	v_cmp_eq_u32_e64 s10, 0, v4
	;; [unrolled: 1-line block ×5, first 2 shown]
	s_bcnt1_i32_b32 s14, s14
	v_cmp_ne_u32_e64 s17, 0, v11
	s_and_b32 s10, s9, s10
	s_bcnt1_i32_b32 s15, s15
	s_add_co_i32 s4, s14, s4
	v_cmp_ne_u32_e64 s14, 0, v6
	v_cndmask_b32_e64 v4, 0, 1, s10
	s_and_b32 s10, s9, s11
	s_bcnt1_i32_b32 s16, s16
	s_add_co_i32 s28, s15, s28
	v_cmp_ne_u32_e64 s15, 0, v7
	v_cndmask_b32_e64 v5, 0, 1, s10
	s_and_b32 s10, s9, s12
	s_and_b32 s9, s9, s13
	s_bcnt1_i32_b32 s41, s17
	v_cmp_ne_u32_e64 s17, 0, v10
	s_add_co_i32 s40, s16, s40
	v_cmp_ne_u32_e64 s16, 0, v8
	v_cndmask_b32_e64 v7, 0, 1, s9
	s_bcnt1_i32_b32 s9, s14
	v_cndmask_b32_e64 v6, 0, 1, s10
	s_bcnt1_i32_b32 s10, s15
	s_add_co_i32 s4, s4, s9
	v_cmp_ne_u32_e64 s9, 0, v4
	s_bcnt1_i32_b32 s17, s17
	s_bcnt1_i32_b32 s11, s16
	s_add_co_i32 s14, s28, s10
	v_cmp_ne_u32_e64 s10, 0, v5
	s_add_co_i32 s41, s17, s41
	v_cmp_ne_u32_e64 s17, 0, v9
	;; [unrolled: 2-line block ×3, first 2 shown]
	s_bcnt1_i32_b32 s9, s9
	v_cmp_ne_u32_e64 s12, 0, v7
	s_bcnt1_i32_b32 s10, s10
	s_add_co_i32 s28, s4, s9
	s_bcnt1_i32_b32 s13, s17
	s_bcnt1_i32_b32 s11, s11
	s_add_nc_u64 s[84:85], s[84:85], s[28:29]
	s_add_co_i32 s28, s14, s10
	s_add_co_i32 s13, s41, s13
	s_bcnt1_i32_b32 s12, s12
	s_add_nc_u64 s[26:27], s[26:27], s[28:29]
	s_add_co_i32 s28, s15, s11
	v_mov_b64_e32 v[4:5], s[84:85]
	s_add_nc_u64 s[24:25], s[24:25], s[28:29]
	s_add_co_i32 s28, s13, s12
	v_mov_b64_e32 v[6:7], s[26:27]
	s_add_nc_u64 s[22:23], s[22:23], s[28:29]
	v_mov_b64_e32 v[8:9], s[24:25]
	v_mov_b64_e32 v[10:11], s[22:23]
	s_or_b32 s66, vcc_lo, s66
	s_delay_alu instid0(SALU_CYCLE_1)
	s_and_not1_b32 exec_lo, exec_lo, s66
	s_cbranch_execnz .LBB126_65
; %bb.66:                               ;   in Loop: Header=BB126_18 Depth=1
	s_or_b32 exec_lo, exec_lo, s66
.LBB126_67:                             ;   in Loop: Header=BB126_18 Depth=1
	s_delay_alu instid0(SALU_CYCLE_1) | instskip(SKIP_3) | instid1(VALU_DEP_2)
	s_or_b32 exec_lo, exec_lo, s63
	v_add_nc_u64_e32 v[24:25], s[20:21], v[0:1]
	v_and_b32_e32 v2, 0xffff, v2
	s_mov_b32 s12, exec_lo
	v_cmpx_gt_u64_e64 s[36:37], v[24:25]
	s_cbranch_execz .LBB126_73
; %bb.68:                               ;   in Loop: Header=BB126_18 Depth=1
	v_mad_nc_u64_u32 v[26:27], v24, s30, s[34:35]
	s_mov_b32 s13, 0
	s_delay_alu instid0(VALU_DEP_1) | instskip(NEXT) | instid1(VALU_DEP_1)
	v_mad_u32 v27, v25, s30, v27
	v_mad_u32 v27, v24, s31, v27
	global_load_u8 v27, v[26:27], off
	s_branch .LBB126_70
.LBB126_69:                             ;   in Loop: Header=BB126_70 Depth=2
	s_wait_xcnt 0x0
	s_or_b32 exec_lo, exec_lo, s4
	s_wait_loadcnt 0x0
	v_and_b32_e32 v33, 0xff, v27
	v_bitop3_b32 v27, v31, v27, 0xff bitop3:0x80
	s_and_b32 s4, exec_lo, vcc_lo
	s_delay_alu instid0(SALU_CYCLE_1) | instskip(NEXT) | instid1(VALU_DEP_2)
	s_or_b32 s13, s4, s13
	v_bfe_u32 v33, v33, s72, 2
	s_delay_alu instid0(VALU_DEP_2) | instskip(NEXT) | instid1(VALU_DEP_2)
	v_cmp_eq_u32_e64 s9, v27, v29
	v_cmp_eq_u32_e64 s10, 0, v33
	v_cmp_eq_u32_e32 vcc_lo, 1, v33
	s_and_b32 s4, s9, s10
	v_cmp_eq_u32_e64 s10, 2, v33
	v_cndmask_b32_e64 v27, 0, 1, s4
	s_and_b32 s4, s9, vcc_lo
	v_cmp_eq_u32_e32 vcc_lo, 3, v33
	v_cndmask_b32_e64 v34, 0, 1, s4
	s_and_b32 s4, s9, s10
	v_cmp_ne_u32_e64 s11, 0, v27
	v_cndmask_b32_e64 v27, 0, 1, s4
	s_and_b32 s4, s9, vcc_lo
	v_cmp_ne_u32_e64 s10, 0, v34
	v_cndmask_b32_e64 v33, 0, 1, s4
	s_bcnt1_i32_b32 s28, s11
	v_cmp_ne_u32_e32 vcc_lo, 0, v27
	v_add_nc_u64_e32 v[4:5], s[28:29], v[4:5]
	s_bcnt1_i32_b32 s28, s10
	v_cmp_ne_u32_e64 s9, 0, v33
	v_add_nc_u64_e32 v[6:7], s[28:29], v[6:7]
	s_bcnt1_i32_b32 s28, vcc_lo
	v_mov_b32_e32 v27, v26
	v_add_nc_u64_e32 v[8:9], s[28:29], v[8:9]
	s_bcnt1_i32_b32 s28, s9
	s_delay_alu instid0(SALU_CYCLE_1)
	v_add_nc_u64_e32 v[10:11], s[28:29], v[10:11]
	s_and_not1_b32 exec_lo, exec_lo, s13
	s_cbranch_execz .LBB126_72
.LBB126_70:                             ;   Parent Loop BB126_18 Depth=1
                                        ; =>  This Inner Loop Header: Depth=2
	v_add_nc_u64_e32 v[24:25], v[24:25], v[2:3]
	s_wait_xcnt 0x0
	v_mov_b32_e32 v26, 0
	s_mov_b32 s4, exec_lo
	s_delay_alu instid0(VALU_DEP_2)
	v_cmp_le_u64_e32 vcc_lo, s[36:37], v[24:25]
	v_cmpx_gt_u64_e64 s[36:37], v[24:25]
	s_cbranch_execz .LBB126_69
; %bb.71:                               ;   in Loop: Header=BB126_70 Depth=2
	v_mad_nc_u64_u32 v[34:35], v24, s30, s[34:35]
	s_delay_alu instid0(VALU_DEP_1) | instskip(NEXT) | instid1(VALU_DEP_1)
	v_mad_u32 v26, v25, s30, v35
	v_mad_u32 v35, v24, s31, v26
	global_load_u8 v26, v[34:35], off
	s_branch .LBB126_69
.LBB126_72:                             ;   in Loop: Header=BB126_18 Depth=1
	s_or_b32 exec_lo, exec_lo, s13
.LBB126_73:                             ;   in Loop: Header=BB126_18 Depth=1
	s_delay_alu instid0(SALU_CYCLE_1)
	s_or_b32 exec_lo, exec_lo, s12
	s_branch .LBB126_52
.LBB126_74:                             ;   in Loop: Header=BB126_18 Depth=1
	global_load_u16 v2, v3, s[80:81]
	s_mov_b32 s85, s29
	v_mov_b64_e32 v[6:7], 0
	v_mov_b64_e32 v[8:9], 0
	;; [unrolled: 1-line block ×3, first 2 shown]
	s_mov_b32 s66, exec_lo
	s_wait_loadcnt 0x0
	v_readfirstlane_b32 s4, v2
	v_and_b32_e32 v2, 0xffff, v2
	s_and_b32 s63, 0xffff, s4
	s_delay_alu instid0(SALU_CYCLE_1) | instskip(NEXT) | instid1(SALU_CYCLE_1)
	s_lshl_b32 s86, s63, 2
	s_cvt_f32_u32 s4, s86
	s_sub_co_i32 s9, 0, s86
	s_delay_alu instid0(SALU_CYCLE_2) | instskip(SKIP_1) | instid1(TRANS32_DEP_1)
	v_rcp_iflag_f32_e32 v4, s4
	v_nop
	v_readfirstlane_b32 s4, v4
	s_mul_f32 s4, s4, 0x4f7ffffe
	s_delay_alu instid0(SALU_CYCLE_3) | instskip(NEXT) | instid1(SALU_CYCLE_3)
	s_cvt_u32_f32 s4, s4
	s_mul_i32 s9, s9, s4
	s_delay_alu instid0(SALU_CYCLE_1) | instskip(NEXT) | instid1(SALU_CYCLE_1)
	s_mul_hi_u32 s9, s4, s9
	s_add_co_i32 s4, s4, s9
	s_delay_alu instid0(SALU_CYCLE_1) | instskip(NEXT) | instid1(SALU_CYCLE_1)
	s_mul_hi_u32 s4, s82, s4
	s_mul_i32 s9, s4, s86
	s_add_co_i32 s10, s4, 1
	s_sub_co_i32 s9, s82, s9
	s_delay_alu instid0(SALU_CYCLE_1)
	s_sub_co_i32 s11, s9, s86
	s_cmp_ge_u32 s9, s86
	s_cselect_b32 s4, s10, s4
	s_cselect_b32 s9, s11, s9
	s_add_co_i32 s10, s4, 1
	s_cmp_ge_u32 s9, s86
	s_cselect_b32 s84, s10, s4
	s_delay_alu instid0(SALU_CYCLE_1) | instskip(NEXT) | instid1(VALU_DEP_1)
	v_mul_u64_e32 v[4:5], s[84:85], v[2:3]
	v_lshlrev_b64_e32 v[24:25], 2, v[4:5]
	v_mov_b64_e32 v[4:5], 0
	s_delay_alu instid0(VALU_DEP_2)
	v_cmpx_gt_u64_e64 v[24:25], v[16:17]
	s_cbranch_execz .LBB126_78
; %bb.75:                               ;   in Loop: Header=BB126_18 Depth=1
	v_mov_b64_e32 v[26:27], v[16:17]
	v_mov_b32_e32 v33, v16
	s_mov_b32 s87, s29
	s_mov_b64 s[88:89], 0
	s_mov_b32 s67, 0
	s_mov_b64 s[90:91], 0
	s_mov_b64 s[92:93], 0
	;; [unrolled: 1-line block ×3, first 2 shown]
.LBB126_76:                             ;   Parent Loop BB126_18 Depth=1
                                        ; =>  This Inner Loop Header: Depth=2
	ds_load_b32 v4, v33
	v_add_nc_u32_e32 v33, s86, v33
	v_add_nc_u64_e32 v[26:27], s[86:87], v[26:27]
	s_delay_alu instid0(VALU_DEP_1)
	v_cmp_ge_u64_e32 vcc_lo, v[26:27], v[24:25]
	s_wait_dscnt 0x0
	v_and_b32_e32 v9, 0xff, v4
	v_dual_lshrrev_b32 v6, 8, v4 :: v_dual_lshrrev_b32 v8, 24, v4
	v_bfe_u32 v10, v4, 8, 8
	v_lshrrev_b32_e32 v5, 16, v4
	v_bitop3_b32 v7, v31, v4, 0xff bitop3:0x80
	v_bfe_u32 v4, v4, 16, 8
	v_bfe_u32 v9, v9, s72, 2
	v_bitop3_b32 v6, v31, v6, 0xff bitop3:0x80
	v_bfe_u32 v10, v10, s72, 2
	v_bitop3_b32 v5, v31, v5, 0xff bitop3:0x80
	v_bfe_u32 v4, v4, s72, 2
	v_cmp_eq_u32_e64 s9, v7, v29
	v_cmp_eq_u32_e64 s13, 0, v9
	v_and_b32_e32 v7, v31, v8
	v_bfe_u32 v8, v8, s72, 2
	v_cmp_eq_u32_e64 s10, v6, v29
	v_cmp_eq_u32_e64 s14, 0, v10
	;; [unrolled: 1-line block ×4, first 2 shown]
	s_and_b32 s4, s9, s13
	v_cmp_eq_u32_e64 s12, v7, v29
	v_cmp_eq_u32_e64 s16, 0, v8
	;; [unrolled: 1-line block ×5, first 2 shown]
	v_cndmask_b32_e64 v4, 0, 1, s4
	s_and_b32 s4, s10, s14
	v_cmp_eq_u32_e64 s17, 1, v9
	v_cndmask_b32_e64 v5, 0, 1, s4
	s_and_b32 s4, s11, s15
	v_cmp_eq_u32_e64 s18, 1, v10
	;; [unrolled: 3-line block ×4, first 2 shown]
	v_cmp_eq_u32_e64 s28, 3, v8
	v_cndmask_b32_e64 v8, 0, 1, s4
	s_and_b32 s4, s10, s18
	v_cmp_eq_u32_e64 s21, 2, v9
	v_cmp_eq_u32_e64 s25, 3, v9
	v_cndmask_b32_e64 v9, 0, 1, s4
	s_and_b32 s4, s11, s19
	v_cmp_eq_u32_e64 s22, 2, v10
	v_cmp_eq_u32_e64 s26, 3, v10
	v_cndmask_b32_e64 v10, 0, 1, s4
	s_and_b32 s4, s12, s20
	v_cmp_ne_u32_e64 s13, 0, v8
	v_cndmask_b32_e64 v11, 0, 1, s4
	s_and_b32 s4, s9, s21
	v_cmp_ne_u32_e64 s14, 0, v9
	;; [unrolled: 3-line block ×9, first 2 shown]
	v_cmp_ne_u32_e64 s18, 0, v35
	v_cndmask_b32_e64 v41, 0, 1, s4
	s_bcnt1_i32_b32 s4, s9
	s_bcnt1_i32_b32 s9, s10
	v_cmp_ne_u32_e64 s19, 0, v36
	v_cmp_ne_u32_e64 s20, 0, v37
	;; [unrolled: 1-line block ×4, first 2 shown]
	s_bcnt1_i32_b32 s10, s11
	s_bcnt1_i32_b32 s11, s12
	;; [unrolled: 1-line block ×4, first 2 shown]
	s_add_co_i32 s4, s9, s4
	v_cmp_ne_u32_e64 s23, 0, v40
	s_bcnt1_i32_b32 s14, s15
	s_bcnt1_i32_b32 s15, s16
	;; [unrolled: 1-line block ×4, first 2 shown]
	s_add_co_i32 s9, s13, s12
	s_add_co_i32 s4, s4, s10
	v_cmp_ne_u32_e64 s24, 0, v41
	s_bcnt1_i32_b32 s18, s19
	s_bcnt1_i32_b32 s19, s20
	;; [unrolled: 1-line block ×4, first 2 shown]
	s_add_co_i32 s12, s17, s16
	s_add_co_i32 s9, s9, s14
	;; [unrolled: 1-line block ×3, first 2 shown]
	s_bcnt1_i32_b32 s22, s23
	s_add_co_i32 s13, s21, s20
	s_add_co_i32 s10, s12, s18
	s_add_nc_u64 s[94:95], s[94:95], s[28:29]
	s_add_co_i32 s28, s9, s15
	s_bcnt1_i32_b32 s23, s24
	s_add_co_i32 s12, s13, s22
	s_add_nc_u64 s[92:93], s[92:93], s[28:29]
	s_add_co_i32 s28, s10, s19
	v_mov_b64_e32 v[4:5], s[94:95]
	s_add_nc_u64 s[90:91], s[90:91], s[28:29]
	s_add_co_i32 s28, s12, s23
	v_mov_b64_e32 v[6:7], s[92:93]
	s_add_nc_u64 s[88:89], s[88:89], s[28:29]
	v_mov_b64_e32 v[8:9], s[90:91]
	v_mov_b64_e32 v[10:11], s[88:89]
	s_or_b32 s67, vcc_lo, s67
	s_delay_alu instid0(SALU_CYCLE_1)
	s_and_not1_b32 exec_lo, exec_lo, s67
	s_cbranch_execnz .LBB126_76
; %bb.77:                               ;   in Loop: Header=BB126_18 Depth=1
	s_or_b32 exec_lo, exec_lo, s67
.LBB126_78:                             ;   in Loop: Header=BB126_18 Depth=1
	s_delay_alu instid0(SALU_CYCLE_1) | instskip(SKIP_3) | instid1(VALU_DEP_1)
	s_or_b32 exec_lo, exec_lo, s66
	v_add_nc_u64_e32 v[24:25], v[24:25], v[0:1]
	s_and_b64 s[14:15], s[82:83], 0x7fffffff
	s_mov_b32 s16, exec_lo
	v_cmpx_gt_u64_e64 s[14:15], v[24:25]
	s_cbranch_execz .LBB126_82
; %bb.79:                               ;   in Loop: Header=BB126_18 Depth=1
	s_mul_i32 s4, s84, s63
	s_mov_b32 s17, 0
	v_lshl_add_u32 v26, s4, 2, v0
.LBB126_80:                             ;   Parent Loop BB126_18 Depth=1
                                        ; =>  This Inner Loop Header: Depth=2
	ds_load_u8 v27, v26
	v_add_nc_u64_e32 v[24:25], v[24:25], v[2:3]
	v_add_nc_u32_e32 v26, s63, v26
	s_delay_alu instid0(VALU_DEP_2) | instskip(SKIP_3) | instid1(VALU_DEP_2)
	v_cmp_le_u64_e32 vcc_lo, s[14:15], v[24:25]
	s_wait_dscnt 0x0
	v_and_b32_e32 v33, v31, v27
	v_bfe_u32 v27, v27, s72, 2
	v_cmp_eq_u32_e64 s9, v33, v29
	s_delay_alu instid0(VALU_DEP_2) | instskip(SKIP_4) | instid1(SALU_CYCLE_1)
	v_cmp_eq_u32_e64 s10, 0, v27
	v_cmp_eq_u32_e64 s11, 1, v27
	;; [unrolled: 1-line block ×4, first 2 shown]
	s_and_b32 s4, s9, s10
	v_cndmask_b32_e64 v27, 0, 1, s4
	s_and_b32 s4, s9, s11
	s_delay_alu instid0(SALU_CYCLE_1) | instskip(SKIP_1) | instid1(SALU_CYCLE_1)
	v_cndmask_b32_e64 v33, 0, 1, s4
	s_and_b32 s4, s9, s12
	v_cndmask_b32_e64 v34, 0, 1, s4
	s_and_b32 s4, s9, s13
	v_cmp_ne_u32_e64 s9, 0, v27
	v_cndmask_b32_e64 v35, 0, 1, s4
	v_cmp_ne_u32_e64 s10, 0, v33
	v_cmp_ne_u32_e64 s11, 0, v34
	s_bcnt1_i32_b32 s28, s9
	v_cmp_ne_u32_e64 s12, 0, v35
	v_add_nc_u64_e32 v[4:5], s[28:29], v[4:5]
	s_bcnt1_i32_b32 s28, s10
	s_delay_alu instid0(SALU_CYCLE_1) | instskip(SKIP_1) | instid1(SALU_CYCLE_1)
	v_add_nc_u64_e32 v[6:7], s[28:29], v[6:7]
	s_bcnt1_i32_b32 s28, s11
	v_add_nc_u64_e32 v[8:9], s[28:29], v[8:9]
	s_bcnt1_i32_b32 s28, s12
	s_or_b32 s17, vcc_lo, s17
	v_add_nc_u64_e32 v[10:11], s[28:29], v[10:11]
	s_and_not1_b32 exec_lo, exec_lo, s17
	s_cbranch_execnz .LBB126_80
; %bb.81:                               ;   in Loop: Header=BB126_18 Depth=1
	s_or_b32 exec_lo, exec_lo, s17
.LBB126_82:                             ;   in Loop: Header=BB126_18 Depth=1
	s_delay_alu instid0(SALU_CYCLE_1)
	s_or_b32 exec_lo, exec_lo, s16
	s_lshl_b32 s9, s49, 7
	s_and_saveexec_b32 s4, s2
	s_cbranch_execnz .LBB126_53
	s_branch .LBB126_54
.LBB126_83:                             ;   in Loop: Header=BB126_18 Depth=1
                                        ; implicit-def: $sgpr10_sgpr11
	s_branch .LBB126_62
.LBB126_84:                             ;   in Loop: Header=BB126_18 Depth=1
	s_mov_b32 s11, 0
	s_and_not1_b32 vcc_lo, exec_lo, s70
	s_cbranch_vccnz .LBB126_87
.LBB126_85:                             ;   in Loop: Header=BB126_18 Depth=1
	s_lshl_b32 s4, s49, 10
	s_lshl_b32 s11, s11, 5
	s_delay_alu instid0(SALU_CYCLE_1)
	v_add3_u32 v2, s4, s11, v30
	s_mov_b32 s4, vcc_hi
.LBB126_86:                             ;   Parent Loop BB126_18 Depth=1
                                        ; =>  This Inner Loop Header: Depth=2
	ds_load_b64 v[6:7], v2
	v_add_nc_u32_e32 v2, 32, v2
	s_add_co_i32 s4, s4, -1
	s_delay_alu instid0(SALU_CYCLE_1)
	s_cmp_lg_u32 s4, 0
	s_wait_dscnt 0x0
	v_add_nc_u64_e32 v[4:5], v[6:7], v[4:5]
	s_cbranch_scc1 .LBB126_86
.LBB126_87:                             ;   in Loop: Header=BB126_18 Depth=1
	v_add_lshl_u32 v2, s9, v13, 3
	ds_store_b64 v2, v[4:5] offset:3072
.LBB126_88:                             ;   in Loop: Header=BB126_18 Depth=1
	s_or_b32 exec_lo, exec_lo, s10
	s_lshl_b32 s4, s9, 3
	s_wait_dscnt 0x0
	v_mov_b32_e32 v2, s4
	s_barrier_signal -1
	s_barrier_wait -1
	v_cmp_eq_u64_e64 s9, 1, v[22:23]
	ds_load_b128 v[4:7], v2 offset:3072
	ds_load_b128 v[8:11], v2 offset:3088
	s_lshl_b32 s24, 3, s72
	s_mov_b32 s84, -1
	s_not_b32 s25, s24
	s_mov_b32 s26, 0
	s_and_not1_b32 vcc_lo, exec_lo, s33
	s_mov_b32 s63, 0
	s_mov_b32 s27, 0
                                        ; implicit-def: $sgpr82
                                        ; implicit-def: $sgpr83
                                        ; implicit-def: $vgpr2
	s_wait_dscnt 0x1
	v_readfirstlane_b32 s13, v5
	v_readfirstlane_b32 s12, v4
	;; [unrolled: 1-line block ×4, first 2 shown]
	s_wait_dscnt 0x0
	v_readfirstlane_b32 s17, v9
	v_readfirstlane_b32 s16, v8
	;; [unrolled: 1-line block ×4, first 2 shown]
                                        ; implicit-def: $vgpr4_vgpr5
                                        ; implicit-def: $vgpr8
                                        ; implicit-def: $vgpr9
                                        ; implicit-def: $vgpr10
	s_cbranch_vccnz .LBB126_283
; %bb.89:                               ;   in Loop: Header=BB126_18 Depth=1
	s_cmp_eq_u64 s[12:13], 1
	v_dual_mov_b32 v8, v29 :: v_dual_mov_b32 v9, v31
	v_mov_b32_e32 v10, v32
	s_cselect_b32 s4, -1, 0
	s_mov_b32 s10, -1
	s_and_b32 s86, s4, s9
                                        ; implicit-def: $sgpr83
                                        ; implicit-def: $sgpr82
	s_delay_alu instid0(SALU_CYCLE_1)
	s_and_saveexec_b32 s27, s86
	s_cbranch_execz .LBB126_124
; %bb.90:                               ;   in Loop: Header=BB126_18 Depth=1
	ds_load_b64 v[4:5], v3 offset:5120
	s_wait_dscnt 0x0
	s_barrier_signal -1
	s_barrier_wait -1
	v_readfirstlane_b32 s10, v4
	v_readfirstlane_b32 s11, v5
	s_and_saveexec_b32 s4, s6
; %bb.91:                               ;   in Loop: Header=BB126_18 Depth=1
	ds_store_b8 v0, v3 offset:3072
; %bb.92:                               ;   in Loop: Header=BB126_18 Depth=1
	s_or_b32 exec_lo, exec_lo, s4
	v_and_b32_e32 v8, s25, v29
	v_or_b32_e32 v9, s24, v31
	s_mov_b32 s82, -1
	s_mov_b32 s83, 0
	s_cmp_eq_u64 s[10:11], 0
	s_mov_b32 s22, 0
	s_mov_b32 s23, -1
	s_wait_dscnt 0x0
	s_barrier_signal -1
	s_barrier_wait -1
                                        ; implicit-def: $vgpr10
	s_cbranch_scc1 .LBB126_109
; %bb.93:                               ;   in Loop: Header=BB126_18 Depth=1
	s_add_nc_u64 s[20:21], s[10:11], s[74:75]
	s_delay_alu instid0(SALU_CYCLE_1) | instskip(NEXT) | instid1(SALU_CYCLE_1)
	s_and_b64 s[22:23], s[20:21], 0xffffffff00000000
	s_cmp_lg_u64 s[22:23], 0
	s_cbranch_scc0 .LBB126_150
; %bb.94:                               ;   in Loop: Header=BB126_18 Depth=1
	s_cvt_f32_u32 s4, s56
	s_sub_nc_u64 s[40:41], 0, s[56:57]
	s_delay_alu instid0(SALU_CYCLE_2) | instskip(NEXT) | instid1(SALU_CYCLE_3)
	s_fmamk_f32 s4, s71, 0x0, s4
	v_s_rcp_f32 s4, s4
	s_delay_alu instid0(TRANS32_DEP_1) | instskip(NEXT) | instid1(SALU_CYCLE_3)
	s_mul_f32 s4, s4, 0x5f7ffffc
	s_mul_f32 s22, s4, 0x2f800000
	s_delay_alu instid0(SALU_CYCLE_3) | instskip(NEXT) | instid1(SALU_CYCLE_3)
	s_trunc_f32 s22, s22
	s_fmamk_f32 s4, s22, 0xcf800000, s4
	s_cvt_u32_f32 s23, s22
	s_delay_alu instid0(SALU_CYCLE_2) | instskip(NEXT) | instid1(SALU_CYCLE_3)
	s_cvt_u32_f32 s22, s4
	s_mul_u64 s[42:43], s[40:41], s[22:23]
	s_delay_alu instid0(SALU_CYCLE_1)
	s_mul_hi_u32 s61, s22, s43
	s_mul_i32 s60, s22, s43
	s_mul_hi_u32 s28, s22, s42
	s_mul_i32 s63, s23, s42
	s_add_nc_u64 s[60:61], s[28:29], s[60:61]
	s_mul_hi_u32 s4, s23, s42
	s_mul_hi_u32 s66, s23, s43
	s_add_co_u32 s28, s60, s63
	s_add_co_ci_u32 s28, s61, s4
	s_mul_i32 s42, s23, s43
	s_add_co_ci_u32 s43, s66, 0
	s_delay_alu instid0(SALU_CYCLE_1) | instskip(NEXT) | instid1(SALU_CYCLE_1)
	s_add_nc_u64 s[42:43], s[28:29], s[42:43]
	s_add_co_u32 s22, s22, s42
	s_cselect_b32 s4, -1, 0
	s_delay_alu instid0(SALU_CYCLE_1) | instskip(SKIP_1) | instid1(SALU_CYCLE_1)
	s_cmp_lg_u32 s4, 0
	s_add_co_ci_u32 s23, s23, s43
	s_mul_u64 s[40:41], s[40:41], s[22:23]
	s_delay_alu instid0(SALU_CYCLE_1)
	s_mul_hi_u32 s43, s22, s41
	s_mul_i32 s42, s22, s41
	s_mul_hi_u32 s28, s22, s40
	s_mul_i32 s60, s23, s40
	s_add_nc_u64 s[42:43], s[28:29], s[42:43]
	s_mul_hi_u32 s4, s23, s40
	s_mul_hi_u32 s61, s23, s41
	s_add_co_u32 s28, s42, s60
	s_add_co_ci_u32 s28, s43, s4
	s_mul_i32 s40, s23, s41
	s_add_co_ci_u32 s41, s61, 0
	s_delay_alu instid0(SALU_CYCLE_1) | instskip(NEXT) | instid1(SALU_CYCLE_1)
	s_add_nc_u64 s[40:41], s[28:29], s[40:41]
	s_add_co_u32 s4, s22, s40
	s_cselect_b32 s22, -1, 0
	s_mul_hi_u32 s28, s20, s4
	s_cmp_lg_u32 s22, 0
	s_mul_hi_u32 s42, s21, s4
	s_add_co_ci_u32 s40, s23, s41
	s_mul_i32 s4, s21, s4
	s_mul_hi_u32 s23, s20, s40
	s_mul_i32 s22, s20, s40
	s_mul_hi_u32 s41, s21, s40
	s_add_nc_u64 s[22:23], s[28:29], s[22:23]
	s_mul_i32 s40, s21, s40
	s_add_co_u32 s4, s22, s4
	s_add_co_ci_u32 s28, s23, s42
	s_add_co_ci_u32 s41, s41, 0
	s_delay_alu instid0(SALU_CYCLE_1) | instskip(NEXT) | instid1(SALU_CYCLE_1)
	s_add_nc_u64 s[22:23], s[28:29], s[40:41]
	s_and_b64 s[40:41], s[22:23], 0xffffffff00000000
	s_delay_alu instid0(SALU_CYCLE_1) | instskip(NEXT) | instid1(SALU_CYCLE_1)
	s_or_b32 s40, s40, s22
	s_mul_u64 s[22:23], s[56:57], s[40:41]
	s_delay_alu instid0(SALU_CYCLE_1) | instskip(SKIP_1) | instid1(SALU_CYCLE_1)
	s_sub_co_u32 s4, s20, s22
	s_cselect_b32 s22, -1, 0
	s_cmp_lg_u32 s22, 0
	s_sub_co_ci_u32 s22, s21, s23
	s_sub_co_u32 s23, s4, s56
	s_cselect_b32 s28, -1, 0
	s_delay_alu instid0(SALU_CYCLE_1) | instskip(SKIP_3) | instid1(SALU_CYCLE_1)
	s_cmp_lg_u32 s28, 0
	s_sub_co_ci_u32 s28, s22, 0
	s_sub_co_u32 s40, s23, s56
	s_cselect_b32 s41, -1, 0
	s_cmp_lg_u32 s41, 0
	s_sub_co_ci_u32 s41, s28, 0
	s_cmp_ge_u32 s23, s56
	s_cselect_b32 s42, -1, 0
	s_cmp_eq_u32 s28, 0
	s_cselect_b32 s42, s42, -1
	s_delay_alu instid0(SALU_CYCLE_1)
	s_cmp_lg_u32 s42, 0
	s_cselect_b32 s28, s41, s28
	s_cselect_b32 s40, s40, s23
	s_cmp_ge_u32 s4, s56
	s_cselect_b32 s23, -1, 0
	s_cmp_eq_u32 s22, 0
	s_cselect_b32 s23, s23, -1
	s_delay_alu instid0(SALU_CYCLE_1)
	s_cmp_lg_u32 s23, 0
	s_cselect_b32 s23, s28, s22
	s_cselect_b32 s22, s40, s4
	s_cbranch_execnz .LBB126_96
.LBB126_95:                             ;   in Loop: Header=BB126_18 Depth=1
	v_cvt_f32_u32_e32 v2, s56
	s_sub_co_i32 s22, 0, s56
	s_delay_alu instid0(VALU_DEP_1) | instskip(SKIP_1) | instid1(TRANS32_DEP_1)
	v_rcp_iflag_f32_e32 v2, v2
	v_nop
	v_mul_f32_e32 v2, 0x4f7ffffe, v2
	s_delay_alu instid0(VALU_DEP_1) | instskip(NEXT) | instid1(VALU_DEP_1)
	v_cvt_u32_f32_e32 v2, v2
	v_readfirstlane_b32 s4, v2
	s_mul_i32 s22, s22, s4
	s_delay_alu instid0(SALU_CYCLE_1) | instskip(NEXT) | instid1(SALU_CYCLE_1)
	s_mul_hi_u32 s22, s4, s22
	s_add_co_i32 s4, s4, s22
	s_delay_alu instid0(SALU_CYCLE_1) | instskip(NEXT) | instid1(SALU_CYCLE_1)
	s_mul_hi_u32 s4, s20, s4
	s_mul_i32 s4, s4, s56
	s_delay_alu instid0(SALU_CYCLE_1) | instskip(NEXT) | instid1(SALU_CYCLE_1)
	s_sub_co_i32 s4, s20, s4
	s_sub_co_i32 s22, s4, s56
	s_cmp_ge_u32 s4, s56
	s_cselect_b32 s4, s22, s4
	s_delay_alu instid0(SALU_CYCLE_1) | instskip(SKIP_2) | instid1(SALU_CYCLE_1)
	s_sub_co_i32 s22, s4, s56
	s_cmp_ge_u32 s4, s56
	s_cselect_b32 s28, s22, s4
	s_mov_b64 s[22:23], s[28:29]
.LBB126_96:                             ;   in Loop: Header=BB126_18 Depth=1
	s_delay_alu instid0(SALU_CYCLE_1)
	s_sub_nc_u64 s[20:21], s[20:21], s[22:23]
	s_mov_b32 s23, 0
	s_mov_b32 s22, 0
	s_mov_b32 s28, exec_lo
                                        ; implicit-def: $vgpr10
	v_cmpx_gt_u64_e64 s[20:21], v[0:1]
	s_cbranch_execz .LBB126_108
; %bb.97:                               ;   in Loop: Header=BB126_18 Depth=1
	v_mov_b64_e32 v[4:5], v[0:1]
	v_mov_b32_e32 v2, v0
                                        ; implicit-def: $sgpr63
	s_branch .LBB126_100
.LBB126_98:                             ;   in Loop: Header=BB126_100 Depth=2
	s_or_b32 exec_lo, exec_lo, s4
	s_wait_dscnt 0x0
	s_barrier_signal -1
	s_barrier_wait -1
	ds_load_u16 v6, v3 offset:3072
	s_mov_b32 s4, -1
	s_mov_b32 s66, -1
	s_wait_dscnt 0x0
	s_barrier_signal -1
	s_barrier_wait -1
	v_and_b32_e32 v7, 0xff, v6
	s_delay_alu instid0(VALU_DEP_1)
	v_cmp_ne_u32_e32 vcc_lo, 0, v7
	s_cbranch_vccz .LBB126_103
.LBB126_99:                             ;   in Loop: Header=BB126_100 Depth=2
	s_and_b32 s4, exec_lo, s4
	s_delay_alu instid0(SALU_CYCLE_1) | instskip(SKIP_2) | instid1(SALU_CYCLE_1)
	s_or_b32 s22, s4, s22
	s_and_not1_b32 s4, s63, exec_lo
	s_and_b32 s40, s66, exec_lo
	s_or_b32 s63, s4, s40
	s_and_not1_b32 exec_lo, exec_lo, s22
	s_cbranch_execz .LBB126_107
.LBB126_100:                            ;   Parent Loop BB126_18 Depth=1
                                        ; =>  This Inner Loop Header: Depth=2
	s_mov_b32 s4, exec_lo
	s_delay_alu instid0(VALU_DEP_2)
	v_cmpx_gt_u64_e64 s[10:11], v[4:5]
	s_cbranch_execz .LBB126_98
; %bb.101:                              ;   in Loop: Header=BB126_100 Depth=2
	ds_load_u8 v6, v2
	s_wait_dscnt 0x0
	v_bitop3_b32 v7, v6, 0xff, v9 bitop3:0x80
	s_delay_alu instid0(VALU_DEP_1)
	v_cmp_eq_u32_e32 vcc_lo, v7, v8
	s_and_b32 exec_lo, exec_lo, vcc_lo
	s_cbranch_execz .LBB126_98
; %bb.102:                              ;   in Loop: Header=BB126_100 Depth=2
	v_lshlrev_b16 v6, 8, v6
	s_delay_alu instid0(VALU_DEP_1)
	v_or_b32_e32 v6, 1, v6
	ds_store_b16 v3, v6 offset:3072
	s_branch .LBB126_98
.LBB126_103:                            ;   in Loop: Header=BB126_100 Depth=2
	v_add_nc_u64_e32 v[4:5], s[56:57], v[4:5]
	v_add_nc_u32_e32 v2, s56, v2
	s_mov_b32 s66, 0
	s_delay_alu instid0(VALU_DEP_2)
	v_cmp_le_u64_e32 vcc_lo, s[20:21], v[4:5]
	s_or_not1_b32 s4, vcc_lo, exec_lo
	s_branch .LBB126_99
.LBB126_104:                            ;   in Loop: Header=BB126_18 Depth=1
	s_or_b32 exec_lo, exec_lo, s12
	s_wait_dscnt 0x0
	s_barrier_signal -1
	s_barrier_wait -1
	s_and_saveexec_b32 s4, s5
	s_cbranch_execz .LBB126_106
; %bb.105:                              ;   in Loop: Header=BB126_18 Depth=1
	ds_load_b32 v4, v3 offset:5144
	s_wait_dscnt 0x0
	v_ashrrev_i32_e32 v5, 31, v4
	ds_store_b64 v3, v[4:5] offset:5120
.LBB126_106:                            ;   in Loop: Header=BB126_18 Depth=1
	s_or_b32 exec_lo, exec_lo, s4
	s_wait_dscnt 0x0
	s_barrier_signal -1
	s_mov_b32 s9, -1
	s_barrier_wait -1
	s_and_b32 vcc_lo, exec_lo, s11
	s_cbranch_vccnz .LBB126_33
	s_branch .LBB126_48
.LBB126_107:                            ;   in Loop: Header=BB126_18 Depth=1
	s_or_b32 exec_lo, exec_lo, s22
	v_and_b32_e32 v2, 0xffff, v6
	s_and_b32 s22, s63, exec_lo
	s_delay_alu instid0(VALU_DEP_1)
	v_lshrrev_b32_e32 v10, 8, v2
.LBB126_108:                            ;   in Loop: Header=BB126_18 Depth=1
	s_or_b32 exec_lo, exec_lo, s28
.LBB126_109:                            ;   in Loop: Header=BB126_18 Depth=1
	s_delay_alu instid0(SALU_CYCLE_1)
	s_and_b32 vcc_lo, exec_lo, s23
	s_cbranch_vccz .LBB126_123
; %bb.110:                              ;   in Loop: Header=BB126_18 Depth=1
	s_and_b64 s[10:11], s[76:77], 0xffffffff00000000
	s_delay_alu instid0(SALU_CYCLE_1)
	s_cmp_lg_u64 s[10:11], 0
	s_cbranch_scc0 .LBB126_151
; %bb.111:                              ;   in Loop: Header=BB126_18 Depth=1
	s_cvt_f32_u32 s4, s56
	s_sub_nc_u64 s[20:21], 0, s[56:57]
	s_delay_alu instid0(SALU_CYCLE_2) | instskip(NEXT) | instid1(SALU_CYCLE_3)
	s_fmamk_f32 s4, s71, 0x0, s4
	v_s_rcp_f32 s4, s4
	s_delay_alu instid0(TRANS32_DEP_1) | instskip(NEXT) | instid1(SALU_CYCLE_3)
	s_mul_f32 s4, s4, 0x5f7ffffc
	s_mul_f32 s10, s4, 0x2f800000
	s_delay_alu instid0(SALU_CYCLE_3) | instskip(NEXT) | instid1(SALU_CYCLE_3)
	s_trunc_f32 s10, s10
	s_fmamk_f32 s4, s10, 0xcf800000, s4
	s_cvt_u32_f32 s11, s10
	s_delay_alu instid0(SALU_CYCLE_2) | instskip(NEXT) | instid1(SALU_CYCLE_3)
	s_cvt_u32_f32 s10, s4
	s_mul_u64 s[40:41], s[20:21], s[10:11]
	s_delay_alu instid0(SALU_CYCLE_1)
	s_mul_hi_u32 s43, s10, s41
	s_mul_i32 s42, s10, s41
	s_mul_hi_u32 s28, s10, s40
	s_mul_i32 s23, s11, s40
	s_add_nc_u64 s[42:43], s[28:29], s[42:43]
	s_mul_hi_u32 s4, s11, s40
	s_mul_hi_u32 s60, s11, s41
	s_add_co_u32 s23, s42, s23
	s_add_co_ci_u32 s28, s43, s4
	s_mul_i32 s40, s11, s41
	s_add_co_ci_u32 s41, s60, 0
	s_delay_alu instid0(SALU_CYCLE_1) | instskip(NEXT) | instid1(SALU_CYCLE_1)
	s_add_nc_u64 s[40:41], s[28:29], s[40:41]
	s_add_co_u32 s10, s10, s40
	s_cselect_b32 s4, -1, 0
	s_delay_alu instid0(SALU_CYCLE_1) | instskip(SKIP_1) | instid1(SALU_CYCLE_1)
	s_cmp_lg_u32 s4, 0
	s_add_co_ci_u32 s11, s11, s41
	s_mul_u64 s[20:21], s[20:21], s[10:11]
	s_delay_alu instid0(SALU_CYCLE_1)
	s_mul_hi_u32 s41, s10, s21
	s_mul_i32 s40, s10, s21
	s_mul_hi_u32 s28, s10, s20
	s_mul_i32 s23, s11, s20
	s_add_nc_u64 s[40:41], s[28:29], s[40:41]
	s_mul_hi_u32 s4, s11, s20
	s_mul_hi_u32 s42, s11, s21
	s_mul_i32 s20, s11, s21
	s_add_co_u32 s21, s40, s23
	s_add_co_ci_u32 s28, s41, s4
	s_add_co_ci_u32 s21, s42, 0
	s_delay_alu instid0(SALU_CYCLE_1) | instskip(NEXT) | instid1(SALU_CYCLE_1)
	s_add_nc_u64 s[20:21], s[28:29], s[20:21]
	s_add_co_u32 s4, s10, s20
	s_cselect_b32 s10, -1, 0
	s_mul_hi_u32 s28, s76, s4
	s_cmp_lg_u32 s10, 0
	s_mul_hi_u32 s23, s77, s4
	s_add_co_ci_u32 s20, s11, s21
	s_mul_i32 s4, s77, s4
	s_mul_hi_u32 s11, s76, s20
	s_mul_i32 s10, s76, s20
	s_mul_hi_u32 s21, s77, s20
	s_add_nc_u64 s[10:11], s[28:29], s[10:11]
	s_mul_i32 s20, s77, s20
	s_add_co_u32 s4, s10, s4
	s_add_co_ci_u32 s28, s11, s23
	s_add_co_ci_u32 s21, s21, 0
	s_delay_alu instid0(SALU_CYCLE_1) | instskip(NEXT) | instid1(SALU_CYCLE_1)
	s_add_nc_u64 s[10:11], s[28:29], s[20:21]
	s_and_b64 s[20:21], s[10:11], 0xffffffff00000000
	s_delay_alu instid0(SALU_CYCLE_1) | instskip(NEXT) | instid1(SALU_CYCLE_1)
	s_or_b32 s20, s20, s10
	s_mul_u64 s[10:11], s[56:57], s[20:21]
	s_delay_alu instid0(SALU_CYCLE_1) | instskip(SKIP_1) | instid1(SALU_CYCLE_1)
	s_sub_co_u32 s4, s76, s10
	s_cselect_b32 s10, -1, 0
	s_cmp_lg_u32 s10, 0
	s_sub_co_ci_u32 s10, s77, s11
	s_sub_co_u32 s11, s4, s56
	s_cselect_b32 s20, -1, 0
	s_delay_alu instid0(SALU_CYCLE_1) | instskip(SKIP_3) | instid1(SALU_CYCLE_1)
	s_cmp_lg_u32 s20, 0
	s_sub_co_ci_u32 s20, s10, 0
	s_sub_co_u32 s21, s11, s56
	s_cselect_b32 s23, -1, 0
	s_cmp_lg_u32 s23, 0
	s_sub_co_ci_u32 s23, s20, 0
	s_cmp_ge_u32 s11, s56
	s_cselect_b32 s28, -1, 0
	s_cmp_eq_u32 s20, 0
	s_cselect_b32 s28, s28, -1
	s_delay_alu instid0(SALU_CYCLE_1)
	s_cmp_lg_u32 s28, 0
	s_cselect_b32 s20, s23, s20
	s_cselect_b32 s21, s21, s11
	s_cmp_ge_u32 s4, s56
	s_cselect_b32 s11, -1, 0
	s_cmp_eq_u32 s10, 0
	s_cselect_b32 s11, s11, -1
	s_delay_alu instid0(SALU_CYCLE_1)
	s_cmp_lg_u32 s11, 0
	s_cselect_b32 s11, s20, s10
	s_cselect_b32 s10, s21, s4
	s_cbranch_execnz .LBB126_113
.LBB126_112:                            ;   in Loop: Header=BB126_18 Depth=1
	v_cvt_f32_u32_e32 v2, s56
	s_sub_co_i32 s10, 0, s56
	s_delay_alu instid0(VALU_DEP_1) | instskip(SKIP_1) | instid1(TRANS32_DEP_1)
	v_rcp_iflag_f32_e32 v2, v2
	v_nop
	v_mul_f32_e32 v2, 0x4f7ffffe, v2
	s_delay_alu instid0(VALU_DEP_1) | instskip(NEXT) | instid1(VALU_DEP_1)
	v_cvt_u32_f32_e32 v2, v2
	v_readfirstlane_b32 s4, v2
	s_mul_i32 s10, s10, s4
	s_delay_alu instid0(SALU_CYCLE_1) | instskip(NEXT) | instid1(SALU_CYCLE_1)
	s_mul_hi_u32 s10, s4, s10
	s_add_co_i32 s4, s4, s10
	s_delay_alu instid0(SALU_CYCLE_1) | instskip(NEXT) | instid1(SALU_CYCLE_1)
	s_mul_hi_u32 s4, s76, s4
	s_mul_i32 s4, s4, s56
	s_delay_alu instid0(SALU_CYCLE_1) | instskip(NEXT) | instid1(SALU_CYCLE_1)
	s_sub_co_i32 s4, s76, s4
	s_sub_co_i32 s10, s4, s56
	s_cmp_ge_u32 s4, s56
	s_cselect_b32 s4, s10, s4
	s_delay_alu instid0(SALU_CYCLE_1) | instskip(SKIP_2) | instid1(SALU_CYCLE_1)
	s_sub_co_i32 s10, s4, s56
	s_cmp_ge_u32 s4, s56
	s_cselect_b32 s28, s10, s4
	s_mov_b64 s[10:11], s[28:29]
.LBB126_113:                            ;   in Loop: Header=BB126_18 Depth=1
	s_delay_alu instid0(SALU_CYCLE_1)
	s_sub_nc_u64 s[10:11], s[76:77], s[10:11]
	s_mov_b32 s20, exec_lo
                                        ; implicit-def: $vgpr10
	v_cmpx_gt_u64_e64 s[10:11], v[0:1]
	s_cbranch_execz .LBB126_122
; %bb.114:                              ;   in Loop: Header=BB126_18 Depth=1
	v_mov_b64_e32 v[4:5], v[0:1]
	s_mov_b32 s23, 0
                                        ; implicit-def: $sgpr21
	s_branch .LBB126_117
.LBB126_115:                            ;   in Loop: Header=BB126_117 Depth=2
	s_or_b32 exec_lo, exec_lo, s28
	s_wait_dscnt 0x0
	s_barrier_signal -1
	s_barrier_wait -1
	ds_load_u16 v2, v3 offset:3072
	s_mov_b32 s28, -1
	s_mov_b32 s4, -1
	s_wait_dscnt 0x0
	s_barrier_signal -1
	s_barrier_wait -1
	v_and_b32_e32 v6, 0xff, v2
	s_delay_alu instid0(VALU_DEP_1)
	v_cmp_ne_u32_e32 vcc_lo, 0, v6
	s_cbranch_vccz .LBB126_120
.LBB126_116:                            ;   in Loop: Header=BB126_117 Depth=2
	s_and_b32 s28, exec_lo, s28
	s_delay_alu instid0(SALU_CYCLE_1) | instskip(SKIP_2) | instid1(SALU_CYCLE_1)
	s_or_b32 s23, s28, s23
	s_and_not1_b32 s21, s21, exec_lo
	s_and_b32 s4, s4, exec_lo
	s_or_b32 s21, s21, s4
	s_and_not1_b32 exec_lo, exec_lo, s23
	s_cbranch_execz .LBB126_121
.LBB126_117:                            ;   Parent Loop BB126_18 Depth=1
                                        ; =>  This Inner Loop Header: Depth=2
	s_mov_b32 s28, exec_lo
	s_delay_alu instid0(VALU_DEP_1)
	v_cmpx_gt_u64_e64 s[36:37], v[4:5]
	s_cbranch_execz .LBB126_115
; %bb.118:                              ;   in Loop: Header=BB126_117 Depth=2
	v_mad_nc_u64_u32 v[6:7], v4, s30, s[34:35]
	s_delay_alu instid0(VALU_DEP_1) | instskip(NEXT) | instid1(VALU_DEP_1)
	v_mad_u32 v2, v5, s30, v7
	v_mad_u32 v7, v4, s31, v2
	global_load_u8 v2, v[6:7], off
	s_wait_loadcnt 0x0
	v_bitop3_b32 v6, v2, 0xff, v9 bitop3:0x80
	s_delay_alu instid0(VALU_DEP_1)
	v_cmp_eq_u32_e32 vcc_lo, v6, v8
	s_and_b32 exec_lo, exec_lo, vcc_lo
	s_cbranch_execz .LBB126_115
; %bb.119:                              ;   in Loop: Header=BB126_117 Depth=2
	v_lshlrev_b16 v2, 8, v2
	s_delay_alu instid0(VALU_DEP_1)
	v_or_b32_e32 v2, 1, v2
	ds_store_b16 v3, v2 offset:3072
	s_branch .LBB126_115
.LBB126_120:                            ;   in Loop: Header=BB126_117 Depth=2
	v_add_nc_u64_e32 v[4:5], s[56:57], v[4:5]
	s_mov_b32 s4, 0
	s_delay_alu instid0(VALU_DEP_1)
	v_cmp_le_u64_e32 vcc_lo, s[10:11], v[4:5]
	s_or_not1_b32 s28, vcc_lo, exec_lo
	s_branch .LBB126_116
.LBB126_121:                            ;   in Loop: Header=BB126_18 Depth=1
	s_or_b32 exec_lo, exec_lo, s23
	v_and_b32_e32 v2, 0xffff, v2
	s_and_not1_b32 s4, s22, exec_lo
	s_and_b32 s10, s21, exec_lo
	s_delay_alu instid0(SALU_CYCLE_1) | instskip(NEXT) | instid1(VALU_DEP_1)
	s_or_b32 s22, s4, s10
	v_lshrrev_b32_e32 v10, 8, v2
.LBB126_122:                            ;   in Loop: Header=BB126_18 Depth=1
	s_or_b32 exec_lo, exec_lo, s20
	s_mov_b32 s82, 0
	s_mov_b32 s83, -1
.LBB126_123:                            ;   in Loop: Header=BB126_18 Depth=1
	s_or_not1_b32 s10, s22, exec_lo
.LBB126_124:                            ;   in Loop: Header=BB126_18 Depth=1
	s_or_b32 exec_lo, exec_lo, s27
	s_mov_b32 s84, 0
	s_mov_b32 s63, 0
	;; [unrolled: 1-line block ×3, first 2 shown]
                                        ; implicit-def: $vgpr4_vgpr5
                                        ; implicit-def: $vgpr2
	s_and_saveexec_b32 s85, s10
	s_cbranch_execz .LBB126_282
; %bb.125:                              ;   in Loop: Header=BB126_18 Depth=1
	v_mov_b64_e32 v[4:5], 1
	v_mov_b32_e32 v2, 1
	s_xor_b32 s4, s86, -1
	s_mov_b32 s11, 0
	s_and_saveexec_b32 s10, s4
	s_cbranch_execz .LBB126_134
; %bb.126:                              ;   in Loop: Header=BB126_18 Depth=1
	s_mov_b32 s4, exec_lo
	v_cmpx_ge_u64_e64 s[12:13], v[22:23]
	s_xor_b32 s11, exec_lo, s4
	s_cbranch_execz .LBB126_131
; %bb.127:                              ;   in Loop: Header=BB126_18 Depth=1
	ds_load_b64 v[4:5], v3 offset:5120
	v_and_b32_e32 v8, s25, v8
	v_or_b32_e32 v9, s24, v9
	s_wait_dscnt 0x0
	v_cmp_ne_u64_e32 vcc_lo, 0, v[4:5]
	s_cbranch_vccnz .LBB126_131
; %bb.128:                              ;   in Loop: Header=BB126_18 Depth=1
	s_and_saveexec_b32 s4, s5
; %bb.129:                              ;   in Loop: Header=BB126_18 Depth=1
	v_mov_b64_e32 v[4:5], s[12:13]
	ds_store_b64 v3, v[4:5] offset:5128
; %bb.130:                              ;   in Loop: Header=BB126_18 Depth=1
	s_or_b32 exec_lo, exec_lo, s4
	s_wait_dscnt 0x0
	s_barrier_signal -1
	s_barrier_wait -1
.LBB126_131:                            ;   in Loop: Header=BB126_18 Depth=1
	s_or_saveexec_b32 s11, s11
	v_mov_b64_e32 v[4:5], v[22:23]
	v_mov_b32_e32 v2, 8
	s_mov_b32 s20, 0
	s_xor_b32 exec_lo, exec_lo, s11
; %bb.132:                              ;   in Loop: Header=BB126_18 Depth=1
	v_sub_nc_u64_e64 v[4:5], v[22:23], s[12:13]
	v_mov_b32_e32 v2, 0
	s_mov_b32 s20, exec_lo
; %bb.133:                              ;   in Loop: Header=BB126_18 Depth=1
	s_or_b32 exec_lo, exec_lo, s11
	s_delay_alu instid0(SALU_CYCLE_1)
	s_and_b32 s11, s20, exec_lo
.LBB126_134:                            ;   in Loop: Header=BB126_18 Depth=1
	s_or_b32 exec_lo, exec_lo, s10
	s_mov_b32 s10, -1
                                        ; implicit-def: $sgpr63
                                        ; implicit-def: $sgpr86
	s_and_saveexec_b32 s4, s11
	s_delay_alu instid0(SALU_CYCLE_1)
	s_xor_b32 s27, exec_lo, s4
	s_cbranch_execz .LBB126_279
; %bb.135:                              ;   in Loop: Header=BB126_18 Depth=1
	v_cmp_eq_u64_e32 vcc_lo, 1, v[4:5]
	s_cmp_eq_u64 s[14:15], 1
                                        ; implicit-def: $sgpr86
                                        ; implicit-def: $sgpr63
	s_cselect_b32 s4, -1, 0
	s_delay_alu instid0(SALU_CYCLE_1) | instskip(NEXT) | instid1(SALU_CYCLE_1)
	s_and_b32 s88, s4, vcc_lo
	s_and_saveexec_b32 s87, s88
	s_cbranch_execz .LBB126_169
; %bb.136:                              ;   in Loop: Header=BB126_18 Depth=1
	ds_load_b64 v[6:7], v3 offset:5120
	s_wait_dscnt 0x0
	s_barrier_signal -1
	s_barrier_wait -1
	v_readfirstlane_b32 s10, v6
	v_readfirstlane_b32 s11, v7
	s_and_saveexec_b32 s4, s6
; %bb.137:                              ;   in Loop: Header=BB126_18 Depth=1
	ds_store_b8 v0, v3 offset:3072
; %bb.138:                              ;   in Loop: Header=BB126_18 Depth=1
	s_or_b32 exec_lo, exec_lo, s4
	s_lshl_b32 s4, 1, s72
	v_or_b32_e32 v9, s24, v9
	v_and_or_b32 v8, v8, s25, s4
	s_mov_b32 s63, -1
	s_mov_b32 s86, 0
	s_cmp_eq_u64 s[10:11], 0
	s_mov_b32 s22, 0
	s_mov_b32 s23, -1
	s_wait_dscnt 0x0
	s_barrier_signal -1
	s_barrier_wait -1
                                        ; implicit-def: $vgpr10
	s_cbranch_scc1 .LBB126_154
; %bb.139:                              ;   in Loop: Header=BB126_18 Depth=1
	s_add_nc_u64 s[20:21], s[10:11], s[74:75]
	s_delay_alu instid0(SALU_CYCLE_1) | instskip(NEXT) | instid1(SALU_CYCLE_1)
	s_and_b64 s[22:23], s[20:21], 0xffffffff00000000
	s_cmp_lg_u64 s[22:23], 0
	s_cbranch_scc0 .LBB126_195
; %bb.140:                              ;   in Loop: Header=BB126_18 Depth=1
	s_cvt_f32_u32 s4, s56
	s_sub_nc_u64 s[40:41], 0, s[56:57]
	s_delay_alu instid0(SALU_CYCLE_2) | instskip(NEXT) | instid1(SALU_CYCLE_3)
	s_fmamk_f32 s4, s71, 0x0, s4
	v_s_rcp_f32 s4, s4
	s_delay_alu instid0(TRANS32_DEP_1) | instskip(NEXT) | instid1(SALU_CYCLE_3)
	s_mul_f32 s4, s4, 0x5f7ffffc
	s_mul_f32 s22, s4, 0x2f800000
	s_delay_alu instid0(SALU_CYCLE_3) | instskip(NEXT) | instid1(SALU_CYCLE_3)
	s_trunc_f32 s22, s22
	s_fmamk_f32 s4, s22, 0xcf800000, s4
	s_cvt_u32_f32 s23, s22
	s_delay_alu instid0(SALU_CYCLE_2) | instskip(NEXT) | instid1(SALU_CYCLE_3)
	s_cvt_u32_f32 s22, s4
	s_mul_u64 s[42:43], s[40:41], s[22:23]
	s_delay_alu instid0(SALU_CYCLE_1)
	s_mul_hi_u32 s67, s22, s43
	s_mul_i32 s66, s22, s43
	s_mul_hi_u32 s28, s22, s42
	s_mul_i32 s60, s23, s42
	s_add_nc_u64 s[66:67], s[28:29], s[66:67]
	s_mul_hi_u32 s4, s23, s42
	s_mul_hi_u32 s61, s23, s43
	s_add_co_u32 s28, s66, s60
	s_add_co_ci_u32 s28, s67, s4
	s_mul_i32 s42, s23, s43
	s_add_co_ci_u32 s43, s61, 0
	s_delay_alu instid0(SALU_CYCLE_1) | instskip(NEXT) | instid1(SALU_CYCLE_1)
	s_add_nc_u64 s[42:43], s[28:29], s[42:43]
	s_add_co_u32 s22, s22, s42
	s_cselect_b32 s4, -1, 0
	s_delay_alu instid0(SALU_CYCLE_1) | instskip(SKIP_1) | instid1(SALU_CYCLE_1)
	s_cmp_lg_u32 s4, 0
	s_add_co_ci_u32 s23, s23, s43
	s_mul_u64 s[40:41], s[40:41], s[22:23]
	s_delay_alu instid0(SALU_CYCLE_1)
	s_mul_hi_u32 s43, s22, s41
	s_mul_i32 s42, s22, s41
	s_mul_hi_u32 s28, s22, s40
	s_mul_i32 s60, s23, s40
	s_add_nc_u64 s[42:43], s[28:29], s[42:43]
	s_mul_hi_u32 s4, s23, s40
	s_mul_hi_u32 s61, s23, s41
	s_add_co_u32 s28, s42, s60
	s_add_co_ci_u32 s28, s43, s4
	s_mul_i32 s40, s23, s41
	s_add_co_ci_u32 s41, s61, 0
	s_delay_alu instid0(SALU_CYCLE_1) | instskip(NEXT) | instid1(SALU_CYCLE_1)
	s_add_nc_u64 s[40:41], s[28:29], s[40:41]
	s_add_co_u32 s4, s22, s40
	s_cselect_b32 s22, -1, 0
	s_mul_hi_u32 s28, s20, s4
	s_cmp_lg_u32 s22, 0
	s_mul_hi_u32 s42, s21, s4
	s_add_co_ci_u32 s40, s23, s41
	s_mul_i32 s4, s21, s4
	s_mul_hi_u32 s23, s20, s40
	s_mul_i32 s22, s20, s40
	s_mul_hi_u32 s41, s21, s40
	s_add_nc_u64 s[22:23], s[28:29], s[22:23]
	s_mul_i32 s40, s21, s40
	s_add_co_u32 s4, s22, s4
	s_add_co_ci_u32 s28, s23, s42
	s_add_co_ci_u32 s41, s41, 0
	s_delay_alu instid0(SALU_CYCLE_1) | instskip(NEXT) | instid1(SALU_CYCLE_1)
	s_add_nc_u64 s[22:23], s[28:29], s[40:41]
	s_and_b64 s[40:41], s[22:23], 0xffffffff00000000
	s_delay_alu instid0(SALU_CYCLE_1) | instskip(NEXT) | instid1(SALU_CYCLE_1)
	s_or_b32 s40, s40, s22
	s_mul_u64 s[22:23], s[56:57], s[40:41]
	s_delay_alu instid0(SALU_CYCLE_1) | instskip(SKIP_1) | instid1(SALU_CYCLE_1)
	s_sub_co_u32 s4, s20, s22
	s_cselect_b32 s22, -1, 0
	s_cmp_lg_u32 s22, 0
	s_sub_co_ci_u32 s22, s21, s23
	s_sub_co_u32 s23, s4, s56
	s_cselect_b32 s28, -1, 0
	s_delay_alu instid0(SALU_CYCLE_1) | instskip(SKIP_3) | instid1(SALU_CYCLE_1)
	s_cmp_lg_u32 s28, 0
	s_sub_co_ci_u32 s28, s22, 0
	s_sub_co_u32 s40, s23, s56
	s_cselect_b32 s41, -1, 0
	s_cmp_lg_u32 s41, 0
	s_sub_co_ci_u32 s41, s28, 0
	s_cmp_ge_u32 s23, s56
	s_cselect_b32 s42, -1, 0
	s_cmp_eq_u32 s28, 0
	s_cselect_b32 s42, s42, -1
	s_delay_alu instid0(SALU_CYCLE_1)
	s_cmp_lg_u32 s42, 0
	s_cselect_b32 s28, s41, s28
	s_cselect_b32 s40, s40, s23
	s_cmp_ge_u32 s4, s56
	s_cselect_b32 s23, -1, 0
	s_cmp_eq_u32 s22, 0
	s_cselect_b32 s23, s23, -1
	s_delay_alu instid0(SALU_CYCLE_1)
	s_cmp_lg_u32 s23, 0
	s_cselect_b32 s23, s28, s22
	s_cselect_b32 s22, s40, s4
	s_cbranch_execnz .LBB126_142
.LBB126_141:                            ;   in Loop: Header=BB126_18 Depth=1
	v_cvt_f32_u32_e32 v6, s56
	s_sub_co_i32 s22, 0, s56
	s_delay_alu instid0(VALU_DEP_1) | instskip(SKIP_1) | instid1(TRANS32_DEP_1)
	v_rcp_iflag_f32_e32 v6, v6
	v_nop
	v_mul_f32_e32 v6, 0x4f7ffffe, v6
	s_delay_alu instid0(VALU_DEP_1) | instskip(NEXT) | instid1(VALU_DEP_1)
	v_cvt_u32_f32_e32 v6, v6
	v_readfirstlane_b32 s4, v6
	s_mul_i32 s22, s22, s4
	s_delay_alu instid0(SALU_CYCLE_1) | instskip(NEXT) | instid1(SALU_CYCLE_1)
	s_mul_hi_u32 s22, s4, s22
	s_add_co_i32 s4, s4, s22
	s_delay_alu instid0(SALU_CYCLE_1) | instskip(NEXT) | instid1(SALU_CYCLE_1)
	s_mul_hi_u32 s4, s20, s4
	s_mul_i32 s4, s4, s56
	s_delay_alu instid0(SALU_CYCLE_1) | instskip(NEXT) | instid1(SALU_CYCLE_1)
	s_sub_co_i32 s4, s20, s4
	s_sub_co_i32 s22, s4, s56
	s_cmp_ge_u32 s4, s56
	s_cselect_b32 s4, s22, s4
	s_delay_alu instid0(SALU_CYCLE_1) | instskip(SKIP_2) | instid1(SALU_CYCLE_1)
	s_sub_co_i32 s22, s4, s56
	s_cmp_ge_u32 s4, s56
	s_cselect_b32 s28, s22, s4
	s_mov_b64 s[22:23], s[28:29]
.LBB126_142:                            ;   in Loop: Header=BB126_18 Depth=1
	s_delay_alu instid0(SALU_CYCLE_1)
	s_sub_nc_u64 s[20:21], s[20:21], s[22:23]
	s_mov_b32 s23, 0
	s_mov_b32 s22, 0
	s_mov_b32 s28, exec_lo
                                        ; implicit-def: $vgpr10
	v_cmpx_gt_u64_e64 s[20:21], v[0:1]
	s_cbranch_execz .LBB126_153
; %bb.143:                              ;   in Loop: Header=BB126_18 Depth=1
	v_mov_b64_e32 v[6:7], v[0:1]
	v_mov_b32_e32 v10, v0
                                        ; implicit-def: $sgpr66
	s_branch .LBB126_146
.LBB126_144:                            ;   in Loop: Header=BB126_146 Depth=2
	s_or_b32 exec_lo, exec_lo, s67
	s_wait_dscnt 0x0
	s_barrier_signal -1
	s_barrier_wait -1
	ds_load_u16 v11, v3 offset:3072
	s_mov_b32 s4, -1
	s_mov_b32 s67, -1
	s_wait_dscnt 0x0
	s_barrier_signal -1
	s_barrier_wait -1
	v_and_b32_e32 v24, 0xff, v11
	s_delay_alu instid0(VALU_DEP_1)
	v_cmp_ne_u32_e32 vcc_lo, 0, v24
	s_cbranch_vccz .LBB126_149
.LBB126_145:                            ;   in Loop: Header=BB126_146 Depth=2
	s_and_b32 s4, exec_lo, s4
	s_delay_alu instid0(SALU_CYCLE_1) | instskip(SKIP_2) | instid1(SALU_CYCLE_1)
	s_or_b32 s22, s4, s22
	s_and_not1_b32 s4, s66, exec_lo
	s_and_b32 s40, s67, exec_lo
	s_or_b32 s66, s4, s40
	s_and_not1_b32 exec_lo, exec_lo, s22
	s_cbranch_execz .LBB126_152
.LBB126_146:                            ;   Parent Loop BB126_18 Depth=1
                                        ; =>  This Inner Loop Header: Depth=2
	s_mov_b32 s67, exec_lo
	s_delay_alu instid0(VALU_DEP_2)
	v_cmpx_gt_u64_e64 s[10:11], v[6:7]
	s_cbranch_execz .LBB126_144
; %bb.147:                              ;   in Loop: Header=BB126_146 Depth=2
	ds_load_u8 v11, v10
	s_wait_dscnt 0x0
	v_bitop3_b32 v24, v11, 0xff, v9 bitop3:0x80
	s_delay_alu instid0(VALU_DEP_1)
	v_cmp_eq_u32_e32 vcc_lo, v24, v8
	s_and_b32 exec_lo, exec_lo, vcc_lo
	s_cbranch_execz .LBB126_144
; %bb.148:                              ;   in Loop: Header=BB126_146 Depth=2
	v_lshlrev_b16 v11, 8, v11
	s_delay_alu instid0(VALU_DEP_1)
	v_or_b32_e32 v11, 1, v11
	ds_store_b16 v3, v11 offset:3072
	s_branch .LBB126_144
.LBB126_149:                            ;   in Loop: Header=BB126_146 Depth=2
	v_add_nc_u64_e32 v[6:7], s[56:57], v[6:7]
	v_add_nc_u32_e32 v10, s56, v10
	s_mov_b32 s67, 0
	s_delay_alu instid0(VALU_DEP_2)
	v_cmp_le_u64_e32 vcc_lo, s[20:21], v[6:7]
	s_or_not1_b32 s4, vcc_lo, exec_lo
	s_branch .LBB126_145
.LBB126_150:                            ;   in Loop: Header=BB126_18 Depth=1
                                        ; implicit-def: $sgpr22_sgpr23
	s_branch .LBB126_95
.LBB126_151:                            ;   in Loop: Header=BB126_18 Depth=1
                                        ; implicit-def: $sgpr10_sgpr11
	s_branch .LBB126_112
.LBB126_152:                            ;   in Loop: Header=BB126_18 Depth=1
	s_or_b32 exec_lo, exec_lo, s22
	v_and_b32_e32 v6, 0xffff, v11
	s_and_b32 s22, s66, exec_lo
	s_delay_alu instid0(VALU_DEP_1)
	v_lshrrev_b32_e32 v10, 8, v6
.LBB126_153:                            ;   in Loop: Header=BB126_18 Depth=1
	s_or_b32 exec_lo, exec_lo, s28
.LBB126_154:                            ;   in Loop: Header=BB126_18 Depth=1
	s_delay_alu instid0(SALU_CYCLE_1)
	s_and_b32 vcc_lo, exec_lo, s23
	s_cbranch_vccz .LBB126_168
; %bb.155:                              ;   in Loop: Header=BB126_18 Depth=1
	s_and_b64 s[10:11], s[76:77], 0xffffffff00000000
	s_delay_alu instid0(SALU_CYCLE_1)
	s_cmp_lg_u64 s[10:11], 0
	s_cbranch_scc0 .LBB126_196
; %bb.156:                              ;   in Loop: Header=BB126_18 Depth=1
	s_cvt_f32_u32 s4, s56
	s_sub_nc_u64 s[20:21], 0, s[56:57]
	s_delay_alu instid0(SALU_CYCLE_2) | instskip(NEXT) | instid1(SALU_CYCLE_3)
	s_fmamk_f32 s4, s71, 0x0, s4
	v_s_rcp_f32 s4, s4
	s_delay_alu instid0(TRANS32_DEP_1) | instskip(NEXT) | instid1(SALU_CYCLE_3)
	s_mul_f32 s4, s4, 0x5f7ffffc
	s_mul_f32 s10, s4, 0x2f800000
	s_delay_alu instid0(SALU_CYCLE_3) | instskip(NEXT) | instid1(SALU_CYCLE_3)
	s_trunc_f32 s10, s10
	s_fmamk_f32 s4, s10, 0xcf800000, s4
	s_cvt_u32_f32 s11, s10
	s_delay_alu instid0(SALU_CYCLE_2) | instskip(NEXT) | instid1(SALU_CYCLE_3)
	s_cvt_u32_f32 s10, s4
	s_mul_u64 s[40:41], s[20:21], s[10:11]
	s_delay_alu instid0(SALU_CYCLE_1)
	s_mul_hi_u32 s43, s10, s41
	s_mul_i32 s42, s10, s41
	s_mul_hi_u32 s28, s10, s40
	s_mul_i32 s23, s11, s40
	s_add_nc_u64 s[42:43], s[28:29], s[42:43]
	s_mul_hi_u32 s4, s11, s40
	s_mul_hi_u32 s60, s11, s41
	s_add_co_u32 s23, s42, s23
	s_add_co_ci_u32 s28, s43, s4
	s_mul_i32 s40, s11, s41
	s_add_co_ci_u32 s41, s60, 0
	s_delay_alu instid0(SALU_CYCLE_1) | instskip(NEXT) | instid1(SALU_CYCLE_1)
	s_add_nc_u64 s[40:41], s[28:29], s[40:41]
	s_add_co_u32 s10, s10, s40
	s_cselect_b32 s4, -1, 0
	s_delay_alu instid0(SALU_CYCLE_1) | instskip(SKIP_1) | instid1(SALU_CYCLE_1)
	s_cmp_lg_u32 s4, 0
	s_add_co_ci_u32 s11, s11, s41
	s_mul_u64 s[20:21], s[20:21], s[10:11]
	s_delay_alu instid0(SALU_CYCLE_1)
	s_mul_hi_u32 s41, s10, s21
	s_mul_i32 s40, s10, s21
	s_mul_hi_u32 s28, s10, s20
	s_mul_i32 s23, s11, s20
	s_add_nc_u64 s[40:41], s[28:29], s[40:41]
	s_mul_hi_u32 s4, s11, s20
	s_mul_hi_u32 s42, s11, s21
	s_mul_i32 s20, s11, s21
	s_add_co_u32 s21, s40, s23
	s_add_co_ci_u32 s28, s41, s4
	s_add_co_ci_u32 s21, s42, 0
	s_delay_alu instid0(SALU_CYCLE_1) | instskip(NEXT) | instid1(SALU_CYCLE_1)
	s_add_nc_u64 s[20:21], s[28:29], s[20:21]
	s_add_co_u32 s4, s10, s20
	s_cselect_b32 s10, -1, 0
	s_mul_hi_u32 s28, s76, s4
	s_cmp_lg_u32 s10, 0
	s_mul_hi_u32 s23, s77, s4
	s_add_co_ci_u32 s20, s11, s21
	s_mul_i32 s4, s77, s4
	s_mul_hi_u32 s11, s76, s20
	s_mul_i32 s10, s76, s20
	s_mul_hi_u32 s21, s77, s20
	s_add_nc_u64 s[10:11], s[28:29], s[10:11]
	s_mul_i32 s20, s77, s20
	s_add_co_u32 s4, s10, s4
	s_add_co_ci_u32 s28, s11, s23
	s_add_co_ci_u32 s21, s21, 0
	s_delay_alu instid0(SALU_CYCLE_1) | instskip(NEXT) | instid1(SALU_CYCLE_1)
	s_add_nc_u64 s[10:11], s[28:29], s[20:21]
	s_and_b64 s[20:21], s[10:11], 0xffffffff00000000
	s_delay_alu instid0(SALU_CYCLE_1) | instskip(NEXT) | instid1(SALU_CYCLE_1)
	s_or_b32 s20, s20, s10
	s_mul_u64 s[10:11], s[56:57], s[20:21]
	s_delay_alu instid0(SALU_CYCLE_1) | instskip(SKIP_1) | instid1(SALU_CYCLE_1)
	s_sub_co_u32 s4, s76, s10
	s_cselect_b32 s10, -1, 0
	s_cmp_lg_u32 s10, 0
	s_sub_co_ci_u32 s10, s77, s11
	s_sub_co_u32 s11, s4, s56
	s_cselect_b32 s20, -1, 0
	s_delay_alu instid0(SALU_CYCLE_1) | instskip(SKIP_3) | instid1(SALU_CYCLE_1)
	s_cmp_lg_u32 s20, 0
	s_sub_co_ci_u32 s20, s10, 0
	s_sub_co_u32 s21, s11, s56
	s_cselect_b32 s23, -1, 0
	s_cmp_lg_u32 s23, 0
	s_sub_co_ci_u32 s23, s20, 0
	s_cmp_ge_u32 s11, s56
	s_cselect_b32 s28, -1, 0
	s_cmp_eq_u32 s20, 0
	s_cselect_b32 s28, s28, -1
	s_delay_alu instid0(SALU_CYCLE_1)
	s_cmp_lg_u32 s28, 0
	s_cselect_b32 s20, s23, s20
	s_cselect_b32 s21, s21, s11
	s_cmp_ge_u32 s4, s56
	s_cselect_b32 s11, -1, 0
	s_cmp_eq_u32 s10, 0
	s_cselect_b32 s11, s11, -1
	s_delay_alu instid0(SALU_CYCLE_1)
	s_cmp_lg_u32 s11, 0
	s_cselect_b32 s11, s20, s10
	s_cselect_b32 s10, s21, s4
	s_cbranch_execnz .LBB126_158
.LBB126_157:                            ;   in Loop: Header=BB126_18 Depth=1
	v_cvt_f32_u32_e32 v6, s56
	s_sub_co_i32 s10, 0, s56
	s_delay_alu instid0(VALU_DEP_1) | instskip(SKIP_1) | instid1(TRANS32_DEP_1)
	v_rcp_iflag_f32_e32 v6, v6
	v_nop
	v_mul_f32_e32 v6, 0x4f7ffffe, v6
	s_delay_alu instid0(VALU_DEP_1) | instskip(NEXT) | instid1(VALU_DEP_1)
	v_cvt_u32_f32_e32 v6, v6
	v_readfirstlane_b32 s4, v6
	s_mul_i32 s10, s10, s4
	s_delay_alu instid0(SALU_CYCLE_1) | instskip(NEXT) | instid1(SALU_CYCLE_1)
	s_mul_hi_u32 s10, s4, s10
	s_add_co_i32 s4, s4, s10
	s_delay_alu instid0(SALU_CYCLE_1) | instskip(NEXT) | instid1(SALU_CYCLE_1)
	s_mul_hi_u32 s4, s76, s4
	s_mul_i32 s4, s4, s56
	s_delay_alu instid0(SALU_CYCLE_1) | instskip(NEXT) | instid1(SALU_CYCLE_1)
	s_sub_co_i32 s4, s76, s4
	s_sub_co_i32 s10, s4, s56
	s_cmp_ge_u32 s4, s56
	s_cselect_b32 s4, s10, s4
	s_delay_alu instid0(SALU_CYCLE_1) | instskip(SKIP_2) | instid1(SALU_CYCLE_1)
	s_sub_co_i32 s10, s4, s56
	s_cmp_ge_u32 s4, s56
	s_cselect_b32 s28, s10, s4
	s_mov_b64 s[10:11], s[28:29]
.LBB126_158:                            ;   in Loop: Header=BB126_18 Depth=1
	s_delay_alu instid0(SALU_CYCLE_1)
	s_sub_nc_u64 s[10:11], s[76:77], s[10:11]
	s_mov_b32 s20, exec_lo
                                        ; implicit-def: $vgpr10
	v_cmpx_gt_u64_e64 s[10:11], v[0:1]
	s_cbranch_execz .LBB126_167
; %bb.159:                              ;   in Loop: Header=BB126_18 Depth=1
	v_mov_b64_e32 v[6:7], v[0:1]
	s_mov_b32 s21, 0
                                        ; implicit-def: $sgpr23
	s_branch .LBB126_162
.LBB126_160:                            ;   in Loop: Header=BB126_162 Depth=2
	s_or_b32 exec_lo, exec_lo, s28
	s_wait_dscnt 0x0
	s_barrier_signal -1
	s_barrier_wait -1
	ds_load_u16 v10, v3 offset:3072
	s_mov_b32 s28, -1
	s_mov_b32 s4, -1
	s_wait_dscnt 0x0
	s_barrier_signal -1
	s_barrier_wait -1
	v_and_b32_e32 v11, 0xff, v10
	s_delay_alu instid0(VALU_DEP_1)
	v_cmp_eq_u32_e32 vcc_lo, 0, v11
	s_cbranch_vccnz .LBB126_165
.LBB126_161:                            ;   in Loop: Header=BB126_162 Depth=2
	s_and_b32 s28, exec_lo, s28
	s_delay_alu instid0(SALU_CYCLE_1) | instskip(SKIP_2) | instid1(SALU_CYCLE_1)
	s_or_b32 s21, s28, s21
	s_and_not1_b32 s23, s23, exec_lo
	s_and_b32 s4, s4, exec_lo
	s_or_b32 s23, s23, s4
	s_and_not1_b32 exec_lo, exec_lo, s21
	s_cbranch_execz .LBB126_166
.LBB126_162:                            ;   Parent Loop BB126_18 Depth=1
                                        ; =>  This Inner Loop Header: Depth=2
	s_mov_b32 s28, exec_lo
	s_delay_alu instid0(VALU_DEP_1)
	v_cmpx_gt_u64_e64 s[36:37], v[6:7]
	s_cbranch_execz .LBB126_160
; %bb.163:                              ;   in Loop: Header=BB126_162 Depth=2
	v_mad_nc_u64_u32 v[10:11], v6, s30, s[34:35]
	s_delay_alu instid0(VALU_DEP_1) | instskip(NEXT) | instid1(VALU_DEP_1)
	v_mad_u32 v11, v7, s30, v11
	v_mad_u32 v11, v6, s31, v11
	global_load_u8 v10, v[10:11], off
	s_wait_loadcnt 0x0
	v_bitop3_b32 v11, v10, 0xff, v9 bitop3:0x80
	s_delay_alu instid0(VALU_DEP_1)
	v_cmp_eq_u32_e32 vcc_lo, v11, v8
	s_and_b32 exec_lo, exec_lo, vcc_lo
	s_cbranch_execz .LBB126_160
; %bb.164:                              ;   in Loop: Header=BB126_162 Depth=2
	v_lshlrev_b16 v10, 8, v10
	s_delay_alu instid0(VALU_DEP_1)
	v_or_b32_e32 v10, 1, v10
	ds_store_b16 v3, v10 offset:3072
	s_branch .LBB126_160
.LBB126_165:                            ;   in Loop: Header=BB126_162 Depth=2
	v_add_nc_u64_e32 v[6:7], s[56:57], v[6:7]
	s_mov_b32 s4, 0
	s_delay_alu instid0(VALU_DEP_1)
	v_cmp_le_u64_e32 vcc_lo, s[10:11], v[6:7]
	s_or_not1_b32 s28, vcc_lo, exec_lo
	s_branch .LBB126_161
.LBB126_166:                            ;   in Loop: Header=BB126_18 Depth=1
	s_or_b32 exec_lo, exec_lo, s21
	v_and_b32_e32 v6, 0xffff, v10
	s_and_not1_b32 s4, s22, exec_lo
	s_and_b32 s10, s23, exec_lo
	s_delay_alu instid0(SALU_CYCLE_1) | instskip(NEXT) | instid1(VALU_DEP_1)
	s_or_b32 s22, s4, s10
	v_lshrrev_b32_e32 v10, 8, v6
.LBB126_167:                            ;   in Loop: Header=BB126_18 Depth=1
	s_or_b32 exec_lo, exec_lo, s20
	s_mov_b32 s63, 0
	s_mov_b32 s86, -1
.LBB126_168:                            ;   in Loop: Header=BB126_18 Depth=1
	s_or_not1_b32 s10, s22, exec_lo
.LBB126_169:                            ;   in Loop: Header=BB126_18 Depth=1
	s_or_b32 exec_lo, exec_lo, s87
	s_mov_b32 s11, 0
	s_and_saveexec_b32 s87, s10
	s_cbranch_execz .LBB126_278
; %bb.170:                              ;   in Loop: Header=BB126_18 Depth=1
	v_mov_b64_e32 v[6:7], 1
	v_mov_b32_e32 v2, 1
	s_xor_b32 s4, s88, -1
	s_delay_alu instid0(SALU_CYCLE_1)
	s_and_saveexec_b32 s10, s4
	s_cbranch_execz .LBB126_179
; %bb.171:                              ;   in Loop: Header=BB126_18 Depth=1
	s_mov_b32 s4, exec_lo
	v_cmpx_ge_u64_e64 s[14:15], v[4:5]
	s_xor_b32 s11, exec_lo, s4
	s_cbranch_execz .LBB126_176
; %bb.172:                              ;   in Loop: Header=BB126_18 Depth=1
	ds_load_b64 v[6:7], v3 offset:5120
	s_lshl_b32 s4, 1, s72
	v_or_b32_e32 v9, s24, v9
	v_and_or_b32 v8, v8, s25, s4
	s_wait_dscnt 0x0
	v_cmp_ne_u64_e32 vcc_lo, 0, v[6:7]
	s_cbranch_vccnz .LBB126_176
; %bb.173:                              ;   in Loop: Header=BB126_18 Depth=1
	s_and_saveexec_b32 s4, s5
; %bb.174:                              ;   in Loop: Header=BB126_18 Depth=1
	v_mov_b64_e32 v[6:7], s[14:15]
	ds_store_b64 v3, v[6:7] offset:5128
; %bb.175:                              ;   in Loop: Header=BB126_18 Depth=1
	s_or_b32 exec_lo, exec_lo, s4
	s_wait_dscnt 0x0
	s_barrier_signal -1
	s_barrier_wait -1
.LBB126_176:                            ;   in Loop: Header=BB126_18 Depth=1
	s_or_saveexec_b32 s11, s11
	v_mov_b32_e32 v2, 8
	s_mov_b32 s20, 0
	s_xor_b32 exec_lo, exec_lo, s11
; %bb.177:                              ;   in Loop: Header=BB126_18 Depth=1
	v_sub_nc_u64_e64 v[4:5], v[4:5], s[14:15]
	v_mov_b32_e32 v2, 0
	s_mov_b32 s20, exec_lo
; %bb.178:                              ;   in Loop: Header=BB126_18 Depth=1
	s_or_b32 exec_lo, exec_lo, s11
	s_delay_alu instid0(VALU_DEP_2)
	v_mov_b64_e32 v[6:7], v[4:5]
	s_and_b32 s11, s20, exec_lo
.LBB126_179:                            ;   in Loop: Header=BB126_18 Depth=1
	s_or_b32 exec_lo, exec_lo, s10
	s_mov_b32 s10, -1
                                        ; implicit-def: $sgpr89
                                        ; implicit-def: $sgpr90
	s_and_saveexec_b32 s88, s11
	s_cbranch_execz .LBB126_277
; %bb.180:                              ;   in Loop: Header=BB126_18 Depth=1
	s_delay_alu instid0(VALU_DEP_1) | instskip(SKIP_2) | instid1(SALU_CYCLE_1)
	v_cmp_eq_u64_e32 vcc_lo, 1, v[6:7]
	s_cmp_eq_u64 s[16:17], 1
                                        ; implicit-def: $sgpr90
                                        ; implicit-def: $sgpr89
	s_cselect_b32 s4, -1, 0
	s_and_b32 s92, s4, vcc_lo
	s_delay_alu instid0(SALU_CYCLE_1)
	s_and_saveexec_b32 s91, s92
	s_cbranch_execz .LBB126_214
; %bb.181:                              ;   in Loop: Header=BB126_18 Depth=1
	ds_load_b64 v[4:5], v3 offset:5120
	s_wait_dscnt 0x0
	s_barrier_signal -1
	s_barrier_wait -1
	v_readfirstlane_b32 s10, v4
	v_readfirstlane_b32 s11, v5
	s_and_saveexec_b32 s4, s6
; %bb.182:                              ;   in Loop: Header=BB126_18 Depth=1
	ds_store_b8 v0, v3 offset:3072
; %bb.183:                              ;   in Loop: Header=BB126_18 Depth=1
	s_or_b32 exec_lo, exec_lo, s4
	s_lshl_b32 s4, 2, s72
	v_or_b32_e32 v9, s24, v9
	v_and_or_b32 v8, v8, s25, s4
	s_mov_b32 s89, -1
	s_mov_b32 s90, 0
	s_cmp_eq_u64 s[10:11], 0
	s_mov_b32 s22, 0
	s_mov_b32 s23, -1
	s_wait_dscnt 0x0
	s_barrier_signal -1
	s_barrier_wait -1
                                        ; implicit-def: $vgpr10
	s_cbranch_scc1 .LBB126_199
; %bb.184:                              ;   in Loop: Header=BB126_18 Depth=1
	s_add_nc_u64 s[20:21], s[10:11], s[74:75]
	s_delay_alu instid0(SALU_CYCLE_1) | instskip(NEXT) | instid1(SALU_CYCLE_1)
	s_and_b64 s[22:23], s[20:21], 0xffffffff00000000
	s_cmp_lg_u64 s[22:23], 0
	s_cbranch_scc0 .LBB126_231
; %bb.185:                              ;   in Loop: Header=BB126_18 Depth=1
	s_cvt_f32_u32 s4, s56
	s_sub_nc_u64 s[40:41], 0, s[56:57]
	s_delay_alu instid0(SALU_CYCLE_2) | instskip(NEXT) | instid1(SALU_CYCLE_3)
	s_fmamk_f32 s4, s71, 0x0, s4
	v_s_rcp_f32 s4, s4
	s_delay_alu instid0(TRANS32_DEP_1) | instskip(NEXT) | instid1(SALU_CYCLE_3)
	s_mul_f32 s4, s4, 0x5f7ffffc
	s_mul_f32 s22, s4, 0x2f800000
	s_delay_alu instid0(SALU_CYCLE_3) | instskip(NEXT) | instid1(SALU_CYCLE_3)
	s_trunc_f32 s22, s22
	s_fmamk_f32 s4, s22, 0xcf800000, s4
	s_cvt_u32_f32 s23, s22
	s_delay_alu instid0(SALU_CYCLE_2) | instskip(NEXT) | instid1(SALU_CYCLE_3)
	s_cvt_u32_f32 s22, s4
	s_mul_u64 s[42:43], s[40:41], s[22:23]
	s_delay_alu instid0(SALU_CYCLE_1)
	s_mul_hi_u32 s67, s22, s43
	s_mul_i32 s66, s22, s43
	s_mul_hi_u32 s28, s22, s42
	s_mul_i32 s60, s23, s42
	s_add_nc_u64 s[66:67], s[28:29], s[66:67]
	s_mul_hi_u32 s4, s23, s42
	s_mul_hi_u32 s61, s23, s43
	s_add_co_u32 s28, s66, s60
	s_add_co_ci_u32 s28, s67, s4
	s_mul_i32 s42, s23, s43
	s_add_co_ci_u32 s43, s61, 0
	s_delay_alu instid0(SALU_CYCLE_1) | instskip(NEXT) | instid1(SALU_CYCLE_1)
	s_add_nc_u64 s[42:43], s[28:29], s[42:43]
	s_add_co_u32 s22, s22, s42
	s_cselect_b32 s4, -1, 0
	s_delay_alu instid0(SALU_CYCLE_1) | instskip(SKIP_1) | instid1(SALU_CYCLE_1)
	s_cmp_lg_u32 s4, 0
	s_add_co_ci_u32 s23, s23, s43
	s_mul_u64 s[40:41], s[40:41], s[22:23]
	s_delay_alu instid0(SALU_CYCLE_1)
	s_mul_hi_u32 s43, s22, s41
	s_mul_i32 s42, s22, s41
	s_mul_hi_u32 s28, s22, s40
	s_mul_i32 s60, s23, s40
	s_add_nc_u64 s[42:43], s[28:29], s[42:43]
	s_mul_hi_u32 s4, s23, s40
	s_mul_hi_u32 s61, s23, s41
	s_add_co_u32 s28, s42, s60
	s_add_co_ci_u32 s28, s43, s4
	s_mul_i32 s40, s23, s41
	s_add_co_ci_u32 s41, s61, 0
	s_delay_alu instid0(SALU_CYCLE_1) | instskip(NEXT) | instid1(SALU_CYCLE_1)
	s_add_nc_u64 s[40:41], s[28:29], s[40:41]
	s_add_co_u32 s4, s22, s40
	s_cselect_b32 s22, -1, 0
	s_mul_hi_u32 s28, s20, s4
	s_cmp_lg_u32 s22, 0
	s_mul_hi_u32 s42, s21, s4
	s_add_co_ci_u32 s40, s23, s41
	s_mul_i32 s4, s21, s4
	s_mul_hi_u32 s23, s20, s40
	s_mul_i32 s22, s20, s40
	s_mul_hi_u32 s41, s21, s40
	s_add_nc_u64 s[22:23], s[28:29], s[22:23]
	s_mul_i32 s40, s21, s40
	s_add_co_u32 s4, s22, s4
	s_add_co_ci_u32 s28, s23, s42
	s_add_co_ci_u32 s41, s41, 0
	s_delay_alu instid0(SALU_CYCLE_1) | instskip(NEXT) | instid1(SALU_CYCLE_1)
	s_add_nc_u64 s[22:23], s[28:29], s[40:41]
	s_and_b64 s[40:41], s[22:23], 0xffffffff00000000
	s_delay_alu instid0(SALU_CYCLE_1) | instskip(NEXT) | instid1(SALU_CYCLE_1)
	s_or_b32 s40, s40, s22
	s_mul_u64 s[22:23], s[56:57], s[40:41]
	s_delay_alu instid0(SALU_CYCLE_1) | instskip(SKIP_1) | instid1(SALU_CYCLE_1)
	s_sub_co_u32 s4, s20, s22
	s_cselect_b32 s22, -1, 0
	s_cmp_lg_u32 s22, 0
	s_sub_co_ci_u32 s22, s21, s23
	s_sub_co_u32 s23, s4, s56
	s_cselect_b32 s28, -1, 0
	s_delay_alu instid0(SALU_CYCLE_1) | instskip(SKIP_3) | instid1(SALU_CYCLE_1)
	s_cmp_lg_u32 s28, 0
	s_sub_co_ci_u32 s28, s22, 0
	s_sub_co_u32 s40, s23, s56
	s_cselect_b32 s41, -1, 0
	s_cmp_lg_u32 s41, 0
	s_sub_co_ci_u32 s41, s28, 0
	s_cmp_ge_u32 s23, s56
	s_cselect_b32 s42, -1, 0
	s_cmp_eq_u32 s28, 0
	s_cselect_b32 s42, s42, -1
	s_delay_alu instid0(SALU_CYCLE_1)
	s_cmp_lg_u32 s42, 0
	s_cselect_b32 s28, s41, s28
	s_cselect_b32 s40, s40, s23
	s_cmp_ge_u32 s4, s56
	s_cselect_b32 s23, -1, 0
	s_cmp_eq_u32 s22, 0
	s_cselect_b32 s23, s23, -1
	s_delay_alu instid0(SALU_CYCLE_1)
	s_cmp_lg_u32 s23, 0
	s_cselect_b32 s23, s28, s22
	s_cselect_b32 s22, s40, s4
	s_cbranch_execnz .LBB126_187
.LBB126_186:                            ;   in Loop: Header=BB126_18 Depth=1
	v_cvt_f32_u32_e32 v4, s56
	s_sub_co_i32 s22, 0, s56
	s_delay_alu instid0(VALU_DEP_1) | instskip(SKIP_1) | instid1(TRANS32_DEP_1)
	v_rcp_iflag_f32_e32 v4, v4
	v_nop
	v_mul_f32_e32 v4, 0x4f7ffffe, v4
	s_delay_alu instid0(VALU_DEP_1) | instskip(NEXT) | instid1(VALU_DEP_1)
	v_cvt_u32_f32_e32 v4, v4
	v_readfirstlane_b32 s4, v4
	s_mul_i32 s22, s22, s4
	s_delay_alu instid0(SALU_CYCLE_1) | instskip(NEXT) | instid1(SALU_CYCLE_1)
	s_mul_hi_u32 s22, s4, s22
	s_add_co_i32 s4, s4, s22
	s_delay_alu instid0(SALU_CYCLE_1) | instskip(NEXT) | instid1(SALU_CYCLE_1)
	s_mul_hi_u32 s4, s20, s4
	s_mul_i32 s4, s4, s56
	s_delay_alu instid0(SALU_CYCLE_1) | instskip(NEXT) | instid1(SALU_CYCLE_1)
	s_sub_co_i32 s4, s20, s4
	s_sub_co_i32 s22, s4, s56
	s_cmp_ge_u32 s4, s56
	s_cselect_b32 s4, s22, s4
	s_delay_alu instid0(SALU_CYCLE_1) | instskip(SKIP_2) | instid1(SALU_CYCLE_1)
	s_sub_co_i32 s22, s4, s56
	s_cmp_ge_u32 s4, s56
	s_cselect_b32 s28, s22, s4
	s_mov_b64 s[22:23], s[28:29]
.LBB126_187:                            ;   in Loop: Header=BB126_18 Depth=1
	s_delay_alu instid0(SALU_CYCLE_1)
	s_sub_nc_u64 s[20:21], s[20:21], s[22:23]
	s_mov_b32 s23, 0
	s_mov_b32 s22, 0
	s_mov_b32 s28, exec_lo
                                        ; implicit-def: $vgpr10
	v_cmpx_gt_u64_e64 s[20:21], v[0:1]
	s_cbranch_execz .LBB126_198
; %bb.188:                              ;   in Loop: Header=BB126_18 Depth=1
	v_mov_b64_e32 v[4:5], v[0:1]
	v_mov_b32_e32 v10, v0
                                        ; implicit-def: $sgpr66
	s_branch .LBB126_191
.LBB126_189:                            ;   in Loop: Header=BB126_191 Depth=2
	s_or_b32 exec_lo, exec_lo, s67
	s_wait_dscnt 0x0
	s_barrier_signal -1
	s_barrier_wait -1
	ds_load_u16 v11, v3 offset:3072
	s_mov_b32 s4, -1
	s_mov_b32 s67, -1
	s_wait_dscnt 0x0
	s_barrier_signal -1
	s_barrier_wait -1
	v_and_b32_e32 v24, 0xff, v11
	s_delay_alu instid0(VALU_DEP_1)
	v_cmp_ne_u32_e32 vcc_lo, 0, v24
	s_cbranch_vccz .LBB126_194
.LBB126_190:                            ;   in Loop: Header=BB126_191 Depth=2
	s_and_b32 s4, exec_lo, s4
	s_delay_alu instid0(SALU_CYCLE_1) | instskip(SKIP_2) | instid1(SALU_CYCLE_1)
	s_or_b32 s22, s4, s22
	s_and_not1_b32 s4, s66, exec_lo
	s_and_b32 s40, s67, exec_lo
	s_or_b32 s66, s4, s40
	s_and_not1_b32 exec_lo, exec_lo, s22
	s_cbranch_execz .LBB126_197
.LBB126_191:                            ;   Parent Loop BB126_18 Depth=1
                                        ; =>  This Inner Loop Header: Depth=2
	s_mov_b32 s67, exec_lo
	s_delay_alu instid0(VALU_DEP_2)
	v_cmpx_gt_u64_e64 s[10:11], v[4:5]
	s_cbranch_execz .LBB126_189
; %bb.192:                              ;   in Loop: Header=BB126_191 Depth=2
	ds_load_u8 v11, v10
	s_wait_dscnt 0x0
	v_bitop3_b32 v24, v11, 0xff, v9 bitop3:0x80
	s_delay_alu instid0(VALU_DEP_1)
	v_cmp_eq_u32_e32 vcc_lo, v24, v8
	s_and_b32 exec_lo, exec_lo, vcc_lo
	s_cbranch_execz .LBB126_189
; %bb.193:                              ;   in Loop: Header=BB126_191 Depth=2
	v_lshlrev_b16 v11, 8, v11
	s_delay_alu instid0(VALU_DEP_1)
	v_or_b32_e32 v11, 1, v11
	ds_store_b16 v3, v11 offset:3072
	s_branch .LBB126_189
.LBB126_194:                            ;   in Loop: Header=BB126_191 Depth=2
	v_add_nc_u64_e32 v[4:5], s[56:57], v[4:5]
	v_add_nc_u32_e32 v10, s56, v10
	s_mov_b32 s67, 0
	s_delay_alu instid0(VALU_DEP_2)
	v_cmp_le_u64_e32 vcc_lo, s[20:21], v[4:5]
	s_or_not1_b32 s4, vcc_lo, exec_lo
	s_branch .LBB126_190
.LBB126_195:                            ;   in Loop: Header=BB126_18 Depth=1
                                        ; implicit-def: $sgpr22_sgpr23
	s_branch .LBB126_141
.LBB126_196:                            ;   in Loop: Header=BB126_18 Depth=1
                                        ; implicit-def: $sgpr10_sgpr11
	s_branch .LBB126_157
.LBB126_197:                            ;   in Loop: Header=BB126_18 Depth=1
	s_or_b32 exec_lo, exec_lo, s22
	v_and_b32_e32 v4, 0xffff, v11
	s_and_b32 s22, s66, exec_lo
	s_delay_alu instid0(VALU_DEP_1)
	v_lshrrev_b32_e32 v10, 8, v4
.LBB126_198:                            ;   in Loop: Header=BB126_18 Depth=1
	s_or_b32 exec_lo, exec_lo, s28
.LBB126_199:                            ;   in Loop: Header=BB126_18 Depth=1
	s_delay_alu instid0(SALU_CYCLE_1)
	s_and_b32 vcc_lo, exec_lo, s23
	s_cbranch_vccz .LBB126_213
; %bb.200:                              ;   in Loop: Header=BB126_18 Depth=1
	s_and_b64 s[10:11], s[76:77], 0xffffffff00000000
	s_delay_alu instid0(SALU_CYCLE_1)
	s_cmp_lg_u64 s[10:11], 0
	s_cbranch_scc0 .LBB126_232
; %bb.201:                              ;   in Loop: Header=BB126_18 Depth=1
	s_cvt_f32_u32 s4, s56
	s_sub_nc_u64 s[20:21], 0, s[56:57]
	s_delay_alu instid0(SALU_CYCLE_2) | instskip(NEXT) | instid1(SALU_CYCLE_3)
	s_fmamk_f32 s4, s71, 0x0, s4
	v_s_rcp_f32 s4, s4
	s_delay_alu instid0(TRANS32_DEP_1) | instskip(NEXT) | instid1(SALU_CYCLE_3)
	s_mul_f32 s4, s4, 0x5f7ffffc
	s_mul_f32 s10, s4, 0x2f800000
	s_delay_alu instid0(SALU_CYCLE_3) | instskip(NEXT) | instid1(SALU_CYCLE_3)
	s_trunc_f32 s10, s10
	s_fmamk_f32 s4, s10, 0xcf800000, s4
	s_cvt_u32_f32 s11, s10
	s_delay_alu instid0(SALU_CYCLE_2) | instskip(NEXT) | instid1(SALU_CYCLE_3)
	s_cvt_u32_f32 s10, s4
	s_mul_u64 s[40:41], s[20:21], s[10:11]
	s_delay_alu instid0(SALU_CYCLE_1)
	s_mul_hi_u32 s43, s10, s41
	s_mul_i32 s42, s10, s41
	s_mul_hi_u32 s28, s10, s40
	s_mul_i32 s23, s11, s40
	s_add_nc_u64 s[42:43], s[28:29], s[42:43]
	s_mul_hi_u32 s4, s11, s40
	s_mul_hi_u32 s60, s11, s41
	s_add_co_u32 s23, s42, s23
	s_add_co_ci_u32 s28, s43, s4
	s_mul_i32 s40, s11, s41
	s_add_co_ci_u32 s41, s60, 0
	s_delay_alu instid0(SALU_CYCLE_1) | instskip(NEXT) | instid1(SALU_CYCLE_1)
	s_add_nc_u64 s[40:41], s[28:29], s[40:41]
	s_add_co_u32 s10, s10, s40
	s_cselect_b32 s4, -1, 0
	s_delay_alu instid0(SALU_CYCLE_1) | instskip(SKIP_1) | instid1(SALU_CYCLE_1)
	s_cmp_lg_u32 s4, 0
	s_add_co_ci_u32 s11, s11, s41
	s_mul_u64 s[20:21], s[20:21], s[10:11]
	s_delay_alu instid0(SALU_CYCLE_1)
	s_mul_hi_u32 s41, s10, s21
	s_mul_i32 s40, s10, s21
	s_mul_hi_u32 s28, s10, s20
	s_mul_i32 s23, s11, s20
	s_add_nc_u64 s[40:41], s[28:29], s[40:41]
	s_mul_hi_u32 s4, s11, s20
	s_mul_hi_u32 s42, s11, s21
	s_mul_i32 s20, s11, s21
	s_add_co_u32 s21, s40, s23
	s_add_co_ci_u32 s28, s41, s4
	s_add_co_ci_u32 s21, s42, 0
	s_delay_alu instid0(SALU_CYCLE_1) | instskip(NEXT) | instid1(SALU_CYCLE_1)
	s_add_nc_u64 s[20:21], s[28:29], s[20:21]
	s_add_co_u32 s4, s10, s20
	s_cselect_b32 s10, -1, 0
	s_mul_hi_u32 s28, s76, s4
	s_cmp_lg_u32 s10, 0
	s_mul_hi_u32 s23, s77, s4
	s_add_co_ci_u32 s20, s11, s21
	s_mul_i32 s4, s77, s4
	s_mul_hi_u32 s11, s76, s20
	s_mul_i32 s10, s76, s20
	s_mul_hi_u32 s21, s77, s20
	s_add_nc_u64 s[10:11], s[28:29], s[10:11]
	s_mul_i32 s20, s77, s20
	s_add_co_u32 s4, s10, s4
	s_add_co_ci_u32 s28, s11, s23
	s_add_co_ci_u32 s21, s21, 0
	s_delay_alu instid0(SALU_CYCLE_1) | instskip(NEXT) | instid1(SALU_CYCLE_1)
	s_add_nc_u64 s[10:11], s[28:29], s[20:21]
	s_and_b64 s[20:21], s[10:11], 0xffffffff00000000
	s_delay_alu instid0(SALU_CYCLE_1) | instskip(NEXT) | instid1(SALU_CYCLE_1)
	s_or_b32 s20, s20, s10
	s_mul_u64 s[10:11], s[56:57], s[20:21]
	s_delay_alu instid0(SALU_CYCLE_1) | instskip(SKIP_1) | instid1(SALU_CYCLE_1)
	s_sub_co_u32 s4, s76, s10
	s_cselect_b32 s10, -1, 0
	s_cmp_lg_u32 s10, 0
	s_sub_co_ci_u32 s10, s77, s11
	s_sub_co_u32 s11, s4, s56
	s_cselect_b32 s20, -1, 0
	s_delay_alu instid0(SALU_CYCLE_1) | instskip(SKIP_3) | instid1(SALU_CYCLE_1)
	s_cmp_lg_u32 s20, 0
	s_sub_co_ci_u32 s20, s10, 0
	s_sub_co_u32 s21, s11, s56
	s_cselect_b32 s23, -1, 0
	s_cmp_lg_u32 s23, 0
	s_sub_co_ci_u32 s23, s20, 0
	s_cmp_ge_u32 s11, s56
	s_cselect_b32 s28, -1, 0
	s_cmp_eq_u32 s20, 0
	s_cselect_b32 s28, s28, -1
	s_delay_alu instid0(SALU_CYCLE_1)
	s_cmp_lg_u32 s28, 0
	s_cselect_b32 s20, s23, s20
	s_cselect_b32 s21, s21, s11
	s_cmp_ge_u32 s4, s56
	s_cselect_b32 s11, -1, 0
	s_cmp_eq_u32 s10, 0
	s_cselect_b32 s11, s11, -1
	s_delay_alu instid0(SALU_CYCLE_1)
	s_cmp_lg_u32 s11, 0
	s_cselect_b32 s11, s20, s10
	s_cselect_b32 s10, s21, s4
	s_cbranch_execnz .LBB126_203
.LBB126_202:                            ;   in Loop: Header=BB126_18 Depth=1
	v_cvt_f32_u32_e32 v4, s56
	s_sub_co_i32 s10, 0, s56
	s_delay_alu instid0(VALU_DEP_1) | instskip(SKIP_1) | instid1(TRANS32_DEP_1)
	v_rcp_iflag_f32_e32 v4, v4
	v_nop
	v_mul_f32_e32 v4, 0x4f7ffffe, v4
	s_delay_alu instid0(VALU_DEP_1) | instskip(NEXT) | instid1(VALU_DEP_1)
	v_cvt_u32_f32_e32 v4, v4
	v_readfirstlane_b32 s4, v4
	s_mul_i32 s10, s10, s4
	s_delay_alu instid0(SALU_CYCLE_1) | instskip(NEXT) | instid1(SALU_CYCLE_1)
	s_mul_hi_u32 s10, s4, s10
	s_add_co_i32 s4, s4, s10
	s_delay_alu instid0(SALU_CYCLE_1) | instskip(NEXT) | instid1(SALU_CYCLE_1)
	s_mul_hi_u32 s4, s76, s4
	s_mul_i32 s4, s4, s56
	s_delay_alu instid0(SALU_CYCLE_1) | instskip(NEXT) | instid1(SALU_CYCLE_1)
	s_sub_co_i32 s4, s76, s4
	s_sub_co_i32 s10, s4, s56
	s_cmp_ge_u32 s4, s56
	s_cselect_b32 s4, s10, s4
	s_delay_alu instid0(SALU_CYCLE_1) | instskip(SKIP_2) | instid1(SALU_CYCLE_1)
	s_sub_co_i32 s10, s4, s56
	s_cmp_ge_u32 s4, s56
	s_cselect_b32 s28, s10, s4
	s_mov_b64 s[10:11], s[28:29]
.LBB126_203:                            ;   in Loop: Header=BB126_18 Depth=1
	s_delay_alu instid0(SALU_CYCLE_1)
	s_sub_nc_u64 s[10:11], s[76:77], s[10:11]
	s_mov_b32 s20, exec_lo
                                        ; implicit-def: $vgpr10
	v_cmpx_gt_u64_e64 s[10:11], v[0:1]
	s_cbranch_execz .LBB126_212
; %bb.204:                              ;   in Loop: Header=BB126_18 Depth=1
	v_mov_b64_e32 v[4:5], v[0:1]
	s_mov_b32 s21, 0
                                        ; implicit-def: $sgpr23
	s_branch .LBB126_207
.LBB126_205:                            ;   in Loop: Header=BB126_207 Depth=2
	s_or_b32 exec_lo, exec_lo, s28
	s_wait_dscnt 0x0
	s_barrier_signal -1
	s_barrier_wait -1
	ds_load_u16 v10, v3 offset:3072
	s_mov_b32 s28, -1
	s_mov_b32 s4, -1
	s_wait_dscnt 0x0
	s_barrier_signal -1
	s_barrier_wait -1
	v_and_b32_e32 v11, 0xff, v10
	s_delay_alu instid0(VALU_DEP_1)
	v_cmp_eq_u32_e32 vcc_lo, 0, v11
	s_cbranch_vccnz .LBB126_210
.LBB126_206:                            ;   in Loop: Header=BB126_207 Depth=2
	s_and_b32 s28, exec_lo, s28
	s_delay_alu instid0(SALU_CYCLE_1) | instskip(SKIP_2) | instid1(SALU_CYCLE_1)
	s_or_b32 s21, s28, s21
	s_and_not1_b32 s23, s23, exec_lo
	s_and_b32 s4, s4, exec_lo
	s_or_b32 s23, s23, s4
	s_and_not1_b32 exec_lo, exec_lo, s21
	s_cbranch_execz .LBB126_211
.LBB126_207:                            ;   Parent Loop BB126_18 Depth=1
                                        ; =>  This Inner Loop Header: Depth=2
	s_mov_b32 s28, exec_lo
	s_delay_alu instid0(VALU_DEP_1)
	v_cmpx_gt_u64_e64 s[36:37], v[4:5]
	s_cbranch_execz .LBB126_205
; %bb.208:                              ;   in Loop: Header=BB126_207 Depth=2
	v_mad_nc_u64_u32 v[10:11], v4, s30, s[34:35]
	s_delay_alu instid0(VALU_DEP_1) | instskip(NEXT) | instid1(VALU_DEP_1)
	v_mad_u32 v11, v5, s30, v11
	v_mad_u32 v11, v4, s31, v11
	global_load_u8 v10, v[10:11], off
	s_wait_loadcnt 0x0
	v_bitop3_b32 v11, v10, 0xff, v9 bitop3:0x80
	s_delay_alu instid0(VALU_DEP_1)
	v_cmp_eq_u32_e32 vcc_lo, v11, v8
	s_and_b32 exec_lo, exec_lo, vcc_lo
	s_cbranch_execz .LBB126_205
; %bb.209:                              ;   in Loop: Header=BB126_207 Depth=2
	v_lshlrev_b16 v10, 8, v10
	s_delay_alu instid0(VALU_DEP_1)
	v_or_b32_e32 v10, 1, v10
	ds_store_b16 v3, v10 offset:3072
	s_branch .LBB126_205
.LBB126_210:                            ;   in Loop: Header=BB126_207 Depth=2
	v_add_nc_u64_e32 v[4:5], s[56:57], v[4:5]
	s_mov_b32 s4, 0
	s_delay_alu instid0(VALU_DEP_1)
	v_cmp_le_u64_e32 vcc_lo, s[10:11], v[4:5]
	s_or_not1_b32 s28, vcc_lo, exec_lo
	s_branch .LBB126_206
.LBB126_211:                            ;   in Loop: Header=BB126_18 Depth=1
	s_or_b32 exec_lo, exec_lo, s21
	v_and_b32_e32 v4, 0xffff, v10
	s_and_not1_b32 s4, s22, exec_lo
	s_and_b32 s10, s23, exec_lo
	s_delay_alu instid0(SALU_CYCLE_1) | instskip(NEXT) | instid1(VALU_DEP_1)
	s_or_b32 s22, s4, s10
	v_lshrrev_b32_e32 v10, 8, v4
.LBB126_212:                            ;   in Loop: Header=BB126_18 Depth=1
	s_or_b32 exec_lo, exec_lo, s20
	s_mov_b32 s89, 0
	s_mov_b32 s90, -1
.LBB126_213:                            ;   in Loop: Header=BB126_18 Depth=1
	s_or_not1_b32 s10, s22, exec_lo
.LBB126_214:                            ;   in Loop: Header=BB126_18 Depth=1
	s_or_b32 exec_lo, exec_lo, s91
	s_mov_b32 s11, 0
	s_and_saveexec_b32 s91, s10
	s_cbranch_execz .LBB126_276
; %bb.215:                              ;   in Loop: Header=BB126_18 Depth=1
	v_mov_b64_e32 v[4:5], 1
	v_mov_b32_e32 v2, 1
	s_xor_b32 s4, s92, -1
	s_delay_alu instid0(SALU_CYCLE_1)
	s_and_saveexec_b32 s10, s4
	s_cbranch_execz .LBB126_224
; %bb.216:                              ;   in Loop: Header=BB126_18 Depth=1
	s_mov_b32 s4, exec_lo
	v_cmpx_ge_u64_e64 s[16:17], v[6:7]
	s_xor_b32 s11, exec_lo, s4
	s_cbranch_execz .LBB126_221
; %bb.217:                              ;   in Loop: Header=BB126_18 Depth=1
	ds_load_b64 v[4:5], v3 offset:5120
	s_lshl_b32 s4, 2, s72
	v_or_b32_e32 v9, s24, v9
	v_and_or_b32 v8, v8, s25, s4
	s_wait_dscnt 0x0
	v_cmp_ne_u64_e32 vcc_lo, 0, v[4:5]
	s_cbranch_vccnz .LBB126_221
; %bb.218:                              ;   in Loop: Header=BB126_18 Depth=1
	s_and_saveexec_b32 s4, s5
; %bb.219:                              ;   in Loop: Header=BB126_18 Depth=1
	v_mov_b64_e32 v[4:5], s[16:17]
	ds_store_b64 v3, v[4:5] offset:5128
; %bb.220:                              ;   in Loop: Header=BB126_18 Depth=1
	s_or_b32 exec_lo, exec_lo, s4
	s_wait_dscnt 0x0
	s_barrier_signal -1
	s_barrier_wait -1
.LBB126_221:                            ;   in Loop: Header=BB126_18 Depth=1
	s_or_saveexec_b32 s11, s11
	v_mov_b32_e32 v2, 8
	s_mov_b32 s20, 0
	s_xor_b32 exec_lo, exec_lo, s11
; %bb.222:                              ;   in Loop: Header=BB126_18 Depth=1
	v_sub_nc_u64_e64 v[6:7], v[6:7], s[16:17]
	v_mov_b32_e32 v2, 0
	s_mov_b32 s20, exec_lo
; %bb.223:                              ;   in Loop: Header=BB126_18 Depth=1
	s_or_b32 exec_lo, exec_lo, s11
	s_delay_alu instid0(VALU_DEP_2)
	v_mov_b64_e32 v[4:5], v[6:7]
	s_and_b32 s11, s20, exec_lo
.LBB126_224:                            ;   in Loop: Header=BB126_18 Depth=1
	s_or_b32 exec_lo, exec_lo, s10
	s_mov_b32 s10, -1
                                        ; implicit-def: $sgpr66
                                        ; implicit-def: $sgpr95
	s_and_saveexec_b32 s92, s11
	s_cbranch_execz .LBB126_275
; %bb.225:                              ;   in Loop: Header=BB126_18 Depth=1
	s_delay_alu instid0(VALU_DEP_1) | instskip(SKIP_3) | instid1(SALU_CYCLE_1)
	v_cmp_eq_u64_e32 vcc_lo, 1, v[4:5]
	s_cmp_eq_u64 s[18:19], 1
	s_mov_b32 s11, -1
	s_cselect_b32 s4, -1, 0
                                        ; implicit-def: $sgpr66
                                        ; implicit-def: $sgpr95
	s_and_b32 s93, s4, vcc_lo
	s_delay_alu instid0(SALU_CYCLE_1)
	s_and_saveexec_b32 s94, s93
	s_cbranch_execz .LBB126_263
; %bb.226:                              ;   in Loop: Header=BB126_18 Depth=1
	ds_load_b64 v[6:7], v3 offset:5120
	s_wait_dscnt 0x0
	s_barrier_signal -1
	s_barrier_wait -1
	v_readfirstlane_b32 s10, v6
	v_readfirstlane_b32 s11, v7
	s_and_saveexec_b32 s4, s6
; %bb.227:                              ;   in Loop: Header=BB126_18 Depth=1
	ds_store_b8 v0, v3 offset:3072
; %bb.228:                              ;   in Loop: Header=BB126_18 Depth=1
	s_or_b32 exec_lo, exec_lo, s4
	v_or_b32_e32 v8, s24, v8
	v_or_b32_e32 v9, s24, v9
	s_mov_b32 s95, -1
	s_mov_b32 s66, 0
	s_cmp_eq_u64 s[10:11], 0
	s_mov_b32 s22, 0
	s_mov_b32 s23, -1
	s_wait_dscnt 0x0
	s_barrier_signal -1
	s_barrier_wait -1
                                        ; implicit-def: $vgpr10
	s_cbranch_scc1 .LBB126_246
; %bb.229:                              ;   in Loop: Header=BB126_18 Depth=1
	s_add_nc_u64 s[20:21], s[10:11], s[74:75]
	s_delay_alu instid0(SALU_CYCLE_1) | instskip(NEXT) | instid1(SALU_CYCLE_1)
	s_and_b64 s[22:23], s[20:21], 0xffffffff00000000
	s_cmp_lg_u64 s[22:23], 0
	s_cbranch_scc0 .LBB126_233
; %bb.230:                              ;   in Loop: Header=BB126_18 Depth=1
	s_cvt_f32_u32 s4, s56
	s_sub_nc_u64 s[40:41], 0, s[56:57]
	s_delay_alu instid0(SALU_CYCLE_2) | instskip(NEXT) | instid1(SALU_CYCLE_3)
	s_fmamk_f32 s4, s71, 0x0, s4
	v_s_rcp_f32 s4, s4
	s_delay_alu instid0(TRANS32_DEP_1) | instskip(NEXT) | instid1(SALU_CYCLE_3)
	s_mul_f32 s4, s4, 0x5f7ffffc
	s_mul_f32 s22, s4, 0x2f800000
	s_delay_alu instid0(SALU_CYCLE_3) | instskip(NEXT) | instid1(SALU_CYCLE_3)
	s_trunc_f32 s22, s22
	s_fmamk_f32 s4, s22, 0xcf800000, s4
	s_cvt_u32_f32 s23, s22
	s_delay_alu instid0(SALU_CYCLE_2) | instskip(NEXT) | instid1(SALU_CYCLE_3)
	s_cvt_u32_f32 s22, s4
	s_mul_u64 s[42:43], s[40:41], s[22:23]
	s_delay_alu instid0(SALU_CYCLE_1)
	s_mul_hi_u32 s61, s22, s43
	s_mul_i32 s60, s22, s43
	s_mul_hi_u32 s28, s22, s42
	s_mul_i32 s67, s23, s42
	s_add_nc_u64 s[60:61], s[28:29], s[60:61]
	s_mul_hi_u32 s4, s23, s42
	s_mul_hi_u32 vcc_lo, s23, s43
	s_add_co_u32 s28, s60, s67
	s_add_co_ci_u32 s28, s61, s4
	s_mul_i32 s42, s23, s43
	s_add_co_ci_u32 s43, vcc_lo, 0
	s_delay_alu instid0(SALU_CYCLE_1) | instskip(NEXT) | instid1(SALU_CYCLE_1)
	s_add_nc_u64 s[42:43], s[28:29], s[42:43]
	s_add_co_u32 s22, s22, s42
	s_cselect_b32 s4, -1, 0
	s_delay_alu instid0(SALU_CYCLE_1) | instskip(SKIP_1) | instid1(SALU_CYCLE_1)
	s_cmp_lg_u32 s4, 0
	s_add_co_ci_u32 s23, s23, s43
	s_mul_u64 s[40:41], s[40:41], s[22:23]
	s_delay_alu instid0(SALU_CYCLE_1)
	s_mul_hi_u32 s43, s22, s41
	s_mul_i32 s42, s22, s41
	s_mul_hi_u32 s28, s22, s40
	s_mul_i32 s60, s23, s40
	s_add_nc_u64 s[42:43], s[28:29], s[42:43]
	s_mul_hi_u32 s4, s23, s40
	s_mul_hi_u32 s61, s23, s41
	s_add_co_u32 s28, s42, s60
	s_add_co_ci_u32 s28, s43, s4
	s_mul_i32 s40, s23, s41
	s_add_co_ci_u32 s41, s61, 0
	s_delay_alu instid0(SALU_CYCLE_1) | instskip(NEXT) | instid1(SALU_CYCLE_1)
	s_add_nc_u64 s[40:41], s[28:29], s[40:41]
	s_add_co_u32 s4, s22, s40
	s_cselect_b32 s22, -1, 0
	s_mul_hi_u32 s28, s20, s4
	s_cmp_lg_u32 s22, 0
	s_mul_hi_u32 s42, s21, s4
	s_add_co_ci_u32 s40, s23, s41
	s_mul_i32 s4, s21, s4
	s_mul_hi_u32 s23, s20, s40
	s_mul_i32 s22, s20, s40
	s_mul_hi_u32 s41, s21, s40
	s_add_nc_u64 s[22:23], s[28:29], s[22:23]
	s_mul_i32 s40, s21, s40
	s_add_co_u32 s4, s22, s4
	s_add_co_ci_u32 s28, s23, s42
	s_add_co_ci_u32 s41, s41, 0
	s_delay_alu instid0(SALU_CYCLE_1) | instskip(NEXT) | instid1(SALU_CYCLE_1)
	s_add_nc_u64 s[22:23], s[28:29], s[40:41]
	s_and_b64 s[40:41], s[22:23], 0xffffffff00000000
	s_delay_alu instid0(SALU_CYCLE_1) | instskip(NEXT) | instid1(SALU_CYCLE_1)
	s_or_b32 s40, s40, s22
	s_mul_u64 s[22:23], s[56:57], s[40:41]
	s_delay_alu instid0(SALU_CYCLE_1) | instskip(SKIP_1) | instid1(SALU_CYCLE_1)
	s_sub_co_u32 s4, s20, s22
	s_cselect_b32 s22, -1, 0
	s_cmp_lg_u32 s22, 0
	s_sub_co_ci_u32 s22, s21, s23
	s_sub_co_u32 s23, s4, s56
	s_cselect_b32 s28, -1, 0
	s_delay_alu instid0(SALU_CYCLE_1) | instskip(SKIP_3) | instid1(SALU_CYCLE_1)
	s_cmp_lg_u32 s28, 0
	s_sub_co_ci_u32 s28, s22, 0
	s_sub_co_u32 s40, s23, s56
	s_cselect_b32 s41, -1, 0
	s_cmp_lg_u32 s41, 0
	s_sub_co_ci_u32 s41, s28, 0
	s_cmp_ge_u32 s23, s56
	s_cselect_b32 s42, -1, 0
	s_cmp_eq_u32 s28, 0
	s_cselect_b32 s42, s42, -1
	s_delay_alu instid0(SALU_CYCLE_1)
	s_cmp_lg_u32 s42, 0
	s_cselect_b32 s28, s41, s28
	s_cselect_b32 s40, s40, s23
	s_cmp_ge_u32 s4, s56
	s_cselect_b32 s23, -1, 0
	s_cmp_eq_u32 s22, 0
	s_cselect_b32 s23, s23, -1
	s_delay_alu instid0(SALU_CYCLE_1)
	s_cmp_lg_u32 s23, 0
	s_cselect_b32 s23, s28, s22
	s_cselect_b32 s22, s40, s4
	s_mov_b32 s4, 0
	s_branch .LBB126_234
.LBB126_231:                            ;   in Loop: Header=BB126_18 Depth=1
                                        ; implicit-def: $sgpr22_sgpr23
	s_branch .LBB126_186
.LBB126_232:                            ;   in Loop: Header=BB126_18 Depth=1
                                        ; implicit-def: $sgpr10_sgpr11
	s_branch .LBB126_202
.LBB126_233:                            ;   in Loop: Header=BB126_18 Depth=1
	s_mov_b32 s4, -1
                                        ; implicit-def: $sgpr22_sgpr23
.LBB126_234:                            ;   in Loop: Header=BB126_18 Depth=1
	s_delay_alu instid0(SALU_CYCLE_1)
	s_and_not1_b32 vcc_lo, exec_lo, s4
	s_cbranch_vccnz .LBB126_236
; %bb.235:                              ;   in Loop: Header=BB126_18 Depth=1
	v_cvt_f32_u32_e32 v6, s56
	s_sub_co_i32 s22, 0, s56
	s_delay_alu instid0(VALU_DEP_1) | instskip(SKIP_1) | instid1(TRANS32_DEP_1)
	v_rcp_iflag_f32_e32 v6, v6
	v_nop
	v_mul_f32_e32 v6, 0x4f7ffffe, v6
	s_delay_alu instid0(VALU_DEP_1) | instskip(NEXT) | instid1(VALU_DEP_1)
	v_cvt_u32_f32_e32 v6, v6
	v_readfirstlane_b32 s4, v6
	s_mul_i32 s22, s22, s4
	s_delay_alu instid0(SALU_CYCLE_1) | instskip(NEXT) | instid1(SALU_CYCLE_1)
	s_mul_hi_u32 s22, s4, s22
	s_add_co_i32 s4, s4, s22
	s_delay_alu instid0(SALU_CYCLE_1) | instskip(NEXT) | instid1(SALU_CYCLE_1)
	s_mul_hi_u32 s4, s20, s4
	s_mul_i32 s4, s4, s56
	s_delay_alu instid0(SALU_CYCLE_1) | instskip(NEXT) | instid1(SALU_CYCLE_1)
	s_sub_co_i32 s4, s20, s4
	s_sub_co_i32 s22, s4, s56
	s_cmp_ge_u32 s4, s56
	s_cselect_b32 s4, s22, s4
	s_delay_alu instid0(SALU_CYCLE_1) | instskip(SKIP_2) | instid1(SALU_CYCLE_1)
	s_sub_co_i32 s22, s4, s56
	s_cmp_ge_u32 s4, s56
	s_cselect_b32 s28, s22, s4
	s_mov_b64 s[22:23], s[28:29]
.LBB126_236:                            ;   in Loop: Header=BB126_18 Depth=1
	s_delay_alu instid0(SALU_CYCLE_1)
	s_sub_nc_u64 s[20:21], s[20:21], s[22:23]
	s_mov_b32 s23, 0
	s_mov_b32 s22, 0
	s_mov_b32 s28, exec_lo
                                        ; implicit-def: $vgpr10
	v_cmpx_gt_u64_e64 s[20:21], v[0:1]
	s_cbranch_execz .LBB126_245
; %bb.237:                              ;   in Loop: Header=BB126_18 Depth=1
	v_mov_b64_e32 v[6:7], v[0:1]
	v_mov_b32_e32 v10, v0
                                        ; implicit-def: $sgpr67
	s_branch .LBB126_240
.LBB126_238:                            ;   in Loop: Header=BB126_240 Depth=2
	s_or_b32 exec_lo, exec_lo, s4
	s_wait_dscnt 0x0
	s_barrier_signal -1
	s_barrier_wait -1
	ds_load_u16 v11, v3 offset:3072
	s_mov_b32 s4, -1
	s_mov_b32 s40, -1
	s_wait_dscnt 0x0
	s_barrier_signal -1
	s_barrier_wait -1
	v_and_b32_e32 v24, 0xff, v11
	s_delay_alu instid0(VALU_DEP_1)
	v_cmp_ne_u32_e32 vcc_lo, 0, v24
	s_cbranch_vccz .LBB126_243
.LBB126_239:                            ;   in Loop: Header=BB126_240 Depth=2
	s_and_b32 s4, exec_lo, s4
	s_delay_alu instid0(SALU_CYCLE_1) | instskip(SKIP_2) | instid1(SALU_CYCLE_1)
	s_or_b32 s22, s4, s22
	s_and_not1_b32 s4, s67, exec_lo
	s_and_b32 s40, s40, exec_lo
	s_or_b32 s67, s4, s40
	s_and_not1_b32 exec_lo, exec_lo, s22
	s_cbranch_execz .LBB126_244
.LBB126_240:                            ;   Parent Loop BB126_18 Depth=1
                                        ; =>  This Inner Loop Header: Depth=2
	s_mov_b32 s4, exec_lo
	s_delay_alu instid0(VALU_DEP_2)
	v_cmpx_gt_u64_e64 s[10:11], v[6:7]
	s_cbranch_execz .LBB126_238
; %bb.241:                              ;   in Loop: Header=BB126_240 Depth=2
	ds_load_u8 v11, v10
	s_wait_dscnt 0x0
	v_bitop3_b32 v24, v11, 0xff, v9 bitop3:0x80
	s_delay_alu instid0(VALU_DEP_1)
	v_cmp_eq_u32_e32 vcc_lo, v24, v8
	s_and_b32 exec_lo, exec_lo, vcc_lo
	s_cbranch_execz .LBB126_238
; %bb.242:                              ;   in Loop: Header=BB126_240 Depth=2
	v_lshlrev_b16 v11, 8, v11
	s_delay_alu instid0(VALU_DEP_1)
	v_or_b32_e32 v11, 1, v11
	ds_store_b16 v3, v11 offset:3072
	s_branch .LBB126_238
.LBB126_243:                            ;   in Loop: Header=BB126_240 Depth=2
	v_add_nc_u64_e32 v[6:7], s[56:57], v[6:7]
	v_add_nc_u32_e32 v10, s56, v10
	s_mov_b32 s40, 0
	s_delay_alu instid0(VALU_DEP_2)
	v_cmp_le_u64_e32 vcc_lo, s[20:21], v[6:7]
	s_or_not1_b32 s4, vcc_lo, exec_lo
	s_branch .LBB126_239
.LBB126_244:                            ;   in Loop: Header=BB126_18 Depth=1
	s_or_b32 exec_lo, exec_lo, s22
	v_and_b32_e32 v6, 0xffff, v11
	s_and_b32 s22, s67, exec_lo
	s_delay_alu instid0(VALU_DEP_1)
	v_lshrrev_b32_e32 v10, 8, v6
.LBB126_245:                            ;   in Loop: Header=BB126_18 Depth=1
	s_or_b32 exec_lo, exec_lo, s28
.LBB126_246:                            ;   in Loop: Header=BB126_18 Depth=1
	s_delay_alu instid0(SALU_CYCLE_1)
	s_and_b32 vcc_lo, exec_lo, s23
	s_cbranch_vccz .LBB126_262
; %bb.247:                              ;   in Loop: Header=BB126_18 Depth=1
	s_and_b64 s[10:11], s[76:77], 0xffffffff00000000
	s_delay_alu instid0(SALU_CYCLE_1)
	s_cmp_lg_u64 s[10:11], 0
	s_cbranch_scc0 .LBB126_249
; %bb.248:                              ;   in Loop: Header=BB126_18 Depth=1
	s_cvt_f32_u32 s4, s56
	s_sub_nc_u64 s[20:21], 0, s[56:57]
	s_delay_alu instid0(SALU_CYCLE_2) | instskip(NEXT) | instid1(SALU_CYCLE_3)
	s_fmamk_f32 s4, s71, 0x0, s4
	v_s_rcp_f32 s4, s4
	s_delay_alu instid0(TRANS32_DEP_1) | instskip(NEXT) | instid1(SALU_CYCLE_3)
	s_mul_f32 s4, s4, 0x5f7ffffc
	s_mul_f32 s10, s4, 0x2f800000
	s_delay_alu instid0(SALU_CYCLE_3) | instskip(NEXT) | instid1(SALU_CYCLE_3)
	s_trunc_f32 s10, s10
	s_fmamk_f32 s4, s10, 0xcf800000, s4
	s_cvt_u32_f32 s11, s10
	s_delay_alu instid0(SALU_CYCLE_2) | instskip(NEXT) | instid1(SALU_CYCLE_3)
	s_cvt_u32_f32 s10, s4
	s_mul_u64 s[40:41], s[20:21], s[10:11]
	s_delay_alu instid0(SALU_CYCLE_1)
	s_mul_hi_u32 s43, s10, s41
	s_mul_i32 s42, s10, s41
	s_mul_hi_u32 s28, s10, s40
	s_mul_i32 s23, s11, s40
	s_add_nc_u64 s[42:43], s[28:29], s[42:43]
	s_mul_hi_u32 s4, s11, s40
	s_mul_hi_u32 s60, s11, s41
	s_add_co_u32 s23, s42, s23
	s_add_co_ci_u32 s28, s43, s4
	s_mul_i32 s40, s11, s41
	s_add_co_ci_u32 s41, s60, 0
	s_delay_alu instid0(SALU_CYCLE_1) | instskip(NEXT) | instid1(SALU_CYCLE_1)
	s_add_nc_u64 s[40:41], s[28:29], s[40:41]
	s_add_co_u32 s10, s10, s40
	s_cselect_b32 s4, -1, 0
	s_delay_alu instid0(SALU_CYCLE_1) | instskip(SKIP_1) | instid1(SALU_CYCLE_1)
	s_cmp_lg_u32 s4, 0
	s_add_co_ci_u32 s11, s11, s41
	s_mul_u64 s[20:21], s[20:21], s[10:11]
	s_delay_alu instid0(SALU_CYCLE_1)
	s_mul_hi_u32 s41, s10, s21
	s_mul_i32 s40, s10, s21
	s_mul_hi_u32 s28, s10, s20
	s_mul_i32 s23, s11, s20
	s_add_nc_u64 s[40:41], s[28:29], s[40:41]
	s_mul_hi_u32 s4, s11, s20
	s_mul_hi_u32 s42, s11, s21
	s_mul_i32 s20, s11, s21
	s_add_co_u32 s21, s40, s23
	s_add_co_ci_u32 s28, s41, s4
	s_add_co_ci_u32 s21, s42, 0
	s_delay_alu instid0(SALU_CYCLE_1) | instskip(NEXT) | instid1(SALU_CYCLE_1)
	s_add_nc_u64 s[20:21], s[28:29], s[20:21]
	s_add_co_u32 s4, s10, s20
	s_cselect_b32 s10, -1, 0
	s_mul_hi_u32 s28, s76, s4
	s_cmp_lg_u32 s10, 0
	s_mul_hi_u32 s23, s77, s4
	s_add_co_ci_u32 s20, s11, s21
	s_mul_i32 s4, s77, s4
	s_mul_hi_u32 s11, s76, s20
	s_mul_i32 s10, s76, s20
	s_mul_hi_u32 s21, s77, s20
	s_add_nc_u64 s[10:11], s[28:29], s[10:11]
	s_mul_i32 s20, s77, s20
	s_add_co_u32 s4, s10, s4
	s_add_co_ci_u32 s28, s11, s23
	s_add_co_ci_u32 s21, s21, 0
	s_delay_alu instid0(SALU_CYCLE_1) | instskip(NEXT) | instid1(SALU_CYCLE_1)
	s_add_nc_u64 s[10:11], s[28:29], s[20:21]
	s_and_b64 s[20:21], s[10:11], 0xffffffff00000000
	s_delay_alu instid0(SALU_CYCLE_1) | instskip(NEXT) | instid1(SALU_CYCLE_1)
	s_or_b32 s20, s20, s10
	s_mul_u64 s[10:11], s[56:57], s[20:21]
	s_delay_alu instid0(SALU_CYCLE_1) | instskip(SKIP_1) | instid1(SALU_CYCLE_1)
	s_sub_co_u32 s4, s76, s10
	s_cselect_b32 s10, -1, 0
	s_cmp_lg_u32 s10, 0
	s_sub_co_ci_u32 s10, s77, s11
	s_sub_co_u32 s11, s4, s56
	s_cselect_b32 s20, -1, 0
	s_delay_alu instid0(SALU_CYCLE_1) | instskip(SKIP_3) | instid1(SALU_CYCLE_1)
	s_cmp_lg_u32 s20, 0
	s_sub_co_ci_u32 s20, s10, 0
	s_sub_co_u32 s21, s11, s56
	s_cselect_b32 s23, -1, 0
	s_cmp_lg_u32 s23, 0
	s_sub_co_ci_u32 s23, s20, 0
	s_cmp_ge_u32 s11, s56
	s_cselect_b32 s28, -1, 0
	s_cmp_eq_u32 s20, 0
	s_cselect_b32 s28, s28, -1
	s_delay_alu instid0(SALU_CYCLE_1)
	s_cmp_lg_u32 s28, 0
	s_cselect_b32 s20, s23, s20
	s_cselect_b32 s21, s21, s11
	s_cmp_ge_u32 s4, s56
	s_cselect_b32 s11, -1, 0
	s_cmp_eq_u32 s10, 0
	s_cselect_b32 s11, s11, -1
	s_delay_alu instid0(SALU_CYCLE_1)
	s_cmp_lg_u32 s11, 0
	s_cselect_b32 s11, s20, s10
	s_cselect_b32 s10, s21, s4
	s_mov_b32 s4, 0
	s_branch .LBB126_250
.LBB126_249:                            ;   in Loop: Header=BB126_18 Depth=1
	s_mov_b32 s4, -1
                                        ; implicit-def: $sgpr10_sgpr11
.LBB126_250:                            ;   in Loop: Header=BB126_18 Depth=1
	s_delay_alu instid0(SALU_CYCLE_1)
	s_and_not1_b32 vcc_lo, exec_lo, s4
	s_cbranch_vccnz .LBB126_252
; %bb.251:                              ;   in Loop: Header=BB126_18 Depth=1
	v_cvt_f32_u32_e32 v6, s56
	s_sub_co_i32 s10, 0, s56
	s_delay_alu instid0(VALU_DEP_1) | instskip(SKIP_1) | instid1(TRANS32_DEP_1)
	v_rcp_iflag_f32_e32 v6, v6
	v_nop
	v_mul_f32_e32 v6, 0x4f7ffffe, v6
	s_delay_alu instid0(VALU_DEP_1) | instskip(NEXT) | instid1(VALU_DEP_1)
	v_cvt_u32_f32_e32 v6, v6
	v_readfirstlane_b32 s4, v6
	s_mul_i32 s10, s10, s4
	s_delay_alu instid0(SALU_CYCLE_1) | instskip(NEXT) | instid1(SALU_CYCLE_1)
	s_mul_hi_u32 s10, s4, s10
	s_add_co_i32 s4, s4, s10
	s_delay_alu instid0(SALU_CYCLE_1) | instskip(NEXT) | instid1(SALU_CYCLE_1)
	s_mul_hi_u32 s4, s76, s4
	s_mul_i32 s4, s4, s56
	s_delay_alu instid0(SALU_CYCLE_1) | instskip(NEXT) | instid1(SALU_CYCLE_1)
	s_sub_co_i32 s4, s76, s4
	s_sub_co_i32 s10, s4, s56
	s_cmp_ge_u32 s4, s56
	s_cselect_b32 s4, s10, s4
	s_delay_alu instid0(SALU_CYCLE_1) | instskip(SKIP_2) | instid1(SALU_CYCLE_1)
	s_sub_co_i32 s10, s4, s56
	s_cmp_ge_u32 s4, s56
	s_cselect_b32 s28, s10, s4
	s_mov_b64 s[10:11], s[28:29]
.LBB126_252:                            ;   in Loop: Header=BB126_18 Depth=1
	s_delay_alu instid0(SALU_CYCLE_1)
	s_sub_nc_u64 s[10:11], s[76:77], s[10:11]
	s_mov_b32 s20, exec_lo
                                        ; implicit-def: $vgpr10
	v_cmpx_gt_u64_e64 s[10:11], v[0:1]
	s_cbranch_execz .LBB126_261
; %bb.253:                              ;   in Loop: Header=BB126_18 Depth=1
	v_mov_b64_e32 v[6:7], v[0:1]
	s_mov_b32 s21, 0
                                        ; implicit-def: $sgpr23
	s_branch .LBB126_256
.LBB126_254:                            ;   in Loop: Header=BB126_256 Depth=2
	s_or_b32 exec_lo, exec_lo, s28
	s_wait_dscnt 0x0
	s_barrier_signal -1
	s_barrier_wait -1
	ds_load_u16 v10, v3 offset:3072
	s_mov_b32 s28, -1
	s_mov_b32 s4, -1
	s_wait_dscnt 0x0
	s_barrier_signal -1
	s_barrier_wait -1
	v_and_b32_e32 v11, 0xff, v10
	s_delay_alu instid0(VALU_DEP_1)
	v_cmp_eq_u32_e32 vcc_lo, 0, v11
	s_cbranch_vccnz .LBB126_259
.LBB126_255:                            ;   in Loop: Header=BB126_256 Depth=2
	s_and_b32 s28, exec_lo, s28
	s_delay_alu instid0(SALU_CYCLE_1) | instskip(SKIP_2) | instid1(SALU_CYCLE_1)
	s_or_b32 s21, s28, s21
	s_and_not1_b32 s23, s23, exec_lo
	s_and_b32 s4, s4, exec_lo
	s_or_b32 s23, s23, s4
	s_and_not1_b32 exec_lo, exec_lo, s21
	s_cbranch_execz .LBB126_260
.LBB126_256:                            ;   Parent Loop BB126_18 Depth=1
                                        ; =>  This Inner Loop Header: Depth=2
	s_mov_b32 s28, exec_lo
	s_delay_alu instid0(VALU_DEP_1)
	v_cmpx_gt_u64_e64 s[36:37], v[6:7]
	s_cbranch_execz .LBB126_254
; %bb.257:                              ;   in Loop: Header=BB126_256 Depth=2
	v_mad_nc_u64_u32 v[10:11], v6, s30, s[34:35]
	s_delay_alu instid0(VALU_DEP_1) | instskip(NEXT) | instid1(VALU_DEP_1)
	v_mad_u32 v11, v7, s30, v11
	v_mad_u32 v11, v6, s31, v11
	global_load_u8 v10, v[10:11], off
	s_wait_loadcnt 0x0
	v_bitop3_b32 v11, v10, 0xff, v9 bitop3:0x80
	s_delay_alu instid0(VALU_DEP_1)
	v_cmp_eq_u32_e32 vcc_lo, v11, v8
	s_and_b32 exec_lo, exec_lo, vcc_lo
	s_cbranch_execz .LBB126_254
; %bb.258:                              ;   in Loop: Header=BB126_256 Depth=2
	v_lshlrev_b16 v10, 8, v10
	s_delay_alu instid0(VALU_DEP_1)
	v_or_b32_e32 v10, 1, v10
	ds_store_b16 v3, v10 offset:3072
	s_branch .LBB126_254
.LBB126_259:                            ;   in Loop: Header=BB126_256 Depth=2
	v_add_nc_u64_e32 v[6:7], s[56:57], v[6:7]
	s_mov_b32 s4, 0
	s_delay_alu instid0(VALU_DEP_1)
	v_cmp_le_u64_e32 vcc_lo, s[10:11], v[6:7]
	s_or_not1_b32 s28, vcc_lo, exec_lo
	s_branch .LBB126_255
.LBB126_260:                            ;   in Loop: Header=BB126_18 Depth=1
	s_or_b32 exec_lo, exec_lo, s21
	v_and_b32_e32 v6, 0xffff, v10
	s_and_not1_b32 s4, s22, exec_lo
	s_and_b32 s10, s23, exec_lo
	s_delay_alu instid0(SALU_CYCLE_1) | instskip(NEXT) | instid1(VALU_DEP_1)
	s_or_b32 s22, s4, s10
	v_lshrrev_b32_e32 v10, 8, v6
.LBB126_261:                            ;   in Loop: Header=BB126_18 Depth=1
	s_or_b32 exec_lo, exec_lo, s20
	s_mov_b32 s95, 0
	s_mov_b32 s66, -1
.LBB126_262:                            ;   in Loop: Header=BB126_18 Depth=1
	s_or_not1_b32 s11, s22, exec_lo
.LBB126_263:                            ;   in Loop: Header=BB126_18 Depth=1
	s_or_b32 exec_lo, exec_lo, s94
	s_mov_b32 s20, 0
	s_and_saveexec_b32 s10, s11
	s_cbranch_execz .LBB126_274
; %bb.264:                              ;   in Loop: Header=BB126_18 Depth=1
	v_mov_b64_e32 v[6:7], 1
	v_mov_b32_e32 v2, 1
	s_xor_b32 s4, s93, -1
	s_delay_alu instid0(SALU_CYCLE_1)
	s_and_saveexec_b32 s11, s4
	s_cbranch_execz .LBB126_273
; %bb.265:                              ;   in Loop: Header=BB126_18 Depth=1
	s_mov_b32 s4, exec_lo
	v_cmpx_ge_u64_e64 s[18:19], v[4:5]
	s_xor_b32 s20, exec_lo, s4
	s_cbranch_execz .LBB126_270
; %bb.266:                              ;   in Loop: Header=BB126_18 Depth=1
	ds_load_b64 v[6:7], v3 offset:5120
	v_or_b32_e32 v8, s24, v8
	v_or_b32_e32 v9, s24, v9
	s_wait_dscnt 0x0
	v_cmp_ne_u64_e32 vcc_lo, 0, v[6:7]
	s_cbranch_vccnz .LBB126_270
; %bb.267:                              ;   in Loop: Header=BB126_18 Depth=1
	s_and_saveexec_b32 s4, s5
; %bb.268:                              ;   in Loop: Header=BB126_18 Depth=1
	v_mov_b64_e32 v[6:7], s[18:19]
	ds_store_b64 v3, v[6:7] offset:5128
; %bb.269:                              ;   in Loop: Header=BB126_18 Depth=1
	s_or_b32 exec_lo, exec_lo, s4
	s_wait_dscnt 0x0
	s_barrier_signal -1
	s_barrier_wait -1
.LBB126_270:                            ;   in Loop: Header=BB126_18 Depth=1
	s_and_not1_saveexec_b32 s4, s20
; %bb.271:                              ;   in Loop: Header=BB126_18 Depth=1
	v_sub_nc_u64_e64 v[4:5], v[4:5], s[18:19]
; %bb.272:                              ;   in Loop: Header=BB126_18 Depth=1
	s_or_b32 exec_lo, exec_lo, s4
	s_delay_alu instid0(VALU_DEP_1)
	v_mov_b64_e32 v[6:7], v[4:5]
	v_mov_b32_e32 v2, 8
.LBB126_273:                            ;   in Loop: Header=BB126_18 Depth=1
	s_or_b32 exec_lo, exec_lo, s11
	s_delay_alu instid0(VALU_DEP_2)
	v_mov_b64_e32 v[4:5], v[6:7]
	s_mov_b32 s20, exec_lo
.LBB126_274:                            ;   in Loop: Header=BB126_18 Depth=1
	s_or_b32 exec_lo, exec_lo, s10
	s_delay_alu instid0(SALU_CYCLE_1)
	s_or_not1_b32 s10, s20, exec_lo
.LBB126_275:                            ;   in Loop: Header=BB126_18 Depth=1
	s_or_b32 exec_lo, exec_lo, s92
	s_delay_alu instid0(VALU_DEP_1)
	v_mov_b64_e32 v[6:7], v[4:5]
	s_and_not1_b32 s4, s90, exec_lo
	s_and_b32 s11, s66, exec_lo
	s_and_not1_b32 s20, s89, exec_lo
	s_and_b32 s21, s95, exec_lo
	s_or_b32 s90, s4, s11
	s_or_b32 s89, s20, s21
	s_and_b32 s11, s10, exec_lo
.LBB126_276:                            ;   in Loop: Header=BB126_18 Depth=1
	s_or_b32 exec_lo, exec_lo, s91
	s_delay_alu instid0(SALU_CYCLE_1)
	s_or_not1_b32 s10, s11, exec_lo
.LBB126_277:                            ;   in Loop: Header=BB126_18 Depth=1
	s_or_b32 exec_lo, exec_lo, s88
	v_mov_b64_e32 v[4:5], v[6:7]
	s_and_not1_b32 s4, s86, exec_lo
	s_and_b32 s11, s90, exec_lo
	s_and_not1_b32 s20, s63, exec_lo
	s_and_b32 s21, s89, exec_lo
	s_or_b32 s86, s4, s11
	s_or_b32 s63, s20, s21
	s_and_b32 s11, s10, exec_lo
.LBB126_278:                            ;   in Loop: Header=BB126_18 Depth=1
	s_or_b32 exec_lo, exec_lo, s87
	s_delay_alu instid0(SALU_CYCLE_1)
	s_or_not1_b32 s10, s11, exec_lo
.LBB126_279:                            ;   in Loop: Header=BB126_18 Depth=1
	s_or_b32 exec_lo, exec_lo, s27
	s_mov_b32 s11, 0
	s_mov_b32 s20, 0
	s_and_saveexec_b32 s4, s10
	s_delay_alu instid0(SALU_CYCLE_1)
	s_xor_b32 s4, exec_lo, s4
; %bb.280:                              ;   in Loop: Header=BB126_18 Depth=1
	v_cmp_ne_u32_e32 vcc_lo, 8, v2
	v_cmp_eq_u32_e64 s10, 8, v2
	s_and_b32 s20, vcc_lo, exec_lo
	s_and_b32 s11, s10, exec_lo
; %bb.281:                              ;   in Loop: Header=BB126_18 Depth=1
	s_or_b32 exec_lo, exec_lo, s4
	s_delay_alu instid0(SALU_CYCLE_1)
	s_and_not1_b32 s4, s83, exec_lo
	s_and_b32 s10, s86, exec_lo
	s_and_not1_b32 s21, s82, exec_lo
	s_and_b32 s22, s63, exec_lo
	s_or_b32 s83, s4, s10
	s_or_b32 s82, s21, s22
	s_and_b32 s27, s20, exec_lo
	s_and_b32 s63, s11, exec_lo
.LBB126_282:                            ;   in Loop: Header=BB126_18 Depth=1
	s_or_b32 exec_lo, exec_lo, s85
.LBB126_283:                            ;   in Loop: Header=BB126_18 Depth=1
	s_delay_alu instid0(SALU_CYCLE_1)
	s_and_b32 vcc_lo, exec_lo, s84
	s_cbranch_vccz .LBB126_299
; %bb.284:                              ;   in Loop: Header=BB126_18 Depth=1
	s_cmp_eq_u64 s[18:19], 1
	s_mov_b32 s10, -1
	s_cselect_b32 s4, -1, 0
                                        ; implicit-def: $sgpr84
                                        ; implicit-def: $sgpr26
	s_delay_alu instid0(SALU_CYCLE_1) | instskip(NEXT) | instid1(SALU_CYCLE_1)
	s_and_b32 s9, s4, s9
	s_and_saveexec_b32 s82, s9
	s_cbranch_execz .LBB126_317
; %bb.285:                              ;   in Loop: Header=BB126_18 Depth=1
	ds_load_b64 v[4:5], v3 offset:5120
	s_wait_dscnt 0x0
	s_barrier_signal -1
	s_barrier_wait -1
	v_readfirstlane_b32 s10, v4
	v_readfirstlane_b32 s11, v5
	s_and_saveexec_b32 s4, s6
; %bb.286:                              ;   in Loop: Header=BB126_18 Depth=1
	ds_store_b8 v0, v3 offset:3072
; %bb.287:                              ;   in Loop: Header=BB126_18 Depth=1
	s_or_b32 exec_lo, exec_lo, s4
	v_or_b32_e32 v29, s24, v29
	v_or_b32_e32 v31, s24, v31
	s_mov_b32 s26, -1
	s_mov_b32 s84, 0
	s_cmp_eq_u64 s[10:11], 0
	s_mov_b32 s22, 0
	s_mov_b32 s23, -1
	s_wait_dscnt 0x0
	s_barrier_signal -1
	s_barrier_wait -1
                                        ; implicit-def: $vgpr32
	s_cbranch_scc1 .LBB126_302
; %bb.288:                              ;   in Loop: Header=BB126_18 Depth=1
	s_add_nc_u64 s[20:21], s[10:11], s[74:75]
	s_delay_alu instid0(SALU_CYCLE_1) | instskip(NEXT) | instid1(SALU_CYCLE_1)
	s_and_b64 s[22:23], s[20:21], 0xffffffff00000000
	s_cmp_lg_u64 s[22:23], 0
	s_cbranch_scc0 .LBB126_340
; %bb.289:                              ;   in Loop: Header=BB126_18 Depth=1
	s_cvt_f32_u32 s4, s56
	s_sub_nc_u64 s[40:41], 0, s[56:57]
	s_delay_alu instid0(SALU_CYCLE_2) | instskip(NEXT) | instid1(SALU_CYCLE_3)
	s_fmamk_f32 s4, s71, 0x0, s4
	v_s_rcp_f32 s4, s4
	s_delay_alu instid0(TRANS32_DEP_1) | instskip(NEXT) | instid1(SALU_CYCLE_3)
	s_mul_f32 s4, s4, 0x5f7ffffc
	s_mul_f32 s22, s4, 0x2f800000
	s_delay_alu instid0(SALU_CYCLE_3) | instskip(NEXT) | instid1(SALU_CYCLE_3)
	s_trunc_f32 s22, s22
	s_fmamk_f32 s4, s22, 0xcf800000, s4
	s_cvt_u32_f32 s23, s22
	s_delay_alu instid0(SALU_CYCLE_2) | instskip(NEXT) | instid1(SALU_CYCLE_3)
	s_cvt_u32_f32 s22, s4
	s_mul_u64 s[42:43], s[40:41], s[22:23]
	s_delay_alu instid0(SALU_CYCLE_1)
	s_mul_hi_u32 s67, s22, s43
	s_mul_i32 s66, s22, s43
	s_mul_hi_u32 s28, s22, s42
	s_mul_i32 s60, s23, s42
	s_add_nc_u64 s[66:67], s[28:29], s[66:67]
	s_mul_hi_u32 s4, s23, s42
	s_mul_hi_u32 s61, s23, s43
	s_add_co_u32 s28, s66, s60
	s_add_co_ci_u32 s28, s67, s4
	s_mul_i32 s42, s23, s43
	s_add_co_ci_u32 s43, s61, 0
	s_delay_alu instid0(SALU_CYCLE_1) | instskip(NEXT) | instid1(SALU_CYCLE_1)
	s_add_nc_u64 s[42:43], s[28:29], s[42:43]
	s_add_co_u32 s22, s22, s42
	s_cselect_b32 s4, -1, 0
	s_delay_alu instid0(SALU_CYCLE_1) | instskip(SKIP_1) | instid1(SALU_CYCLE_1)
	s_cmp_lg_u32 s4, 0
	s_add_co_ci_u32 s23, s23, s43
	s_mul_u64 s[40:41], s[40:41], s[22:23]
	s_delay_alu instid0(SALU_CYCLE_1)
	s_mul_hi_u32 s43, s22, s41
	s_mul_i32 s42, s22, s41
	s_mul_hi_u32 s28, s22, s40
	s_mul_i32 s60, s23, s40
	s_add_nc_u64 s[42:43], s[28:29], s[42:43]
	s_mul_hi_u32 s4, s23, s40
	s_mul_hi_u32 s61, s23, s41
	s_add_co_u32 s28, s42, s60
	s_add_co_ci_u32 s28, s43, s4
	s_mul_i32 s40, s23, s41
	s_add_co_ci_u32 s41, s61, 0
	s_delay_alu instid0(SALU_CYCLE_1) | instskip(NEXT) | instid1(SALU_CYCLE_1)
	s_add_nc_u64 s[40:41], s[28:29], s[40:41]
	s_add_co_u32 s4, s22, s40
	s_cselect_b32 s22, -1, 0
	s_mul_hi_u32 s28, s20, s4
	s_cmp_lg_u32 s22, 0
	s_mul_hi_u32 s42, s21, s4
	s_add_co_ci_u32 s40, s23, s41
	s_mul_i32 s4, s21, s4
	s_mul_hi_u32 s23, s20, s40
	s_mul_i32 s22, s20, s40
	s_mul_hi_u32 s41, s21, s40
	s_add_nc_u64 s[22:23], s[28:29], s[22:23]
	s_mul_i32 s40, s21, s40
	s_add_co_u32 s4, s22, s4
	s_add_co_ci_u32 s28, s23, s42
	s_add_co_ci_u32 s41, s41, 0
	s_delay_alu instid0(SALU_CYCLE_1) | instskip(NEXT) | instid1(SALU_CYCLE_1)
	s_add_nc_u64 s[22:23], s[28:29], s[40:41]
	s_and_b64 s[40:41], s[22:23], 0xffffffff00000000
	s_delay_alu instid0(SALU_CYCLE_1) | instskip(NEXT) | instid1(SALU_CYCLE_1)
	s_or_b32 s40, s40, s22
	s_mul_u64 s[22:23], s[56:57], s[40:41]
	s_delay_alu instid0(SALU_CYCLE_1) | instskip(SKIP_1) | instid1(SALU_CYCLE_1)
	s_sub_co_u32 s4, s20, s22
	s_cselect_b32 s22, -1, 0
	s_cmp_lg_u32 s22, 0
	s_sub_co_ci_u32 s22, s21, s23
	s_sub_co_u32 s23, s4, s56
	s_cselect_b32 s28, -1, 0
	s_delay_alu instid0(SALU_CYCLE_1) | instskip(SKIP_3) | instid1(SALU_CYCLE_1)
	s_cmp_lg_u32 s28, 0
	s_sub_co_ci_u32 s28, s22, 0
	s_sub_co_u32 s40, s23, s56
	s_cselect_b32 s41, -1, 0
	s_cmp_lg_u32 s41, 0
	s_sub_co_ci_u32 s41, s28, 0
	s_cmp_ge_u32 s23, s56
	s_cselect_b32 s42, -1, 0
	s_cmp_eq_u32 s28, 0
	s_cselect_b32 s42, s42, -1
	s_delay_alu instid0(SALU_CYCLE_1)
	s_cmp_lg_u32 s42, 0
	s_cselect_b32 s28, s41, s28
	s_cselect_b32 s40, s40, s23
	s_cmp_ge_u32 s4, s56
	s_cselect_b32 s23, -1, 0
	s_cmp_eq_u32 s22, 0
	s_cselect_b32 s23, s23, -1
	s_delay_alu instid0(SALU_CYCLE_1)
	s_cmp_lg_u32 s23, 0
	s_cselect_b32 s23, s28, s22
	s_cselect_b32 s22, s40, s4
	s_cbranch_execnz .LBB126_291
.LBB126_290:                            ;   in Loop: Header=BB126_18 Depth=1
	v_cvt_f32_u32_e32 v2, s56
	s_sub_co_i32 s22, 0, s56
	s_delay_alu instid0(VALU_DEP_1) | instskip(SKIP_1) | instid1(TRANS32_DEP_1)
	v_rcp_iflag_f32_e32 v2, v2
	v_nop
	v_mul_f32_e32 v2, 0x4f7ffffe, v2
	s_delay_alu instid0(VALU_DEP_1) | instskip(NEXT) | instid1(VALU_DEP_1)
	v_cvt_u32_f32_e32 v2, v2
	v_readfirstlane_b32 s4, v2
	s_mul_i32 s22, s22, s4
	s_delay_alu instid0(SALU_CYCLE_1) | instskip(NEXT) | instid1(SALU_CYCLE_1)
	s_mul_hi_u32 s22, s4, s22
	s_add_co_i32 s4, s4, s22
	s_delay_alu instid0(SALU_CYCLE_1) | instskip(NEXT) | instid1(SALU_CYCLE_1)
	s_mul_hi_u32 s4, s20, s4
	s_mul_i32 s4, s4, s56
	s_delay_alu instid0(SALU_CYCLE_1) | instskip(NEXT) | instid1(SALU_CYCLE_1)
	s_sub_co_i32 s4, s20, s4
	s_sub_co_i32 s22, s4, s56
	s_cmp_ge_u32 s4, s56
	s_cselect_b32 s4, s22, s4
	s_delay_alu instid0(SALU_CYCLE_1) | instskip(SKIP_2) | instid1(SALU_CYCLE_1)
	s_sub_co_i32 s22, s4, s56
	s_cmp_ge_u32 s4, s56
	s_cselect_b32 s28, s22, s4
	s_mov_b64 s[22:23], s[28:29]
.LBB126_291:                            ;   in Loop: Header=BB126_18 Depth=1
	s_delay_alu instid0(SALU_CYCLE_1)
	s_sub_nc_u64 s[20:21], s[20:21], s[22:23]
	s_mov_b32 s23, 0
	s_mov_b32 s22, 0
	s_mov_b32 s28, exec_lo
                                        ; implicit-def: $vgpr32
	v_cmpx_gt_u64_e64 s[20:21], v[0:1]
	s_cbranch_execz .LBB126_301
; %bb.292:                              ;   in Loop: Header=BB126_18 Depth=1
	v_mov_b64_e32 v[4:5], v[0:1]
	v_mov_b32_e32 v2, v0
                                        ; implicit-def: $sgpr66
	s_branch .LBB126_295
.LBB126_293:                            ;   in Loop: Header=BB126_295 Depth=2
	s_or_b32 exec_lo, exec_lo, s67
	s_wait_dscnt 0x0
	s_barrier_signal -1
	s_barrier_wait -1
	ds_load_u16 v6, v3 offset:3072
	s_mov_b32 s4, -1
	s_mov_b32 s40, -1
	s_wait_dscnt 0x0
	s_barrier_signal -1
	s_barrier_wait -1
	v_and_b32_e32 v7, 0xff, v6
	s_delay_alu instid0(VALU_DEP_1)
	v_cmp_ne_u32_e32 vcc_lo, 0, v7
	s_cbranch_vccz .LBB126_298
.LBB126_294:                            ;   in Loop: Header=BB126_295 Depth=2
	s_and_b32 s4, exec_lo, s4
	s_delay_alu instid0(SALU_CYCLE_1) | instskip(SKIP_2) | instid1(SALU_CYCLE_1)
	s_or_b32 s22, s4, s22
	s_and_not1_b32 s4, s66, exec_lo
	s_and_b32 s40, s40, exec_lo
	s_or_b32 s66, s4, s40
	s_and_not1_b32 exec_lo, exec_lo, s22
	s_cbranch_execz .LBB126_300
.LBB126_295:                            ;   Parent Loop BB126_18 Depth=1
                                        ; =>  This Inner Loop Header: Depth=2
	s_mov_b32 s67, exec_lo
	s_delay_alu instid0(VALU_DEP_2)
	v_cmpx_gt_u64_e64 s[10:11], v[4:5]
	s_cbranch_execz .LBB126_293
; %bb.296:                              ;   in Loop: Header=BB126_295 Depth=2
	ds_load_u8 v6, v2
	s_wait_dscnt 0x0
	v_bitop3_b32 v7, v6, 0xff, v31 bitop3:0x80
	s_delay_alu instid0(VALU_DEP_1)
	v_cmp_eq_u32_e32 vcc_lo, v7, v29
	s_and_b32 exec_lo, exec_lo, vcc_lo
	s_cbranch_execz .LBB126_293
; %bb.297:                              ;   in Loop: Header=BB126_295 Depth=2
	v_lshlrev_b16 v6, 8, v6
	s_delay_alu instid0(VALU_DEP_1)
	v_or_b32_e32 v6, 1, v6
	ds_store_b16 v3, v6 offset:3072
	s_branch .LBB126_293
.LBB126_298:                            ;   in Loop: Header=BB126_295 Depth=2
	v_add_nc_u64_e32 v[4:5], s[56:57], v[4:5]
	v_add_nc_u32_e32 v2, s56, v2
	s_mov_b32 s40, 0
	s_delay_alu instid0(VALU_DEP_2)
	v_cmp_le_u64_e32 vcc_lo, s[20:21], v[4:5]
	s_or_not1_b32 s4, vcc_lo, exec_lo
	s_branch .LBB126_294
.LBB126_299:                            ;   in Loop: Header=BB126_18 Depth=1
	v_dual_mov_b32 v29, v8 :: v_dual_mov_b32 v31, v9
	v_mov_b32_e32 v32, v10
	s_mov_b32 s84, 0
	s_and_saveexec_b32 s4, s63
	s_cbranch_execnz .LBB126_476
	s_branch .LBB126_477
.LBB126_300:                            ;   in Loop: Header=BB126_18 Depth=1
	s_or_b32 exec_lo, exec_lo, s22
	v_and_b32_e32 v2, 0xffff, v6
	s_and_b32 s22, s66, exec_lo
	s_delay_alu instid0(VALU_DEP_1)
	v_lshrrev_b32_e32 v32, 8, v2
.LBB126_301:                            ;   in Loop: Header=BB126_18 Depth=1
	s_or_b32 exec_lo, exec_lo, s28
.LBB126_302:                            ;   in Loop: Header=BB126_18 Depth=1
	s_delay_alu instid0(SALU_CYCLE_1)
	s_and_b32 vcc_lo, exec_lo, s23
	s_cbranch_vccz .LBB126_316
; %bb.303:                              ;   in Loop: Header=BB126_18 Depth=1
	s_and_b64 s[10:11], s[76:77], 0xffffffff00000000
	s_delay_alu instid0(SALU_CYCLE_1)
	s_cmp_lg_u64 s[10:11], 0
	s_cbranch_scc0 .LBB126_341
; %bb.304:                              ;   in Loop: Header=BB126_18 Depth=1
	s_cvt_f32_u32 s4, s56
	s_sub_nc_u64 s[20:21], 0, s[56:57]
	s_delay_alu instid0(SALU_CYCLE_2) | instskip(NEXT) | instid1(SALU_CYCLE_3)
	s_fmamk_f32 s4, s71, 0x0, s4
	v_s_rcp_f32 s4, s4
	s_delay_alu instid0(TRANS32_DEP_1) | instskip(NEXT) | instid1(SALU_CYCLE_3)
	s_mul_f32 s4, s4, 0x5f7ffffc
	s_mul_f32 s10, s4, 0x2f800000
	s_delay_alu instid0(SALU_CYCLE_3) | instskip(NEXT) | instid1(SALU_CYCLE_3)
	s_trunc_f32 s10, s10
	s_fmamk_f32 s4, s10, 0xcf800000, s4
	s_cvt_u32_f32 s11, s10
	s_delay_alu instid0(SALU_CYCLE_2) | instskip(NEXT) | instid1(SALU_CYCLE_3)
	s_cvt_u32_f32 s10, s4
	s_mul_u64 s[40:41], s[20:21], s[10:11]
	s_delay_alu instid0(SALU_CYCLE_1)
	s_mul_hi_u32 s43, s10, s41
	s_mul_i32 s42, s10, s41
	s_mul_hi_u32 s28, s10, s40
	s_mul_i32 s23, s11, s40
	s_add_nc_u64 s[42:43], s[28:29], s[42:43]
	s_mul_hi_u32 s4, s11, s40
	s_mul_hi_u32 s26, s11, s41
	s_add_co_u32 s23, s42, s23
	s_add_co_ci_u32 s28, s43, s4
	s_mul_i32 s40, s11, s41
	s_add_co_ci_u32 s41, s26, 0
	s_delay_alu instid0(SALU_CYCLE_1) | instskip(NEXT) | instid1(SALU_CYCLE_1)
	s_add_nc_u64 s[40:41], s[28:29], s[40:41]
	s_add_co_u32 s10, s10, s40
	s_cselect_b32 s4, -1, 0
	s_delay_alu instid0(SALU_CYCLE_1) | instskip(SKIP_1) | instid1(SALU_CYCLE_1)
	s_cmp_lg_u32 s4, 0
	s_add_co_ci_u32 s11, s11, s41
	s_mul_u64 s[20:21], s[20:21], s[10:11]
	s_delay_alu instid0(SALU_CYCLE_1)
	s_mul_hi_u32 s41, s10, s21
	s_mul_i32 s40, s10, s21
	s_mul_hi_u32 s28, s10, s20
	s_mul_i32 s23, s11, s20
	s_add_nc_u64 s[40:41], s[28:29], s[40:41]
	s_mul_hi_u32 s4, s11, s20
	s_mul_hi_u32 s26, s11, s21
	s_mul_i32 s20, s11, s21
	s_add_co_u32 s21, s40, s23
	s_add_co_ci_u32 s28, s41, s4
	s_add_co_ci_u32 s21, s26, 0
	s_delay_alu instid0(SALU_CYCLE_1) | instskip(NEXT) | instid1(SALU_CYCLE_1)
	s_add_nc_u64 s[20:21], s[28:29], s[20:21]
	s_add_co_u32 s4, s10, s20
	s_cselect_b32 s10, -1, 0
	s_mul_hi_u32 s28, s76, s4
	s_cmp_lg_u32 s10, 0
	s_mul_hi_u32 s23, s77, s4
	s_add_co_ci_u32 s20, s11, s21
	s_mul_i32 s4, s77, s4
	s_mul_hi_u32 s11, s76, s20
	s_mul_i32 s10, s76, s20
	s_mul_hi_u32 s21, s77, s20
	s_add_nc_u64 s[10:11], s[28:29], s[10:11]
	s_mul_i32 s20, s77, s20
	s_add_co_u32 s4, s10, s4
	s_add_co_ci_u32 s28, s11, s23
	s_add_co_ci_u32 s21, s21, 0
	s_delay_alu instid0(SALU_CYCLE_1) | instskip(NEXT) | instid1(SALU_CYCLE_1)
	s_add_nc_u64 s[10:11], s[28:29], s[20:21]
	s_and_b64 s[20:21], s[10:11], 0xffffffff00000000
	s_delay_alu instid0(SALU_CYCLE_1) | instskip(NEXT) | instid1(SALU_CYCLE_1)
	s_or_b32 s20, s20, s10
	s_mul_u64 s[10:11], s[56:57], s[20:21]
	s_delay_alu instid0(SALU_CYCLE_1) | instskip(SKIP_1) | instid1(SALU_CYCLE_1)
	s_sub_co_u32 s4, s76, s10
	s_cselect_b32 s10, -1, 0
	s_cmp_lg_u32 s10, 0
	s_sub_co_ci_u32 s10, s77, s11
	s_sub_co_u32 s11, s4, s56
	s_cselect_b32 s20, -1, 0
	s_delay_alu instid0(SALU_CYCLE_1) | instskip(SKIP_3) | instid1(SALU_CYCLE_1)
	s_cmp_lg_u32 s20, 0
	s_sub_co_ci_u32 s20, s10, 0
	s_sub_co_u32 s21, s11, s56
	s_cselect_b32 s23, -1, 0
	s_cmp_lg_u32 s23, 0
	s_sub_co_ci_u32 s23, s20, 0
	s_cmp_ge_u32 s11, s56
	s_cselect_b32 s26, -1, 0
	s_cmp_eq_u32 s20, 0
	s_cselect_b32 s26, s26, -1
	s_delay_alu instid0(SALU_CYCLE_1)
	s_cmp_lg_u32 s26, 0
	s_cselect_b32 s20, s23, s20
	s_cselect_b32 s21, s21, s11
	s_cmp_ge_u32 s4, s56
	s_cselect_b32 s11, -1, 0
	s_cmp_eq_u32 s10, 0
	s_cselect_b32 s11, s11, -1
	s_delay_alu instid0(SALU_CYCLE_1)
	s_cmp_lg_u32 s11, 0
	s_cselect_b32 s11, s20, s10
	s_cselect_b32 s10, s21, s4
	s_cbranch_execnz .LBB126_306
.LBB126_305:                            ;   in Loop: Header=BB126_18 Depth=1
	v_cvt_f32_u32_e32 v2, s56
	s_sub_co_i32 s10, 0, s56
	s_delay_alu instid0(VALU_DEP_1) | instskip(SKIP_1) | instid1(TRANS32_DEP_1)
	v_rcp_iflag_f32_e32 v2, v2
	v_nop
	v_mul_f32_e32 v2, 0x4f7ffffe, v2
	s_delay_alu instid0(VALU_DEP_1) | instskip(NEXT) | instid1(VALU_DEP_1)
	v_cvt_u32_f32_e32 v2, v2
	v_readfirstlane_b32 s4, v2
	s_mul_i32 s10, s10, s4
	s_delay_alu instid0(SALU_CYCLE_1) | instskip(NEXT) | instid1(SALU_CYCLE_1)
	s_mul_hi_u32 s10, s4, s10
	s_add_co_i32 s4, s4, s10
	s_delay_alu instid0(SALU_CYCLE_1) | instskip(NEXT) | instid1(SALU_CYCLE_1)
	s_mul_hi_u32 s4, s76, s4
	s_mul_i32 s4, s4, s56
	s_delay_alu instid0(SALU_CYCLE_1) | instskip(NEXT) | instid1(SALU_CYCLE_1)
	s_sub_co_i32 s4, s76, s4
	s_sub_co_i32 s10, s4, s56
	s_cmp_ge_u32 s4, s56
	s_cselect_b32 s4, s10, s4
	s_delay_alu instid0(SALU_CYCLE_1) | instskip(SKIP_2) | instid1(SALU_CYCLE_1)
	s_sub_co_i32 s10, s4, s56
	s_cmp_ge_u32 s4, s56
	s_cselect_b32 s28, s10, s4
	s_mov_b64 s[10:11], s[28:29]
.LBB126_306:                            ;   in Loop: Header=BB126_18 Depth=1
	s_delay_alu instid0(SALU_CYCLE_1)
	s_sub_nc_u64 s[10:11], s[76:77], s[10:11]
	s_mov_b32 s20, exec_lo
                                        ; implicit-def: $vgpr32
	v_cmpx_gt_u64_e64 s[10:11], v[0:1]
	s_cbranch_execz .LBB126_315
; %bb.307:                              ;   in Loop: Header=BB126_18 Depth=1
	v_mov_b64_e32 v[4:5], v[0:1]
	s_mov_b32 s23, 0
                                        ; implicit-def: $sgpr21
	s_branch .LBB126_310
.LBB126_308:                            ;   in Loop: Header=BB126_310 Depth=2
	s_or_b32 exec_lo, exec_lo, s26
	s_wait_dscnt 0x0
	s_barrier_signal -1
	s_barrier_wait -1
	ds_load_u16 v2, v3 offset:3072
	s_mov_b32 s26, -1
	s_mov_b32 s4, -1
	s_wait_dscnt 0x0
	s_barrier_signal -1
	s_barrier_wait -1
	v_and_b32_e32 v6, 0xff, v2
	s_delay_alu instid0(VALU_DEP_1)
	v_cmp_ne_u32_e32 vcc_lo, 0, v6
	s_cbranch_vccz .LBB126_313
.LBB126_309:                            ;   in Loop: Header=BB126_310 Depth=2
	s_and_b32 s26, exec_lo, s26
	s_delay_alu instid0(SALU_CYCLE_1) | instskip(SKIP_2) | instid1(SALU_CYCLE_1)
	s_or_b32 s23, s26, s23
	s_and_not1_b32 s21, s21, exec_lo
	s_and_b32 s4, s4, exec_lo
	s_or_b32 s21, s21, s4
	s_and_not1_b32 exec_lo, exec_lo, s23
	s_cbranch_execz .LBB126_314
.LBB126_310:                            ;   Parent Loop BB126_18 Depth=1
                                        ; =>  This Inner Loop Header: Depth=2
	s_mov_b32 s26, exec_lo
	s_delay_alu instid0(VALU_DEP_1)
	v_cmpx_gt_u64_e64 s[36:37], v[4:5]
	s_cbranch_execz .LBB126_308
; %bb.311:                              ;   in Loop: Header=BB126_310 Depth=2
	v_mad_nc_u64_u32 v[6:7], v4, s30, s[34:35]
	s_delay_alu instid0(VALU_DEP_1) | instskip(NEXT) | instid1(VALU_DEP_1)
	v_mad_u32 v2, v5, s30, v7
	v_mad_u32 v7, v4, s31, v2
	global_load_u8 v2, v[6:7], off
	s_wait_loadcnt 0x0
	v_bitop3_b32 v6, v2, 0xff, v31 bitop3:0x80
	s_delay_alu instid0(VALU_DEP_1)
	v_cmp_eq_u32_e32 vcc_lo, v6, v29
	s_and_b32 exec_lo, exec_lo, vcc_lo
	s_cbranch_execz .LBB126_308
; %bb.312:                              ;   in Loop: Header=BB126_310 Depth=2
	v_lshlrev_b16 v2, 8, v2
	s_delay_alu instid0(VALU_DEP_1)
	v_or_b32_e32 v2, 1, v2
	ds_store_b16 v3, v2 offset:3072
	s_branch .LBB126_308
.LBB126_313:                            ;   in Loop: Header=BB126_310 Depth=2
	v_add_nc_u64_e32 v[4:5], s[56:57], v[4:5]
	s_mov_b32 s4, 0
	s_delay_alu instid0(VALU_DEP_1)
	v_cmp_le_u64_e32 vcc_lo, s[10:11], v[4:5]
	s_or_not1_b32 s26, vcc_lo, exec_lo
	s_branch .LBB126_309
.LBB126_314:                            ;   in Loop: Header=BB126_18 Depth=1
	s_or_b32 exec_lo, exec_lo, s23
	v_and_b32_e32 v2, 0xffff, v2
	s_and_not1_b32 s4, s22, exec_lo
	s_and_b32 s10, s21, exec_lo
	s_delay_alu instid0(SALU_CYCLE_1) | instskip(NEXT) | instid1(VALU_DEP_1)
	s_or_b32 s22, s4, s10
	v_lshrrev_b32_e32 v32, 8, v2
.LBB126_315:                            ;   in Loop: Header=BB126_18 Depth=1
	s_or_b32 exec_lo, exec_lo, s20
	s_mov_b32 s26, 0
	s_mov_b32 s84, -1
.LBB126_316:                            ;   in Loop: Header=BB126_18 Depth=1
	s_or_not1_b32 s10, s22, exec_lo
.LBB126_317:                            ;   in Loop: Header=BB126_18 Depth=1
	s_or_b32 exec_lo, exec_lo, s82
                                        ; implicit-def: $vgpr4_vgpr5
                                        ; implicit-def: $vgpr2
	s_and_saveexec_b32 s22, s10
	s_cbranch_execz .LBB126_475
; %bb.318:                              ;   in Loop: Header=BB126_18 Depth=1
	v_mov_b64_e32 v[4:5], 1
	v_mov_b32_e32 v2, 1
	s_xor_b32 s4, s9, -1
	s_mov_b32 s11, 0
	s_and_saveexec_b32 s9, s4
	s_cbranch_execz .LBB126_324
; %bb.319:                              ;   in Loop: Header=BB126_18 Depth=1
	s_mov_b32 s4, exec_lo
	v_cmpx_ge_u64_e64 s[18:19], v[22:23]
	s_xor_b32 s10, exec_lo, s4
	s_cbranch_execz .LBB126_321
; %bb.320:                              ;   in Loop: Header=BB126_18 Depth=1
	ds_load_b64 v[4:5], v3 offset:5120
	v_or_b32_e32 v29, s24, v29
	v_or_b32_e32 v31, s24, v31
	s_wait_dscnt 0x0
	v_cmp_ne_u64_e32 vcc_lo, 0, v[4:5]
	s_cbranch_vccz .LBB126_342
.LBB126_321:                            ;   in Loop: Header=BB126_18 Depth=1
	s_or_saveexec_b32 s10, s10
	v_mov_b32_e32 v2, 5
	s_xor_b32 exec_lo, exec_lo, s10
.LBB126_322:                            ;   in Loop: Header=BB126_18 Depth=1
	v_sub_nc_u64_e64 v[22:23], v[22:23], s[18:19]
	v_mov_b32_e32 v2, 0
	s_mov_b32 s11, exec_lo
.LBB126_323:                            ;   in Loop: Header=BB126_18 Depth=1
	s_or_b32 exec_lo, exec_lo, s10
	s_delay_alu instid0(VALU_DEP_2)
	v_mov_b64_e32 v[4:5], v[22:23]
	s_and_b32 s11, s11, exec_lo
.LBB126_324:                            ;   in Loop: Header=BB126_18 Depth=1
	s_or_b32 exec_lo, exec_lo, s9
	s_mov_b32 s10, -1
                                        ; implicit-def: $sgpr23
                                        ; implicit-def: $sgpr82
	s_and_saveexec_b32 s4, s11
	s_delay_alu instid0(SALU_CYCLE_1)
	s_xor_b32 s9, exec_lo, s4
	s_cbranch_execz .LBB126_472
; %bb.325:                              ;   in Loop: Header=BB126_18 Depth=1
	v_cmp_eq_u64_e32 vcc_lo, 1, v[4:5]
	s_cmp_eq_u64 s[16:17], 1
                                        ; implicit-def: $sgpr82
                                        ; implicit-def: $sgpr23
	s_cselect_b32 s4, -1, 0
	s_delay_alu instid0(SALU_CYCLE_1) | instskip(NEXT) | instid1(SALU_CYCLE_1)
	s_and_b32 s83, s4, vcc_lo
	s_and_saveexec_b32 s85, s83
	s_cbranch_execz .LBB126_362
; %bb.326:                              ;   in Loop: Header=BB126_18 Depth=1
	ds_load_b64 v[6:7], v3 offset:5120
	s_wait_dscnt 0x0
	s_barrier_signal -1
	s_barrier_wait -1
	v_readfirstlane_b32 s10, v6
	v_readfirstlane_b32 s11, v7
	s_and_saveexec_b32 s4, s6
; %bb.327:                              ;   in Loop: Header=BB126_18 Depth=1
	ds_store_b8 v0, v3 offset:3072
; %bb.328:                              ;   in Loop: Header=BB126_18 Depth=1
	s_or_b32 exec_lo, exec_lo, s4
	s_lshl_b32 s4, 2, s72
	v_or_b32_e32 v31, s24, v31
	v_and_or_b32 v29, v29, s25, s4
	s_mov_b32 s23, -1
	s_mov_b32 s82, 0
	s_cmp_eq_u64 s[10:11], 0
	s_mov_b32 s20, 0
	s_mov_b32 s21, -1
	s_wait_dscnt 0x0
	s_barrier_signal -1
	s_barrier_wait -1
                                        ; implicit-def: $vgpr32
	s_cbranch_scc1 .LBB126_347
; %bb.329:                              ;   in Loop: Header=BB126_18 Depth=1
	s_add_nc_u64 s[18:19], s[10:11], s[74:75]
	s_delay_alu instid0(SALU_CYCLE_1) | instskip(NEXT) | instid1(SALU_CYCLE_1)
	s_and_b64 s[20:21], s[18:19], 0xffffffff00000000
	s_cmp_lg_u64 s[20:21], 0
	s_cbranch_scc0 .LBB126_388
; %bb.330:                              ;   in Loop: Header=BB126_18 Depth=1
	s_cvt_f32_u32 s4, s56
	s_sub_nc_u64 s[40:41], 0, s[56:57]
	s_delay_alu instid0(SALU_CYCLE_2) | instskip(NEXT) | instid1(SALU_CYCLE_3)
	s_fmamk_f32 s4, s71, 0x0, s4
	v_s_rcp_f32 s4, s4
	s_delay_alu instid0(TRANS32_DEP_1) | instskip(NEXT) | instid1(SALU_CYCLE_3)
	s_mul_f32 s4, s4, 0x5f7ffffc
	s_mul_f32 s20, s4, 0x2f800000
	s_delay_alu instid0(SALU_CYCLE_3) | instskip(NEXT) | instid1(SALU_CYCLE_3)
	s_trunc_f32 s20, s20
	s_fmamk_f32 s4, s20, 0xcf800000, s4
	s_cvt_u32_f32 s21, s20
	s_delay_alu instid0(SALU_CYCLE_2) | instskip(NEXT) | instid1(SALU_CYCLE_3)
	s_cvt_u32_f32 s20, s4
	s_mul_u64 s[42:43], s[40:41], s[20:21]
	s_delay_alu instid0(SALU_CYCLE_1)
	s_mul_hi_u32 s67, s20, s43
	s_mul_i32 s66, s20, s43
	s_mul_hi_u32 s28, s20, s42
	s_mul_i32 s60, s21, s42
	s_add_nc_u64 s[66:67], s[28:29], s[66:67]
	s_mul_hi_u32 s4, s21, s42
	s_mul_hi_u32 s61, s21, s43
	s_add_co_u32 s28, s66, s60
	s_add_co_ci_u32 s28, s67, s4
	s_mul_i32 s42, s21, s43
	s_add_co_ci_u32 s43, s61, 0
	s_delay_alu instid0(SALU_CYCLE_1) | instskip(NEXT) | instid1(SALU_CYCLE_1)
	s_add_nc_u64 s[42:43], s[28:29], s[42:43]
	s_add_co_u32 s20, s20, s42
	s_cselect_b32 s4, -1, 0
	s_delay_alu instid0(SALU_CYCLE_1) | instskip(SKIP_1) | instid1(SALU_CYCLE_1)
	s_cmp_lg_u32 s4, 0
	s_add_co_ci_u32 s21, s21, s43
	s_mul_u64 s[40:41], s[40:41], s[20:21]
	s_delay_alu instid0(SALU_CYCLE_1)
	s_mul_hi_u32 s43, s20, s41
	s_mul_i32 s42, s20, s41
	s_mul_hi_u32 s28, s20, s40
	s_mul_i32 s60, s21, s40
	s_add_nc_u64 s[42:43], s[28:29], s[42:43]
	s_mul_hi_u32 s4, s21, s40
	s_mul_hi_u32 s61, s21, s41
	s_add_co_u32 s28, s42, s60
	s_add_co_ci_u32 s28, s43, s4
	s_mul_i32 s40, s21, s41
	s_add_co_ci_u32 s41, s61, 0
	s_delay_alu instid0(SALU_CYCLE_1) | instskip(NEXT) | instid1(SALU_CYCLE_1)
	s_add_nc_u64 s[40:41], s[28:29], s[40:41]
	s_add_co_u32 s4, s20, s40
	s_cselect_b32 s20, -1, 0
	s_mul_hi_u32 s28, s18, s4
	s_cmp_lg_u32 s20, 0
	s_mul_hi_u32 s42, s19, s4
	s_add_co_ci_u32 s40, s21, s41
	s_mul_i32 s4, s19, s4
	s_mul_hi_u32 s21, s18, s40
	s_mul_i32 s20, s18, s40
	s_mul_hi_u32 s41, s19, s40
	s_add_nc_u64 s[20:21], s[28:29], s[20:21]
	s_mul_i32 s40, s19, s40
	s_add_co_u32 s4, s20, s4
	s_add_co_ci_u32 s28, s21, s42
	s_add_co_ci_u32 s41, s41, 0
	s_delay_alu instid0(SALU_CYCLE_1) | instskip(NEXT) | instid1(SALU_CYCLE_1)
	s_add_nc_u64 s[20:21], s[28:29], s[40:41]
	s_and_b64 s[40:41], s[20:21], 0xffffffff00000000
	s_delay_alu instid0(SALU_CYCLE_1) | instskip(NEXT) | instid1(SALU_CYCLE_1)
	s_or_b32 s40, s40, s20
	s_mul_u64 s[20:21], s[56:57], s[40:41]
	s_delay_alu instid0(SALU_CYCLE_1) | instskip(SKIP_1) | instid1(SALU_CYCLE_1)
	s_sub_co_u32 s4, s18, s20
	s_cselect_b32 s20, -1, 0
	s_cmp_lg_u32 s20, 0
	s_sub_co_ci_u32 s20, s19, s21
	s_sub_co_u32 s21, s4, s56
	s_cselect_b32 s28, -1, 0
	s_delay_alu instid0(SALU_CYCLE_1) | instskip(SKIP_3) | instid1(SALU_CYCLE_1)
	s_cmp_lg_u32 s28, 0
	s_sub_co_ci_u32 s28, s20, 0
	s_sub_co_u32 s40, s21, s56
	s_cselect_b32 s41, -1, 0
	s_cmp_lg_u32 s41, 0
	s_sub_co_ci_u32 s41, s28, 0
	s_cmp_ge_u32 s21, s56
	s_cselect_b32 s42, -1, 0
	s_cmp_eq_u32 s28, 0
	s_cselect_b32 s42, s42, -1
	s_delay_alu instid0(SALU_CYCLE_1)
	s_cmp_lg_u32 s42, 0
	s_cselect_b32 s28, s41, s28
	s_cselect_b32 s40, s40, s21
	s_cmp_ge_u32 s4, s56
	s_cselect_b32 s21, -1, 0
	s_cmp_eq_u32 s20, 0
	s_cselect_b32 s21, s21, -1
	s_delay_alu instid0(SALU_CYCLE_1)
	s_cmp_lg_u32 s21, 0
	s_cselect_b32 s21, s28, s20
	s_cselect_b32 s20, s40, s4
	s_cbranch_execnz .LBB126_332
.LBB126_331:                            ;   in Loop: Header=BB126_18 Depth=1
	v_cvt_f32_u32_e32 v6, s56
	s_sub_co_i32 s20, 0, s56
	s_delay_alu instid0(VALU_DEP_1) | instskip(SKIP_1) | instid1(TRANS32_DEP_1)
	v_rcp_iflag_f32_e32 v6, v6
	v_nop
	v_mul_f32_e32 v6, 0x4f7ffffe, v6
	s_delay_alu instid0(VALU_DEP_1) | instskip(NEXT) | instid1(VALU_DEP_1)
	v_cvt_u32_f32_e32 v6, v6
	v_readfirstlane_b32 s4, v6
	s_mul_i32 s20, s20, s4
	s_delay_alu instid0(SALU_CYCLE_1) | instskip(NEXT) | instid1(SALU_CYCLE_1)
	s_mul_hi_u32 s20, s4, s20
	s_add_co_i32 s4, s4, s20
	s_delay_alu instid0(SALU_CYCLE_1) | instskip(NEXT) | instid1(SALU_CYCLE_1)
	s_mul_hi_u32 s4, s18, s4
	s_mul_i32 s4, s4, s56
	s_delay_alu instid0(SALU_CYCLE_1) | instskip(NEXT) | instid1(SALU_CYCLE_1)
	s_sub_co_i32 s4, s18, s4
	s_sub_co_i32 s20, s4, s56
	s_cmp_ge_u32 s4, s56
	s_cselect_b32 s4, s20, s4
	s_delay_alu instid0(SALU_CYCLE_1) | instskip(SKIP_2) | instid1(SALU_CYCLE_1)
	s_sub_co_i32 s20, s4, s56
	s_cmp_ge_u32 s4, s56
	s_cselect_b32 s28, s20, s4
	s_mov_b64 s[20:21], s[28:29]
.LBB126_332:                            ;   in Loop: Header=BB126_18 Depth=1
	s_delay_alu instid0(SALU_CYCLE_1)
	s_sub_nc_u64 s[18:19], s[18:19], s[20:21]
	s_mov_b32 s21, 0
	s_mov_b32 s20, 0
	s_mov_b32 s28, exec_lo
                                        ; implicit-def: $vgpr32
	v_cmpx_gt_u64_e64 s[18:19], v[0:1]
	s_cbranch_execz .LBB126_346
; %bb.333:                              ;   in Loop: Header=BB126_18 Depth=1
	v_mov_b64_e32 v[6:7], v[0:1]
	v_mov_b32_e32 v8, v0
                                        ; implicit-def: $sgpr66
	s_branch .LBB126_336
.LBB126_334:                            ;   in Loop: Header=BB126_336 Depth=2
	s_or_b32 exec_lo, exec_lo, s67
	s_wait_dscnt 0x0
	s_barrier_signal -1
	s_barrier_wait -1
	ds_load_u16 v9, v3 offset:3072
	s_mov_b32 s4, -1
	s_mov_b32 s40, -1
	s_wait_dscnt 0x0
	s_barrier_signal -1
	s_barrier_wait -1
	v_and_b32_e32 v10, 0xff, v9
	s_delay_alu instid0(VALU_DEP_1)
	v_cmp_ne_u32_e32 vcc_lo, 0, v10
	s_cbranch_vccz .LBB126_339
.LBB126_335:                            ;   in Loop: Header=BB126_336 Depth=2
	s_and_b32 s4, exec_lo, s4
	s_delay_alu instid0(SALU_CYCLE_1) | instskip(SKIP_2) | instid1(SALU_CYCLE_1)
	s_or_b32 s20, s4, s20
	s_and_not1_b32 s4, s66, exec_lo
	s_and_b32 s40, s40, exec_lo
	s_or_b32 s66, s4, s40
	s_and_not1_b32 exec_lo, exec_lo, s20
	s_cbranch_execz .LBB126_345
.LBB126_336:                            ;   Parent Loop BB126_18 Depth=1
                                        ; =>  This Inner Loop Header: Depth=2
	s_mov_b32 s67, exec_lo
	s_delay_alu instid0(VALU_DEP_2)
	v_cmpx_gt_u64_e64 s[10:11], v[6:7]
	s_cbranch_execz .LBB126_334
; %bb.337:                              ;   in Loop: Header=BB126_336 Depth=2
	ds_load_u8 v9, v8
	s_wait_dscnt 0x0
	v_bitop3_b32 v10, v9, 0xff, v31 bitop3:0x80
	s_delay_alu instid0(VALU_DEP_1)
	v_cmp_eq_u32_e32 vcc_lo, v10, v29
	s_and_b32 exec_lo, exec_lo, vcc_lo
	s_cbranch_execz .LBB126_334
; %bb.338:                              ;   in Loop: Header=BB126_336 Depth=2
	v_lshlrev_b16 v9, 8, v9
	s_delay_alu instid0(VALU_DEP_1)
	v_or_b32_e32 v9, 1, v9
	ds_store_b16 v3, v9 offset:3072
	s_branch .LBB126_334
.LBB126_339:                            ;   in Loop: Header=BB126_336 Depth=2
	v_add_nc_u64_e32 v[6:7], s[56:57], v[6:7]
	v_add_nc_u32_e32 v8, s56, v8
	s_mov_b32 s40, 0
	s_delay_alu instid0(VALU_DEP_2)
	v_cmp_le_u64_e32 vcc_lo, s[18:19], v[6:7]
	s_or_not1_b32 s4, vcc_lo, exec_lo
	s_branch .LBB126_335
.LBB126_340:                            ;   in Loop: Header=BB126_18 Depth=1
                                        ; implicit-def: $sgpr22_sgpr23
	s_branch .LBB126_290
.LBB126_341:                            ;   in Loop: Header=BB126_18 Depth=1
                                        ; implicit-def: $sgpr10_sgpr11
	s_branch .LBB126_305
.LBB126_342:                            ;   in Loop: Header=BB126_18 Depth=1
	s_and_saveexec_b32 s4, s5
; %bb.343:                              ;   in Loop: Header=BB126_18 Depth=1
	v_mov_b64_e32 v[4:5], s[18:19]
	ds_store_b64 v3, v[4:5] offset:5128
; %bb.344:                              ;   in Loop: Header=BB126_18 Depth=1
	s_or_b32 exec_lo, exec_lo, s4
	s_wait_dscnt 0x0
	s_barrier_signal -1
	s_barrier_wait -1
	s_or_saveexec_b32 s10, s10
	v_mov_b32_e32 v2, 5
	s_xor_b32 exec_lo, exec_lo, s10
	s_cbranch_execnz .LBB126_322
	s_branch .LBB126_323
.LBB126_345:                            ;   in Loop: Header=BB126_18 Depth=1
	s_or_b32 exec_lo, exec_lo, s20
	v_and_b32_e32 v6, 0xffff, v9
	s_and_b32 s20, s66, exec_lo
	s_delay_alu instid0(VALU_DEP_1)
	v_lshrrev_b32_e32 v32, 8, v6
.LBB126_346:                            ;   in Loop: Header=BB126_18 Depth=1
	s_or_b32 exec_lo, exec_lo, s28
.LBB126_347:                            ;   in Loop: Header=BB126_18 Depth=1
	s_delay_alu instid0(SALU_CYCLE_1)
	s_and_b32 vcc_lo, exec_lo, s21
	s_cbranch_vccz .LBB126_361
; %bb.348:                              ;   in Loop: Header=BB126_18 Depth=1
	s_and_b64 s[10:11], s[76:77], 0xffffffff00000000
	s_delay_alu instid0(SALU_CYCLE_1)
	s_cmp_lg_u64 s[10:11], 0
	s_cbranch_scc0 .LBB126_389
; %bb.349:                              ;   in Loop: Header=BB126_18 Depth=1
	s_cvt_f32_u32 s4, s56
	s_sub_nc_u64 s[18:19], 0, s[56:57]
	s_delay_alu instid0(SALU_CYCLE_2) | instskip(NEXT) | instid1(SALU_CYCLE_3)
	s_fmamk_f32 s4, s71, 0x0, s4
	v_s_rcp_f32 s4, s4
	s_delay_alu instid0(TRANS32_DEP_1) | instskip(NEXT) | instid1(SALU_CYCLE_3)
	s_mul_f32 s4, s4, 0x5f7ffffc
	s_mul_f32 s10, s4, 0x2f800000
	s_delay_alu instid0(SALU_CYCLE_3) | instskip(NEXT) | instid1(SALU_CYCLE_3)
	s_trunc_f32 s10, s10
	s_fmamk_f32 s4, s10, 0xcf800000, s4
	s_cvt_u32_f32 s11, s10
	s_delay_alu instid0(SALU_CYCLE_2) | instskip(NEXT) | instid1(SALU_CYCLE_3)
	s_cvt_u32_f32 s10, s4
	s_mul_u64 s[40:41], s[18:19], s[10:11]
	s_delay_alu instid0(SALU_CYCLE_1)
	s_mul_hi_u32 s43, s10, s41
	s_mul_i32 s42, s10, s41
	s_mul_hi_u32 s28, s10, s40
	s_mul_i32 s21, s11, s40
	s_add_nc_u64 s[42:43], s[28:29], s[42:43]
	s_mul_hi_u32 s4, s11, s40
	s_mul_hi_u32 s23, s11, s41
	s_add_co_u32 s21, s42, s21
	s_add_co_ci_u32 s28, s43, s4
	s_mul_i32 s40, s11, s41
	s_add_co_ci_u32 s41, s23, 0
	s_delay_alu instid0(SALU_CYCLE_1) | instskip(NEXT) | instid1(SALU_CYCLE_1)
	s_add_nc_u64 s[40:41], s[28:29], s[40:41]
	s_add_co_u32 s10, s10, s40
	s_cselect_b32 s4, -1, 0
	s_delay_alu instid0(SALU_CYCLE_1) | instskip(SKIP_1) | instid1(SALU_CYCLE_1)
	s_cmp_lg_u32 s4, 0
	s_add_co_ci_u32 s11, s11, s41
	s_mul_u64 s[18:19], s[18:19], s[10:11]
	s_delay_alu instid0(SALU_CYCLE_1)
	s_mul_hi_u32 s41, s10, s19
	s_mul_i32 s40, s10, s19
	s_mul_hi_u32 s28, s10, s18
	s_mul_i32 s21, s11, s18
	s_add_nc_u64 s[40:41], s[28:29], s[40:41]
	s_mul_hi_u32 s4, s11, s18
	s_mul_hi_u32 s23, s11, s19
	s_mul_i32 s18, s11, s19
	s_add_co_u32 s19, s40, s21
	s_add_co_ci_u32 s28, s41, s4
	s_add_co_ci_u32 s19, s23, 0
	s_delay_alu instid0(SALU_CYCLE_1) | instskip(NEXT) | instid1(SALU_CYCLE_1)
	s_add_nc_u64 s[18:19], s[28:29], s[18:19]
	s_add_co_u32 s4, s10, s18
	s_cselect_b32 s10, -1, 0
	s_mul_hi_u32 s28, s76, s4
	s_cmp_lg_u32 s10, 0
	s_mul_hi_u32 s21, s77, s4
	s_add_co_ci_u32 s18, s11, s19
	s_mul_i32 s4, s77, s4
	s_mul_hi_u32 s11, s76, s18
	s_mul_i32 s10, s76, s18
	s_mul_hi_u32 s19, s77, s18
	s_add_nc_u64 s[10:11], s[28:29], s[10:11]
	s_mul_i32 s18, s77, s18
	s_add_co_u32 s4, s10, s4
	s_add_co_ci_u32 s28, s11, s21
	s_add_co_ci_u32 s19, s19, 0
	s_delay_alu instid0(SALU_CYCLE_1) | instskip(NEXT) | instid1(SALU_CYCLE_1)
	s_add_nc_u64 s[10:11], s[28:29], s[18:19]
	s_and_b64 s[18:19], s[10:11], 0xffffffff00000000
	s_delay_alu instid0(SALU_CYCLE_1) | instskip(NEXT) | instid1(SALU_CYCLE_1)
	s_or_b32 s18, s18, s10
	s_mul_u64 s[10:11], s[56:57], s[18:19]
	s_delay_alu instid0(SALU_CYCLE_1) | instskip(SKIP_1) | instid1(SALU_CYCLE_1)
	s_sub_co_u32 s4, s76, s10
	s_cselect_b32 s10, -1, 0
	s_cmp_lg_u32 s10, 0
	s_sub_co_ci_u32 s10, s77, s11
	s_sub_co_u32 s11, s4, s56
	s_cselect_b32 s18, -1, 0
	s_delay_alu instid0(SALU_CYCLE_1) | instskip(SKIP_3) | instid1(SALU_CYCLE_1)
	s_cmp_lg_u32 s18, 0
	s_sub_co_ci_u32 s18, s10, 0
	s_sub_co_u32 s19, s11, s56
	s_cselect_b32 s21, -1, 0
	s_cmp_lg_u32 s21, 0
	s_sub_co_ci_u32 s21, s18, 0
	s_cmp_ge_u32 s11, s56
	s_cselect_b32 s23, -1, 0
	s_cmp_eq_u32 s18, 0
	s_cselect_b32 s23, s23, -1
	s_delay_alu instid0(SALU_CYCLE_1)
	s_cmp_lg_u32 s23, 0
	s_cselect_b32 s18, s21, s18
	s_cselect_b32 s19, s19, s11
	s_cmp_ge_u32 s4, s56
	s_cselect_b32 s11, -1, 0
	s_cmp_eq_u32 s10, 0
	s_cselect_b32 s11, s11, -1
	s_delay_alu instid0(SALU_CYCLE_1)
	s_cmp_lg_u32 s11, 0
	s_cselect_b32 s11, s18, s10
	s_cselect_b32 s10, s19, s4
	s_cbranch_execnz .LBB126_351
.LBB126_350:                            ;   in Loop: Header=BB126_18 Depth=1
	v_cvt_f32_u32_e32 v6, s56
	s_sub_co_i32 s10, 0, s56
	s_delay_alu instid0(VALU_DEP_1) | instskip(SKIP_1) | instid1(TRANS32_DEP_1)
	v_rcp_iflag_f32_e32 v6, v6
	v_nop
	v_mul_f32_e32 v6, 0x4f7ffffe, v6
	s_delay_alu instid0(VALU_DEP_1) | instskip(NEXT) | instid1(VALU_DEP_1)
	v_cvt_u32_f32_e32 v6, v6
	v_readfirstlane_b32 s4, v6
	s_mul_i32 s10, s10, s4
	s_delay_alu instid0(SALU_CYCLE_1) | instskip(NEXT) | instid1(SALU_CYCLE_1)
	s_mul_hi_u32 s10, s4, s10
	s_add_co_i32 s4, s4, s10
	s_delay_alu instid0(SALU_CYCLE_1) | instskip(NEXT) | instid1(SALU_CYCLE_1)
	s_mul_hi_u32 s4, s76, s4
	s_mul_i32 s4, s4, s56
	s_delay_alu instid0(SALU_CYCLE_1) | instskip(NEXT) | instid1(SALU_CYCLE_1)
	s_sub_co_i32 s4, s76, s4
	s_sub_co_i32 s10, s4, s56
	s_cmp_ge_u32 s4, s56
	s_cselect_b32 s4, s10, s4
	s_delay_alu instid0(SALU_CYCLE_1) | instskip(SKIP_2) | instid1(SALU_CYCLE_1)
	s_sub_co_i32 s10, s4, s56
	s_cmp_ge_u32 s4, s56
	s_cselect_b32 s28, s10, s4
	s_mov_b64 s[10:11], s[28:29]
.LBB126_351:                            ;   in Loop: Header=BB126_18 Depth=1
	s_delay_alu instid0(SALU_CYCLE_1)
	s_sub_nc_u64 s[10:11], s[76:77], s[10:11]
	s_mov_b32 s18, exec_lo
                                        ; implicit-def: $vgpr32
	v_cmpx_gt_u64_e64 s[10:11], v[0:1]
	s_cbranch_execz .LBB126_360
; %bb.352:                              ;   in Loop: Header=BB126_18 Depth=1
	v_mov_b64_e32 v[6:7], v[0:1]
	s_mov_b32 s19, 0
                                        ; implicit-def: $sgpr21
	s_branch .LBB126_355
.LBB126_353:                            ;   in Loop: Header=BB126_355 Depth=2
	s_or_b32 exec_lo, exec_lo, s23
	s_wait_dscnt 0x0
	s_barrier_signal -1
	s_barrier_wait -1
	ds_load_u16 v8, v3 offset:3072
	s_mov_b32 s23, -1
	s_mov_b32 s4, -1
	s_wait_dscnt 0x0
	s_barrier_signal -1
	s_barrier_wait -1
	v_and_b32_e32 v9, 0xff, v8
	s_delay_alu instid0(VALU_DEP_1)
	v_cmp_eq_u32_e32 vcc_lo, 0, v9
	s_cbranch_vccnz .LBB126_358
.LBB126_354:                            ;   in Loop: Header=BB126_355 Depth=2
	s_and_b32 s23, exec_lo, s23
	s_delay_alu instid0(SALU_CYCLE_1) | instskip(SKIP_2) | instid1(SALU_CYCLE_1)
	s_or_b32 s19, s23, s19
	s_and_not1_b32 s21, s21, exec_lo
	s_and_b32 s4, s4, exec_lo
	s_or_b32 s21, s21, s4
	s_and_not1_b32 exec_lo, exec_lo, s19
	s_cbranch_execz .LBB126_359
.LBB126_355:                            ;   Parent Loop BB126_18 Depth=1
                                        ; =>  This Inner Loop Header: Depth=2
	s_mov_b32 s23, exec_lo
	s_delay_alu instid0(VALU_DEP_1)
	v_cmpx_gt_u64_e64 s[36:37], v[6:7]
	s_cbranch_execz .LBB126_353
; %bb.356:                              ;   in Loop: Header=BB126_355 Depth=2
	v_mad_nc_u64_u32 v[8:9], v6, s30, s[34:35]
	s_delay_alu instid0(VALU_DEP_1) | instskip(NEXT) | instid1(VALU_DEP_1)
	v_mad_u32 v9, v7, s30, v9
	v_mad_u32 v9, v6, s31, v9
	global_load_u8 v8, v[8:9], off
	s_wait_loadcnt 0x0
	v_bitop3_b32 v9, v8, 0xff, v31 bitop3:0x80
	s_delay_alu instid0(VALU_DEP_1)
	v_cmp_eq_u32_e32 vcc_lo, v9, v29
	s_and_b32 exec_lo, exec_lo, vcc_lo
	s_cbranch_execz .LBB126_353
; %bb.357:                              ;   in Loop: Header=BB126_355 Depth=2
	v_lshlrev_b16 v8, 8, v8
	s_delay_alu instid0(VALU_DEP_1)
	v_or_b32_e32 v8, 1, v8
	ds_store_b16 v3, v8 offset:3072
	s_branch .LBB126_353
.LBB126_358:                            ;   in Loop: Header=BB126_355 Depth=2
	v_add_nc_u64_e32 v[6:7], s[56:57], v[6:7]
	s_mov_b32 s4, 0
	s_delay_alu instid0(VALU_DEP_1)
	v_cmp_le_u64_e32 vcc_lo, s[10:11], v[6:7]
	s_or_not1_b32 s23, vcc_lo, exec_lo
	s_branch .LBB126_354
.LBB126_359:                            ;   in Loop: Header=BB126_18 Depth=1
	s_or_b32 exec_lo, exec_lo, s19
	v_and_b32_e32 v6, 0xffff, v8
	s_and_not1_b32 s4, s20, exec_lo
	s_and_b32 s10, s21, exec_lo
	s_delay_alu instid0(SALU_CYCLE_1) | instskip(NEXT) | instid1(VALU_DEP_1)
	s_or_b32 s20, s4, s10
	v_lshrrev_b32_e32 v32, 8, v6
.LBB126_360:                            ;   in Loop: Header=BB126_18 Depth=1
	s_or_b32 exec_lo, exec_lo, s18
	s_mov_b32 s23, 0
	s_mov_b32 s82, -1
.LBB126_361:                            ;   in Loop: Header=BB126_18 Depth=1
	s_or_not1_b32 s10, s20, exec_lo
.LBB126_362:                            ;   in Loop: Header=BB126_18 Depth=1
	s_or_b32 exec_lo, exec_lo, s85
	s_mov_b32 s11, 0
	s_and_saveexec_b32 s20, s10
	s_cbranch_execz .LBB126_471
; %bb.363:                              ;   in Loop: Header=BB126_18 Depth=1
	v_mov_b64_e32 v[6:7], 1
	v_mov_b32_e32 v2, 1
	s_xor_b32 s4, s83, -1
	s_delay_alu instid0(SALU_CYCLE_1)
	s_and_saveexec_b32 s10, s4
	s_cbranch_execz .LBB126_372
; %bb.364:                              ;   in Loop: Header=BB126_18 Depth=1
	s_mov_b32 s4, exec_lo
	v_cmpx_ge_u64_e64 s[16:17], v[4:5]
	s_xor_b32 s11, exec_lo, s4
	s_cbranch_execz .LBB126_369
; %bb.365:                              ;   in Loop: Header=BB126_18 Depth=1
	ds_load_b64 v[6:7], v3 offset:5120
	s_lshl_b32 s4, 2, s72
	v_or_b32_e32 v31, s24, v31
	v_and_or_b32 v29, v29, s25, s4
	s_wait_dscnt 0x0
	v_cmp_ne_u64_e32 vcc_lo, 0, v[6:7]
	s_cbranch_vccnz .LBB126_369
; %bb.366:                              ;   in Loop: Header=BB126_18 Depth=1
	s_and_saveexec_b32 s4, s5
; %bb.367:                              ;   in Loop: Header=BB126_18 Depth=1
	v_mov_b64_e32 v[6:7], s[16:17]
	ds_store_b64 v3, v[6:7] offset:5128
; %bb.368:                              ;   in Loop: Header=BB126_18 Depth=1
	s_or_b32 exec_lo, exec_lo, s4
	s_wait_dscnt 0x0
	s_barrier_signal -1
	s_barrier_wait -1
.LBB126_369:                            ;   in Loop: Header=BB126_18 Depth=1
	s_or_saveexec_b32 s11, s11
	v_mov_b32_e32 v2, 5
	s_mov_b32 s18, 0
	s_xor_b32 exec_lo, exec_lo, s11
; %bb.370:                              ;   in Loop: Header=BB126_18 Depth=1
	v_sub_nc_u64_e64 v[4:5], v[4:5], s[16:17]
	v_mov_b32_e32 v2, 0
	s_mov_b32 s18, exec_lo
; %bb.371:                              ;   in Loop: Header=BB126_18 Depth=1
	s_or_b32 exec_lo, exec_lo, s11
	s_delay_alu instid0(VALU_DEP_2)
	v_mov_b64_e32 v[6:7], v[4:5]
	s_and_b32 s11, s18, exec_lo
.LBB126_372:                            ;   in Loop: Header=BB126_18 Depth=1
	s_or_b32 exec_lo, exec_lo, s10
	s_mov_b32 s10, -1
                                        ; implicit-def: $sgpr83
                                        ; implicit-def: $sgpr85
	s_and_saveexec_b32 s21, s11
	s_cbranch_execz .LBB126_470
; %bb.373:                              ;   in Loop: Header=BB126_18 Depth=1
	s_delay_alu instid0(VALU_DEP_1) | instskip(SKIP_2) | instid1(SALU_CYCLE_1)
	v_cmp_eq_u64_e32 vcc_lo, 1, v[6:7]
	s_cmp_eq_u64 s[14:15], 1
                                        ; implicit-def: $sgpr85
                                        ; implicit-def: $sgpr83
	s_cselect_b32 s4, -1, 0
	s_and_b32 s86, s4, vcc_lo
	s_delay_alu instid0(SALU_CYCLE_1)
	s_and_saveexec_b32 s87, s86
	s_cbranch_execz .LBB126_407
; %bb.374:                              ;   in Loop: Header=BB126_18 Depth=1
	ds_load_b64 v[4:5], v3 offset:5120
	s_wait_dscnt 0x0
	s_barrier_signal -1
	s_barrier_wait -1
	v_readfirstlane_b32 s10, v4
	v_readfirstlane_b32 s11, v5
	s_and_saveexec_b32 s4, s6
; %bb.375:                              ;   in Loop: Header=BB126_18 Depth=1
	ds_store_b8 v0, v3 offset:3072
; %bb.376:                              ;   in Loop: Header=BB126_18 Depth=1
	s_or_b32 exec_lo, exec_lo, s4
	s_lshl_b32 s4, 1, s72
	v_or_b32_e32 v31, s24, v31
	v_and_or_b32 v29, v29, s25, s4
	s_mov_b32 s83, -1
	s_mov_b32 s85, 0
	s_cmp_eq_u64 s[10:11], 0
	s_mov_b32 s18, 0
	s_mov_b32 s19, -1
	s_wait_dscnt 0x0
	s_barrier_signal -1
	s_barrier_wait -1
                                        ; implicit-def: $vgpr32
	s_cbranch_scc1 .LBB126_392
; %bb.377:                              ;   in Loop: Header=BB126_18 Depth=1
	s_add_nc_u64 s[16:17], s[10:11], s[74:75]
	s_delay_alu instid0(SALU_CYCLE_1) | instskip(NEXT) | instid1(SALU_CYCLE_1)
	s_and_b64 s[18:19], s[16:17], 0xffffffff00000000
	s_cmp_lg_u64 s[18:19], 0
	s_cbranch_scc0 .LBB126_424
; %bb.378:                              ;   in Loop: Header=BB126_18 Depth=1
	s_cvt_f32_u32 s4, s56
	s_sub_nc_u64 s[40:41], 0, s[56:57]
	s_delay_alu instid0(SALU_CYCLE_2) | instskip(NEXT) | instid1(SALU_CYCLE_3)
	s_fmamk_f32 s4, s71, 0x0, s4
	v_s_rcp_f32 s4, s4
	s_delay_alu instid0(TRANS32_DEP_1) | instskip(NEXT) | instid1(SALU_CYCLE_3)
	s_mul_f32 s4, s4, 0x5f7ffffc
	s_mul_f32 s18, s4, 0x2f800000
	s_delay_alu instid0(SALU_CYCLE_3) | instskip(NEXT) | instid1(SALU_CYCLE_3)
	s_trunc_f32 s18, s18
	s_fmamk_f32 s4, s18, 0xcf800000, s4
	s_cvt_u32_f32 s19, s18
	s_delay_alu instid0(SALU_CYCLE_2) | instskip(NEXT) | instid1(SALU_CYCLE_3)
	s_cvt_u32_f32 s18, s4
	s_mul_u64 s[42:43], s[40:41], s[18:19]
	s_delay_alu instid0(SALU_CYCLE_1)
	s_mul_hi_u32 s67, s18, s43
	s_mul_i32 s66, s18, s43
	s_mul_hi_u32 s28, s18, s42
	s_mul_i32 s60, s19, s42
	s_add_nc_u64 s[66:67], s[28:29], s[66:67]
	s_mul_hi_u32 s4, s19, s42
	s_mul_hi_u32 s61, s19, s43
	s_add_co_u32 s28, s66, s60
	s_add_co_ci_u32 s28, s67, s4
	s_mul_i32 s42, s19, s43
	s_add_co_ci_u32 s43, s61, 0
	s_delay_alu instid0(SALU_CYCLE_1) | instskip(NEXT) | instid1(SALU_CYCLE_1)
	s_add_nc_u64 s[42:43], s[28:29], s[42:43]
	s_add_co_u32 s18, s18, s42
	s_cselect_b32 s4, -1, 0
	s_delay_alu instid0(SALU_CYCLE_1) | instskip(SKIP_1) | instid1(SALU_CYCLE_1)
	s_cmp_lg_u32 s4, 0
	s_add_co_ci_u32 s19, s19, s43
	s_mul_u64 s[40:41], s[40:41], s[18:19]
	s_delay_alu instid0(SALU_CYCLE_1)
	s_mul_hi_u32 s43, s18, s41
	s_mul_i32 s42, s18, s41
	s_mul_hi_u32 s28, s18, s40
	s_mul_i32 s60, s19, s40
	s_add_nc_u64 s[42:43], s[28:29], s[42:43]
	s_mul_hi_u32 s4, s19, s40
	s_mul_hi_u32 s61, s19, s41
	s_add_co_u32 s28, s42, s60
	s_add_co_ci_u32 s28, s43, s4
	s_mul_i32 s40, s19, s41
	s_add_co_ci_u32 s41, s61, 0
	s_delay_alu instid0(SALU_CYCLE_1) | instskip(NEXT) | instid1(SALU_CYCLE_1)
	s_add_nc_u64 s[40:41], s[28:29], s[40:41]
	s_add_co_u32 s4, s18, s40
	s_cselect_b32 s18, -1, 0
	s_mul_hi_u32 s28, s16, s4
	s_cmp_lg_u32 s18, 0
	s_mul_hi_u32 s42, s17, s4
	s_add_co_ci_u32 s40, s19, s41
	s_mul_i32 s4, s17, s4
	s_mul_hi_u32 s19, s16, s40
	s_mul_i32 s18, s16, s40
	s_mul_hi_u32 s41, s17, s40
	s_add_nc_u64 s[18:19], s[28:29], s[18:19]
	s_mul_i32 s40, s17, s40
	s_add_co_u32 s4, s18, s4
	s_add_co_ci_u32 s28, s19, s42
	s_add_co_ci_u32 s41, s41, 0
	s_delay_alu instid0(SALU_CYCLE_1) | instskip(NEXT) | instid1(SALU_CYCLE_1)
	s_add_nc_u64 s[18:19], s[28:29], s[40:41]
	s_and_b64 s[40:41], s[18:19], 0xffffffff00000000
	s_delay_alu instid0(SALU_CYCLE_1) | instskip(NEXT) | instid1(SALU_CYCLE_1)
	s_or_b32 s40, s40, s18
	s_mul_u64 s[18:19], s[56:57], s[40:41]
	s_delay_alu instid0(SALU_CYCLE_1) | instskip(SKIP_1) | instid1(SALU_CYCLE_1)
	s_sub_co_u32 s4, s16, s18
	s_cselect_b32 s18, -1, 0
	s_cmp_lg_u32 s18, 0
	s_sub_co_ci_u32 s18, s17, s19
	s_sub_co_u32 s19, s4, s56
	s_cselect_b32 s28, -1, 0
	s_delay_alu instid0(SALU_CYCLE_1) | instskip(SKIP_3) | instid1(SALU_CYCLE_1)
	s_cmp_lg_u32 s28, 0
	s_sub_co_ci_u32 s28, s18, 0
	s_sub_co_u32 s40, s19, s56
	s_cselect_b32 s41, -1, 0
	s_cmp_lg_u32 s41, 0
	s_sub_co_ci_u32 s41, s28, 0
	s_cmp_ge_u32 s19, s56
	s_cselect_b32 s42, -1, 0
	s_cmp_eq_u32 s28, 0
	s_cselect_b32 s42, s42, -1
	s_delay_alu instid0(SALU_CYCLE_1)
	s_cmp_lg_u32 s42, 0
	s_cselect_b32 s28, s41, s28
	s_cselect_b32 s40, s40, s19
	s_cmp_ge_u32 s4, s56
	s_cselect_b32 s19, -1, 0
	s_cmp_eq_u32 s18, 0
	s_cselect_b32 s19, s19, -1
	s_delay_alu instid0(SALU_CYCLE_1)
	s_cmp_lg_u32 s19, 0
	s_cselect_b32 s19, s28, s18
	s_cselect_b32 s18, s40, s4
	s_cbranch_execnz .LBB126_380
.LBB126_379:                            ;   in Loop: Header=BB126_18 Depth=1
	v_cvt_f32_u32_e32 v4, s56
	s_sub_co_i32 s18, 0, s56
	s_delay_alu instid0(VALU_DEP_1) | instskip(SKIP_1) | instid1(TRANS32_DEP_1)
	v_rcp_iflag_f32_e32 v4, v4
	v_nop
	v_mul_f32_e32 v4, 0x4f7ffffe, v4
	s_delay_alu instid0(VALU_DEP_1) | instskip(NEXT) | instid1(VALU_DEP_1)
	v_cvt_u32_f32_e32 v4, v4
	v_readfirstlane_b32 s4, v4
	s_mul_i32 s18, s18, s4
	s_delay_alu instid0(SALU_CYCLE_1) | instskip(NEXT) | instid1(SALU_CYCLE_1)
	s_mul_hi_u32 s18, s4, s18
	s_add_co_i32 s4, s4, s18
	s_delay_alu instid0(SALU_CYCLE_1) | instskip(NEXT) | instid1(SALU_CYCLE_1)
	s_mul_hi_u32 s4, s16, s4
	s_mul_i32 s4, s4, s56
	s_delay_alu instid0(SALU_CYCLE_1) | instskip(NEXT) | instid1(SALU_CYCLE_1)
	s_sub_co_i32 s4, s16, s4
	s_sub_co_i32 s18, s4, s56
	s_cmp_ge_u32 s4, s56
	s_cselect_b32 s4, s18, s4
	s_delay_alu instid0(SALU_CYCLE_1) | instskip(SKIP_2) | instid1(SALU_CYCLE_1)
	s_sub_co_i32 s18, s4, s56
	s_cmp_ge_u32 s4, s56
	s_cselect_b32 s28, s18, s4
	s_mov_b64 s[18:19], s[28:29]
.LBB126_380:                            ;   in Loop: Header=BB126_18 Depth=1
	s_delay_alu instid0(SALU_CYCLE_1)
	s_sub_nc_u64 s[16:17], s[16:17], s[18:19]
	s_mov_b32 s19, 0
	s_mov_b32 s18, 0
	s_mov_b32 s28, exec_lo
                                        ; implicit-def: $vgpr32
	v_cmpx_gt_u64_e64 s[16:17], v[0:1]
	s_cbranch_execz .LBB126_391
; %bb.381:                              ;   in Loop: Header=BB126_18 Depth=1
	v_mov_b64_e32 v[4:5], v[0:1]
	v_mov_b32_e32 v8, v0
                                        ; implicit-def: $sgpr66
	s_branch .LBB126_384
.LBB126_382:                            ;   in Loop: Header=BB126_384 Depth=2
	s_or_b32 exec_lo, exec_lo, s67
	s_wait_dscnt 0x0
	s_barrier_signal -1
	s_barrier_wait -1
	ds_load_u16 v9, v3 offset:3072
	s_mov_b32 s4, -1
	s_mov_b32 s40, -1
	s_wait_dscnt 0x0
	s_barrier_signal -1
	s_barrier_wait -1
	v_and_b32_e32 v10, 0xff, v9
	s_delay_alu instid0(VALU_DEP_1)
	v_cmp_ne_u32_e32 vcc_lo, 0, v10
	s_cbranch_vccz .LBB126_387
.LBB126_383:                            ;   in Loop: Header=BB126_384 Depth=2
	s_and_b32 s4, exec_lo, s4
	s_delay_alu instid0(SALU_CYCLE_1) | instskip(SKIP_2) | instid1(SALU_CYCLE_1)
	s_or_b32 s18, s4, s18
	s_and_not1_b32 s4, s66, exec_lo
	s_and_b32 s40, s40, exec_lo
	s_or_b32 s66, s4, s40
	s_and_not1_b32 exec_lo, exec_lo, s18
	s_cbranch_execz .LBB126_390
.LBB126_384:                            ;   Parent Loop BB126_18 Depth=1
                                        ; =>  This Inner Loop Header: Depth=2
	s_mov_b32 s67, exec_lo
	s_delay_alu instid0(VALU_DEP_2)
	v_cmpx_gt_u64_e64 s[10:11], v[4:5]
	s_cbranch_execz .LBB126_382
; %bb.385:                              ;   in Loop: Header=BB126_384 Depth=2
	ds_load_u8 v9, v8
	s_wait_dscnt 0x0
	v_bitop3_b32 v10, v9, 0xff, v31 bitop3:0x80
	s_delay_alu instid0(VALU_DEP_1)
	v_cmp_eq_u32_e32 vcc_lo, v10, v29
	s_and_b32 exec_lo, exec_lo, vcc_lo
	s_cbranch_execz .LBB126_382
; %bb.386:                              ;   in Loop: Header=BB126_384 Depth=2
	v_lshlrev_b16 v9, 8, v9
	s_delay_alu instid0(VALU_DEP_1)
	v_or_b32_e32 v9, 1, v9
	ds_store_b16 v3, v9 offset:3072
	s_branch .LBB126_382
.LBB126_387:                            ;   in Loop: Header=BB126_384 Depth=2
	v_add_nc_u64_e32 v[4:5], s[56:57], v[4:5]
	v_add_nc_u32_e32 v8, s56, v8
	s_mov_b32 s40, 0
	s_delay_alu instid0(VALU_DEP_2)
	v_cmp_le_u64_e32 vcc_lo, s[16:17], v[4:5]
	s_or_not1_b32 s4, vcc_lo, exec_lo
	s_branch .LBB126_383
.LBB126_388:                            ;   in Loop: Header=BB126_18 Depth=1
                                        ; implicit-def: $sgpr20_sgpr21
	s_branch .LBB126_331
.LBB126_389:                            ;   in Loop: Header=BB126_18 Depth=1
                                        ; implicit-def: $sgpr10_sgpr11
	s_branch .LBB126_350
.LBB126_390:                            ;   in Loop: Header=BB126_18 Depth=1
	s_or_b32 exec_lo, exec_lo, s18
	v_and_b32_e32 v4, 0xffff, v9
	s_and_b32 s18, s66, exec_lo
	s_delay_alu instid0(VALU_DEP_1)
	v_lshrrev_b32_e32 v32, 8, v4
.LBB126_391:                            ;   in Loop: Header=BB126_18 Depth=1
	s_or_b32 exec_lo, exec_lo, s28
.LBB126_392:                            ;   in Loop: Header=BB126_18 Depth=1
	s_delay_alu instid0(SALU_CYCLE_1)
	s_and_b32 vcc_lo, exec_lo, s19
	s_cbranch_vccz .LBB126_406
; %bb.393:                              ;   in Loop: Header=BB126_18 Depth=1
	s_and_b64 s[10:11], s[76:77], 0xffffffff00000000
	s_delay_alu instid0(SALU_CYCLE_1)
	s_cmp_lg_u64 s[10:11], 0
	s_cbranch_scc0 .LBB126_425
; %bb.394:                              ;   in Loop: Header=BB126_18 Depth=1
	s_cvt_f32_u32 s4, s56
	s_sub_nc_u64 s[16:17], 0, s[56:57]
	s_delay_alu instid0(SALU_CYCLE_2) | instskip(NEXT) | instid1(SALU_CYCLE_3)
	s_fmamk_f32 s4, s71, 0x0, s4
	v_s_rcp_f32 s4, s4
	s_delay_alu instid0(TRANS32_DEP_1) | instskip(NEXT) | instid1(SALU_CYCLE_3)
	s_mul_f32 s4, s4, 0x5f7ffffc
	s_mul_f32 s10, s4, 0x2f800000
	s_delay_alu instid0(SALU_CYCLE_3) | instskip(NEXT) | instid1(SALU_CYCLE_3)
	s_trunc_f32 s10, s10
	s_fmamk_f32 s4, s10, 0xcf800000, s4
	s_cvt_u32_f32 s11, s10
	s_delay_alu instid0(SALU_CYCLE_2) | instskip(NEXT) | instid1(SALU_CYCLE_3)
	s_cvt_u32_f32 s10, s4
	s_mul_u64 s[40:41], s[16:17], s[10:11]
	s_delay_alu instid0(SALU_CYCLE_1)
	s_mul_hi_u32 s43, s10, s41
	s_mul_i32 s42, s10, s41
	s_mul_hi_u32 s28, s10, s40
	s_mul_i32 s19, s11, s40
	s_add_nc_u64 s[42:43], s[28:29], s[42:43]
	s_mul_hi_u32 s4, s11, s40
	s_mul_hi_u32 s60, s11, s41
	s_add_co_u32 s19, s42, s19
	s_add_co_ci_u32 s28, s43, s4
	s_mul_i32 s40, s11, s41
	s_add_co_ci_u32 s41, s60, 0
	s_delay_alu instid0(SALU_CYCLE_1) | instskip(NEXT) | instid1(SALU_CYCLE_1)
	s_add_nc_u64 s[40:41], s[28:29], s[40:41]
	s_add_co_u32 s10, s10, s40
	s_cselect_b32 s4, -1, 0
	s_delay_alu instid0(SALU_CYCLE_1) | instskip(SKIP_1) | instid1(SALU_CYCLE_1)
	s_cmp_lg_u32 s4, 0
	s_add_co_ci_u32 s11, s11, s41
	s_mul_u64 s[16:17], s[16:17], s[10:11]
	s_delay_alu instid0(SALU_CYCLE_1)
	s_mul_hi_u32 s41, s10, s17
	s_mul_i32 s40, s10, s17
	s_mul_hi_u32 s28, s10, s16
	s_mul_i32 s19, s11, s16
	s_add_nc_u64 s[40:41], s[28:29], s[40:41]
	s_mul_hi_u32 s4, s11, s16
	s_mul_hi_u32 s42, s11, s17
	s_mul_i32 s16, s11, s17
	s_add_co_u32 s17, s40, s19
	s_add_co_ci_u32 s28, s41, s4
	s_add_co_ci_u32 s17, s42, 0
	s_delay_alu instid0(SALU_CYCLE_1) | instskip(NEXT) | instid1(SALU_CYCLE_1)
	s_add_nc_u64 s[16:17], s[28:29], s[16:17]
	s_add_co_u32 s4, s10, s16
	s_cselect_b32 s10, -1, 0
	s_mul_hi_u32 s28, s76, s4
	s_cmp_lg_u32 s10, 0
	s_mul_hi_u32 s19, s77, s4
	s_add_co_ci_u32 s16, s11, s17
	s_mul_i32 s4, s77, s4
	s_mul_hi_u32 s11, s76, s16
	s_mul_i32 s10, s76, s16
	s_mul_hi_u32 s17, s77, s16
	s_add_nc_u64 s[10:11], s[28:29], s[10:11]
	s_mul_i32 s16, s77, s16
	s_add_co_u32 s4, s10, s4
	s_add_co_ci_u32 s28, s11, s19
	s_add_co_ci_u32 s17, s17, 0
	s_delay_alu instid0(SALU_CYCLE_1) | instskip(NEXT) | instid1(SALU_CYCLE_1)
	s_add_nc_u64 s[10:11], s[28:29], s[16:17]
	s_and_b64 s[16:17], s[10:11], 0xffffffff00000000
	s_delay_alu instid0(SALU_CYCLE_1) | instskip(NEXT) | instid1(SALU_CYCLE_1)
	s_or_b32 s16, s16, s10
	s_mul_u64 s[10:11], s[56:57], s[16:17]
	s_delay_alu instid0(SALU_CYCLE_1) | instskip(SKIP_1) | instid1(SALU_CYCLE_1)
	s_sub_co_u32 s4, s76, s10
	s_cselect_b32 s10, -1, 0
	s_cmp_lg_u32 s10, 0
	s_sub_co_ci_u32 s10, s77, s11
	s_sub_co_u32 s11, s4, s56
	s_cselect_b32 s16, -1, 0
	s_delay_alu instid0(SALU_CYCLE_1) | instskip(SKIP_3) | instid1(SALU_CYCLE_1)
	s_cmp_lg_u32 s16, 0
	s_sub_co_ci_u32 s16, s10, 0
	s_sub_co_u32 s17, s11, s56
	s_cselect_b32 s19, -1, 0
	s_cmp_lg_u32 s19, 0
	s_sub_co_ci_u32 s19, s16, 0
	s_cmp_ge_u32 s11, s56
	s_cselect_b32 s28, -1, 0
	s_cmp_eq_u32 s16, 0
	s_cselect_b32 s28, s28, -1
	s_delay_alu instid0(SALU_CYCLE_1)
	s_cmp_lg_u32 s28, 0
	s_cselect_b32 s16, s19, s16
	s_cselect_b32 s17, s17, s11
	s_cmp_ge_u32 s4, s56
	s_cselect_b32 s11, -1, 0
	s_cmp_eq_u32 s10, 0
	s_cselect_b32 s11, s11, -1
	s_delay_alu instid0(SALU_CYCLE_1)
	s_cmp_lg_u32 s11, 0
	s_cselect_b32 s11, s16, s10
	s_cselect_b32 s10, s17, s4
	s_cbranch_execnz .LBB126_396
.LBB126_395:                            ;   in Loop: Header=BB126_18 Depth=1
	v_cvt_f32_u32_e32 v4, s56
	s_sub_co_i32 s10, 0, s56
	s_delay_alu instid0(VALU_DEP_1) | instskip(SKIP_1) | instid1(TRANS32_DEP_1)
	v_rcp_iflag_f32_e32 v4, v4
	v_nop
	v_mul_f32_e32 v4, 0x4f7ffffe, v4
	s_delay_alu instid0(VALU_DEP_1) | instskip(NEXT) | instid1(VALU_DEP_1)
	v_cvt_u32_f32_e32 v4, v4
	v_readfirstlane_b32 s4, v4
	s_mul_i32 s10, s10, s4
	s_delay_alu instid0(SALU_CYCLE_1) | instskip(NEXT) | instid1(SALU_CYCLE_1)
	s_mul_hi_u32 s10, s4, s10
	s_add_co_i32 s4, s4, s10
	s_delay_alu instid0(SALU_CYCLE_1) | instskip(NEXT) | instid1(SALU_CYCLE_1)
	s_mul_hi_u32 s4, s76, s4
	s_mul_i32 s4, s4, s56
	s_delay_alu instid0(SALU_CYCLE_1) | instskip(NEXT) | instid1(SALU_CYCLE_1)
	s_sub_co_i32 s4, s76, s4
	s_sub_co_i32 s10, s4, s56
	s_cmp_ge_u32 s4, s56
	s_cselect_b32 s4, s10, s4
	s_delay_alu instid0(SALU_CYCLE_1) | instskip(SKIP_2) | instid1(SALU_CYCLE_1)
	s_sub_co_i32 s10, s4, s56
	s_cmp_ge_u32 s4, s56
	s_cselect_b32 s28, s10, s4
	s_mov_b64 s[10:11], s[28:29]
.LBB126_396:                            ;   in Loop: Header=BB126_18 Depth=1
	s_delay_alu instid0(SALU_CYCLE_1)
	s_sub_nc_u64 s[10:11], s[76:77], s[10:11]
	s_mov_b32 s16, exec_lo
                                        ; implicit-def: $vgpr32
	v_cmpx_gt_u64_e64 s[10:11], v[0:1]
	s_cbranch_execz .LBB126_405
; %bb.397:                              ;   in Loop: Header=BB126_18 Depth=1
	v_mov_b64_e32 v[4:5], v[0:1]
	s_mov_b32 s17, 0
                                        ; implicit-def: $sgpr19
	s_branch .LBB126_400
.LBB126_398:                            ;   in Loop: Header=BB126_400 Depth=2
	s_or_b32 exec_lo, exec_lo, s28
	s_wait_dscnt 0x0
	s_barrier_signal -1
	s_barrier_wait -1
	ds_load_u16 v8, v3 offset:3072
	s_mov_b32 s28, -1
	s_mov_b32 s4, -1
	s_wait_dscnt 0x0
	s_barrier_signal -1
	s_barrier_wait -1
	v_and_b32_e32 v9, 0xff, v8
	s_delay_alu instid0(VALU_DEP_1)
	v_cmp_eq_u32_e32 vcc_lo, 0, v9
	s_cbranch_vccnz .LBB126_403
.LBB126_399:                            ;   in Loop: Header=BB126_400 Depth=2
	s_and_b32 s28, exec_lo, s28
	s_delay_alu instid0(SALU_CYCLE_1) | instskip(SKIP_2) | instid1(SALU_CYCLE_1)
	s_or_b32 s17, s28, s17
	s_and_not1_b32 s19, s19, exec_lo
	s_and_b32 s4, s4, exec_lo
	s_or_b32 s19, s19, s4
	s_and_not1_b32 exec_lo, exec_lo, s17
	s_cbranch_execz .LBB126_404
.LBB126_400:                            ;   Parent Loop BB126_18 Depth=1
                                        ; =>  This Inner Loop Header: Depth=2
	s_mov_b32 s28, exec_lo
	s_delay_alu instid0(VALU_DEP_1)
	v_cmpx_gt_u64_e64 s[36:37], v[4:5]
	s_cbranch_execz .LBB126_398
; %bb.401:                              ;   in Loop: Header=BB126_400 Depth=2
	v_mad_nc_u64_u32 v[8:9], v4, s30, s[34:35]
	s_delay_alu instid0(VALU_DEP_1) | instskip(NEXT) | instid1(VALU_DEP_1)
	v_mad_u32 v9, v5, s30, v9
	v_mad_u32 v9, v4, s31, v9
	global_load_u8 v8, v[8:9], off
	s_wait_loadcnt 0x0
	v_bitop3_b32 v9, v8, 0xff, v31 bitop3:0x80
	s_delay_alu instid0(VALU_DEP_1)
	v_cmp_eq_u32_e32 vcc_lo, v9, v29
	s_and_b32 exec_lo, exec_lo, vcc_lo
	s_cbranch_execz .LBB126_398
; %bb.402:                              ;   in Loop: Header=BB126_400 Depth=2
	v_lshlrev_b16 v8, 8, v8
	s_delay_alu instid0(VALU_DEP_1)
	v_or_b32_e32 v8, 1, v8
	ds_store_b16 v3, v8 offset:3072
	s_branch .LBB126_398
.LBB126_403:                            ;   in Loop: Header=BB126_400 Depth=2
	v_add_nc_u64_e32 v[4:5], s[56:57], v[4:5]
	s_mov_b32 s4, 0
	s_delay_alu instid0(VALU_DEP_1)
	v_cmp_le_u64_e32 vcc_lo, s[10:11], v[4:5]
	s_or_not1_b32 s28, vcc_lo, exec_lo
	s_branch .LBB126_399
.LBB126_404:                            ;   in Loop: Header=BB126_18 Depth=1
	s_or_b32 exec_lo, exec_lo, s17
	v_and_b32_e32 v4, 0xffff, v8
	s_and_not1_b32 s4, s18, exec_lo
	s_and_b32 s10, s19, exec_lo
	s_delay_alu instid0(SALU_CYCLE_1) | instskip(NEXT) | instid1(VALU_DEP_1)
	s_or_b32 s18, s4, s10
	v_lshrrev_b32_e32 v32, 8, v4
.LBB126_405:                            ;   in Loop: Header=BB126_18 Depth=1
	s_or_b32 exec_lo, exec_lo, s16
	s_mov_b32 s83, 0
	s_mov_b32 s85, -1
.LBB126_406:                            ;   in Loop: Header=BB126_18 Depth=1
	s_or_not1_b32 s10, s18, exec_lo
.LBB126_407:                            ;   in Loop: Header=BB126_18 Depth=1
	s_or_b32 exec_lo, exec_lo, s87
	s_mov_b32 s11, 0
	s_and_saveexec_b32 s18, s10
	s_cbranch_execz .LBB126_469
; %bb.408:                              ;   in Loop: Header=BB126_18 Depth=1
	v_mov_b64_e32 v[4:5], 1
	v_mov_b32_e32 v2, 1
	s_xor_b32 s4, s86, -1
	s_delay_alu instid0(SALU_CYCLE_1)
	s_and_saveexec_b32 s10, s4
	s_cbranch_execz .LBB126_417
; %bb.409:                              ;   in Loop: Header=BB126_18 Depth=1
	s_mov_b32 s4, exec_lo
	v_cmpx_ge_u64_e64 s[14:15], v[6:7]
	s_xor_b32 s11, exec_lo, s4
	s_cbranch_execz .LBB126_414
; %bb.410:                              ;   in Loop: Header=BB126_18 Depth=1
	ds_load_b64 v[4:5], v3 offset:5120
	s_lshl_b32 s4, 1, s72
	v_or_b32_e32 v31, s24, v31
	v_and_or_b32 v29, v29, s25, s4
	s_wait_dscnt 0x0
	v_cmp_ne_u64_e32 vcc_lo, 0, v[4:5]
	s_cbranch_vccnz .LBB126_414
; %bb.411:                              ;   in Loop: Header=BB126_18 Depth=1
	s_and_saveexec_b32 s4, s5
; %bb.412:                              ;   in Loop: Header=BB126_18 Depth=1
	v_mov_b64_e32 v[4:5], s[14:15]
	ds_store_b64 v3, v[4:5] offset:5128
; %bb.413:                              ;   in Loop: Header=BB126_18 Depth=1
	s_or_b32 exec_lo, exec_lo, s4
	s_wait_dscnt 0x0
	s_barrier_signal -1
	s_barrier_wait -1
.LBB126_414:                            ;   in Loop: Header=BB126_18 Depth=1
	s_or_saveexec_b32 s11, s11
	v_mov_b32_e32 v2, 5
	s_mov_b32 s16, 0
	s_xor_b32 exec_lo, exec_lo, s11
; %bb.415:                              ;   in Loop: Header=BB126_18 Depth=1
	v_sub_nc_u64_e64 v[6:7], v[6:7], s[14:15]
	v_mov_b32_e32 v2, 0
	s_mov_b32 s16, exec_lo
; %bb.416:                              ;   in Loop: Header=BB126_18 Depth=1
	s_or_b32 exec_lo, exec_lo, s11
	s_delay_alu instid0(VALU_DEP_2)
	v_mov_b64_e32 v[4:5], v[6:7]
	s_and_b32 s11, s16, exec_lo
.LBB126_417:                            ;   in Loop: Header=BB126_18 Depth=1
	s_or_b32 exec_lo, exec_lo, s10
	s_mov_b32 s10, -1
                                        ; implicit-def: $sgpr89
                                        ; implicit-def: $sgpr88
	s_and_saveexec_b32 s19, s11
	s_cbranch_execz .LBB126_468
; %bb.418:                              ;   in Loop: Header=BB126_18 Depth=1
	s_delay_alu instid0(VALU_DEP_1) | instskip(SKIP_3) | instid1(SALU_CYCLE_1)
	v_cmp_eq_u64_e32 vcc_lo, 1, v[4:5]
	s_cmp_eq_u64 s[12:13], 1
	s_mov_b32 s11, -1
	s_cselect_b32 s4, -1, 0
                                        ; implicit-def: $sgpr89
                                        ; implicit-def: $sgpr88
	s_and_b32 s86, s4, vcc_lo
	s_delay_alu instid0(SALU_CYCLE_1)
	s_and_saveexec_b32 s87, s86
	s_cbranch_execz .LBB126_456
; %bb.419:                              ;   in Loop: Header=BB126_18 Depth=1
	ds_load_b64 v[6:7], v3 offset:5120
	s_wait_dscnt 0x0
	s_barrier_signal -1
	s_barrier_wait -1
	v_readfirstlane_b32 s10, v6
	v_readfirstlane_b32 s11, v7
	s_and_saveexec_b32 s4, s6
; %bb.420:                              ;   in Loop: Header=BB126_18 Depth=1
	ds_store_b8 v0, v3 offset:3072
; %bb.421:                              ;   in Loop: Header=BB126_18 Depth=1
	s_or_b32 exec_lo, exec_lo, s4
	v_and_b32_e32 v29, s25, v29
	v_or_b32_e32 v31, s24, v31
	s_mov_b32 s88, -1
	s_mov_b32 s89, 0
	s_cmp_eq_u64 s[10:11], 0
	s_mov_b32 s16, 0
	s_mov_b32 s17, -1
	s_wait_dscnt 0x0
	s_barrier_signal -1
	s_barrier_wait -1
                                        ; implicit-def: $vgpr32
	s_cbranch_scc1 .LBB126_439
; %bb.422:                              ;   in Loop: Header=BB126_18 Depth=1
	s_add_nc_u64 s[14:15], s[10:11], s[74:75]
	s_delay_alu instid0(SALU_CYCLE_1) | instskip(NEXT) | instid1(SALU_CYCLE_1)
	s_and_b64 s[16:17], s[14:15], 0xffffffff00000000
	s_cmp_lg_u64 s[16:17], 0
	s_cbranch_scc0 .LBB126_426
; %bb.423:                              ;   in Loop: Header=BB126_18 Depth=1
	s_cvt_f32_u32 s4, s56
	s_sub_nc_u64 s[40:41], 0, s[56:57]
	s_delay_alu instid0(SALU_CYCLE_2) | instskip(NEXT) | instid1(SALU_CYCLE_3)
	s_fmamk_f32 s4, s71, 0x0, s4
	v_s_rcp_f32 s4, s4
	s_delay_alu instid0(TRANS32_DEP_1) | instskip(NEXT) | instid1(SALU_CYCLE_3)
	s_mul_f32 s4, s4, 0x5f7ffffc
	s_mul_f32 s16, s4, 0x2f800000
	s_delay_alu instid0(SALU_CYCLE_3) | instskip(NEXT) | instid1(SALU_CYCLE_3)
	s_trunc_f32 s16, s16
	s_fmamk_f32 s4, s16, 0xcf800000, s4
	s_cvt_u32_f32 s17, s16
	s_delay_alu instid0(SALU_CYCLE_2) | instskip(NEXT) | instid1(SALU_CYCLE_3)
	s_cvt_u32_f32 s16, s4
	s_mul_u64 s[42:43], s[40:41], s[16:17]
	s_delay_alu instid0(SALU_CYCLE_1)
	s_mul_hi_u32 s67, s16, s43
	s_mul_i32 s66, s16, s43
	s_mul_hi_u32 s28, s16, s42
	s_mul_i32 s60, s17, s42
	s_add_nc_u64 s[66:67], s[28:29], s[66:67]
	s_mul_hi_u32 s4, s17, s42
	s_mul_hi_u32 s61, s17, s43
	s_add_co_u32 s28, s66, s60
	s_add_co_ci_u32 s28, s67, s4
	s_mul_i32 s42, s17, s43
	s_add_co_ci_u32 s43, s61, 0
	s_delay_alu instid0(SALU_CYCLE_1) | instskip(NEXT) | instid1(SALU_CYCLE_1)
	s_add_nc_u64 s[42:43], s[28:29], s[42:43]
	s_add_co_u32 s16, s16, s42
	s_cselect_b32 s4, -1, 0
	s_delay_alu instid0(SALU_CYCLE_1) | instskip(SKIP_1) | instid1(SALU_CYCLE_1)
	s_cmp_lg_u32 s4, 0
	s_add_co_ci_u32 s17, s17, s43
	s_mul_u64 s[40:41], s[40:41], s[16:17]
	s_delay_alu instid0(SALU_CYCLE_1)
	s_mul_hi_u32 s43, s16, s41
	s_mul_i32 s42, s16, s41
	s_mul_hi_u32 s28, s16, s40
	s_mul_i32 s60, s17, s40
	s_add_nc_u64 s[42:43], s[28:29], s[42:43]
	s_mul_hi_u32 s4, s17, s40
	s_mul_hi_u32 s61, s17, s41
	s_add_co_u32 s28, s42, s60
	s_add_co_ci_u32 s28, s43, s4
	s_mul_i32 s40, s17, s41
	s_add_co_ci_u32 s41, s61, 0
	s_delay_alu instid0(SALU_CYCLE_1) | instskip(NEXT) | instid1(SALU_CYCLE_1)
	s_add_nc_u64 s[40:41], s[28:29], s[40:41]
	s_add_co_u32 s4, s16, s40
	s_cselect_b32 s16, -1, 0
	s_mul_hi_u32 s28, s14, s4
	s_cmp_lg_u32 s16, 0
	s_mul_hi_u32 s42, s15, s4
	s_add_co_ci_u32 s40, s17, s41
	s_mul_i32 s4, s15, s4
	s_mul_hi_u32 s17, s14, s40
	s_mul_i32 s16, s14, s40
	s_mul_hi_u32 s41, s15, s40
	s_add_nc_u64 s[16:17], s[28:29], s[16:17]
	s_mul_i32 s40, s15, s40
	s_add_co_u32 s4, s16, s4
	s_add_co_ci_u32 s28, s17, s42
	s_add_co_ci_u32 s41, s41, 0
	s_delay_alu instid0(SALU_CYCLE_1) | instskip(NEXT) | instid1(SALU_CYCLE_1)
	s_add_nc_u64 s[16:17], s[28:29], s[40:41]
	s_and_b64 s[40:41], s[16:17], 0xffffffff00000000
	s_delay_alu instid0(SALU_CYCLE_1) | instskip(NEXT) | instid1(SALU_CYCLE_1)
	s_or_b32 s40, s40, s16
	s_mul_u64 s[16:17], s[56:57], s[40:41]
	s_delay_alu instid0(SALU_CYCLE_1) | instskip(SKIP_1) | instid1(SALU_CYCLE_1)
	s_sub_co_u32 s4, s14, s16
	s_cselect_b32 s16, -1, 0
	s_cmp_lg_u32 s16, 0
	s_sub_co_ci_u32 s16, s15, s17
	s_sub_co_u32 s17, s4, s56
	s_cselect_b32 s28, -1, 0
	s_delay_alu instid0(SALU_CYCLE_1) | instskip(SKIP_3) | instid1(SALU_CYCLE_1)
	s_cmp_lg_u32 s28, 0
	s_sub_co_ci_u32 s28, s16, 0
	s_sub_co_u32 s40, s17, s56
	s_cselect_b32 s41, -1, 0
	s_cmp_lg_u32 s41, 0
	s_sub_co_ci_u32 s41, s28, 0
	s_cmp_ge_u32 s17, s56
	s_cselect_b32 s42, -1, 0
	s_cmp_eq_u32 s28, 0
	s_cselect_b32 s42, s42, -1
	s_delay_alu instid0(SALU_CYCLE_1)
	s_cmp_lg_u32 s42, 0
	s_cselect_b32 s28, s41, s28
	s_cselect_b32 s40, s40, s17
	s_cmp_ge_u32 s4, s56
	s_cselect_b32 s17, -1, 0
	s_cmp_eq_u32 s16, 0
	s_cselect_b32 s17, s17, -1
	s_delay_alu instid0(SALU_CYCLE_1)
	s_cmp_lg_u32 s17, 0
	s_cselect_b32 s17, s28, s16
	s_cselect_b32 s16, s40, s4
	s_mov_b32 s4, 0
	s_branch .LBB126_427
.LBB126_424:                            ;   in Loop: Header=BB126_18 Depth=1
                                        ; implicit-def: $sgpr18_sgpr19
	s_branch .LBB126_379
.LBB126_425:                            ;   in Loop: Header=BB126_18 Depth=1
                                        ; implicit-def: $sgpr10_sgpr11
	s_branch .LBB126_395
.LBB126_426:                            ;   in Loop: Header=BB126_18 Depth=1
	s_mov_b32 s4, -1
                                        ; implicit-def: $sgpr16_sgpr17
.LBB126_427:                            ;   in Loop: Header=BB126_18 Depth=1
	s_delay_alu instid0(SALU_CYCLE_1)
	s_and_not1_b32 vcc_lo, exec_lo, s4
	s_cbranch_vccnz .LBB126_429
; %bb.428:                              ;   in Loop: Header=BB126_18 Depth=1
	v_cvt_f32_u32_e32 v6, s56
	s_sub_co_i32 s16, 0, s56
	s_delay_alu instid0(VALU_DEP_1) | instskip(SKIP_1) | instid1(TRANS32_DEP_1)
	v_rcp_iflag_f32_e32 v6, v6
	v_nop
	v_mul_f32_e32 v6, 0x4f7ffffe, v6
	s_delay_alu instid0(VALU_DEP_1) | instskip(NEXT) | instid1(VALU_DEP_1)
	v_cvt_u32_f32_e32 v6, v6
	v_readfirstlane_b32 s4, v6
	s_mul_i32 s16, s16, s4
	s_delay_alu instid0(SALU_CYCLE_1) | instskip(NEXT) | instid1(SALU_CYCLE_1)
	s_mul_hi_u32 s16, s4, s16
	s_add_co_i32 s4, s4, s16
	s_delay_alu instid0(SALU_CYCLE_1) | instskip(NEXT) | instid1(SALU_CYCLE_1)
	s_mul_hi_u32 s4, s14, s4
	s_mul_i32 s4, s4, s56
	s_delay_alu instid0(SALU_CYCLE_1) | instskip(NEXT) | instid1(SALU_CYCLE_1)
	s_sub_co_i32 s4, s14, s4
	s_sub_co_i32 s16, s4, s56
	s_cmp_ge_u32 s4, s56
	s_cselect_b32 s4, s16, s4
	s_delay_alu instid0(SALU_CYCLE_1) | instskip(SKIP_2) | instid1(SALU_CYCLE_1)
	s_sub_co_i32 s16, s4, s56
	s_cmp_ge_u32 s4, s56
	s_cselect_b32 s28, s16, s4
	s_mov_b64 s[16:17], s[28:29]
.LBB126_429:                            ;   in Loop: Header=BB126_18 Depth=1
	s_delay_alu instid0(SALU_CYCLE_1)
	s_sub_nc_u64 s[14:15], s[14:15], s[16:17]
	s_mov_b32 s17, 0
	s_mov_b32 s16, 0
	s_mov_b32 s28, exec_lo
                                        ; implicit-def: $vgpr32
	v_cmpx_gt_u64_e64 s[14:15], v[0:1]
	s_cbranch_execz .LBB126_438
; %bb.430:                              ;   in Loop: Header=BB126_18 Depth=1
	v_mov_b64_e32 v[6:7], v[0:1]
	v_mov_b32_e32 v8, v0
                                        ; implicit-def: $sgpr66
	s_branch .LBB126_433
.LBB126_431:                            ;   in Loop: Header=BB126_433 Depth=2
	s_or_b32 exec_lo, exec_lo, s67
	s_wait_dscnt 0x0
	s_barrier_signal -1
	s_barrier_wait -1
	ds_load_u16 v9, v3 offset:3072
	s_mov_b32 s4, -1
	s_mov_b32 s40, -1
	s_wait_dscnt 0x0
	s_barrier_signal -1
	s_barrier_wait -1
	v_and_b32_e32 v10, 0xff, v9
	s_delay_alu instid0(VALU_DEP_1)
	v_cmp_ne_u32_e32 vcc_lo, 0, v10
	s_cbranch_vccz .LBB126_436
.LBB126_432:                            ;   in Loop: Header=BB126_433 Depth=2
	s_and_b32 s4, exec_lo, s4
	s_delay_alu instid0(SALU_CYCLE_1) | instskip(SKIP_2) | instid1(SALU_CYCLE_1)
	s_or_b32 s16, s4, s16
	s_and_not1_b32 s4, s66, exec_lo
	s_and_b32 s40, s40, exec_lo
	s_or_b32 s66, s4, s40
	s_and_not1_b32 exec_lo, exec_lo, s16
	s_cbranch_execz .LBB126_437
.LBB126_433:                            ;   Parent Loop BB126_18 Depth=1
                                        ; =>  This Inner Loop Header: Depth=2
	s_mov_b32 s67, exec_lo
	s_delay_alu instid0(VALU_DEP_2)
	v_cmpx_gt_u64_e64 s[10:11], v[6:7]
	s_cbranch_execz .LBB126_431
; %bb.434:                              ;   in Loop: Header=BB126_433 Depth=2
	ds_load_u8 v9, v8
	s_wait_dscnt 0x0
	v_bitop3_b32 v10, v9, 0xff, v31 bitop3:0x80
	s_delay_alu instid0(VALU_DEP_1)
	v_cmp_eq_u32_e32 vcc_lo, v10, v29
	s_and_b32 exec_lo, exec_lo, vcc_lo
	s_cbranch_execz .LBB126_431
; %bb.435:                              ;   in Loop: Header=BB126_433 Depth=2
	v_lshlrev_b16 v9, 8, v9
	s_delay_alu instid0(VALU_DEP_1)
	v_or_b32_e32 v9, 1, v9
	ds_store_b16 v3, v9 offset:3072
	s_branch .LBB126_431
.LBB126_436:                            ;   in Loop: Header=BB126_433 Depth=2
	v_add_nc_u64_e32 v[6:7], s[56:57], v[6:7]
	v_add_nc_u32_e32 v8, s56, v8
	s_mov_b32 s40, 0
	s_delay_alu instid0(VALU_DEP_2)
	v_cmp_le_u64_e32 vcc_lo, s[14:15], v[6:7]
	s_or_not1_b32 s4, vcc_lo, exec_lo
	s_branch .LBB126_432
.LBB126_437:                            ;   in Loop: Header=BB126_18 Depth=1
	s_or_b32 exec_lo, exec_lo, s16
	v_and_b32_e32 v6, 0xffff, v9
	s_and_b32 s16, s66, exec_lo
	s_delay_alu instid0(VALU_DEP_1)
	v_lshrrev_b32_e32 v32, 8, v6
.LBB126_438:                            ;   in Loop: Header=BB126_18 Depth=1
	s_or_b32 exec_lo, exec_lo, s28
.LBB126_439:                            ;   in Loop: Header=BB126_18 Depth=1
	s_delay_alu instid0(SALU_CYCLE_1)
	s_and_b32 vcc_lo, exec_lo, s17
	s_cbranch_vccz .LBB126_455
; %bb.440:                              ;   in Loop: Header=BB126_18 Depth=1
	s_and_b64 s[10:11], s[76:77], 0xffffffff00000000
	s_delay_alu instid0(SALU_CYCLE_1)
	s_cmp_lg_u64 s[10:11], 0
	s_cbranch_scc0 .LBB126_442
; %bb.441:                              ;   in Loop: Header=BB126_18 Depth=1
	s_cvt_f32_u32 s4, s56
	s_sub_nc_u64 s[14:15], 0, s[56:57]
	s_delay_alu instid0(SALU_CYCLE_2) | instskip(NEXT) | instid1(SALU_CYCLE_3)
	s_fmamk_f32 s4, s71, 0x0, s4
	v_s_rcp_f32 s4, s4
	s_delay_alu instid0(TRANS32_DEP_1) | instskip(NEXT) | instid1(SALU_CYCLE_3)
	s_mul_f32 s4, s4, 0x5f7ffffc
	s_mul_f32 s10, s4, 0x2f800000
	s_delay_alu instid0(SALU_CYCLE_3) | instskip(NEXT) | instid1(SALU_CYCLE_3)
	s_trunc_f32 s10, s10
	s_fmamk_f32 s4, s10, 0xcf800000, s4
	s_cvt_u32_f32 s11, s10
	s_delay_alu instid0(SALU_CYCLE_2) | instskip(NEXT) | instid1(SALU_CYCLE_3)
	s_cvt_u32_f32 s10, s4
	s_mul_u64 s[40:41], s[14:15], s[10:11]
	s_delay_alu instid0(SALU_CYCLE_1)
	s_mul_hi_u32 s43, s10, s41
	s_mul_i32 s42, s10, s41
	s_mul_hi_u32 s28, s10, s40
	s_mul_i32 s17, s11, s40
	s_add_nc_u64 s[42:43], s[28:29], s[42:43]
	s_mul_hi_u32 s4, s11, s40
	s_mul_hi_u32 s60, s11, s41
	s_add_co_u32 s17, s42, s17
	s_add_co_ci_u32 s28, s43, s4
	s_mul_i32 s40, s11, s41
	s_add_co_ci_u32 s41, s60, 0
	s_delay_alu instid0(SALU_CYCLE_1) | instskip(NEXT) | instid1(SALU_CYCLE_1)
	s_add_nc_u64 s[40:41], s[28:29], s[40:41]
	s_add_co_u32 s10, s10, s40
	s_cselect_b32 s4, -1, 0
	s_delay_alu instid0(SALU_CYCLE_1) | instskip(SKIP_1) | instid1(SALU_CYCLE_1)
	s_cmp_lg_u32 s4, 0
	s_add_co_ci_u32 s11, s11, s41
	s_mul_u64 s[14:15], s[14:15], s[10:11]
	s_delay_alu instid0(SALU_CYCLE_1)
	s_mul_hi_u32 s41, s10, s15
	s_mul_i32 s40, s10, s15
	s_mul_hi_u32 s28, s10, s14
	s_mul_i32 s17, s11, s14
	s_add_nc_u64 s[40:41], s[28:29], s[40:41]
	s_mul_hi_u32 s4, s11, s14
	s_mul_hi_u32 s42, s11, s15
	s_mul_i32 s14, s11, s15
	s_add_co_u32 s15, s40, s17
	s_add_co_ci_u32 s28, s41, s4
	s_add_co_ci_u32 s15, s42, 0
	s_delay_alu instid0(SALU_CYCLE_1) | instskip(NEXT) | instid1(SALU_CYCLE_1)
	s_add_nc_u64 s[14:15], s[28:29], s[14:15]
	s_add_co_u32 s4, s10, s14
	s_cselect_b32 s10, -1, 0
	s_mul_hi_u32 s28, s76, s4
	s_cmp_lg_u32 s10, 0
	s_mul_hi_u32 s17, s77, s4
	s_add_co_ci_u32 s14, s11, s15
	s_mul_i32 s4, s77, s4
	s_mul_hi_u32 s11, s76, s14
	s_mul_i32 s10, s76, s14
	s_mul_hi_u32 s15, s77, s14
	s_add_nc_u64 s[10:11], s[28:29], s[10:11]
	s_mul_i32 s14, s77, s14
	s_add_co_u32 s4, s10, s4
	s_add_co_ci_u32 s28, s11, s17
	s_add_co_ci_u32 s15, s15, 0
	s_delay_alu instid0(SALU_CYCLE_1) | instskip(NEXT) | instid1(SALU_CYCLE_1)
	s_add_nc_u64 s[10:11], s[28:29], s[14:15]
	s_and_b64 s[14:15], s[10:11], 0xffffffff00000000
	s_delay_alu instid0(SALU_CYCLE_1) | instskip(NEXT) | instid1(SALU_CYCLE_1)
	s_or_b32 s14, s14, s10
	s_mul_u64 s[10:11], s[56:57], s[14:15]
	s_delay_alu instid0(SALU_CYCLE_1) | instskip(SKIP_1) | instid1(SALU_CYCLE_1)
	s_sub_co_u32 s4, s76, s10
	s_cselect_b32 s10, -1, 0
	s_cmp_lg_u32 s10, 0
	s_sub_co_ci_u32 s10, s77, s11
	s_sub_co_u32 s11, s4, s56
	s_cselect_b32 s14, -1, 0
	s_delay_alu instid0(SALU_CYCLE_1) | instskip(SKIP_3) | instid1(SALU_CYCLE_1)
	s_cmp_lg_u32 s14, 0
	s_sub_co_ci_u32 s14, s10, 0
	s_sub_co_u32 s15, s11, s56
	s_cselect_b32 s17, -1, 0
	s_cmp_lg_u32 s17, 0
	s_sub_co_ci_u32 s17, s14, 0
	s_cmp_ge_u32 s11, s56
	s_cselect_b32 s28, -1, 0
	s_cmp_eq_u32 s14, 0
	s_cselect_b32 s28, s28, -1
	s_delay_alu instid0(SALU_CYCLE_1)
	s_cmp_lg_u32 s28, 0
	s_cselect_b32 s14, s17, s14
	s_cselect_b32 s15, s15, s11
	s_cmp_ge_u32 s4, s56
	s_cselect_b32 s11, -1, 0
	s_cmp_eq_u32 s10, 0
	s_cselect_b32 s11, s11, -1
	s_delay_alu instid0(SALU_CYCLE_1)
	s_cmp_lg_u32 s11, 0
	s_cselect_b32 s11, s14, s10
	s_cselect_b32 s10, s15, s4
	s_mov_b32 s4, 0
	s_branch .LBB126_443
.LBB126_442:                            ;   in Loop: Header=BB126_18 Depth=1
	s_mov_b32 s4, -1
                                        ; implicit-def: $sgpr10_sgpr11
.LBB126_443:                            ;   in Loop: Header=BB126_18 Depth=1
	s_delay_alu instid0(SALU_CYCLE_1)
	s_and_not1_b32 vcc_lo, exec_lo, s4
	s_cbranch_vccnz .LBB126_445
; %bb.444:                              ;   in Loop: Header=BB126_18 Depth=1
	v_cvt_f32_u32_e32 v6, s56
	s_sub_co_i32 s10, 0, s56
	s_delay_alu instid0(VALU_DEP_1) | instskip(SKIP_1) | instid1(TRANS32_DEP_1)
	v_rcp_iflag_f32_e32 v6, v6
	v_nop
	v_mul_f32_e32 v6, 0x4f7ffffe, v6
	s_delay_alu instid0(VALU_DEP_1) | instskip(NEXT) | instid1(VALU_DEP_1)
	v_cvt_u32_f32_e32 v6, v6
	v_readfirstlane_b32 s4, v6
	s_mul_i32 s10, s10, s4
	s_delay_alu instid0(SALU_CYCLE_1) | instskip(NEXT) | instid1(SALU_CYCLE_1)
	s_mul_hi_u32 s10, s4, s10
	s_add_co_i32 s4, s4, s10
	s_delay_alu instid0(SALU_CYCLE_1) | instskip(NEXT) | instid1(SALU_CYCLE_1)
	s_mul_hi_u32 s4, s76, s4
	s_mul_i32 s4, s4, s56
	s_delay_alu instid0(SALU_CYCLE_1) | instskip(NEXT) | instid1(SALU_CYCLE_1)
	s_sub_co_i32 s4, s76, s4
	s_sub_co_i32 s10, s4, s56
	s_cmp_ge_u32 s4, s56
	s_cselect_b32 s4, s10, s4
	s_delay_alu instid0(SALU_CYCLE_1) | instskip(SKIP_2) | instid1(SALU_CYCLE_1)
	s_sub_co_i32 s10, s4, s56
	s_cmp_ge_u32 s4, s56
	s_cselect_b32 s28, s10, s4
	s_mov_b64 s[10:11], s[28:29]
.LBB126_445:                            ;   in Loop: Header=BB126_18 Depth=1
	s_delay_alu instid0(SALU_CYCLE_1)
	s_sub_nc_u64 s[10:11], s[76:77], s[10:11]
	s_mov_b32 s14, exec_lo
                                        ; implicit-def: $vgpr32
	v_cmpx_gt_u64_e64 s[10:11], v[0:1]
	s_cbranch_execz .LBB126_454
; %bb.446:                              ;   in Loop: Header=BB126_18 Depth=1
	v_mov_b64_e32 v[6:7], v[0:1]
	s_mov_b32 s15, 0
                                        ; implicit-def: $sgpr17
	s_branch .LBB126_449
.LBB126_447:                            ;   in Loop: Header=BB126_449 Depth=2
	s_or_b32 exec_lo, exec_lo, s28
	s_wait_dscnt 0x0
	s_barrier_signal -1
	s_barrier_wait -1
	ds_load_u16 v8, v3 offset:3072
	s_mov_b32 s28, -1
	s_mov_b32 s4, -1
	s_wait_dscnt 0x0
	s_barrier_signal -1
	s_barrier_wait -1
	v_and_b32_e32 v9, 0xff, v8
	s_delay_alu instid0(VALU_DEP_1)
	v_cmp_eq_u32_e32 vcc_lo, 0, v9
	s_cbranch_vccnz .LBB126_452
.LBB126_448:                            ;   in Loop: Header=BB126_449 Depth=2
	s_and_b32 s28, exec_lo, s28
	s_delay_alu instid0(SALU_CYCLE_1) | instskip(SKIP_2) | instid1(SALU_CYCLE_1)
	s_or_b32 s15, s28, s15
	s_and_not1_b32 s17, s17, exec_lo
	s_and_b32 s4, s4, exec_lo
	s_or_b32 s17, s17, s4
	s_and_not1_b32 exec_lo, exec_lo, s15
	s_cbranch_execz .LBB126_453
.LBB126_449:                            ;   Parent Loop BB126_18 Depth=1
                                        ; =>  This Inner Loop Header: Depth=2
	s_mov_b32 s28, exec_lo
	s_delay_alu instid0(VALU_DEP_1)
	v_cmpx_gt_u64_e64 s[36:37], v[6:7]
	s_cbranch_execz .LBB126_447
; %bb.450:                              ;   in Loop: Header=BB126_449 Depth=2
	v_mad_nc_u64_u32 v[8:9], v6, s30, s[34:35]
	s_delay_alu instid0(VALU_DEP_1) | instskip(NEXT) | instid1(VALU_DEP_1)
	v_mad_u32 v9, v7, s30, v9
	v_mad_u32 v9, v6, s31, v9
	global_load_u8 v8, v[8:9], off
	s_wait_loadcnt 0x0
	v_bitop3_b32 v9, v8, 0xff, v31 bitop3:0x80
	s_delay_alu instid0(VALU_DEP_1)
	v_cmp_eq_u32_e32 vcc_lo, v9, v29
	s_and_b32 exec_lo, exec_lo, vcc_lo
	s_cbranch_execz .LBB126_447
; %bb.451:                              ;   in Loop: Header=BB126_449 Depth=2
	v_lshlrev_b16 v8, 8, v8
	s_delay_alu instid0(VALU_DEP_1)
	v_or_b32_e32 v8, 1, v8
	ds_store_b16 v3, v8 offset:3072
	s_branch .LBB126_447
.LBB126_452:                            ;   in Loop: Header=BB126_449 Depth=2
	v_add_nc_u64_e32 v[6:7], s[56:57], v[6:7]
	s_mov_b32 s4, 0
	s_delay_alu instid0(VALU_DEP_1)
	v_cmp_le_u64_e32 vcc_lo, s[10:11], v[6:7]
	s_or_not1_b32 s28, vcc_lo, exec_lo
	s_branch .LBB126_448
.LBB126_453:                            ;   in Loop: Header=BB126_18 Depth=1
	s_or_b32 exec_lo, exec_lo, s15
	v_and_b32_e32 v6, 0xffff, v8
	s_and_not1_b32 s4, s16, exec_lo
	s_and_b32 s10, s17, exec_lo
	s_delay_alu instid0(SALU_CYCLE_1) | instskip(NEXT) | instid1(VALU_DEP_1)
	s_or_b32 s16, s4, s10
	v_lshrrev_b32_e32 v32, 8, v6
.LBB126_454:                            ;   in Loop: Header=BB126_18 Depth=1
	s_or_b32 exec_lo, exec_lo, s14
	s_mov_b32 s88, 0
	s_mov_b32 s89, -1
.LBB126_455:                            ;   in Loop: Header=BB126_18 Depth=1
	s_or_not1_b32 s11, s16, exec_lo
.LBB126_456:                            ;   in Loop: Header=BB126_18 Depth=1
	s_or_b32 exec_lo, exec_lo, s87
	s_mov_b32 s14, 0
	s_and_saveexec_b32 s10, s11
	s_cbranch_execz .LBB126_467
; %bb.457:                              ;   in Loop: Header=BB126_18 Depth=1
	v_mov_b64_e32 v[6:7], 1
	v_mov_b32_e32 v2, 1
	s_xor_b32 s4, s86, -1
	s_delay_alu instid0(SALU_CYCLE_1)
	s_and_saveexec_b32 s11, s4
	s_cbranch_execz .LBB126_466
; %bb.458:                              ;   in Loop: Header=BB126_18 Depth=1
	s_mov_b32 s4, exec_lo
	v_cmpx_ge_u64_e64 s[12:13], v[4:5]
	s_xor_b32 s14, exec_lo, s4
	s_cbranch_execz .LBB126_463
; %bb.459:                              ;   in Loop: Header=BB126_18 Depth=1
	ds_load_b64 v[6:7], v3 offset:5120
	v_and_b32_e32 v29, s25, v29
	v_or_b32_e32 v31, s24, v31
	s_wait_dscnt 0x0
	v_cmp_ne_u64_e32 vcc_lo, 0, v[6:7]
	s_cbranch_vccnz .LBB126_463
; %bb.460:                              ;   in Loop: Header=BB126_18 Depth=1
	s_and_saveexec_b32 s4, s5
; %bb.461:                              ;   in Loop: Header=BB126_18 Depth=1
	v_mov_b64_e32 v[6:7], s[12:13]
	ds_store_b64 v3, v[6:7] offset:5128
; %bb.462:                              ;   in Loop: Header=BB126_18 Depth=1
	s_or_b32 exec_lo, exec_lo, s4
	s_wait_dscnt 0x0
	s_barrier_signal -1
	s_barrier_wait -1
.LBB126_463:                            ;   in Loop: Header=BB126_18 Depth=1
	s_and_not1_saveexec_b32 s14, s14
; %bb.464:                              ;   in Loop: Header=BB126_18 Depth=1
	v_sub_nc_u64_e64 v[4:5], v[4:5], s[12:13]
; %bb.465:                              ;   in Loop: Header=BB126_18 Depth=1
	s_or_b32 exec_lo, exec_lo, s14
	s_delay_alu instid0(VALU_DEP_1)
	v_mov_b64_e32 v[6:7], v[4:5]
	v_mov_b32_e32 v2, 5
.LBB126_466:                            ;   in Loop: Header=BB126_18 Depth=1
	s_or_b32 exec_lo, exec_lo, s11
	s_delay_alu instid0(VALU_DEP_2)
	v_mov_b64_e32 v[4:5], v[6:7]
	s_mov_b32 s14, exec_lo
.LBB126_467:                            ;   in Loop: Header=BB126_18 Depth=1
	s_or_b32 exec_lo, exec_lo, s10
	s_delay_alu instid0(SALU_CYCLE_1)
	s_or_not1_b32 s10, s14, exec_lo
.LBB126_468:                            ;   in Loop: Header=BB126_18 Depth=1
	s_or_b32 exec_lo, exec_lo, s19
	s_delay_alu instid0(VALU_DEP_1)
	v_mov_b64_e32 v[6:7], v[4:5]
	s_and_not1_b32 s4, s85, exec_lo
	s_and_b32 s11, s89, exec_lo
	s_and_not1_b32 s12, s83, exec_lo
	s_and_b32 s13, s88, exec_lo
	s_or_b32 s85, s4, s11
	s_or_b32 s83, s12, s13
	s_and_b32 s11, s10, exec_lo
.LBB126_469:                            ;   in Loop: Header=BB126_18 Depth=1
	s_or_b32 exec_lo, exec_lo, s18
	s_delay_alu instid0(SALU_CYCLE_1)
	s_or_not1_b32 s10, s11, exec_lo
.LBB126_470:                            ;   in Loop: Header=BB126_18 Depth=1
	s_or_b32 exec_lo, exec_lo, s21
	v_mov_b64_e32 v[4:5], v[6:7]
	s_and_not1_b32 s4, s82, exec_lo
	s_and_b32 s11, s85, exec_lo
	s_and_not1_b32 s12, s23, exec_lo
	s_and_b32 s13, s83, exec_lo
	s_or_b32 s82, s4, s11
	s_or_b32 s23, s12, s13
	s_and_b32 s11, s10, exec_lo
.LBB126_471:                            ;   in Loop: Header=BB126_18 Depth=1
	s_or_b32 exec_lo, exec_lo, s20
	s_delay_alu instid0(SALU_CYCLE_1)
	s_or_not1_b32 s10, s11, exec_lo
.LBB126_472:                            ;   in Loop: Header=BB126_18 Depth=1
	s_or_b32 exec_lo, exec_lo, s9
	s_mov_b32 s9, s63
	s_mov_b32 s11, s27
	s_and_saveexec_b32 s12, s10
; %bb.473:                              ;   in Loop: Header=BB126_18 Depth=1
	v_cmp_ne_u32_e32 vcc_lo, 5, v2
	v_cmp_eq_u32_e64 s9, 5, v2
	s_and_not1_b32 s4, s27, exec_lo
	s_and_not1_b32 s10, s63, exec_lo
	s_and_b32 s11, vcc_lo, exec_lo
	s_and_b32 s9, s9, exec_lo
	s_or_b32 s11, s4, s11
	s_or_b32 s9, s10, s9
; %bb.474:                              ;   in Loop: Header=BB126_18 Depth=1
	s_or_b32 exec_lo, exec_lo, s12
	s_delay_alu instid0(SALU_CYCLE_1)
	s_and_not1_b32 s4, s84, exec_lo
	s_and_b32 s10, s82, exec_lo
	s_and_not1_b32 s12, s26, exec_lo
	s_and_b32 s13, s23, exec_lo
	s_or_b32 s84, s4, s10
	s_and_not1_b32 s4, s27, exec_lo
	s_and_b32 s10, s11, exec_lo
	s_and_not1_b32 s11, s63, exec_lo
	s_and_b32 s9, s9, exec_lo
	s_or_b32 s26, s12, s13
	s_or_b32 s27, s4, s10
	;; [unrolled: 1-line block ×3, first 2 shown]
.LBB126_475:                            ;   in Loop: Header=BB126_18 Depth=1
	s_or_b32 exec_lo, exec_lo, s22
	s_mov_b32 s82, 0
	s_mov_b32 s83, 0
	s_and_saveexec_b32 s4, s63
.LBB126_476:                            ;   in Loop: Header=BB126_18 Depth=1
	v_mov_b32_e32 v2, 0
	s_or_b32 s27, s27, exec_lo
.LBB126_477:                            ;   in Loop: Header=BB126_18 Depth=1
	s_or_b32 exec_lo, exec_lo, s4
	v_mov_b64_e32 v[22:23], v[4:5]
	s_and_not1_b32 s4, s8, exec_lo
	s_and_b32 s8, s84, exec_lo
	s_and_not1_b32 s9, s54, exec_lo
	s_and_b32 s11, s26, exec_lo
	s_or_b32 s8, s4, s8
	s_or_b32 s54, s9, s11
	s_and_not1_b32 s4, s62, exec_lo
	s_and_b32 s9, s83, exec_lo
	s_and_not1_b32 s7, s7, exec_lo
	s_and_b32 s11, s82, exec_lo
	s_mov_b32 s10, -1
	s_and_not1_b32 s55, s55, exec_lo
	s_or_b32 s62, s4, s9
	s_or_b32 s7, s7, s11
	s_and_saveexec_b32 s4, s27
	s_delay_alu instid0(SALU_CYCLE_1)
	s_xor_b32 s9, exec_lo, s4
	s_cbranch_execz .LBB126_17
; %bb.478:                              ;   in Loop: Header=BB126_18 Depth=1
	s_mov_b32 s11, -1
	s_mov_b32 s4, exec_lo
	v_cmpx_eq_u32_e32 0, v2
	s_cbranch_execz .LBB126_16
; %bb.479:                              ;   in Loop: Header=BB126_18 Depth=1
	s_xor_b32 s49, s49, 1
	s_add_co_i32 s12, s72, -2
	s_cmp_eq_u32 s72, 0
	s_mov_b32 s72, s12
	s_cselect_b32 s10, -1, 0
	s_xor_b32 s11, exec_lo, -1
	s_or_not1_b32 s10, s10, exec_lo
	s_branch .LBB126_16
.LBB126_480:
	s_or_b32 exec_lo, exec_lo, s73
	s_xor_b32 s7, s53, -1
	s_xor_b32 s9, s51, -1
	;; [unrolled: 1-line block ×5, first 2 shown]
	s_mov_b32 s8, 0
	s_and_saveexec_b32 s11, s10
	s_delay_alu instid0(SALU_CYCLE_1)
	s_xor_b32 s16, exec_lo, s11
	s_cbranch_execnz .LBB126_485
; %bb.481:
	s_and_not1_saveexec_b32 s0, s16
	s_cbranch_execnz .LBB126_504
.LBB126_482:
	s_or_b32 exec_lo, exec_lo, s0
	s_and_saveexec_b32 s0, s8
.LBB126_483:
	; divergent unreachable
.LBB126_484:
	s_endpgm
.LBB126_485:
	s_and_saveexec_b32 s10, s4
	s_delay_alu instid0(SALU_CYCLE_1)
	s_xor_b32 s17, exec_lo, s10
	s_cbranch_execz .LBB126_502
; %bb.486:
	s_and_saveexec_b32 s4, s9
	s_delay_alu instid0(SALU_CYCLE_1)
	s_xor_b32 s18, exec_lo, s4
	s_cbranch_execz .LBB126_500
; %bb.487:
	;; [unrolled: 5-line block ×3, first 2 shown]
	s_and_saveexec_b32 s4, s6
	s_delay_alu instid0(SALU_CYCLE_1)
	s_xor_b32 s4, exec_lo, s4
; %bb.489:
	v_mov_b32_e32 v32, v29
; %bb.490:
	s_or_b32 exec_lo, exec_lo, s4
	s_and_saveexec_b32 s4, s5
	v_readlane_b32 s33, v42, 16
; %bb.491:
	v_mov_b64_e32 v[2:3], 0
	v_mov_b32_e32 v4, 0
	ds_store_b64 v4, v[2:3] offset:5136
; %bb.492:
	s_or_b32 exec_lo, exec_lo, s4
	v_mov_b32_e32 v13, 0
	s_wait_dscnt 0x0
	s_barrier_signal -1
	s_barrier_wait -1
	s_and_saveexec_b32 s4, s3
	s_cbranch_execz .LBB126_494
; %bb.493:
	global_load_u8 v13, v[14:15], off
.LBB126_494:
	s_wait_xcnt 0x0
	s_or_b32 exec_lo, exec_lo, s4
	s_clause 0x1
	s_load_b128 s[20:23], s[0:1], 0x1d8
	s_load_b128 s[24:27], s[0:1], 0x298
	v_readlane_b32 s6, v42, 0
	v_readlane_b32 s28, v42, 2
	;; [unrolled: 1-line block ×4, first 2 shown]
	s_load_b64 s[4:5], s[0:1], 0x450
	s_add_nc_u64 s[10:11], s[36:37], 31
	s_mov_b64 s[12:13], 0xffffffffffffffe0
	s_mul_u64 s[14:15], s[64:65], s[46:47]
	s_and_b64 s[10:11], s[10:11], s[12:13]
	s_sub_nc_u64 s[12:13], s[58:59], s[14:15]
	v_readlane_b32 s40, v42, 4
	v_readlane_b32 s41, v42, 5
	;; [unrolled: 1-line block ×4, first 2 shown]
	v_cmp_gt_u64_e32 vcc_lo, s[10:11], v[0:1]
	s_wait_kmcnt 0x0
	s_mul_u64 s[20:21], s[6:7], s[20:21]
	s_mul_u64 s[22:23], s[28:29], s[22:23]
	s_sub_nc_u64 s[14:15], s[28:29], s[20:21]
	s_sub_nc_u64 s[20:21], s[58:59], s[22:23]
	v_readlane_b32 s22, v42, 8
	s_mov_b64 s[50:51], s[26:27]
	v_readlane_b32 s23, v42, 9
	s_mov_b64 s[48:49], s[24:25]
	v_readlane_b32 s26, v42, 10
	s_mul_u64 s[24:25], s[6:7], s[48:49]
	s_clause 0x1
	s_load_b64 s[6:7], s[0:1], 0x510
	s_load_b64 s[8:9], s[0:1], 0x368
	s_mul_u64 s[20:21], s[20:21], s[22:23]
	v_readlane_b32 s22, v42, 12
	v_readlane_b32 s27, v42, 11
	;; [unrolled: 1-line block ×3, first 2 shown]
	s_mul_u64 s[4:5], s[12:13], s[4:5]
	s_mul_u64 s[14:15], s[14:15], s[50:51]
	s_lshl_b64 s[4:5], s[4:5], 3
	s_wait_xcnt 0x0
	s_mul_u64 s[0:1], s[26:27], s[44:45]
	s_add_nc_u64 s[22:23], s[22:23], s[24:25]
	v_readlane_b32 s24, v42, 14
	v_readlane_b32 s25, v42, 15
	s_mul_u64 s[26:27], s[26:27], s[40:41]
	s_sub_nc_u64 s[0:1], s[64:65], s[0:1]
	s_lshl_b64 s[12:13], s[26:27], 3
	s_mul_u64 s[0:1], s[0:1], s[42:43]
	s_add_nc_u64 s[12:13], s[24:25], s[12:13]
	s_lshl_b64 s[0:1], s[0:1], 3
	s_add_nc_u64 s[14:15], s[22:23], s[14:15]
	s_add_nc_u64 s[0:1], s[12:13], s[0:1]
	;; [unrolled: 1-line block ×4, first 2 shown]
	s_mov_b32 s0, -1
	s_mov_b32 s5, 0
	s_mov_b32 s1, 0
	s_and_saveexec_b32 s20, vcc_lo
	s_cbranch_execnz .LBB126_505
; %bb.495:
	s_or_b32 exec_lo, exec_lo, s20
	s_and_saveexec_b32 s4, s0
	s_cbranch_execnz .LBB126_520
.LBB126_496:
	s_or_b32 exec_lo, exec_lo, s4
	s_and_saveexec_b32 s0, s1
	s_delay_alu instid0(SALU_CYCLE_1)
	s_xor_b32 s0, exec_lo, s0
	s_cbranch_execnz .LBB126_543
.LBB126_497:
	s_or_b32 exec_lo, exec_lo, s0
	s_wait_kmcnt 0x0
	s_and_b32 s8, s5, exec_lo
.LBB126_498:
	s_and_not1_saveexec_b32 s0, s19
	s_cbranch_execnz .LBB126_545
.LBB126_499:
	s_or_b32 exec_lo, exec_lo, s0
	s_delay_alu instid0(SALU_CYCLE_1)
	s_and_b32 s8, s8, exec_lo
.LBB126_500:
	s_and_not1_saveexec_b32 s0, s18
	s_cbranch_execnz .LBB126_544
.LBB126_501:
	s_or_b32 exec_lo, exec_lo, s0
	s_delay_alu instid0(SALU_CYCLE_1)
	s_and_b32 s8, s8, exec_lo
.LBB126_502:
	s_and_not1_saveexec_b32 s0, s17
	s_cbranch_execnz .LBB126_539
.LBB126_503:
	s_or_b32 exec_lo, exec_lo, s0
	s_delay_alu instid0(SALU_CYCLE_1)
	s_and_b32 s8, s8, exec_lo
	s_and_not1_saveexec_b32 s0, s16
	s_cbranch_execz .LBB126_482
.LBB126_504:
	s_or_b32 s8, s8, exec_lo
	s_trap 2
	s_or_b32 exec_lo, exec_lo, s0
	s_and_saveexec_b32 s0, s8
	s_cbranch_execnz .LBB126_483
	s_branch .LBB126_484
.LBB126_505:
	v_mov_b64_e32 v[8:9], v[0:1]
	v_and_b32_e32 v16, 0xff, v32
	v_mov_b32_e32 v3, 0
	s_mov_b32 s21, 0
                                        ; implicit-def: $sgpr22
                                        ; implicit-def: $vgpr6_vgpr7
	s_branch .LBB126_507
.LBB126_506:                            ;   in Loop: Header=BB126_507 Depth=1
	s_or_b32 exec_lo, exec_lo, s23
	s_xor_b32 s0, s4, -1
	s_and_b32 s1, exec_lo, s1
	v_mov_b64_e32 v[8:9], v[4:5]
	v_mov_b32_e32 v13, v17
	s_or_b32 s21, s1, s21
	s_and_not1_b32 s1, s22, exec_lo
	s_and_b32 s0, s0, exec_lo
	s_delay_alu instid0(SALU_CYCLE_1)
	s_or_b32 s22, s1, s0
	s_and_not1_b32 exec_lo, exec_lo, s21
	s_cbranch_execz .LBB126_519
.LBB126_507:                            ; =>This Inner Loop Header: Depth=1
	s_delay_alu instid0(VALU_DEP_3) | instskip(SKIP_2) | instid1(VALU_DEP_2)
	v_add_nc_u64_e32 v[4:5], s[56:57], v[8:9]
	v_mov_b32_e32 v17, 0
	s_mov_b32 s1, exec_lo
	v_cmpx_gt_u64_e64 s[36:37], v[4:5]
	s_cbranch_execz .LBB126_509
; %bb.508:                              ;   in Loop: Header=BB126_507 Depth=1
	v_mad_nc_u64_u32 v[10:11], v4, s30, s[34:35]
	s_delay_alu instid0(VALU_DEP_1) | instskip(NEXT) | instid1(VALU_DEP_1)
	v_mad_u32 v2, v5, s30, v11
	v_mad_u32 v11, v4, s31, v2
	global_load_u8 v17, v[10:11], off
.LBB126_509:                            ;   in Loop: Header=BB126_507 Depth=1
	s_wait_xcnt 0x0
	s_or_b32 exec_lo, exec_lo, s1
	s_wait_loadcnt 0x0
	v_and_b32_e32 v2, 0xff, v13
	s_delay_alu instid0(VALU_DEP_1) | instskip(NEXT) | instid1(VALU_DEP_1)
	v_cmp_gt_u16_e64 s0, v2, v16
	v_cndmask_b32_e64 v10, 0, 1, s0
	v_cmp_lt_u16_e64 s0, v2, v16
	s_delay_alu instid0(VALU_DEP_1) | instskip(SKIP_1) | instid1(VALU_DEP_2)
	v_cndmask_b32_e64 v2, 0, 1, s0
	v_cmp_gt_u64_e64 s0, s[36:37], v[8:9]
	v_cndmask_b32_e64 v2, v2, v10, s33
	s_delay_alu instid0(VALU_DEP_1) | instskip(NEXT) | instid1(VALU_DEP_1)
	v_and_b32_e32 v2, 1, v2
	v_cmp_eq_u32_e64 s1, 1, v2
	s_and_b32 s23, s0, s1
	s_delay_alu instid0(SALU_CYCLE_1) | instskip(NEXT) | instid1(VALU_DEP_1)
	v_cndmask_b32_e64 v2, 0, 1, s23
	v_cmp_ne_u32_e64 s0, 0, v2
	s_cmp_lg_u32 s0, 0
	s_cselect_b32 s1, -1, 0
	s_delay_alu instid0(SALU_CYCLE_1) | instskip(NEXT) | instid1(SALU_CYCLE_1)
	s_and_b32 s1, s2, s1
	s_and_saveexec_b32 s24, s1
	s_cbranch_execz .LBB126_513
; %bb.510:                              ;   in Loop: Header=BB126_507 Depth=1
	s_mov_b32 s26, exec_lo
	s_bcnt1_i32_b32 s25, s0
	v_mbcnt_lo_u32_b32 v10, s26, 0
	s_mov_b32 s4, exec_lo
                                        ; implicit-def: $vgpr6_vgpr7
	s_delay_alu instid0(VALU_DEP_1)
	v_cmpx_eq_u32_e32 0, v10
	s_cbranch_execz .LBB126_512
; %bb.511:                              ;   in Loop: Header=BB126_507 Depth=1
	s_bcnt1_i32_b32 s1, s26
	s_delay_alu instid0(SALU_CYCLE_1) | instskip(NEXT) | instid1(SALU_CYCLE_1)
	s_mul_i32 s1, s25, s1
	v_mov_b32_e32 v2, s1
	s_wait_dscnt 0x0
	ds_add_rtn_u64 v[6:7], v3, v[2:3] offset:5136
.LBB126_512:                            ;   in Loop: Header=BB126_507 Depth=1
	s_or_b32 exec_lo, exec_lo, s4
	s_wait_dscnt 0x0
	v_readfirstlane_b32 s27, v7
	v_readfirstlane_b32 s26, v6
	s_delay_alu instid0(VALU_DEP_1)
	v_mad_nc_u64_u32 v[6:7], s25, v10, s[26:27]
.LBB126_513:                            ;   in Loop: Header=BB126_507 Depth=1
	s_or_b32 exec_lo, exec_lo, s24
	s_wait_dscnt 0x1
	ds_bpermute_b32 v6, v3, v6
	s_wait_dscnt 0x1
	ds_bpermute_b32 v7, v3, v7
	s_mov_b32 s1, -1
	s_mov_b32 s25, -1
	s_and_saveexec_b32 s24, s23
	s_cbranch_execz .LBB126_517
; %bb.514:                              ;   in Loop: Header=BB126_507 Depth=1
	v_and_b32_e32 v2, s0, v12
	s_mov_b32 s23, 0
	s_mov_b32 s25, exec_lo
	s_delay_alu instid0(VALU_DEP_1) | instskip(SKIP_1) | instid1(VALU_DEP_1)
	v_bcnt_u32_b32 v2, v2, 0
	s_wait_dscnt 0x0
	v_add_nc_u64_e32 v[10:11], v[6:7], v[2:3]
	s_delay_alu instid0(VALU_DEP_1)
	v_cmpx_gt_u64_e64 s[38:39], v[10:11]
	s_cbranch_execz .LBB126_516
; %bb.515:                              ;   in Loop: Header=BB126_507 Depth=1
	s_wait_kmcnt 0x0
	v_mul_u64_e32 v[18:19], s[6:7], v[10:11]
	v_mad_nc_u64_u32 v[20:21], v10, s8, s[12:13]
	s_mov_b32 s23, exec_lo
	s_delay_alu instid0(VALU_DEP_1) | instskip(NEXT) | instid1(VALU_DEP_1)
	v_mad_u32 v2, v11, s8, v21
	v_mad_u32 v21, v10, s9, v2
	s_delay_alu instid0(VALU_DEP_4)
	v_lshl_add_u64 v[10:11], v[18:19], 3, s[14:15]
	global_store_b8 v[20:21], v13, off
	global_store_b64 v[10:11], v[8:9], off
.LBB126_516:                            ;   in Loop: Header=BB126_507 Depth=1
	s_wait_xcnt 0x0
	s_or_b32 exec_lo, exec_lo, s25
	s_delay_alu instid0(SALU_CYCLE_1)
	s_or_not1_b32 s25, s23, exec_lo
.LBB126_517:                            ;   in Loop: Header=BB126_507 Depth=1
	s_or_b32 exec_lo, exec_lo, s24
	s_mov_b32 s4, -1
	s_and_saveexec_b32 s23, s25
	s_cbranch_execz .LBB126_506
; %bb.518:                              ;   in Loop: Header=BB126_507 Depth=1
	v_cmp_le_u64_e64 s0, s[10:11], v[4:5]
	s_xor_b32 s4, exec_lo, -1
	s_or_not1_b32 s1, s0, exec_lo
	s_branch .LBB126_506
.LBB126_519:
	s_or_b32 exec_lo, exec_lo, s21
	s_delay_alu instid0(SALU_CYCLE_1)
	s_mov_b32 s1, exec_lo
	s_or_not1_b32 s0, s22, exec_lo
	s_or_b32 exec_lo, exec_lo, s20
	s_and_saveexec_b32 s4, s0
	s_cbranch_execz .LBB126_496
.LBB126_520:
	v_mov_b32_e32 v2, 0
	s_wait_storecnt 0x0
	s_wait_loadcnt_dscnt 0x0
	s_barrier_signal -1
	s_barrier_wait -1
	s_and_saveexec_b32 s0, s3
	s_cbranch_execz .LBB126_522
; %bb.521:
	global_load_u8 v2, v[14:15], off
.LBB126_522:
	s_wait_xcnt 0x0
	s_or_b32 exec_lo, exec_lo, s0
	s_mov_b32 s0, 0
	s_and_saveexec_b32 s3, vcc_lo
	s_cbranch_execz .LBB126_542
; %bb.523:
	v_and_b32_e32 v10, 0xff, v32
	v_mov_b32_e32 v3, 0
	s_mov_b32 s5, 0
                                        ; implicit-def: $sgpr20
                                        ; implicit-def: $vgpr6_vgpr7
	s_branch .LBB126_526
.LBB126_524:                            ;   in Loop: Header=BB126_526 Depth=1
	s_or_b32 exec_lo, exec_lo, s21
	s_delay_alu instid0(SALU_CYCLE_1)
	s_or_not1_b32 s23, s23, exec_lo
	s_or_not1_b32 s22, s22, exec_lo
.LBB126_525:                            ;   in Loop: Header=BB126_526 Depth=1
	s_or_b32 exec_lo, exec_lo, s0
	s_xor_b32 s0, s23, -1
	s_and_b32 s21, exec_lo, s22
	v_mov_b64_e32 v[0:1], v[4:5]
	s_or_b32 s5, s21, s5
	v_mov_b32_e32 v2, v11
	s_and_not1_b32 s20, s20, exec_lo
	s_and_b32 s0, s0, exec_lo
	s_delay_alu instid0(SALU_CYCLE_1)
	s_or_b32 s20, s20, s0
	s_and_not1_b32 exec_lo, exec_lo, s5
	s_cbranch_execz .LBB126_540
.LBB126_526:                            ; =>This Inner Loop Header: Depth=1
	v_add_nc_u64_e32 v[4:5], s[56:57], v[0:1]
	v_mov_b32_e32 v11, 0
	s_mov_b32 s0, exec_lo
	s_delay_alu instid0(VALU_DEP_2)
	v_cmpx_gt_u64_e64 s[36:37], v[4:5]
	s_cbranch_execz .LBB126_528
; %bb.527:                              ;   in Loop: Header=BB126_526 Depth=1
	v_mad_nc_u64_u32 v[8:9], v4, s30, s[34:35]
	s_delay_alu instid0(VALU_DEP_1) | instskip(NEXT) | instid1(VALU_DEP_1)
	v_mad_u32 v9, v5, s30, v9
	v_mad_u32 v9, v4, s31, v9
	global_load_u8 v11, v[8:9], off
.LBB126_528:                            ;   in Loop: Header=BB126_526 Depth=1
	s_wait_xcnt 0x0
	s_or_b32 exec_lo, exec_lo, s0
	s_wait_loadcnt 0x0
	v_and_b32_e32 v2, 0xff, v2
	v_cmp_gt_u64_e32 vcc_lo, s[36:37], v[0:1]
	s_delay_alu instid0(VALU_DEP_2) | instskip(SKIP_1) | instid1(SALU_CYCLE_1)
	v_cmp_eq_u16_e64 s0, v2, v10
	s_and_b32 s21, vcc_lo, s0
	v_cndmask_b32_e64 v2, 0, 1, s21
	s_delay_alu instid0(VALU_DEP_1) | instskip(SKIP_2) | instid1(SALU_CYCLE_1)
	v_cmp_ne_u32_e32 vcc_lo, 0, v2
	s_cmp_lg_u32 vcc_lo, 0
	s_cselect_b32 s0, -1, 0
	s_and_b32 s0, s2, s0
	s_delay_alu instid0(SALU_CYCLE_1)
	s_and_saveexec_b32 s22, s0
	s_cbranch_execz .LBB126_532
; %bb.529:                              ;   in Loop: Header=BB126_526 Depth=1
	s_mov_b32 s25, exec_lo
	s_bcnt1_i32_b32 s23, vcc_lo
	v_mbcnt_lo_u32_b32 v8, s25, 0
	s_mov_b32 s24, exec_lo
                                        ; implicit-def: $vgpr6_vgpr7
	s_delay_alu instid0(VALU_DEP_1)
	v_cmpx_eq_u32_e32 0, v8
; %bb.530:                              ;   in Loop: Header=BB126_526 Depth=1
	s_bcnt1_i32_b32 s0, s25
	s_delay_alu instid0(SALU_CYCLE_1) | instskip(NEXT) | instid1(SALU_CYCLE_1)
	s_mul_i32 s0, s23, s0
	v_mov_b32_e32 v2, s0
	ds_add_rtn_u64 v[6:7], v3, v[2:3] offset:5136
; %bb.531:                              ;   in Loop: Header=BB126_526 Depth=1
	s_or_b32 exec_lo, exec_lo, s24
	s_wait_dscnt 0x0
	v_readfirstlane_b32 s25, v7
	v_readfirstlane_b32 s24, v6
	s_delay_alu instid0(VALU_DEP_1)
	v_mad_nc_u64_u32 v[6:7], s23, v8, s[24:25]
.LBB126_532:                            ;   in Loop: Header=BB126_526 Depth=1
	s_or_b32 exec_lo, exec_lo, s22
	ds_bpermute_b32 v6, v3, v6
	ds_bpermute_b32 v7, v3, v7
	s_cmp_eq_u32 vcc_lo, 0
	s_mov_b32 s22, -1
	s_cselect_b32 s23, -1, 0
	s_wait_dscnt 0x0
	v_cmp_gt_u64_e64 s0, s[38:39], v[6:7]
	s_or_b32 s24, s23, s0
	s_mov_b32 s23, -1
	s_and_saveexec_b32 s0, s24
	s_cbranch_execz .LBB126_525
; %bb.533:                              ;   in Loop: Header=BB126_526 Depth=1
	v_and_b32_e32 v2, vcc_lo, v12
	v_sub_nc_u64_e32 v[8:9], s[38:39], v[6:7]
	s_mov_b32 s24, -1
	s_delay_alu instid0(VALU_DEP_2) | instskip(NEXT) | instid1(VALU_DEP_1)
	v_bcnt_u32_b32 v2, v2, 0
	v_bcnt_u32_b32 v2, 0, v2
	s_delay_alu instid0(VALU_DEP_1) | instskip(SKIP_1) | instid1(SALU_CYCLE_1)
	v_cmp_gt_u64_e32 vcc_lo, v[8:9], v[2:3]
	s_and_b32 s25, s21, vcc_lo
	s_and_saveexec_b32 s21, s25
	s_cbranch_execz .LBB126_537
; %bb.534:                              ;   in Loop: Header=BB126_526 Depth=1
	v_add_nc_u64_e32 v[8:9], v[6:7], v[2:3]
	s_mov_b32 s24, 0
	s_mov_b32 s23, exec_lo
	s_delay_alu instid0(VALU_DEP_1)
	v_cmpx_gt_u64_e64 s[38:39], v[8:9]
	s_cbranch_execz .LBB126_536
; %bb.535:                              ;   in Loop: Header=BB126_526 Depth=1
	s_wait_kmcnt 0x0
	v_mul_u64_e32 v[14:15], s[6:7], v[8:9]
	v_mad_nc_u64_u32 v[16:17], v8, s8, s[12:13]
	s_mov_b32 s24, exec_lo
	s_delay_alu instid0(VALU_DEP_1) | instskip(NEXT) | instid1(VALU_DEP_1)
	v_mad_u32 v2, v9, s8, v17
	v_mad_u32 v17, v8, s9, v2
	s_delay_alu instid0(VALU_DEP_4)
	v_lshl_add_u64 v[8:9], v[14:15], 3, s[14:15]
	global_store_b8 v[16:17], v32, off
	global_store_b64 v[8:9], v[0:1], off
.LBB126_536:                            ;   in Loop: Header=BB126_526 Depth=1
	s_wait_xcnt 0x0
	s_or_b32 exec_lo, exec_lo, s23
	s_delay_alu instid0(SALU_CYCLE_1)
	s_xor_b32 s23, exec_lo, -1
	s_or_not1_b32 s24, s24, exec_lo
.LBB126_537:                            ;   in Loop: Header=BB126_526 Depth=1
	s_or_b32 exec_lo, exec_lo, s21
	s_and_saveexec_b32 s21, s24
	s_cbranch_execz .LBB126_524
; %bb.538:                              ;   in Loop: Header=BB126_526 Depth=1
	v_cmp_le_u64_e32 vcc_lo, s[10:11], v[4:5]
	s_or_b32 s23, s23, exec_lo
	s_or_not1_b32 s22, vcc_lo, exec_lo
	s_branch .LBB126_524
.LBB126_539:
	s_or_b32 s8, s8, exec_lo
	s_trap 2
	s_branch .LBB126_503
.LBB126_540:
	s_or_b32 exec_lo, exec_lo, s5
	s_mov_b32 s0, 0
	s_and_saveexec_b32 s2, s20
	s_delay_alu instid0(SALU_CYCLE_1)
	s_xor_b32 s2, exec_lo, s2
	s_cbranch_execnz .LBB126_546
.LBB126_541:
	s_or_b32 exec_lo, exec_lo, s2
	s_delay_alu instid0(SALU_CYCLE_1)
	s_and_b32 s0, s0, exec_lo
.LBB126_542:
	s_or_b32 exec_lo, exec_lo, s3
	s_delay_alu instid0(SALU_CYCLE_1) | instskip(SKIP_3) | instid1(SALU_CYCLE_1)
	s_and_b32 s5, s0, exec_lo
	s_and_not1_b32 s1, s1, exec_lo
	s_or_b32 exec_lo, exec_lo, s4
	s_and_saveexec_b32 s0, s1
	s_xor_b32 s0, exec_lo, s0
	s_cbranch_execz .LBB126_497
.LBB126_543:
	s_or_b32 s5, s5, exec_lo
	s_trap 2
	s_branch .LBB126_497
.LBB126_544:
	s_or_b32 s8, s8, exec_lo
	s_trap 2
	s_branch .LBB126_501
.LBB126_545:
	s_or_b32 s8, s8, exec_lo
	s_trap 2
	s_branch .LBB126_499
.LBB126_546:
	s_mov_b32 s0, exec_lo
	s_trap 2
	s_branch .LBB126_541
	.section	.rodata,"a",@progbits
	.p2align	6, 0x0
	.amdhsa_kernel _ZN2at6native6sbtopk10gatherTopKIhmLi3ELb0EEEvNS_4cuda6detail10TensorInfoIKT_T0_EES8_S8_bS8_S8_NS5_IS6_S8_EES8_NS5_IlS8_EES8_PS6_
		.amdhsa_group_segment_fixed_size 5152
		.amdhsa_private_segment_fixed_size 0
		.amdhsa_kernarg_size 1568
		.amdhsa_user_sgpr_count 2
		.amdhsa_user_sgpr_dispatch_ptr 0
		.amdhsa_user_sgpr_queue_ptr 0
		.amdhsa_user_sgpr_kernarg_segment_ptr 1
		.amdhsa_user_sgpr_dispatch_id 0
		.amdhsa_user_sgpr_kernarg_preload_length 0
		.amdhsa_user_sgpr_kernarg_preload_offset 0
		.amdhsa_user_sgpr_private_segment_size 0
		.amdhsa_wavefront_size32 1
		.amdhsa_uses_dynamic_stack 0
		.amdhsa_enable_private_segment 0
		.amdhsa_system_sgpr_workgroup_id_x 1
		.amdhsa_system_sgpr_workgroup_id_y 1
		.amdhsa_system_sgpr_workgroup_id_z 1
		.amdhsa_system_sgpr_workgroup_info 0
		.amdhsa_system_vgpr_workitem_id 0
		.amdhsa_next_free_vgpr 43
		.amdhsa_next_free_sgpr 105
		.amdhsa_named_barrier_count 0
		.amdhsa_reserve_vcc 1
		.amdhsa_float_round_mode_32 0
		.amdhsa_float_round_mode_16_64 0
		.amdhsa_float_denorm_mode_32 3
		.amdhsa_float_denorm_mode_16_64 3
		.amdhsa_fp16_overflow 0
		.amdhsa_memory_ordered 1
		.amdhsa_forward_progress 1
		.amdhsa_inst_pref_size 204
		.amdhsa_round_robin_scheduling 0
		.amdhsa_exception_fp_ieee_invalid_op 0
		.amdhsa_exception_fp_denorm_src 0
		.amdhsa_exception_fp_ieee_div_zero 0
		.amdhsa_exception_fp_ieee_overflow 0
		.amdhsa_exception_fp_ieee_underflow 0
		.amdhsa_exception_fp_ieee_inexact 0
		.amdhsa_exception_int_div_zero 0
	.end_amdhsa_kernel
	.section	.text._ZN2at6native6sbtopk10gatherTopKIhmLi3ELb0EEEvNS_4cuda6detail10TensorInfoIKT_T0_EES8_S8_bS8_S8_NS5_IS6_S8_EES8_NS5_IlS8_EES8_PS6_,"axG",@progbits,_ZN2at6native6sbtopk10gatherTopKIhmLi3ELb0EEEvNS_4cuda6detail10TensorInfoIKT_T0_EES8_S8_bS8_S8_NS5_IS6_S8_EES8_NS5_IlS8_EES8_PS6_,comdat
.Lfunc_end126:
	.size	_ZN2at6native6sbtopk10gatherTopKIhmLi3ELb0EEEvNS_4cuda6detail10TensorInfoIKT_T0_EES8_S8_bS8_S8_NS5_IS6_S8_EES8_NS5_IlS8_EES8_PS6_, .Lfunc_end126-_ZN2at6native6sbtopk10gatherTopKIhmLi3ELb0EEEvNS_4cuda6detail10TensorInfoIKT_T0_EES8_S8_bS8_S8_NS5_IS6_S8_EES8_NS5_IlS8_EES8_PS6_
                                        ; -- End function
	.set _ZN2at6native6sbtopk10gatherTopKIhmLi3ELb0EEEvNS_4cuda6detail10TensorInfoIKT_T0_EES8_S8_bS8_S8_NS5_IS6_S8_EES8_NS5_IlS8_EES8_PS6_.num_vgpr, 43
	.set _ZN2at6native6sbtopk10gatherTopKIhmLi3ELb0EEEvNS_4cuda6detail10TensorInfoIKT_T0_EES8_S8_bS8_S8_NS5_IS6_S8_EES8_NS5_IlS8_EES8_PS6_.num_agpr, 0
	.set _ZN2at6native6sbtopk10gatherTopKIhmLi3ELb0EEEvNS_4cuda6detail10TensorInfoIKT_T0_EES8_S8_bS8_S8_NS5_IS6_S8_EES8_NS5_IlS8_EES8_PS6_.numbered_sgpr, 105
	.set _ZN2at6native6sbtopk10gatherTopKIhmLi3ELb0EEEvNS_4cuda6detail10TensorInfoIKT_T0_EES8_S8_bS8_S8_NS5_IS6_S8_EES8_NS5_IlS8_EES8_PS6_.num_named_barrier, 0
	.set _ZN2at6native6sbtopk10gatherTopKIhmLi3ELb0EEEvNS_4cuda6detail10TensorInfoIKT_T0_EES8_S8_bS8_S8_NS5_IS6_S8_EES8_NS5_IlS8_EES8_PS6_.private_seg_size, 0
	.set _ZN2at6native6sbtopk10gatherTopKIhmLi3ELb0EEEvNS_4cuda6detail10TensorInfoIKT_T0_EES8_S8_bS8_S8_NS5_IS6_S8_EES8_NS5_IlS8_EES8_PS6_.uses_vcc, 1
	.set _ZN2at6native6sbtopk10gatherTopKIhmLi3ELb0EEEvNS_4cuda6detail10TensorInfoIKT_T0_EES8_S8_bS8_S8_NS5_IS6_S8_EES8_NS5_IlS8_EES8_PS6_.uses_flat_scratch, 0
	.set _ZN2at6native6sbtopk10gatherTopKIhmLi3ELb0EEEvNS_4cuda6detail10TensorInfoIKT_T0_EES8_S8_bS8_S8_NS5_IS6_S8_EES8_NS5_IlS8_EES8_PS6_.has_dyn_sized_stack, 0
	.set _ZN2at6native6sbtopk10gatherTopKIhmLi3ELb0EEEvNS_4cuda6detail10TensorInfoIKT_T0_EES8_S8_bS8_S8_NS5_IS6_S8_EES8_NS5_IlS8_EES8_PS6_.has_recursion, 0
	.set _ZN2at6native6sbtopk10gatherTopKIhmLi3ELb0EEEvNS_4cuda6detail10TensorInfoIKT_T0_EES8_S8_bS8_S8_NS5_IS6_S8_EES8_NS5_IlS8_EES8_PS6_.has_indirect_call, 0
	.section	.AMDGPU.csdata,"",@progbits
; Kernel info:
; codeLenInByte = 26108
; TotalNumSgprs: 107
; NumVgprs: 43
; ScratchSize: 0
; MemoryBound: 0
; FloatMode: 240
; IeeeMode: 1
; LDSByteSize: 5152 bytes/workgroup (compile time only)
; SGPRBlocks: 0
; VGPRBlocks: 2
; NumSGPRsForWavesPerEU: 107
; NumVGPRsForWavesPerEU: 43
; NamedBarCnt: 0
; Occupancy: 16
; WaveLimiterHint : 1
; COMPUTE_PGM_RSRC2:SCRATCH_EN: 0
; COMPUTE_PGM_RSRC2:USER_SGPR: 2
; COMPUTE_PGM_RSRC2:TRAP_HANDLER: 0
; COMPUTE_PGM_RSRC2:TGID_X_EN: 1
; COMPUTE_PGM_RSRC2:TGID_Y_EN: 1
; COMPUTE_PGM_RSRC2:TGID_Z_EN: 1
; COMPUTE_PGM_RSRC2:TIDIG_COMP_CNT: 0
	.section	.text._ZN2at6native6mbtopk23computeBlockDigitCountsIhmjLin1EEEvNS_4cuda6detail10TensorInfoIKT_T0_EEjPjjS8_iijT1_PSB_Ps,"axG",@progbits,_ZN2at6native6mbtopk23computeBlockDigitCountsIhmjLin1EEEvNS_4cuda6detail10TensorInfoIKT_T0_EEjPjjS8_iijT1_PSB_Ps,comdat
	.protected	_ZN2at6native6mbtopk23computeBlockDigitCountsIhmjLin1EEEvNS_4cuda6detail10TensorInfoIKT_T0_EEjPjjS8_iijT1_PSB_Ps ; -- Begin function _ZN2at6native6mbtopk23computeBlockDigitCountsIhmjLin1EEEvNS_4cuda6detail10TensorInfoIKT_T0_EEjPjjS8_iijT1_PSB_Ps
	.globl	_ZN2at6native6mbtopk23computeBlockDigitCountsIhmjLin1EEEvNS_4cuda6detail10TensorInfoIKT_T0_EEjPjjS8_iijT1_PSB_Ps
	.p2align	8
	.type	_ZN2at6native6mbtopk23computeBlockDigitCountsIhmjLin1EEEvNS_4cuda6detail10TensorInfoIKT_T0_EEjPjjS8_iijT1_PSB_Ps,@function
_ZN2at6native6mbtopk23computeBlockDigitCountsIhmjLin1EEEvNS_4cuda6detail10TensorInfoIKT_T0_EEjPjjS8_iijT1_PSB_Ps: ; @_ZN2at6native6mbtopk23computeBlockDigitCountsIhmjLin1EEEvNS_4cuda6detail10TensorInfoIKT_T0_EEjPjjS8_iijT1_PSB_Ps
; %bb.0:
	s_load_b128 s[4:7], s[0:1], 0x1c0
	s_bfe_u32 s2, ttmp6, 0x40010
	s_and_b32 s8, ttmp7, 0xffff
	s_add_co_i32 s9, s2, 1
	s_bfe_u32 s10, ttmp6, 0x40004
	s_mul_i32 s9, s8, s9
	s_load_b64 s[2:3], s[0:1], 0x1e0
	s_add_co_i32 s10, s10, s9
	s_bfe_u32 s11, ttmp6, 0x4000c
	s_bfe_u32 s13, ttmp6, 0x40014
	s_add_co_i32 s11, s11, 1
	s_and_b32 s12, ttmp6, 15
	s_mul_i32 s11, ttmp9, s11
	s_add_co_i32 s13, s13, 1
	s_add_co_i32 s12, s12, s11
	s_getreg_b32 s14, hwreg(HW_REG_IB_STS2, 6, 4)
	s_wait_kmcnt 0x0
	s_cvt_f32_u32 s9, s6
	s_delay_alu instid0(SALU_CYCLE_3) | instskip(SKIP_1) | instid1(SALU_CYCLE_1)
	v_rcp_iflag_f32_e32 v1, s9
	s_lshr_b32 s9, ttmp7, 16
	s_mul_i32 s11, s9, s13
	s_bfe_u32 s13, ttmp6, 0x40008
	s_delay_alu instid0(SALU_CYCLE_1) | instskip(SKIP_1) | instid1(TRANS32_DEP_1)
	s_add_co_i32 s13, s13, s11
	v_nop
	v_readfirstlane_b32 s15, v1
	s_cmp_eq_u32 s14, 0
	s_cselect_b32 s9, s9, s13
	s_load_b32 s13, s[0:1], 0x1b0
	s_mul_f32 s11, s15, 0x4f7ffffe
	s_mul_i32 s3, s3, s9
	s_cselect_b32 s9, ttmp9, s12
	s_cselect_b32 s8, s8, s10
	s_cvt_u32_f32 s11, s11
	s_sub_co_i32 s10, 0, s6
	s_add_co_i32 s3, s3, s8
	s_delay_alu instid0(SALU_CYCLE_1) | instskip(SKIP_3) | instid1(SALU_CYCLE_1)
	s_mul_i32 s24, s3, s2
	s_mul_i32 s10, s10, s11
	s_add_co_i32 s24, s24, s9
	s_mul_hi_u32 s2, s11, s10
	s_add_co_i32 s11, s11, s2
	s_delay_alu instid0(SALU_CYCLE_1) | instskip(NEXT) | instid1(SALU_CYCLE_1)
	s_mul_hi_u32 s2, s24, s11
	s_mul_i32 s3, s2, s6
	s_add_co_i32 s8, s2, 1
	s_sub_co_i32 s3, s24, s3
	s_delay_alu instid0(SALU_CYCLE_1)
	s_sub_co_i32 s9, s3, s6
	s_cmp_ge_u32 s3, s6
	s_cselect_b32 s2, s8, s2
	s_cselect_b32 s3, s9, s3
	s_add_co_i32 s8, s2, 1
	s_cmp_ge_u32 s3, s6
	s_mov_b32 s3, 0
	s_cselect_b32 s2, s8, s2
	s_wait_kmcnt 0x0
	s_cmp_ge_u32 s2, s13
	s_cbranch_scc1 .LBB127_34
; %bb.1:
	s_clause 0x1
	s_load_b32 s14, s[0:1], 0x198
	s_load_b128 s[8:11], s[0:1], 0x1d0
	s_mov_b64 s[12:13], 0
	s_wait_kmcnt 0x0
	s_cmp_lt_i32 s14, 2
	s_cbranch_scc1 .LBB127_7
; %bb.2:
	s_add_co_i32 s16, s14, -1
	s_mov_b32 s17, 0
	s_add_co_i32 s25, s14, 1
	s_lshl_b64 s[12:13], s[16:17], 3
	s_mov_b64 s[20:21], s[2:3]
	s_add_nc_u64 s[14:15], s[0:1], s[12:13]
	s_mov_b64 s[12:13], 0
	s_add_nc_u64 s[18:19], s[14:15], 8
.LBB127_3:                              ; =>This Inner Loop Header: Depth=1
	s_load_b64 s[22:23], s[18:19], 0x0
	s_mov_b64 s[14:15], 0
	s_wait_kmcnt 0x0
	v_cmp_lt_u64_e64 s3, s[20:21], s[22:23]
	s_and_b32 vcc_lo, exec_lo, s3
	s_cbranch_vccnz .LBB127_5
; %bb.4:                                ;   in Loop: Header=BB127_3 Depth=1
	v_cvt_f32_u32_e32 v1, s22
	s_sub_co_i32 s14, 0, s22
	s_delay_alu instid0(VALU_DEP_1) | instskip(SKIP_1) | instid1(TRANS32_DEP_1)
	v_rcp_iflag_f32_e32 v1, v1
	v_nop
	v_mul_f32_e32 v1, 0x4f7ffffe, v1
	s_delay_alu instid0(VALU_DEP_1) | instskip(NEXT) | instid1(VALU_DEP_1)
	v_cvt_u32_f32_e32 v1, v1
	v_readfirstlane_b32 s3, v1
	s_mul_i32 s14, s14, s3
	s_delay_alu instid0(SALU_CYCLE_1) | instskip(NEXT) | instid1(SALU_CYCLE_1)
	s_mul_hi_u32 s14, s3, s14
	s_add_co_i32 s3, s3, s14
	s_delay_alu instid0(SALU_CYCLE_1) | instskip(NEXT) | instid1(SALU_CYCLE_1)
	s_mul_hi_u32 s3, s20, s3
	s_mul_i32 s14, s3, s22
	s_add_co_i32 s15, s3, 1
	s_sub_co_i32 s14, s20, s14
	s_delay_alu instid0(SALU_CYCLE_1)
	s_sub_co_i32 s16, s14, s22
	s_cmp_ge_u32 s14, s22
	s_cselect_b32 s3, s15, s3
	s_cselect_b32 s14, s16, s14
	s_add_co_i32 s15, s3, 1
	s_cmp_ge_u32 s14, s22
	s_cselect_b32 s16, s15, s3
	s_delay_alu instid0(SALU_CYCLE_1)
	s_mov_b64 s[14:15], s[16:17]
.LBB127_5:                              ;   in Loop: Header=BB127_3 Depth=1
	s_load_b64 s[26:27], s[18:19], 0xc8
	s_mul_u64 s[22:23], s[14:15], s[22:23]
	s_add_co_i32 s25, s25, -1
	s_sub_nc_u64 s[20:21], s[20:21], s[22:23]
	s_cmp_gt_u32 s25, 2
	s_wait_xcnt 0x0
	s_add_nc_u64 s[18:19], s[18:19], -8
	s_wait_kmcnt 0x0
	s_mul_u64 s[20:21], s[26:27], s[20:21]
	s_delay_alu instid0(SALU_CYCLE_1)
	s_add_nc_u64 s[12:13], s[20:21], s[12:13]
	s_cbranch_scc0 .LBB127_8
; %bb.6:                                ;   in Loop: Header=BB127_3 Depth=1
	s_mov_b64 s[20:21], s[14:15]
	s_branch .LBB127_3
.LBB127_7:
	s_mov_b64 s[14:15], s[2:3]
.LBB127_8:
	s_load_b32 s16, s[8:9], s2 offset:0x0 scale_offset
	v_cmp_gt_u32_e32 vcc_lo, 0x100, v0
	v_lshlrev_b32_e32 v1, 2, v0
	s_and_saveexec_b32 s3, vcc_lo
; %bb.9:
	v_mov_b32_e32 v2, 0
	ds_store_b32 v1, v2
; %bb.10:
	s_or_b32 exec_lo, exec_lo, s3
	s_load_b32 s17, s[0:1], 0x1a0
	s_wait_xcnt 0x0
	s_mul_i32 s2, s2, s6
	s_mov_b32 s9, 0
	s_sub_co_i32 s19, s24, s2
	s_wait_dscnt 0x0
	s_mul_i32 s2, s5, s19
	s_add_co_i32 s19, s19, 1
	s_lshl_b32 s18, s2, 8
	s_barrier_signal -1
	s_barrier_wait -1
	s_wait_kmcnt 0x0
	s_sub_co_i32 s8, s17, s18
	s_delay_alu instid0(SALU_CYCLE_1) | instskip(NEXT) | instid1(SALU_CYCLE_1)
	s_add_nc_u64 s[2:3], s[8:9], 0xff
	s_lshr_b64 s[2:3], s[2:3], 8
	s_cmp_lt_u32 s19, s6
	s_cselect_b32 s6, s5, s2
	s_delay_alu instid0(SALU_CYCLE_1)
	s_cmp_lt_i32 s6, 1
	s_cbranch_scc1 .LBB127_32
; %bb.11:
	s_clause 0x2
	s_load_b64 s[20:21], s[0:1], 0xd0
	s_load_b64 s[2:3], s[0:1], 0x1b8
	;; [unrolled: 1-line block ×3, first 2 shown]
	s_wait_kmcnt 0x0
	s_mul_u64 s[0:1], s[20:21], s[14:15]
	s_delay_alu instid0(SALU_CYCLE_1)
	s_add_nc_u64 s[14:15], s[22:23], s[0:1]
	s_and_b32 s1, s4, 0xff
	s_cmp_lt_u32 s6, 4
	s_add_nc_u64 s[4:5], s[14:15], s[12:13]
	s_cbranch_scc1 .LBB127_26
; %bb.12:
	v_dual_mov_b32 v3, 1 :: v_dual_add_nc_u32 v2, s18, v0
	s_and_b32 s9, s6, 0x7ffffffc
	s_mov_b32 s8, 0
	s_branch .LBB127_14
.LBB127_13:                             ;   in Loop: Header=BB127_14 Depth=1
	s_or_b32 exec_lo, exec_lo, s12
	v_add_nc_u32_e32 v2, 0x400, v2
	s_add_co_i32 s8, s8, 4
	s_delay_alu instid0(SALU_CYCLE_1)
	s_cmp_eq_u32 s9, s8
	s_cbranch_scc1 .LBB127_26
.LBB127_14:                             ; =>This Inner Loop Header: Depth=1
	s_mov_b32 s12, exec_lo
	v_cmpx_gt_u32_e64 s17, v2
	s_cbranch_execz .LBB127_17
; %bb.15:                               ;   in Loop: Header=BB127_14 Depth=1
	v_mad_nc_u64_u32 v[4:5], s2, v2, s[4:5]
	s_delay_alu instid0(VALU_DEP_1) | instskip(SKIP_4) | instid1(VALU_DEP_1)
	v_mad_u32 v5, s3, v2, v5
	global_load_u8 v4, v[4:5], off
	s_wait_loadcnt 0x0
	s_wait_xcnt 0x0
	v_bitop3_b32 v5, s16, s7, v4 bitop3:0x48
	v_cmp_eq_u32_e64 s0, 0, v5
	s_and_b32 exec_lo, exec_lo, s0
; %bb.16:                               ;   in Loop: Header=BB127_14 Depth=1
	v_lshrrev_b32_e32 v4, s1, v4
	s_delay_alu instid0(VALU_DEP_1)
	v_lshlrev_b32_e32 v4, 2, v4
	ds_add_u32 v4, v3
.LBB127_17:                             ;   in Loop: Header=BB127_14 Depth=1
	s_or_b32 exec_lo, exec_lo, s12
	v_add_nc_u32_e32 v4, 0x100, v2
	s_mov_b32 s12, exec_lo
	s_delay_alu instid0(VALU_DEP_1)
	v_cmpx_gt_u32_e64 s17, v4
	s_cbranch_execz .LBB127_20
; %bb.18:                               ;   in Loop: Header=BB127_14 Depth=1
	v_mad_nc_u64_u32 v[6:7], s2, v4, s[4:5]
	s_delay_alu instid0(VALU_DEP_1) | instskip(SKIP_3) | instid1(VALU_DEP_1)
	v_mad_u32 v7, s3, v4, v7
	global_load_u8 v4, v[6:7], off
	s_wait_loadcnt 0x0
	v_bitop3_b32 v5, s16, s7, v4 bitop3:0x48
	v_cmp_eq_u32_e64 s0, 0, v5
	s_and_b32 exec_lo, exec_lo, s0
; %bb.19:                               ;   in Loop: Header=BB127_14 Depth=1
	v_lshrrev_b32_e32 v4, s1, v4
	s_delay_alu instid0(VALU_DEP_1)
	v_lshlrev_b32_e32 v4, 2, v4
	ds_add_u32 v4, v3
.LBB127_20:                             ;   in Loop: Header=BB127_14 Depth=1
	s_or_b32 exec_lo, exec_lo, s12
	v_add_nc_u32_e32 v4, 0x200, v2
	s_mov_b32 s12, exec_lo
	s_delay_alu instid0(VALU_DEP_1)
	v_cmpx_gt_u32_e64 s17, v4
	s_cbranch_execz .LBB127_23
; %bb.21:                               ;   in Loop: Header=BB127_14 Depth=1
	v_mad_nc_u64_u32 v[6:7], s2, v4, s[4:5]
	s_delay_alu instid0(VALU_DEP_1) | instskip(SKIP_3) | instid1(VALU_DEP_1)
	v_mad_u32 v7, s3, v4, v7
	global_load_u8 v4, v[6:7], off
	s_wait_loadcnt 0x0
	v_bitop3_b32 v5, s16, s7, v4 bitop3:0x48
	v_cmp_eq_u32_e64 s0, 0, v5
	s_and_b32 exec_lo, exec_lo, s0
; %bb.22:                               ;   in Loop: Header=BB127_14 Depth=1
	v_lshrrev_b32_e32 v4, s1, v4
	s_delay_alu instid0(VALU_DEP_1)
	v_lshlrev_b32_e32 v4, 2, v4
	ds_add_u32 v4, v3
.LBB127_23:                             ;   in Loop: Header=BB127_14 Depth=1
	s_or_b32 exec_lo, exec_lo, s12
	v_add_nc_u32_e32 v4, 0x300, v2
	s_mov_b32 s12, exec_lo
	s_delay_alu instid0(VALU_DEP_1)
	v_cmpx_gt_u32_e64 s17, v4
	s_cbranch_execz .LBB127_13
; %bb.24:                               ;   in Loop: Header=BB127_14 Depth=1
	v_mad_nc_u64_u32 v[6:7], s2, v4, s[4:5]
	s_delay_alu instid0(VALU_DEP_1) | instskip(SKIP_3) | instid1(VALU_DEP_1)
	v_mad_u32 v7, s3, v4, v7
	global_load_u8 v4, v[6:7], off
	s_wait_loadcnt 0x0
	v_bitop3_b32 v5, s16, s7, v4 bitop3:0x48
	v_cmp_eq_u32_e64 s0, 0, v5
	s_and_b32 exec_lo, exec_lo, s0
	s_cbranch_execz .LBB127_13
; %bb.25:                               ;   in Loop: Header=BB127_14 Depth=1
	v_lshrrev_b32_e32 v4, s1, v4
	s_delay_alu instid0(VALU_DEP_1)
	v_lshlrev_b32_e32 v4, 2, v4
	ds_add_u32 v4, v3
	s_branch .LBB127_13
.LBB127_26:
	s_and_b32 s6, s6, 3
	s_delay_alu instid0(SALU_CYCLE_1)
	s_cmp_eq_u32 s6, 0
	s_cbranch_scc1 .LBB127_32
; %bb.27:
	s_lshl_b32 s0, s9, 8
	v_mov_b32_e32 v3, 1
	v_add3_u32 v2, s0, s18, v0
	s_branch .LBB127_29
.LBB127_28:                             ;   in Loop: Header=BB127_29 Depth=1
	s_or_b32 exec_lo, exec_lo, s8
	v_add_nc_u32_e32 v2, 0x100, v2
	s_add_co_i32 s6, s6, -1
	s_delay_alu instid0(SALU_CYCLE_1)
	s_cmp_lg_u32 s6, 0
	s_cbranch_scc0 .LBB127_32
.LBB127_29:                             ; =>This Inner Loop Header: Depth=1
	s_mov_b32 s8, exec_lo
	s_delay_alu instid0(VALU_DEP_1)
	v_cmpx_gt_u32_e64 s17, v2
	s_cbranch_execz .LBB127_28
; %bb.30:                               ;   in Loop: Header=BB127_29 Depth=1
	v_mad_nc_u64_u32 v[4:5], s2, v2, s[4:5]
	s_delay_alu instid0(VALU_DEP_1) | instskip(SKIP_3) | instid1(VALU_DEP_1)
	v_mad_u32 v5, s3, v2, v5
	global_load_u8 v4, v[4:5], off
	s_wait_loadcnt 0x0
	v_bitop3_b32 v5, s16, s7, v4 bitop3:0x48
	v_cmp_eq_u32_e64 s0, 0, v5
	s_and_b32 exec_lo, exec_lo, s0
	s_cbranch_execz .LBB127_28
; %bb.31:                               ;   in Loop: Header=BB127_29 Depth=1
	v_lshrrev_b32_e32 v4, s1, v4
	s_delay_alu instid0(VALU_DEP_1)
	v_lshlrev_b32_e32 v4, 2, v4
	ds_add_u32 v4, v3
	s_branch .LBB127_28
.LBB127_32:
	s_wait_dscnt 0x0
	s_barrier_signal -1
	s_barrier_wait -1
	s_and_saveexec_b32 s0, vcc_lo
	s_cbranch_execz .LBB127_34
; %bb.33:
	ds_load_b32 v1, v1
	v_lshl_or_b32 v0, s24, 8, v0
	s_wait_dscnt 0x0
	global_store_b16 v0, v1, s[10:11] scale_offset
.LBB127_34:
	s_endpgm
	.section	.rodata,"a",@progbits
	.p2align	6, 0x0
	.amdhsa_kernel _ZN2at6native6mbtopk23computeBlockDigitCountsIhmjLin1EEEvNS_4cuda6detail10TensorInfoIKT_T0_EEjPjjS8_iijT1_PSB_Ps
		.amdhsa_group_segment_fixed_size 1024
		.amdhsa_private_segment_fixed_size 0
		.amdhsa_kernarg_size 736
		.amdhsa_user_sgpr_count 2
		.amdhsa_user_sgpr_dispatch_ptr 0
		.amdhsa_user_sgpr_queue_ptr 0
		.amdhsa_user_sgpr_kernarg_segment_ptr 1
		.amdhsa_user_sgpr_dispatch_id 0
		.amdhsa_user_sgpr_kernarg_preload_length 0
		.amdhsa_user_sgpr_kernarg_preload_offset 0
		.amdhsa_user_sgpr_private_segment_size 0
		.amdhsa_wavefront_size32 1
		.amdhsa_uses_dynamic_stack 0
		.amdhsa_enable_private_segment 0
		.amdhsa_system_sgpr_workgroup_id_x 1
		.amdhsa_system_sgpr_workgroup_id_y 1
		.amdhsa_system_sgpr_workgroup_id_z 1
		.amdhsa_system_sgpr_workgroup_info 0
		.amdhsa_system_vgpr_workitem_id 0
		.amdhsa_next_free_vgpr 8
		.amdhsa_next_free_sgpr 28
		.amdhsa_named_barrier_count 0
		.amdhsa_reserve_vcc 1
		.amdhsa_float_round_mode_32 0
		.amdhsa_float_round_mode_16_64 0
		.amdhsa_float_denorm_mode_32 3
		.amdhsa_float_denorm_mode_16_64 3
		.amdhsa_fp16_overflow 0
		.amdhsa_memory_ordered 1
		.amdhsa_forward_progress 1
		.amdhsa_inst_pref_size 12
		.amdhsa_round_robin_scheduling 0
		.amdhsa_exception_fp_ieee_invalid_op 0
		.amdhsa_exception_fp_denorm_src 0
		.amdhsa_exception_fp_ieee_div_zero 0
		.amdhsa_exception_fp_ieee_overflow 0
		.amdhsa_exception_fp_ieee_underflow 0
		.amdhsa_exception_fp_ieee_inexact 0
		.amdhsa_exception_int_div_zero 0
	.end_amdhsa_kernel
	.section	.text._ZN2at6native6mbtopk23computeBlockDigitCountsIhmjLin1EEEvNS_4cuda6detail10TensorInfoIKT_T0_EEjPjjS8_iijT1_PSB_Ps,"axG",@progbits,_ZN2at6native6mbtopk23computeBlockDigitCountsIhmjLin1EEEvNS_4cuda6detail10TensorInfoIKT_T0_EEjPjjS8_iijT1_PSB_Ps,comdat
.Lfunc_end127:
	.size	_ZN2at6native6mbtopk23computeBlockDigitCountsIhmjLin1EEEvNS_4cuda6detail10TensorInfoIKT_T0_EEjPjjS8_iijT1_PSB_Ps, .Lfunc_end127-_ZN2at6native6mbtopk23computeBlockDigitCountsIhmjLin1EEEvNS_4cuda6detail10TensorInfoIKT_T0_EEjPjjS8_iijT1_PSB_Ps
                                        ; -- End function
	.set _ZN2at6native6mbtopk23computeBlockDigitCountsIhmjLin1EEEvNS_4cuda6detail10TensorInfoIKT_T0_EEjPjjS8_iijT1_PSB_Ps.num_vgpr, 8
	.set _ZN2at6native6mbtopk23computeBlockDigitCountsIhmjLin1EEEvNS_4cuda6detail10TensorInfoIKT_T0_EEjPjjS8_iijT1_PSB_Ps.num_agpr, 0
	.set _ZN2at6native6mbtopk23computeBlockDigitCountsIhmjLin1EEEvNS_4cuda6detail10TensorInfoIKT_T0_EEjPjjS8_iijT1_PSB_Ps.numbered_sgpr, 28
	.set _ZN2at6native6mbtopk23computeBlockDigitCountsIhmjLin1EEEvNS_4cuda6detail10TensorInfoIKT_T0_EEjPjjS8_iijT1_PSB_Ps.num_named_barrier, 0
	.set _ZN2at6native6mbtopk23computeBlockDigitCountsIhmjLin1EEEvNS_4cuda6detail10TensorInfoIKT_T0_EEjPjjS8_iijT1_PSB_Ps.private_seg_size, 0
	.set _ZN2at6native6mbtopk23computeBlockDigitCountsIhmjLin1EEEvNS_4cuda6detail10TensorInfoIKT_T0_EEjPjjS8_iijT1_PSB_Ps.uses_vcc, 1
	.set _ZN2at6native6mbtopk23computeBlockDigitCountsIhmjLin1EEEvNS_4cuda6detail10TensorInfoIKT_T0_EEjPjjS8_iijT1_PSB_Ps.uses_flat_scratch, 0
	.set _ZN2at6native6mbtopk23computeBlockDigitCountsIhmjLin1EEEvNS_4cuda6detail10TensorInfoIKT_T0_EEjPjjS8_iijT1_PSB_Ps.has_dyn_sized_stack, 0
	.set _ZN2at6native6mbtopk23computeBlockDigitCountsIhmjLin1EEEvNS_4cuda6detail10TensorInfoIKT_T0_EEjPjjS8_iijT1_PSB_Ps.has_recursion, 0
	.set _ZN2at6native6mbtopk23computeBlockDigitCountsIhmjLin1EEEvNS_4cuda6detail10TensorInfoIKT_T0_EEjPjjS8_iijT1_PSB_Ps.has_indirect_call, 0
	.section	.AMDGPU.csdata,"",@progbits
; Kernel info:
; codeLenInByte = 1460
; TotalNumSgprs: 30
; NumVgprs: 8
; ScratchSize: 0
; MemoryBound: 0
; FloatMode: 240
; IeeeMode: 1
; LDSByteSize: 1024 bytes/workgroup (compile time only)
; SGPRBlocks: 0
; VGPRBlocks: 0
; NumSGPRsForWavesPerEU: 30
; NumVGPRsForWavesPerEU: 8
; NamedBarCnt: 0
; Occupancy: 16
; WaveLimiterHint : 0
; COMPUTE_PGM_RSRC2:SCRATCH_EN: 0
; COMPUTE_PGM_RSRC2:USER_SGPR: 2
; COMPUTE_PGM_RSRC2:TRAP_HANDLER: 0
; COMPUTE_PGM_RSRC2:TGID_X_EN: 1
; COMPUTE_PGM_RSRC2:TGID_Y_EN: 1
; COMPUTE_PGM_RSRC2:TGID_Z_EN: 1
; COMPUTE_PGM_RSRC2:TIDIG_COMP_CNT: 0
	.section	.text._ZN2at6native6mbtopk10gatherTopKIhmLin1EEEvNS_4cuda6detail10TensorInfoIKT_T0_EES8_S8_bjS8_NS5_IS6_S8_EES8_NS5_IlS8_EES8_jjPS6_PjSD_j,"axG",@progbits,_ZN2at6native6mbtopk10gatherTopKIhmLin1EEEvNS_4cuda6detail10TensorInfoIKT_T0_EES8_S8_bjS8_NS5_IS6_S8_EES8_NS5_IlS8_EES8_jjPS6_PjSD_j,comdat
	.protected	_ZN2at6native6mbtopk10gatherTopKIhmLin1EEEvNS_4cuda6detail10TensorInfoIKT_T0_EES8_S8_bjS8_NS5_IS6_S8_EES8_NS5_IlS8_EES8_jjPS6_PjSD_j ; -- Begin function _ZN2at6native6mbtopk10gatherTopKIhmLin1EEEvNS_4cuda6detail10TensorInfoIKT_T0_EES8_S8_bjS8_NS5_IS6_S8_EES8_NS5_IlS8_EES8_jjPS6_PjSD_j
	.globl	_ZN2at6native6mbtopk10gatherTopKIhmLin1EEEvNS_4cuda6detail10TensorInfoIKT_T0_EES8_S8_bjS8_NS5_IS6_S8_EES8_NS5_IlS8_EES8_jjPS6_PjSD_j
	.p2align	8
	.type	_ZN2at6native6mbtopk10gatherTopKIhmLin1EEEvNS_4cuda6detail10TensorInfoIKT_T0_EES8_S8_bjS8_NS5_IS6_S8_EES8_NS5_IlS8_EES8_jjPS6_PjSD_j,@function
_ZN2at6native6mbtopk10gatherTopKIhmLin1EEEvNS_4cuda6detail10TensorInfoIKT_T0_EES8_S8_bjS8_NS5_IS6_S8_EES8_NS5_IlS8_EES8_jjPS6_PjSD_j: ; @_ZN2at6native6mbtopk10gatherTopKIhmLin1EEEvNS_4cuda6detail10TensorInfoIKT_T0_EES8_S8_bjS8_NS5_IS6_S8_EES8_NS5_IlS8_EES8_jjPS6_PjSD_j
; %bb.0:
	s_bfe_u32 s2, ttmp6, 0x40010
	s_and_b32 s4, ttmp7, 0xffff
	s_add_co_i32 s5, s2, 1
	s_clause 0x1
	s_load_b32 s6, s[0:1], 0x530
	s_load_b64 s[2:3], s[0:1], 0x538
	s_bfe_u32 s8, ttmp6, 0x4000c
	s_mul_i32 s5, s4, s5
	s_bfe_u32 s7, ttmp6, 0x40004
	s_add_co_i32 s8, s8, 1
	s_bfe_u32 s9, ttmp6, 0x40014
	s_add_co_i32 s7, s7, s5
	s_and_b32 s5, ttmp6, 15
	s_mul_i32 s8, ttmp9, s8
	s_lshr_b32 s10, ttmp7, 16
	s_add_co_i32 s9, s9, 1
	s_add_co_i32 s5, s5, s8
	s_mul_i32 s8, s10, s9
	s_bfe_u32 s9, ttmp6, 0x40008
	s_getreg_b32 s11, hwreg(HW_REG_IB_STS2, 6, 4)
	s_add_co_i32 s9, s9, s8
	s_cmp_eq_u32 s11, 0
	s_cselect_b32 s8, s10, s9
	s_cselect_b32 s4, s4, s7
	s_wait_kmcnt 0x0
	s_mul_i32 s3, s3, s8
	s_cselect_b32 s5, ttmp9, s5
	s_add_co_i32 s3, s3, s4
	s_delay_alu instid0(SALU_CYCLE_1) | instskip(NEXT) | instid1(SALU_CYCLE_1)
	s_mul_i32 s3, s3, s2
	s_add_co_i32 s3, s3, s5
	s_delay_alu instid0(SALU_CYCLE_1)
	s_cmp_ge_u32 s3, s6
	s_cbranch_scc1 .LBB128_61
; %bb.1:
	s_load_b64 s[16:17], s[0:1], 0x510
	s_wait_kmcnt 0x0
	s_cvt_f32_u32 s2, s17
	s_sub_co_i32 s4, 0, s17
	s_lshl_b32 s33, s16, 8
	s_delay_alu instid0(SALU_CYCLE_1) | instskip(SKIP_1) | instid1(TRANS32_DEP_1)
	v_rcp_iflag_f32_e32 v1, s2
	v_nop
	v_readfirstlane_b32 s2, v1
	s_mul_f32 s2, s2, 0x4f7ffffe
	s_delay_alu instid0(SALU_CYCLE_3) | instskip(NEXT) | instid1(SALU_CYCLE_3)
	s_cvt_u32_f32 s2, s2
	s_mul_i32 s4, s4, s2
	s_delay_alu instid0(SALU_CYCLE_1) | instskip(NEXT) | instid1(SALU_CYCLE_1)
	s_mul_hi_u32 s4, s2, s4
	s_add_co_i32 s2, s2, s4
	s_load_b128 s[4:7], s[0:1], 0x1a0
	s_mul_hi_u32 s2, s3, s2
	s_delay_alu instid0(SALU_CYCLE_1) | instskip(SKIP_2) | instid1(SALU_CYCLE_1)
	s_mul_i32 s8, s2, s17
	s_add_co_i32 s9, s2, 1
	s_sub_co_i32 s8, s3, s8
	s_sub_co_i32 s10, s8, s17
	s_cmp_ge_u32 s8, s17
	s_cselect_b32 s2, s9, s2
	s_cselect_b32 s8, s10, s8
	s_add_co_i32 s9, s2, 1
	s_cmp_ge_u32 s8, s17
	s_cselect_b32 s2, s9, s2
	s_delay_alu instid0(SALU_CYCLE_1) | instskip(NEXT) | instid1(SALU_CYCLE_1)
	s_mul_i32 s20, s2, s17
	s_sub_co_i32 s44, s3, s20
	s_delay_alu instid0(SALU_CYCLE_1) | instskip(NEXT) | instid1(SALU_CYCLE_1)
	s_add_co_i32 s3, s44, 1
	s_cmp_lt_u32 s3, s17
	s_cbranch_scc1 .LBB128_3
; %bb.2:
	s_mul_i32 s8, s44, s33
	s_mov_b32 s9, 0
	s_wait_kmcnt 0x0
	s_sub_nc_u64 s[10:11], s[4:5], s[8:9]
	s_delay_alu instid0(SALU_CYCLE_1) | instskip(NEXT) | instid1(SALU_CYCLE_1)
	s_add_nc_u64 s[10:11], s[10:11], 0xff
	s_ashr_i32 s3, s11, 31
	s_delay_alu instid0(SALU_CYCLE_1) | instskip(NEXT) | instid1(SALU_CYCLE_1)
	s_lshr_b32 s8, s3, 24
	s_add_nc_u64 s[8:9], s[10:11], s[8:9]
	s_delay_alu instid0(SALU_CYCLE_1) | instskip(NEXT) | instid1(SALU_CYCLE_1)
	s_lshr_b64 s[8:9], s[8:9], 8
	s_mov_b32 s16, s8
.LBB128_3:
	s_load_b32 s10, s[0:1], 0x198
	s_mov_b32 s9, 0
	s_mov_b64 s[18:19], 0
	s_mov_b32 s3, s9
	s_delay_alu instid0(SALU_CYCLE_1)
	s_mov_b64 s[22:23], s[2:3]
	s_wait_kmcnt 0x0
	s_cmp_lt_i32 s10, 2
	s_cbranch_scc1 .LBB128_9
; %bb.4:
	s_add_co_i32 s8, s10, -1
	s_add_co_i32 s21, s10, 1
	s_lshl_b64 s[12:13], s[8:9], 3
	s_delay_alu instid0(SALU_CYCLE_1)
	s_add_nc_u64 s[10:11], s[0:1], s[12:13]
	s_mov_b64 s[12:13], s[2:3]
	s_add_nc_u64 s[10:11], s[10:11], 8
.LBB128_5:                              ; =>This Inner Loop Header: Depth=1
	s_load_b64 s[14:15], s[10:11], 0x0
	s_mov_b64 s[22:23], 0
	s_wait_kmcnt 0x0
	v_cmp_lt_u64_e64 s8, s[12:13], s[14:15]
	s_and_b32 vcc_lo, exec_lo, s8
	s_cbranch_vccnz .LBB128_7
; %bb.6:                                ;   in Loop: Header=BB128_5 Depth=1
	v_cvt_f32_u32_e32 v1, s14
	s_sub_co_i32 s22, 0, s14
	s_delay_alu instid0(VALU_DEP_1) | instskip(SKIP_1) | instid1(TRANS32_DEP_1)
	v_rcp_iflag_f32_e32 v1, v1
	v_nop
	v_mul_f32_e32 v1, 0x4f7ffffe, v1
	s_delay_alu instid0(VALU_DEP_1) | instskip(NEXT) | instid1(VALU_DEP_1)
	v_cvt_u32_f32_e32 v1, v1
	v_readfirstlane_b32 s8, v1
	s_mul_i32 s22, s22, s8
	s_delay_alu instid0(SALU_CYCLE_1) | instskip(NEXT) | instid1(SALU_CYCLE_1)
	s_mul_hi_u32 s22, s8, s22
	s_add_co_i32 s8, s8, s22
	s_delay_alu instid0(SALU_CYCLE_1) | instskip(NEXT) | instid1(SALU_CYCLE_1)
	s_mul_hi_u32 s8, s12, s8
	s_mul_i32 s22, s8, s14
	s_add_co_i32 s23, s8, 1
	s_sub_co_i32 s22, s12, s22
	s_delay_alu instid0(SALU_CYCLE_1)
	s_sub_co_i32 s24, s22, s14
	s_cmp_ge_u32 s22, s14
	s_cselect_b32 s8, s23, s8
	s_cselect_b32 s22, s24, s22
	s_add_co_i32 s23, s8, 1
	s_cmp_ge_u32 s22, s14
	s_cselect_b32 s8, s23, s8
	s_delay_alu instid0(SALU_CYCLE_1)
	s_mov_b64 s[22:23], s[8:9]
.LBB128_7:                              ;   in Loop: Header=BB128_5 Depth=1
	s_load_b64 s[24:25], s[10:11], 0xc8
	s_mul_u64 s[14:15], s[22:23], s[14:15]
	s_add_co_i32 s21, s21, -1
	s_sub_nc_u64 s[12:13], s[12:13], s[14:15]
	s_cmp_gt_u32 s21, 2
	s_wait_xcnt 0x0
	s_add_nc_u64 s[10:11], s[10:11], -8
	s_wait_kmcnt 0x0
	s_mul_u64 s[12:13], s[24:25], s[12:13]
	s_delay_alu instid0(SALU_CYCLE_1)
	s_add_nc_u64 s[18:19], s[12:13], s[18:19]
	s_cbranch_scc0 .LBB128_9
; %bb.8:                                ;   in Loop: Header=BB128_5 Depth=1
	s_mov_b64 s[12:13], s[22:23]
	s_branch .LBB128_5
.LBB128_9:
	s_load_b32 s12, s[0:1], 0x358
	s_add_nc_u64 s[8:9], s[0:1], 0x1c0
	s_mov_b64 s[24:25], 0
	s_mov_b64 s[26:27], s[2:3]
	s_wait_kmcnt 0x0
	s_cmp_lt_i32 s12, 2
	s_cbranch_scc1 .LBB128_15
; %bb.10:
	s_add_co_i32 s10, s12, -1
	s_mov_b32 s11, 0
	s_add_co_i32 s21, s12, 1
	s_lshl_b64 s[14:15], s[10:11], 3
	s_delay_alu instid0(SALU_CYCLE_1)
	s_add_nc_u64 s[12:13], s[8:9], s[14:15]
	s_mov_b64 s[14:15], s[2:3]
	s_add_nc_u64 s[12:13], s[12:13], 8
.LBB128_11:                             ; =>This Inner Loop Header: Depth=1
	s_load_b64 s[28:29], s[12:13], 0x0
	s_mov_b64 s[26:27], 0
	s_wait_kmcnt 0x0
	v_cmp_lt_u64_e64 s10, s[14:15], s[28:29]
	s_and_b32 vcc_lo, exec_lo, s10
	s_cbranch_vccnz .LBB128_13
; %bb.12:                               ;   in Loop: Header=BB128_11 Depth=1
	v_cvt_f32_u32_e32 v1, s28
	s_sub_co_i32 s26, 0, s28
	s_delay_alu instid0(VALU_DEP_1) | instskip(SKIP_1) | instid1(TRANS32_DEP_1)
	v_rcp_iflag_f32_e32 v1, v1
	v_nop
	v_mul_f32_e32 v1, 0x4f7ffffe, v1
	s_delay_alu instid0(VALU_DEP_1) | instskip(NEXT) | instid1(VALU_DEP_1)
	v_cvt_u32_f32_e32 v1, v1
	v_readfirstlane_b32 s10, v1
	s_mul_i32 s26, s26, s10
	s_delay_alu instid0(SALU_CYCLE_1) | instskip(NEXT) | instid1(SALU_CYCLE_1)
	s_mul_hi_u32 s26, s10, s26
	s_add_co_i32 s10, s10, s26
	s_delay_alu instid0(SALU_CYCLE_1) | instskip(NEXT) | instid1(SALU_CYCLE_1)
	s_mul_hi_u32 s10, s14, s10
	s_mul_i32 s26, s10, s28
	s_add_co_i32 s27, s10, 1
	s_sub_co_i32 s26, s14, s26
	s_delay_alu instid0(SALU_CYCLE_1)
	s_sub_co_i32 s30, s26, s28
	s_cmp_ge_u32 s26, s28
	s_cselect_b32 s10, s27, s10
	s_cselect_b32 s26, s30, s26
	s_add_co_i32 s27, s10, 1
	s_cmp_ge_u32 s26, s28
	s_cselect_b32 s10, s27, s10
	s_delay_alu instid0(SALU_CYCLE_1)
	s_mov_b64 s[26:27], s[10:11]
.LBB128_13:                             ;   in Loop: Header=BB128_11 Depth=1
	s_load_b64 s[30:31], s[12:13], 0xc8
	s_mul_u64 s[28:29], s[26:27], s[28:29]
	s_add_co_i32 s21, s21, -1
	s_sub_nc_u64 s[14:15], s[14:15], s[28:29]
	s_cmp_gt_u32 s21, 2
	s_wait_xcnt 0x0
	s_add_nc_u64 s[12:13], s[12:13], -8
	s_wait_kmcnt 0x0
	s_mul_u64 s[14:15], s[30:31], s[14:15]
	s_delay_alu instid0(SALU_CYCLE_1)
	s_add_nc_u64 s[24:25], s[14:15], s[24:25]
	s_cbranch_scc0 .LBB128_15
; %bb.14:                               ;   in Loop: Header=BB128_11 Depth=1
	s_mov_b64 s[14:15], s[26:27]
	s_branch .LBB128_11
.LBB128_15:
	s_clause 0x1
	s_load_b64 s[28:29], s[0:1], 0xd0
	s_load_b32 s12, s[0:1], 0x500
	s_mov_b64 s[30:31], 0
	s_wait_kmcnt 0x0
	s_cmp_lt_i32 s12, 2
	s_cbranch_scc1 .LBB128_21
; %bb.16:
	s_add_co_i32 s10, s12, -1
	s_mov_b32 s11, 0
	s_add_nc_u64 s[14:15], s[0:1], 0x368
	s_lshl_b64 s[30:31], s[10:11], 3
	s_add_co_i32 s21, s12, 1
	s_add_nc_u64 s[14:15], s[14:15], s[30:31]
	s_mov_b64 s[30:31], 0
	s_add_nc_u64 s[12:13], s[14:15], 8
	s_mov_b64 s[14:15], s[2:3]
.LBB128_17:                             ; =>This Inner Loop Header: Depth=1
	s_load_b64 s[36:37], s[12:13], 0x0
	s_mov_b64 s[34:35], 0
	s_wait_kmcnt 0x0
	v_cmp_lt_u64_e64 s10, s[14:15], s[36:37]
	s_and_b32 vcc_lo, exec_lo, s10
	s_cbranch_vccnz .LBB128_19
; %bb.18:                               ;   in Loop: Header=BB128_17 Depth=1
	v_cvt_f32_u32_e32 v1, s36
	s_sub_co_i32 s34, 0, s36
	s_delay_alu instid0(VALU_DEP_1) | instskip(SKIP_1) | instid1(TRANS32_DEP_1)
	v_rcp_iflag_f32_e32 v1, v1
	v_nop
	v_mul_f32_e32 v1, 0x4f7ffffe, v1
	s_delay_alu instid0(VALU_DEP_1) | instskip(NEXT) | instid1(VALU_DEP_1)
	v_cvt_u32_f32_e32 v1, v1
	v_readfirstlane_b32 s10, v1
	s_mul_i32 s34, s34, s10
	s_delay_alu instid0(SALU_CYCLE_1) | instskip(NEXT) | instid1(SALU_CYCLE_1)
	s_mul_hi_u32 s34, s10, s34
	s_add_co_i32 s10, s10, s34
	s_delay_alu instid0(SALU_CYCLE_1) | instskip(NEXT) | instid1(SALU_CYCLE_1)
	s_mul_hi_u32 s10, s14, s10
	s_mul_i32 s34, s10, s36
	s_add_co_i32 s35, s10, 1
	s_sub_co_i32 s34, s14, s34
	s_delay_alu instid0(SALU_CYCLE_1)
	s_sub_co_i32 s38, s34, s36
	s_cmp_ge_u32 s34, s36
	s_cselect_b32 s10, s35, s10
	s_cselect_b32 s34, s38, s34
	s_add_co_i32 s35, s10, 1
	s_cmp_ge_u32 s34, s36
	s_cselect_b32 s10, s35, s10
	s_delay_alu instid0(SALU_CYCLE_1)
	s_mov_b64 s[34:35], s[10:11]
.LBB128_19:                             ;   in Loop: Header=BB128_17 Depth=1
	s_load_b64 s[38:39], s[12:13], 0xc8
	s_mul_u64 s[36:37], s[34:35], s[36:37]
	s_add_co_i32 s21, s21, -1
	s_sub_nc_u64 s[14:15], s[14:15], s[36:37]
	s_cmp_gt_u32 s21, 2
	s_wait_xcnt 0x0
	s_add_nc_u64 s[12:13], s[12:13], -8
	s_wait_kmcnt 0x0
	s_mul_u64 s[14:15], s[38:39], s[14:15]
	s_delay_alu instid0(SALU_CYCLE_1)
	s_add_nc_u64 s[30:31], s[14:15], s[30:31]
	s_cbranch_scc0 .LBB128_22
; %bb.20:                               ;   in Loop: Header=BB128_17 Depth=1
	s_mov_b64 s[14:15], s[34:35]
	s_branch .LBB128_17
.LBB128_21:
	s_mov_b64 s[34:35], s[2:3]
.LBB128_22:
	s_load_b64 s[36:37], s[8:9], 0xd0
	s_wait_xcnt 0x0
	s_load_b128 s[8:11], s[0:1], 0x518
	v_mov_b32_e32 v1, 0
	s_mov_b32 s21, 0
	s_wait_kmcnt 0x0
	s_add_nc_u64 s[2:3], s[8:9], s[2:3]
	global_load_u8 v6, v1, s[2:3]
	s_wait_xcnt 0x0
	v_cmp_ne_u32_e64 s2, 0, v0
	v_cmp_eq_u32_e64 s3, 0, v0
	s_and_saveexec_b32 s45, s3
	s_cbranch_execz .LBB128_38
; %bb.23:
	s_load_b64 s[38:39], s[0:1], 0x528
	s_lshl_b64 s[40:41], s[20:21], 2
	s_cmp_lt_u32 s17, 4
	s_cbranch_scc1 .LBB128_35
; %bb.24:
	s_mov_b64 s[8:9], 0
	s_mov_b32 s20, 0
.LBB128_25:                             ; =>This Inner Loop Header: Depth=1
	s_add_nc_u64 s[42:43], s[10:11], s[40:41]
	s_cmp_ge_u32 s20, s44
	s_load_b128 s[12:15], s[42:43], 0x0
	s_wait_kmcnt 0x0
	s_add_nc_u64 s[42:43], s[38:39], s[40:41]
	s_cbranch_scc0 .LBB128_32
; %bb.26:                               ;   in Loop: Header=BB128_25 Depth=1
	s_add_co_i32 s46, s20, 1
	s_delay_alu instid0(SALU_CYCLE_1)
	s_cmp_ge_u32 s46, s44
	s_cbranch_scc0 .LBB128_33
.LBB128_27:                             ;   in Loop: Header=BB128_25 Depth=1
	s_add_co_i32 s46, s46, 1
	s_delay_alu instid0(SALU_CYCLE_1)
	s_cmp_ge_u32 s46, s44
	s_cbranch_scc0 .LBB128_34
.LBB128_28:                             ;   in Loop: Header=BB128_25 Depth=1
	s_add_co_i32 s46, s46, 1
	s_delay_alu instid0(SALU_CYCLE_1)
	s_cmp_ge_u32 s46, s44
	s_cbranch_scc1 .LBB128_30
.LBB128_29:                             ;   in Loop: Header=BB128_25 Depth=1
	s_load_b32 s42, s[42:43], 0xc
	s_add_co_i32 s9, s15, s9
	s_wait_kmcnt 0x0
	s_add_co_i32 s8, s42, s8
.LBB128_30:                             ;   in Loop: Header=BB128_25 Depth=1
	s_add_co_i32 s12, s12, s21
	s_add_nc_u64 s[10:11], s[10:11], 16
	s_add_co_i32 s12, s12, s13
	s_add_co_i32 s13, s46, 4
	;; [unrolled: 1-line block ×3, first 2 shown]
	s_add_nc_u64 s[38:39], s[38:39], 16
	s_add_co_i32 s21, s12, s15
	s_add_co_i32 s12, s46, 1
	s_cmp_ge_u32 s13, s17
	s_cbranch_scc1 .LBB128_36
; %bb.31:                               ;   in Loop: Header=BB128_25 Depth=1
	s_mov_b32 s20, s12
	s_branch .LBB128_25
.LBB128_32:                             ;   in Loop: Header=BB128_25 Depth=1
	s_load_b32 s46, s[42:43], 0x0
	s_add_co_i32 s9, s12, s9
	s_wait_kmcnt 0x0
	s_add_co_i32 s8, s46, s8
	s_add_co_i32 s46, s20, 1
	s_delay_alu instid0(SALU_CYCLE_1)
	s_cmp_ge_u32 s46, s44
	s_cbranch_scc1 .LBB128_27
.LBB128_33:                             ;   in Loop: Header=BB128_25 Depth=1
	s_load_b32 s47, s[42:43], 0x4
	s_add_co_i32 s9, s13, s9
	s_wait_kmcnt 0x0
	s_add_co_i32 s8, s47, s8
	s_add_co_i32 s46, s46, 1
	s_delay_alu instid0(SALU_CYCLE_1)
	s_cmp_ge_u32 s46, s44
	s_cbranch_scc1 .LBB128_28
.LBB128_34:                             ;   in Loop: Header=BB128_25 Depth=1
	s_load_b32 s47, s[42:43], 0x8
	s_add_co_i32 s9, s14, s9
	s_wait_kmcnt 0x0
	s_add_co_i32 s8, s47, s8
	s_add_co_i32 s46, s46, 1
	s_delay_alu instid0(SALU_CYCLE_1)
	s_cmp_ge_u32 s46, s44
	s_cbranch_scc0 .LBB128_29
	s_branch .LBB128_30
.LBB128_35:
	s_mov_b64 s[8:9], 0
	s_add_nc_u64 s[10:11], s[10:11], s[40:41]
	s_wait_kmcnt 0x0
	s_add_nc_u64 s[12:13], s[38:39], s[40:41]
	s_mov_b32 s14, 0
	s_delay_alu instid0(SALU_CYCLE_1)
	s_cmp_ge_u32 s14, s17
	s_cbranch_scc0 .LBB128_59
	s_branch .LBB128_37
.LBB128_36:
	s_add_co_i32 s14, s20, 4
	s_add_nc_u64 s[12:13], s[38:39], s[40:41]
	s_add_nc_u64 s[10:11], s[10:11], s[40:41]
	s_cmp_ge_u32 s14, s17
	s_cbranch_scc0 .LBB128_59
.LBB128_37:
	v_dual_mov_b32 v2, s8 :: v_dual_mov_b32 v3, s21
	v_dual_mov_b32 v4, s9 :: v_dual_mov_b32 v1, 0
	ds_store_b96 v1, v[2:4] offset:1056
.LBB128_38:
	s_or_b32 exec_lo, exec_lo, s45
	s_clause 0x3
	s_load_b64 s[8:9], s[0:1], 0x438
	s_load_b64 s[14:15], s[0:1], 0x0
	;; [unrolled: 1-line block ×4, first 2 shown]
	s_cmp_eq_u32 s16, 0
	s_wait_loadcnt_dscnt 0x0
	s_barrier_signal -1
	s_barrier_wait -1
	s_cbranch_scc1 .LBB128_61
; %bb.39:
	v_dual_mov_b32 v1, 0 :: v_dual_lshrrev_b32 v5, 3, v0
	s_mul_u64 s[22:23], s[28:29], s[22:23]
	s_wait_kmcnt 0x0
	s_mul_u64 s[28:29], s[8:9], s[34:35]
	v_dual_add_nc_u32 v9, -1, v0 :: v_dual_lshlrev_b32 v11, 5, v0
	ds_load_b96 v[2:4], v1 offset:1056
	s_clause 0x3
	s_load_b32 s17, s[0:1], 0x1b0
	s_load_b64 s[8:9], s[0:1], 0x1b8
	s_load_b64 s[10:11], s[0:1], 0x360
	;; [unrolled: 1-line block ×3, first 2 shown]
	v_and_b32_e32 v7, 0xfc, v0
	v_and_b32_e32 v5, 28, v5
	v_lshrrev_b32_e32 v8, 3, v9
	s_wait_xcnt 0x0
	v_cmp_gt_u32_e64 s0, 32, v0
	s_mul_u64 s[26:27], s[36:37], s[26:27]
	v_add_nc_u32_e32 v11, v7, v11
	v_lshl_add_u32 v5, v0, 2, v5
	v_mad_u32 v0, s44, s33, v0
	s_add_nc_u64 s[14:15], s[14:15], s[22:23]
	s_add_nc_u64 s[22:23], s[38:39], s[26:27]
	s_lshl_b64 s[26:27], s[28:29], 3
	s_lshl_b64 s[30:31], s[30:31], 3
	s_add_nc_u64 s[20:21], s[20:21], s[26:27]
	s_add_nc_u64 s[14:15], s[14:15], s[18:19]
	s_add_nc_u64 s[18:19], s[22:23], s[24:25]
	s_add_nc_u64 s[20:21], s[20:21], s[30:31]
	s_wait_kmcnt 0x0
	s_bitcmp1_b32 s17, 0
                                        ; implicit-def: $vgpr15
	s_wait_dscnt 0x0
	v_add_nc_u32_e32 v2, v2, v3
	v_and_b32_e32 v10, 0x1ffffffc, v8
	v_mbcnt_lo_u32_b32 v8, -1, 0
	s_cselect_b32 s1, -1, 0
	s_delay_alu instid0(VALU_DEP_2) | instskip(SKIP_1) | instid1(VALU_DEP_3)
	v_lshl_add_u32 v9, v9, 2, v10
	v_and_b32_e32 v10, 0xff, v6
	v_dual_add_nc_u32 v14, -1, v8 :: v_dual_bitop2_b32 v12, 15, v8 bitop3:0x40
	v_bfe_i32 v13, v8, 4, 1
	s_branch .LBB128_42
.LBB128_40:                             ;   in Loop: Header=BB128_42 Depth=1
	s_wait_xcnt 0x0
	s_or_b32 exec_lo, exec_lo, s17
	v_add_nc_u32_e32 v2, v3, v2
.LBB128_41:                             ;   in Loop: Header=BB128_42 Depth=1
	v_add_nc_u32_e32 v4, v16, v4
	v_add_nc_u32_e32 v0, 0x100, v0
	s_add_co_i32 s16, s16, -1
	s_delay_alu instid0(SALU_CYCLE_1)
	s_cmp_lg_u32 s16, 0
	s_cbranch_scc0 .LBB128_61
.LBB128_42:                             ; =>This Inner Loop Header: Depth=1
	v_dual_mov_b32 v3, v1 :: v_dual_mov_b32 v6, v1
	s_mov_b32 s17, exec_lo
	v_cmpx_gt_u64_e64 s[4:5], v[0:1]
	s_cbranch_execz .LBB128_44
; %bb.43:                               ;   in Loop: Header=BB128_42 Depth=1
	v_mad_nc_u64_u32 v[6:7], s8, v0, s[14:15]
	s_delay_alu instid0(VALU_DEP_1)
	v_mad_u32 v7, s9, v0, v7
	global_load_u8 v15, v[6:7], off
	s_wait_loadcnt 0x0
	v_cmp_gt_u16_e32 vcc_lo, v15, v10
	v_cndmask_b32_e64 v3, 0, 1, vcc_lo
	v_cmp_lt_u16_e32 vcc_lo, v15, v10
	s_wait_xcnt 0x0
	v_cndmask_b32_e64 v6, 0, 1, vcc_lo
	v_cmp_eq_u16_e32 vcc_lo, v15, v10
	s_delay_alu instid0(VALU_DEP_2) | instskip(SKIP_1) | instid1(VALU_DEP_2)
	v_cndmask_b32_e64 v3, v6, v3, s1
	v_cndmask_b32_e64 v6, 0, 1, vcc_lo
	v_and_b32_e32 v3, 1, v3
.LBB128_44:                             ;   in Loop: Header=BB128_42 Depth=1
	s_or_b32 exec_lo, exec_lo, s17
	ds_store_b32 v5, v3
	s_wait_dscnt 0x0
	s_barrier_signal -1
	s_barrier_wait -1
	s_and_saveexec_b32 s17, s0
	s_cbranch_execz .LBB128_46
; %bb.45:                               ;   in Loop: Header=BB128_42 Depth=1
	ds_load_2addr_b32 v[16:17], v11 offset1:1
	ds_load_2addr_b32 v[18:19], v11 offset0:2 offset1:3
	ds_load_2addr_b32 v[20:21], v11 offset0:4 offset1:5
	;; [unrolled: 1-line block ×3, first 2 shown]
	v_cmp_ne_u32_e32 vcc_lo, 0, v12
	; wave barrier
	s_wait_dscnt 0x3
	v_add_nc_u32_e32 v7, v17, v16
	s_wait_dscnt 0x2
	s_delay_alu instid0(VALU_DEP_1) | instskip(SKIP_1) | instid1(VALU_DEP_1)
	v_add3_u32 v7, v7, v18, v19
	s_wait_dscnt 0x1
	v_add3_u32 v7, v7, v20, v21
	s_wait_dscnt 0x0
	s_delay_alu instid0(VALU_DEP_1) | instskip(NEXT) | instid1(VALU_DEP_1)
	v_add3_u32 v7, v7, v22, v23
	v_mov_b32_dpp v17, v7 row_shr:1 row_mask:0xf bank_mask:0xf
	s_delay_alu instid0(VALU_DEP_1) | instskip(SKIP_1) | instid1(VALU_DEP_2)
	v_cndmask_b32_e32 v17, 0, v17, vcc_lo
	v_cmp_lt_u32_e32 vcc_lo, 1, v12
	v_add_nc_u32_e32 v7, v17, v7
	s_delay_alu instid0(VALU_DEP_1) | instskip(NEXT) | instid1(VALU_DEP_1)
	v_mov_b32_dpp v17, v7 row_shr:2 row_mask:0xf bank_mask:0xf
	v_cndmask_b32_e32 v17, 0, v17, vcc_lo
	v_cmp_lt_u32_e32 vcc_lo, 3, v12
	s_delay_alu instid0(VALU_DEP_2) | instskip(NEXT) | instid1(VALU_DEP_1)
	v_add_nc_u32_e32 v7, v7, v17
	v_mov_b32_dpp v17, v7 row_shr:4 row_mask:0xf bank_mask:0xf
	s_delay_alu instid0(VALU_DEP_1) | instskip(SKIP_1) | instid1(VALU_DEP_2)
	v_cndmask_b32_e32 v17, 0, v17, vcc_lo
	v_cmp_lt_u32_e32 vcc_lo, 7, v12
	v_add_nc_u32_e32 v7, v7, v17
	s_delay_alu instid0(VALU_DEP_1) | instskip(NEXT) | instid1(VALU_DEP_1)
	v_mov_b32_dpp v17, v7 row_shr:8 row_mask:0xf bank_mask:0xf
	v_cndmask_b32_e32 v17, 0, v17, vcc_lo
	v_cmp_gt_i32_e32 vcc_lo, 0, v14
	s_delay_alu instid0(VALU_DEP_2) | instskip(SKIP_3) | instid1(VALU_DEP_1)
	v_dual_cndmask_b32 v18, v14, v8 :: v_dual_add_nc_u32 v7, v7, v17
	ds_swizzle_b32 v17, v7 offset:swizzle(BROADCAST,32,15)
	s_wait_dscnt 0x0
	v_dual_lshlrev_b32 v18, 2, v18 :: v_dual_bitop2_b32 v17, v13, v17 bitop3:0x40
	v_add_nc_u32_e32 v7, v7, v17
	ds_bpermute_b32 v7, v18, v7
	s_wait_dscnt 0x0
	v_add_nc_u32_e32 v7, v7, v16
	s_delay_alu instid0(VALU_DEP_1)
	v_cndmask_b32_e64 v7, v7, v3, s3
	ds_store_b32 v11, v7
	; wave barrier
	ds_load_2addr_b32 v[16:17], v11 offset0:1 offset1:2
	ds_load_2addr_b32 v[18:19], v11 offset0:3 offset1:4
	;; [unrolled: 1-line block ×3, first 2 shown]
	ds_load_b32 v22, v11 offset:28
	s_wait_dscnt 0x3
	v_add_nc_u32_e32 v7, v16, v7
	s_delay_alu instid0(VALU_DEP_1) | instskip(SKIP_1) | instid1(VALU_DEP_1)
	v_add_nc_u32_e32 v16, v17, v7
	s_wait_dscnt 0x2
	v_add_nc_u32_e32 v17, v18, v16
	s_delay_alu instid0(VALU_DEP_1) | instskip(SKIP_1) | instid1(VALU_DEP_1)
	v_add_nc_u32_e32 v18, v19, v17
	;; [unrolled: 4-line block ×3, first 2 shown]
	s_wait_dscnt 0x0
	v_add_nc_u32_e32 v21, v22, v20
	ds_store_2addr_b32 v11, v7, v16 offset0:1 offset1:2
	ds_store_2addr_b32 v11, v17, v18 offset0:3 offset1:4
	;; [unrolled: 1-line block ×3, first 2 shown]
	ds_store_b32 v11, v21 offset:28
.LBB128_46:                             ;   in Loop: Header=BB128_42 Depth=1
	s_or_b32 exec_lo, exec_lo, s17
	v_mov_b32_e32 v7, 0
	s_wait_dscnt 0x0
	s_barrier_signal -1
	s_barrier_wait -1
	s_and_saveexec_b32 s17, s2
; %bb.47:                               ;   in Loop: Header=BB128_42 Depth=1
	ds_load_b32 v7, v9
; %bb.48:                               ;   in Loop: Header=BB128_42 Depth=1
	s_or_b32 exec_lo, exec_lo, s17
	ds_load_b32 v16, v1 offset:1048
	s_mov_b32 s17, exec_lo
	s_wait_dscnt 0x0
	s_barrier_signal -1
	s_barrier_wait -1
	v_cmpx_ne_u32_e32 0, v3
	s_cbranch_execz .LBB128_50
; %bb.49:                               ;   in Loop: Header=BB128_42 Depth=1
	v_dual_mov_b32 v19, v1 :: v_dual_add_nc_u32 v18, v7, v4
	s_delay_alu instid0(VALU_DEP_1) | instskip(NEXT) | instid1(VALU_DEP_2)
	v_mad_nc_u64_u32 v[22:23], s10, v18, s[18:19]
	v_mul_u64_e32 v[20:21], s[12:13], v[18:19]
	s_delay_alu instid0(VALU_DEP_2) | instskip(NEXT) | instid1(VALU_DEP_2)
	v_mad_u32 v23, s11, v18, v23
	v_lshl_add_u64 v[18:19], v[20:21], 3, s[20:21]
	global_store_b8 v[22:23], v15, off
	global_store_b64 v[18:19], v[0:1], off
.LBB128_50:                             ;   in Loop: Header=BB128_42 Depth=1
	s_wait_xcnt 0x0
	s_or_b32 exec_lo, exec_lo, s17
	v_mov_b32_e32 v3, v1
	s_delay_alu instid0(VALU_DEP_1)
	v_cmp_le_u64_e32 vcc_lo, s[6:7], v[2:3]
	s_cbranch_vccnz .LBB128_41
; %bb.51:                               ;   in Loop: Header=BB128_42 Depth=1
	ds_store_b32 v5, v6
	s_wait_storecnt_dscnt 0x0
	s_barrier_signal -1
	s_barrier_wait -1
	s_and_saveexec_b32 s17, s0
	s_cbranch_execz .LBB128_53
; %bb.52:                               ;   in Loop: Header=BB128_42 Depth=1
	ds_load_2addr_b32 v[18:19], v11 offset1:1
	ds_load_2addr_b32 v[20:21], v11 offset0:2 offset1:3
	ds_load_2addr_b32 v[22:23], v11 offset0:4 offset1:5
	ds_load_2addr_b32 v[24:25], v11 offset0:6 offset1:7
	v_cmp_ne_u32_e32 vcc_lo, 0, v12
	; wave barrier
	s_wait_dscnt 0x3
	v_add_nc_u32_e32 v3, v19, v18
	s_wait_dscnt 0x2
	s_delay_alu instid0(VALU_DEP_1) | instskip(SKIP_1) | instid1(VALU_DEP_1)
	v_add3_u32 v3, v3, v20, v21
	s_wait_dscnt 0x1
	v_add3_u32 v3, v3, v22, v23
	s_wait_dscnt 0x0
	s_delay_alu instid0(VALU_DEP_1) | instskip(NEXT) | instid1(VALU_DEP_1)
	v_add3_u32 v3, v3, v24, v25
	v_mov_b32_dpp v7, v3 row_shr:1 row_mask:0xf bank_mask:0xf
	s_delay_alu instid0(VALU_DEP_1) | instskip(SKIP_1) | instid1(VALU_DEP_2)
	v_cndmask_b32_e32 v7, 0, v7, vcc_lo
	v_cmp_lt_u32_e32 vcc_lo, 1, v12
	v_add_nc_u32_e32 v3, v7, v3
	s_delay_alu instid0(VALU_DEP_1) | instskip(NEXT) | instid1(VALU_DEP_1)
	v_mov_b32_dpp v7, v3 row_shr:2 row_mask:0xf bank_mask:0xf
	v_cndmask_b32_e32 v7, 0, v7, vcc_lo
	v_cmp_lt_u32_e32 vcc_lo, 3, v12
	s_delay_alu instid0(VALU_DEP_2) | instskip(NEXT) | instid1(VALU_DEP_1)
	v_add_nc_u32_e32 v3, v3, v7
	v_mov_b32_dpp v7, v3 row_shr:4 row_mask:0xf bank_mask:0xf
	s_delay_alu instid0(VALU_DEP_1) | instskip(SKIP_1) | instid1(VALU_DEP_2)
	v_cndmask_b32_e32 v7, 0, v7, vcc_lo
	v_cmp_lt_u32_e32 vcc_lo, 7, v12
	v_add_nc_u32_e32 v3, v3, v7
	s_delay_alu instid0(VALU_DEP_1) | instskip(NEXT) | instid1(VALU_DEP_1)
	v_mov_b32_dpp v7, v3 row_shr:8 row_mask:0xf bank_mask:0xf
	v_cndmask_b32_e32 v7, 0, v7, vcc_lo
	v_cmp_gt_i32_e32 vcc_lo, 0, v14
	s_delay_alu instid0(VALU_DEP_2) | instskip(SKIP_3) | instid1(VALU_DEP_1)
	v_dual_add_nc_u32 v3, v3, v7 :: v_dual_cndmask_b32 v17, v14, v8, vcc_lo
	ds_swizzle_b32 v7, v3 offset:swizzle(BROADCAST,32,15)
	s_wait_dscnt 0x0
	v_dual_lshlrev_b32 v17, 2, v17 :: v_dual_bitop2_b32 v7, v13, v7 bitop3:0x40
	v_add_nc_u32_e32 v3, v3, v7
	ds_bpermute_b32 v3, v17, v3
	s_wait_dscnt 0x0
	v_add_nc_u32_e32 v3, v3, v18
	s_delay_alu instid0(VALU_DEP_1)
	v_cndmask_b32_e64 v3, v3, v6, s3
	ds_store_b32 v11, v3
	; wave barrier
	ds_load_2addr_b32 v[18:19], v11 offset0:1 offset1:2
	ds_load_2addr_b32 v[20:21], v11 offset0:3 offset1:4
	;; [unrolled: 1-line block ×3, first 2 shown]
	ds_load_b32 v7, v11 offset:28
	s_wait_dscnt 0x3
	v_add_nc_u32_e32 v3, v18, v3
	s_delay_alu instid0(VALU_DEP_1) | instskip(SKIP_1) | instid1(VALU_DEP_1)
	v_add_nc_u32_e32 v17, v19, v3
	s_wait_dscnt 0x2
	v_add_nc_u32_e32 v18, v20, v17
	s_delay_alu instid0(VALU_DEP_1) | instskip(SKIP_1) | instid1(VALU_DEP_1)
	v_add_nc_u32_e32 v19, v21, v18
	;; [unrolled: 4-line block ×3, first 2 shown]
	s_wait_dscnt 0x0
	v_add_nc_u32_e32 v7, v7, v21
	ds_store_2addr_b32 v11, v3, v17 offset0:1 offset1:2
	ds_store_2addr_b32 v11, v18, v19 offset0:3 offset1:4
	ds_store_2addr_b32 v11, v20, v21 offset0:5 offset1:6
	ds_store_b32 v11, v7 offset:28
.LBB128_53:                             ;   in Loop: Header=BB128_42 Depth=1
	s_or_b32 exec_lo, exec_lo, s17
	v_mov_b32_e32 v7, 0
	s_wait_dscnt 0x0
	s_barrier_signal -1
	s_barrier_wait -1
	s_and_saveexec_b32 s17, s2
; %bb.54:                               ;   in Loop: Header=BB128_42 Depth=1
	ds_load_b32 v7, v9
; %bb.55:                               ;   in Loop: Header=BB128_42 Depth=1
	s_or_b32 exec_lo, exec_lo, s17
	ds_load_b32 v3, v1 offset:1048
	s_mov_b32 s17, exec_lo
	s_wait_dscnt 0x0
	s_barrier_signal -1
	s_barrier_wait -1
	v_cmpx_ne_u32_e32 0, v6
	s_cbranch_execz .LBB128_40
; %bb.56:                               ;   in Loop: Header=BB128_42 Depth=1
	v_dual_mov_b32 v7, v1 :: v_dual_add_nc_u32 v6, v7, v2
	s_delay_alu instid0(VALU_DEP_1)
	v_cmp_gt_u64_e32 vcc_lo, s[6:7], v[6:7]
	s_and_b32 exec_lo, exec_lo, vcc_lo
	s_cbranch_execz .LBB128_40
; %bb.57:                               ;   in Loop: Header=BB128_42 Depth=1
	v_mul_u64_e32 v[18:19], s[12:13], v[6:7]
	v_mad_nc_u64_u32 v[20:21], s10, v6, s[18:19]
	s_delay_alu instid0(VALU_DEP_1) | instskip(NEXT) | instid1(VALU_DEP_3)
	v_mad_u32 v21, s11, v6, v21
	v_lshl_add_u64 v[6:7], v[18:19], 3, s[20:21]
	global_store_b8 v[20:21], v15, off
	global_store_b64 v[6:7], v[0:1], off
	s_branch .LBB128_40
.LBB128_58:                             ;   in Loop: Header=BB128_59 Depth=1
	s_add_co_i32 s14, s14, 1
	s_wait_kmcnt 0x0
	s_add_co_i32 s21, s15, s21
	s_add_nc_u64 s[10:11], s[10:11], 4
	s_cmp_lt_u32 s14, s17
	s_add_nc_u64 s[12:13], s[12:13], 4
	s_cbranch_scc0 .LBB128_37
.LBB128_59:                             ; =>This Inner Loop Header: Depth=1
	s_load_b32 s15, s[10:11], 0x0
	s_cmp_ge_u32 s14, s44
	s_cbranch_scc1 .LBB128_58
; %bb.60:                               ;   in Loop: Header=BB128_59 Depth=1
	s_load_b32 s20, s[12:13], 0x0
	s_wait_kmcnt 0x0
	s_add_co_i32 s9, s15, s9
	s_add_co_i32 s8, s20, s8
	s_branch .LBB128_58
.LBB128_61:
	s_endpgm
	.section	.rodata,"a",@progbits
	.p2align	6, 0x0
	.amdhsa_kernel _ZN2at6native6mbtopk10gatherTopKIhmLin1EEEvNS_4cuda6detail10TensorInfoIKT_T0_EES8_S8_bjS8_NS5_IS6_S8_EES8_NS5_IlS8_EES8_jjPS6_PjSD_j
		.amdhsa_group_segment_fixed_size 1068
		.amdhsa_private_segment_fixed_size 0
		.amdhsa_kernarg_size 1592
		.amdhsa_user_sgpr_count 2
		.amdhsa_user_sgpr_dispatch_ptr 0
		.amdhsa_user_sgpr_queue_ptr 0
		.amdhsa_user_sgpr_kernarg_segment_ptr 1
		.amdhsa_user_sgpr_dispatch_id 0
		.amdhsa_user_sgpr_kernarg_preload_length 0
		.amdhsa_user_sgpr_kernarg_preload_offset 0
		.amdhsa_user_sgpr_private_segment_size 0
		.amdhsa_wavefront_size32 1
		.amdhsa_uses_dynamic_stack 0
		.amdhsa_enable_private_segment 0
		.amdhsa_system_sgpr_workgroup_id_x 1
		.amdhsa_system_sgpr_workgroup_id_y 1
		.amdhsa_system_sgpr_workgroup_id_z 1
		.amdhsa_system_sgpr_workgroup_info 0
		.amdhsa_system_vgpr_workitem_id 0
		.amdhsa_next_free_vgpr 26
		.amdhsa_next_free_sgpr 48
		.amdhsa_named_barrier_count 0
		.amdhsa_reserve_vcc 1
		.amdhsa_float_round_mode_32 0
		.amdhsa_float_round_mode_16_64 0
		.amdhsa_float_denorm_mode_32 3
		.amdhsa_float_denorm_mode_16_64 3
		.amdhsa_fp16_overflow 0
		.amdhsa_memory_ordered 1
		.amdhsa_forward_progress 1
		.amdhsa_inst_pref_size 26
		.amdhsa_round_robin_scheduling 0
		.amdhsa_exception_fp_ieee_invalid_op 0
		.amdhsa_exception_fp_denorm_src 0
		.amdhsa_exception_fp_ieee_div_zero 0
		.amdhsa_exception_fp_ieee_overflow 0
		.amdhsa_exception_fp_ieee_underflow 0
		.amdhsa_exception_fp_ieee_inexact 0
		.amdhsa_exception_int_div_zero 0
	.end_amdhsa_kernel
	.section	.text._ZN2at6native6mbtopk10gatherTopKIhmLin1EEEvNS_4cuda6detail10TensorInfoIKT_T0_EES8_S8_bjS8_NS5_IS6_S8_EES8_NS5_IlS8_EES8_jjPS6_PjSD_j,"axG",@progbits,_ZN2at6native6mbtopk10gatherTopKIhmLin1EEEvNS_4cuda6detail10TensorInfoIKT_T0_EES8_S8_bjS8_NS5_IS6_S8_EES8_NS5_IlS8_EES8_jjPS6_PjSD_j,comdat
.Lfunc_end128:
	.size	_ZN2at6native6mbtopk10gatherTopKIhmLin1EEEvNS_4cuda6detail10TensorInfoIKT_T0_EES8_S8_bjS8_NS5_IS6_S8_EES8_NS5_IlS8_EES8_jjPS6_PjSD_j, .Lfunc_end128-_ZN2at6native6mbtopk10gatherTopKIhmLin1EEEvNS_4cuda6detail10TensorInfoIKT_T0_EES8_S8_bjS8_NS5_IS6_S8_EES8_NS5_IlS8_EES8_jjPS6_PjSD_j
                                        ; -- End function
	.set _ZN2at6native6mbtopk10gatherTopKIhmLin1EEEvNS_4cuda6detail10TensorInfoIKT_T0_EES8_S8_bjS8_NS5_IS6_S8_EES8_NS5_IlS8_EES8_jjPS6_PjSD_j.num_vgpr, 26
	.set _ZN2at6native6mbtopk10gatherTopKIhmLin1EEEvNS_4cuda6detail10TensorInfoIKT_T0_EES8_S8_bjS8_NS5_IS6_S8_EES8_NS5_IlS8_EES8_jjPS6_PjSD_j.num_agpr, 0
	.set _ZN2at6native6mbtopk10gatherTopKIhmLin1EEEvNS_4cuda6detail10TensorInfoIKT_T0_EES8_S8_bjS8_NS5_IS6_S8_EES8_NS5_IlS8_EES8_jjPS6_PjSD_j.numbered_sgpr, 48
	.set _ZN2at6native6mbtopk10gatherTopKIhmLin1EEEvNS_4cuda6detail10TensorInfoIKT_T0_EES8_S8_bjS8_NS5_IS6_S8_EES8_NS5_IlS8_EES8_jjPS6_PjSD_j.num_named_barrier, 0
	.set _ZN2at6native6mbtopk10gatherTopKIhmLin1EEEvNS_4cuda6detail10TensorInfoIKT_T0_EES8_S8_bjS8_NS5_IS6_S8_EES8_NS5_IlS8_EES8_jjPS6_PjSD_j.private_seg_size, 0
	.set _ZN2at6native6mbtopk10gatherTopKIhmLin1EEEvNS_4cuda6detail10TensorInfoIKT_T0_EES8_S8_bjS8_NS5_IS6_S8_EES8_NS5_IlS8_EES8_jjPS6_PjSD_j.uses_vcc, 1
	.set _ZN2at6native6mbtopk10gatherTopKIhmLin1EEEvNS_4cuda6detail10TensorInfoIKT_T0_EES8_S8_bjS8_NS5_IS6_S8_EES8_NS5_IlS8_EES8_jjPS6_PjSD_j.uses_flat_scratch, 0
	.set _ZN2at6native6mbtopk10gatherTopKIhmLin1EEEvNS_4cuda6detail10TensorInfoIKT_T0_EES8_S8_bjS8_NS5_IS6_S8_EES8_NS5_IlS8_EES8_jjPS6_PjSD_j.has_dyn_sized_stack, 0
	.set _ZN2at6native6mbtopk10gatherTopKIhmLin1EEEvNS_4cuda6detail10TensorInfoIKT_T0_EES8_S8_bjS8_NS5_IS6_S8_EES8_NS5_IlS8_EES8_jjPS6_PjSD_j.has_recursion, 0
	.set _ZN2at6native6mbtopk10gatherTopKIhmLin1EEEvNS_4cuda6detail10TensorInfoIKT_T0_EES8_S8_bjS8_NS5_IS6_S8_EES8_NS5_IlS8_EES8_jjPS6_PjSD_j.has_indirect_call, 0
	.section	.AMDGPU.csdata,"",@progbits
; Kernel info:
; codeLenInByte = 3328
; TotalNumSgprs: 50
; NumVgprs: 26
; ScratchSize: 0
; MemoryBound: 0
; FloatMode: 240
; IeeeMode: 1
; LDSByteSize: 1068 bytes/workgroup (compile time only)
; SGPRBlocks: 0
; VGPRBlocks: 1
; NumSGPRsForWavesPerEU: 50
; NumVGPRsForWavesPerEU: 26
; NamedBarCnt: 0
; Occupancy: 16
; WaveLimiterHint : 1
; COMPUTE_PGM_RSRC2:SCRATCH_EN: 0
; COMPUTE_PGM_RSRC2:USER_SGPR: 2
; COMPUTE_PGM_RSRC2:TRAP_HANDLER: 0
; COMPUTE_PGM_RSRC2:TGID_X_EN: 1
; COMPUTE_PGM_RSRC2:TGID_Y_EN: 1
; COMPUTE_PGM_RSRC2:TGID_Z_EN: 1
; COMPUTE_PGM_RSRC2:TIDIG_COMP_CNT: 0
	.section	.text._ZN2at6native6sbtopk10gatherTopKIhmLin1ELb0EEEvNS_4cuda6detail10TensorInfoIKT_T0_EES8_S8_bS8_S8_NS5_IS6_S8_EES8_NS5_IlS8_EES8_PS6_,"axG",@progbits,_ZN2at6native6sbtopk10gatherTopKIhmLin1ELb0EEEvNS_4cuda6detail10TensorInfoIKT_T0_EES8_S8_bS8_S8_NS5_IS6_S8_EES8_NS5_IlS8_EES8_PS6_,comdat
	.protected	_ZN2at6native6sbtopk10gatherTopKIhmLin1ELb0EEEvNS_4cuda6detail10TensorInfoIKT_T0_EES8_S8_bS8_S8_NS5_IS6_S8_EES8_NS5_IlS8_EES8_PS6_ ; -- Begin function _ZN2at6native6sbtopk10gatherTopKIhmLin1ELb0EEEvNS_4cuda6detail10TensorInfoIKT_T0_EES8_S8_bS8_S8_NS5_IS6_S8_EES8_NS5_IlS8_EES8_PS6_
	.globl	_ZN2at6native6sbtopk10gatherTopKIhmLin1ELb0EEEvNS_4cuda6detail10TensorInfoIKT_T0_EES8_S8_bS8_S8_NS5_IS6_S8_EES8_NS5_IlS8_EES8_PS6_
	.p2align	8
	.type	_ZN2at6native6sbtopk10gatherTopKIhmLin1ELb0EEEvNS_4cuda6detail10TensorInfoIKT_T0_EES8_S8_bS8_S8_NS5_IS6_S8_EES8_NS5_IlS8_EES8_PS6_,@function
_ZN2at6native6sbtopk10gatherTopKIhmLin1ELb0EEEvNS_4cuda6detail10TensorInfoIKT_T0_EES8_S8_bS8_S8_NS5_IS6_S8_EES8_NS5_IlS8_EES8_PS6_: ; @_ZN2at6native6sbtopk10gatherTopKIhmLin1ELb0EEEvNS_4cuda6detail10TensorInfoIKT_T0_EES8_S8_bS8_S8_NS5_IS6_S8_EES8_NS5_IlS8_EES8_PS6_
; %bb.0:
	s_clause 0x1
	s_load_b128 s[28:31], s[0:1], 0x1b8
	s_load_b64 s[8:9], s[0:1], 0x520
	s_bfe_u32 s2, ttmp6, 0x40010
	s_and_b32 s3, ttmp7, 0xffff
	s_add_co_i32 s2, s2, 1
	s_bfe_u32 s5, ttmp6, 0x4000c
	s_mul_i32 s2, s3, s2
	s_bfe_u32 s4, ttmp6, 0x40004
	s_add_co_i32 s5, s5, 1
	s_bfe_u32 s6, ttmp6, 0x40014
	s_add_co_i32 s4, s4, s2
	s_and_b32 s2, ttmp6, 15
	s_mul_i32 s5, ttmp9, s5
	s_lshr_b32 s7, ttmp7, 16
	s_add_co_i32 s6, s6, 1
	s_add_co_i32 s2, s2, s5
	s_mul_i32 s5, s7, s6
	s_bfe_u32 s6, ttmp6, 0x40008
	s_getreg_b32 s10, hwreg(HW_REG_IB_STS2, 6, 4)
	s_add_co_i32 s6, s6, s5
	s_cmp_eq_u32 s10, 0
	s_cselect_b32 s5, s7, s6
	s_cselect_b32 s3, s3, s4
	s_wait_kmcnt 0x0
	s_mul_i32 s5, s9, s5
	s_cselect_b32 s9, ttmp9, s2
	s_add_co_i32 s2, s5, s3
	s_mov_b32 s3, 0
	s_mul_i32 s2, s2, s8
	s_delay_alu instid0(SALU_CYCLE_1) | instskip(NEXT) | instid1(SALU_CYCLE_1)
	s_add_co_i32 s2, s2, s9
	v_cmp_le_u64_e64 s4, s[28:29], s[2:3]
	s_and_b32 vcc_lo, exec_lo, s4
	s_cbranch_vccnz .LBB129_497
; %bb.1:
	s_load_b32 s12, s[0:1], 0x198
	s_mov_b64 s[10:11], 0
	s_mov_b64 s[6:7], s[2:3]
	s_wait_kmcnt 0x0
	s_cmp_lt_i32 s12, 2
	s_cbranch_scc1 .LBB129_9
; %bb.2:
	s_add_co_i32 s4, s12, -1
	s_mov_b32 s5, 0
	s_add_co_i32 s18, s12, 1
	s_lshl_b64 s[6:7], s[4:5], 3
	s_mov_b64 s[14:15], s[2:3]
	s_add_nc_u64 s[6:7], s[0:1], s[6:7]
	s_delay_alu instid0(SALU_CYCLE_1)
	s_add_nc_u64 s[12:13], s[6:7], 8
.LBB129_3:                              ; =>This Inner Loop Header: Depth=1
	s_load_b64 s[16:17], s[12:13], 0x0
	s_mov_b32 s4, -1
	s_wait_kmcnt 0x0
	s_or_b64 s[6:7], s[14:15], s[16:17]
	s_delay_alu instid0(SALU_CYCLE_1) | instskip(NEXT) | instid1(SALU_CYCLE_1)
	s_and_b64 s[6:7], s[6:7], 0xffffffff00000000
	s_cmp_lg_u64 s[6:7], 0
                                        ; implicit-def: $sgpr6_sgpr7
	s_cbranch_scc0 .LBB129_5
; %bb.4:                                ;   in Loop: Header=BB129_3 Depth=1
	s_cvt_f32_u32 s4, s16
	s_cvt_f32_u32 s6, s17
	s_sub_nc_u64 s[20:21], 0, s[16:17]
	s_delay_alu instid0(SALU_CYCLE_2) | instskip(NEXT) | instid1(SALU_CYCLE_3)
	s_fmamk_f32 s4, s6, 0x4f800000, s4
	v_s_rcp_f32 s4, s4
	s_delay_alu instid0(TRANS32_DEP_1) | instskip(NEXT) | instid1(SALU_CYCLE_3)
	s_mul_f32 s4, s4, 0x5f7ffffc
	s_mul_f32 s6, s4, 0x2f800000
	s_delay_alu instid0(SALU_CYCLE_3) | instskip(NEXT) | instid1(SALU_CYCLE_3)
	s_trunc_f32 s6, s6
	s_fmamk_f32 s4, s6, 0xcf800000, s4
	s_cvt_u32_f32 s7, s6
	s_delay_alu instid0(SALU_CYCLE_2) | instskip(NEXT) | instid1(SALU_CYCLE_3)
	s_cvt_u32_f32 s6, s4
	s_mul_u64 s[22:23], s[20:21], s[6:7]
	s_delay_alu instid0(SALU_CYCLE_1)
	s_mul_hi_u32 s25, s6, s23
	s_mul_i32 s24, s6, s23
	s_mul_hi_u32 s4, s6, s22
	s_mul_i32 s26, s7, s22
	s_add_nc_u64 s[24:25], s[4:5], s[24:25]
	s_mul_hi_u32 s19, s7, s22
	s_mul_hi_u32 s27, s7, s23
	s_add_co_u32 s4, s24, s26
	s_add_co_ci_u32 s4, s25, s19
	s_mul_i32 s22, s7, s23
	s_add_co_ci_u32 s23, s27, 0
	s_delay_alu instid0(SALU_CYCLE_1) | instskip(NEXT) | instid1(SALU_CYCLE_1)
	s_add_nc_u64 s[22:23], s[4:5], s[22:23]
	s_add_co_u32 s6, s6, s22
	s_cselect_b32 s4, -1, 0
	s_delay_alu instid0(SALU_CYCLE_1) | instskip(SKIP_1) | instid1(SALU_CYCLE_1)
	s_cmp_lg_u32 s4, 0
	s_add_co_ci_u32 s7, s7, s23
	s_mul_u64 s[20:21], s[20:21], s[6:7]
	s_delay_alu instid0(SALU_CYCLE_1)
	s_mul_hi_u32 s23, s6, s21
	s_mul_i32 s22, s6, s21
	s_mul_hi_u32 s4, s6, s20
	s_mul_i32 s24, s7, s20
	s_add_nc_u64 s[22:23], s[4:5], s[22:23]
	s_mul_hi_u32 s19, s7, s20
	s_mul_hi_u32 s25, s7, s21
	s_add_co_u32 s4, s22, s24
	s_add_co_ci_u32 s4, s23, s19
	s_mul_i32 s20, s7, s21
	s_add_co_ci_u32 s21, s25, 0
	s_delay_alu instid0(SALU_CYCLE_1) | instskip(NEXT) | instid1(SALU_CYCLE_1)
	s_add_nc_u64 s[20:21], s[4:5], s[20:21]
	s_add_co_u32 s6, s6, s20
	s_cselect_b32 s19, -1, 0
	s_mul_hi_u32 s4, s14, s6
	s_cmp_lg_u32 s19, 0
	s_mul_hi_u32 s19, s15, s6
	s_add_co_ci_u32 s20, s7, s21
	s_mul_i32 s21, s15, s6
	s_mul_hi_u32 s7, s14, s20
	s_mul_i32 s6, s14, s20
	s_mul_hi_u32 s22, s15, s20
	s_add_nc_u64 s[6:7], s[4:5], s[6:7]
	s_mul_i32 s20, s15, s20
	s_add_co_u32 s4, s6, s21
	s_add_co_ci_u32 s4, s7, s19
	s_add_co_ci_u32 s21, s22, 0
	s_delay_alu instid0(SALU_CYCLE_1) | instskip(NEXT) | instid1(SALU_CYCLE_1)
	s_add_nc_u64 s[6:7], s[4:5], s[20:21]
	s_and_b64 s[20:21], s[6:7], 0xffffffff00000000
	s_delay_alu instid0(SALU_CYCLE_1) | instskip(NEXT) | instid1(SALU_CYCLE_1)
	s_or_b32 s20, s20, s6
	s_mul_u64 s[6:7], s[16:17], s[20:21]
	s_delay_alu instid0(SALU_CYCLE_1)
	s_sub_co_u32 s4, s14, s6
	s_cselect_b32 s6, -1, 0
	s_sub_co_i32 s19, s15, s7
	s_cmp_lg_u32 s6, 0
	s_sub_co_ci_u32 s19, s19, s17
	s_sub_co_u32 s22, s4, s16
	s_cselect_b32 s23, -1, 0
	s_delay_alu instid0(SALU_CYCLE_1) | instskip(SKIP_1) | instid1(SALU_CYCLE_1)
	s_cmp_lg_u32 s23, 0
	s_sub_co_ci_u32 s19, s19, 0
	s_cmp_ge_u32 s19, s17
	s_cselect_b32 s24, -1, 0
	s_cmp_ge_u32 s22, s16
	s_add_nc_u64 s[22:23], s[20:21], 1
	s_cselect_b32 s25, -1, 0
	s_cmp_eq_u32 s19, s17
	s_cselect_b32 s19, s25, s24
	s_add_nc_u64 s[24:25], s[20:21], 2
	s_cmp_lg_u32 s19, 0
	s_cselect_b32 s19, s24, s22
	s_cselect_b32 s22, s25, s23
	s_cmp_lg_u32 s6, 0
	s_sub_co_ci_u32 s6, s15, s7
	s_delay_alu instid0(SALU_CYCLE_1)
	s_cmp_ge_u32 s6, s17
	s_cselect_b32 s7, -1, 0
	s_cmp_ge_u32 s4, s16
	s_cselect_b32 s4, -1, 0
	s_cmp_eq_u32 s6, s17
	s_cselect_b32 s4, s4, s7
	s_delay_alu instid0(SALU_CYCLE_1)
	s_cmp_lg_u32 s4, 0
	s_mov_b32 s4, 0
	s_cselect_b32 s7, s22, s21
	s_cselect_b32 s6, s19, s20
.LBB129_5:                              ;   in Loop: Header=BB129_3 Depth=1
	s_and_not1_b32 vcc_lo, exec_lo, s4
	s_cbranch_vccnz .LBB129_7
; %bb.6:                                ;   in Loop: Header=BB129_3 Depth=1
	v_cvt_f32_u32_e32 v1, s16
	s_sub_co_i32 s6, 0, s16
	s_delay_alu instid0(VALU_DEP_1) | instskip(SKIP_1) | instid1(TRANS32_DEP_1)
	v_rcp_iflag_f32_e32 v1, v1
	v_nop
	v_mul_f32_e32 v1, 0x4f7ffffe, v1
	s_delay_alu instid0(VALU_DEP_1) | instskip(NEXT) | instid1(VALU_DEP_1)
	v_cvt_u32_f32_e32 v1, v1
	v_readfirstlane_b32 s4, v1
	s_mul_i32 s6, s6, s4
	s_delay_alu instid0(SALU_CYCLE_1) | instskip(NEXT) | instid1(SALU_CYCLE_1)
	s_mul_hi_u32 s6, s4, s6
	s_add_co_i32 s4, s4, s6
	s_delay_alu instid0(SALU_CYCLE_1) | instskip(NEXT) | instid1(SALU_CYCLE_1)
	s_mul_hi_u32 s4, s14, s4
	s_mul_i32 s6, s4, s16
	s_add_co_i32 s7, s4, 1
	s_sub_co_i32 s6, s14, s6
	s_delay_alu instid0(SALU_CYCLE_1)
	s_sub_co_i32 s19, s6, s16
	s_cmp_ge_u32 s6, s16
	s_cselect_b32 s4, s7, s4
	s_cselect_b32 s6, s19, s6
	s_add_co_i32 s7, s4, 1
	s_cmp_ge_u32 s6, s16
	s_cselect_b32 s4, s7, s4
	s_delay_alu instid0(SALU_CYCLE_1)
	s_mov_b64 s[6:7], s[4:5]
.LBB129_7:                              ;   in Loop: Header=BB129_3 Depth=1
	s_load_b64 s[20:21], s[12:13], 0xc8
	s_mul_u64 s[16:17], s[6:7], s[16:17]
	s_add_co_i32 s18, s18, -1
	s_sub_nc_u64 s[14:15], s[14:15], s[16:17]
	s_cmp_gt_u32 s18, 2
	s_wait_xcnt 0x0
	s_add_nc_u64 s[12:13], s[12:13], -8
	s_wait_kmcnt 0x0
	s_mul_u64 s[14:15], s[20:21], s[14:15]
	s_delay_alu instid0(SALU_CYCLE_1)
	s_add_nc_u64 s[10:11], s[14:15], s[10:11]
	s_cbranch_scc0 .LBB129_9
; %bb.8:                                ;   in Loop: Header=BB129_3 Depth=1
	s_mov_b64 s[14:15], s[6:7]
	s_branch .LBB129_3
.LBB129_9:
	s_load_b32 s16, s[0:1], 0x360
	s_add_nc_u64 s[12:13], s[0:1], 0x520
	s_add_nc_u64 s[4:5], s[0:1], 0x1c8
	s_mov_b64 s[34:35], 0
	s_mov_b64 s[42:43], s[2:3]
	s_wait_kmcnt 0x0
	s_cmp_lt_i32 s16, 2
	s_cbranch_scc1 .LBB129_17
; %bb.10:
	s_add_co_i32 s14, s16, -1
	s_mov_b32 s15, 0
	s_add_co_i32 s22, s16, 1
	s_lshl_b64 s[18:19], s[14:15], 3
	s_delay_alu instid0(SALU_CYCLE_1)
	s_add_nc_u64 s[16:17], s[4:5], s[18:19]
	s_mov_b64 s[18:19], s[2:3]
	s_add_nc_u64 s[16:17], s[16:17], 8
.LBB129_11:                             ; =>This Inner Loop Header: Depth=1
	s_load_b64 s[20:21], s[16:17], 0x0
	s_mov_b32 s14, -1
                                        ; implicit-def: $sgpr42_sgpr43
	s_wait_kmcnt 0x0
	s_or_b64 s[24:25], s[18:19], s[20:21]
	s_delay_alu instid0(SALU_CYCLE_1) | instskip(NEXT) | instid1(SALU_CYCLE_1)
	s_and_b64 s[24:25], s[24:25], 0xffffffff00000000
	s_cmp_lg_u64 s[24:25], 0
	s_cbranch_scc0 .LBB129_13
; %bb.12:                               ;   in Loop: Header=BB129_11 Depth=1
	s_cvt_f32_u32 s14, s20
	s_cvt_f32_u32 s23, s21
	s_sub_nc_u64 s[26:27], 0, s[20:21]
	s_delay_alu instid0(SALU_CYCLE_2) | instskip(NEXT) | instid1(SALU_CYCLE_3)
	s_fmamk_f32 s14, s23, 0x4f800000, s14
	v_s_rcp_f32 s14, s14
	s_delay_alu instid0(TRANS32_DEP_1) | instskip(NEXT) | instid1(SALU_CYCLE_3)
	s_mul_f32 s14, s14, 0x5f7ffffc
	s_mul_f32 s23, s14, 0x2f800000
	s_delay_alu instid0(SALU_CYCLE_3) | instskip(NEXT) | instid1(SALU_CYCLE_3)
	s_trunc_f32 s23, s23
	s_fmamk_f32 s14, s23, 0xcf800000, s14
	s_cvt_u32_f32 s25, s23
	s_delay_alu instid0(SALU_CYCLE_2) | instskip(NEXT) | instid1(SALU_CYCLE_3)
	s_cvt_u32_f32 s24, s14
	s_mul_u64 s[28:29], s[26:27], s[24:25]
	s_delay_alu instid0(SALU_CYCLE_1)
	s_mul_hi_u32 s37, s24, s29
	s_mul_i32 s36, s24, s29
	s_mul_hi_u32 s14, s24, s28
	s_mul_i32 s33, s25, s28
	s_add_nc_u64 s[36:37], s[14:15], s[36:37]
	s_mul_hi_u32 s23, s25, s28
	s_mul_hi_u32 s38, s25, s29
	s_add_co_u32 s14, s36, s33
	s_add_co_ci_u32 s14, s37, s23
	s_mul_i32 s28, s25, s29
	s_add_co_ci_u32 s29, s38, 0
	s_delay_alu instid0(SALU_CYCLE_1) | instskip(NEXT) | instid1(SALU_CYCLE_1)
	s_add_nc_u64 s[28:29], s[14:15], s[28:29]
	s_add_co_u32 s24, s24, s28
	s_cselect_b32 s14, -1, 0
	s_delay_alu instid0(SALU_CYCLE_1) | instskip(SKIP_1) | instid1(SALU_CYCLE_1)
	s_cmp_lg_u32 s14, 0
	s_add_co_ci_u32 s25, s25, s29
	s_mul_u64 s[26:27], s[26:27], s[24:25]
	s_delay_alu instid0(SALU_CYCLE_1)
	s_mul_hi_u32 s29, s24, s27
	s_mul_i32 s28, s24, s27
	s_mul_hi_u32 s14, s24, s26
	s_mul_i32 s33, s25, s26
	s_add_nc_u64 s[28:29], s[14:15], s[28:29]
	s_mul_hi_u32 s23, s25, s26
	s_mul_hi_u32 s36, s25, s27
	s_add_co_u32 s14, s28, s33
	s_add_co_ci_u32 s14, s29, s23
	s_mul_i32 s26, s25, s27
	s_add_co_ci_u32 s27, s36, 0
	s_delay_alu instid0(SALU_CYCLE_1) | instskip(NEXT) | instid1(SALU_CYCLE_1)
	s_add_nc_u64 s[26:27], s[14:15], s[26:27]
	s_add_co_u32 s23, s24, s26
	s_cselect_b32 s24, -1, 0
	s_mul_hi_u32 s14, s18, s23
	s_cmp_lg_u32 s24, 0
	s_mul_hi_u32 s28, s19, s23
	s_add_co_ci_u32 s26, s25, s27
	s_mul_i32 s23, s19, s23
	s_mul_hi_u32 s25, s18, s26
	s_mul_i32 s24, s18, s26
	s_mul_hi_u32 s27, s19, s26
	s_add_nc_u64 s[24:25], s[14:15], s[24:25]
	s_mul_i32 s26, s19, s26
	s_add_co_u32 s14, s24, s23
	s_add_co_ci_u32 s14, s25, s28
	s_add_co_ci_u32 s27, s27, 0
	s_delay_alu instid0(SALU_CYCLE_1) | instskip(NEXT) | instid1(SALU_CYCLE_1)
	s_add_nc_u64 s[24:25], s[14:15], s[26:27]
	s_and_b64 s[26:27], s[24:25], 0xffffffff00000000
	s_delay_alu instid0(SALU_CYCLE_1) | instskip(NEXT) | instid1(SALU_CYCLE_1)
	s_or_b32 s26, s26, s24
	s_mul_u64 s[24:25], s[20:21], s[26:27]
	s_delay_alu instid0(SALU_CYCLE_1)
	s_sub_co_u32 s14, s18, s24
	s_cselect_b32 s23, -1, 0
	s_sub_co_i32 s24, s19, s25
	s_cmp_lg_u32 s23, 0
	s_sub_co_ci_u32 s24, s24, s21
	s_sub_co_u32 s28, s14, s20
	s_cselect_b32 s29, -1, 0
	s_delay_alu instid0(SALU_CYCLE_1) | instskip(SKIP_1) | instid1(SALU_CYCLE_1)
	s_cmp_lg_u32 s29, 0
	s_sub_co_ci_u32 s24, s24, 0
	s_cmp_ge_u32 s24, s21
	s_cselect_b32 s33, -1, 0
	s_cmp_ge_u32 s28, s20
	s_add_nc_u64 s[28:29], s[26:27], 1
	s_cselect_b32 s36, -1, 0
	s_cmp_eq_u32 s24, s21
	s_cselect_b32 s24, s36, s33
	s_add_nc_u64 s[36:37], s[26:27], 2
	s_cmp_lg_u32 s24, 0
	s_cselect_b32 s24, s36, s28
	s_cselect_b32 s28, s37, s29
	s_cmp_lg_u32 s23, 0
	s_sub_co_ci_u32 s23, s19, s25
	s_delay_alu instid0(SALU_CYCLE_1)
	s_cmp_ge_u32 s23, s21
	s_cselect_b32 s25, -1, 0
	s_cmp_ge_u32 s14, s20
	s_cselect_b32 s14, -1, 0
	s_cmp_eq_u32 s23, s21
	s_cselect_b32 s14, s14, s25
	s_delay_alu instid0(SALU_CYCLE_1)
	s_cmp_lg_u32 s14, 0
	s_mov_b32 s14, 0
	s_cselect_b32 s43, s28, s27
	s_cselect_b32 s42, s24, s26
.LBB129_13:                             ;   in Loop: Header=BB129_11 Depth=1
	s_and_not1_b32 vcc_lo, exec_lo, s14
	s_cbranch_vccnz .LBB129_15
; %bb.14:                               ;   in Loop: Header=BB129_11 Depth=1
	v_cvt_f32_u32_e32 v1, s20
	s_sub_co_i32 s23, 0, s20
	s_delay_alu instid0(VALU_DEP_1) | instskip(SKIP_1) | instid1(TRANS32_DEP_1)
	v_rcp_iflag_f32_e32 v1, v1
	v_nop
	v_mul_f32_e32 v1, 0x4f7ffffe, v1
	s_delay_alu instid0(VALU_DEP_1) | instskip(NEXT) | instid1(VALU_DEP_1)
	v_cvt_u32_f32_e32 v1, v1
	v_readfirstlane_b32 s14, v1
	s_mul_i32 s23, s23, s14
	s_delay_alu instid0(SALU_CYCLE_1) | instskip(NEXT) | instid1(SALU_CYCLE_1)
	s_mul_hi_u32 s23, s14, s23
	s_add_co_i32 s14, s14, s23
	s_delay_alu instid0(SALU_CYCLE_1) | instskip(NEXT) | instid1(SALU_CYCLE_1)
	s_mul_hi_u32 s14, s18, s14
	s_mul_i32 s23, s14, s20
	s_add_co_i32 s24, s14, 1
	s_sub_co_i32 s23, s18, s23
	s_delay_alu instid0(SALU_CYCLE_1)
	s_sub_co_i32 s25, s23, s20
	s_cmp_ge_u32 s23, s20
	s_cselect_b32 s14, s24, s14
	s_cselect_b32 s23, s25, s23
	s_add_co_i32 s24, s14, 1
	s_cmp_ge_u32 s23, s20
	s_cselect_b32 s14, s24, s14
	s_delay_alu instid0(SALU_CYCLE_1)
	s_mov_b64 s[42:43], s[14:15]
.LBB129_15:                             ;   in Loop: Header=BB129_11 Depth=1
	s_load_b64 s[24:25], s[16:17], 0xc8
	s_mul_u64 s[20:21], s[42:43], s[20:21]
	s_add_co_i32 s22, s22, -1
	s_sub_nc_u64 s[18:19], s[18:19], s[20:21]
	s_cmp_gt_u32 s22, 2
	s_wait_xcnt 0x0
	s_add_nc_u64 s[16:17], s[16:17], -8
	s_wait_kmcnt 0x0
	s_mul_u64 s[18:19], s[24:25], s[18:19]
	s_delay_alu instid0(SALU_CYCLE_1)
	s_add_nc_u64 s[34:35], s[18:19], s[34:35]
	s_cbranch_scc0 .LBB129_17
; %bb.16:                               ;   in Loop: Header=BB129_11 Depth=1
	s_mov_b64 s[18:19], s[42:43]
	s_branch .LBB129_11
.LBB129_17:
	s_clause 0x1
	s_load_b64 s[14:15], s[0:1], 0xd0
	s_load_b32 s18, s[0:1], 0x508
	s_mov_b64 s[46:47], 0
	s_wait_kmcnt 0x0
	s_cmp_lt_i32 s18, 2
	s_cbranch_scc1 .LBB129_25
; %bb.18:
	s_add_co_i32 s16, s18, -1
	s_mov_b32 s17, 0
	s_add_nc_u64 s[20:21], s[0:1], 0x370
	s_lshl_b64 s[22:23], s[16:17], 3
	s_delay_alu instid0(SALU_CYCLE_1)
	s_add_nc_u64 s[20:21], s[20:21], s[22:23]
	s_add_co_i32 s22, s18, 1
	s_add_nc_u64 s[18:19], s[20:21], 8
.LBB129_19:                             ; =>This Inner Loop Header: Depth=1
	s_load_b64 s[20:21], s[18:19], 0x0
	s_mov_b32 s16, -1
                                        ; implicit-def: $sgpr50_sgpr51
	s_wait_kmcnt 0x0
	s_or_b64 s[24:25], s[2:3], s[20:21]
	s_delay_alu instid0(SALU_CYCLE_1) | instskip(NEXT) | instid1(SALU_CYCLE_1)
	s_and_b64 s[24:25], s[24:25], 0xffffffff00000000
	s_cmp_lg_u64 s[24:25], 0
	s_cbranch_scc0 .LBB129_21
; %bb.20:                               ;   in Loop: Header=BB129_19 Depth=1
	s_cvt_f32_u32 s16, s20
	s_cvt_f32_u32 s23, s21
	s_sub_nc_u64 s[26:27], 0, s[20:21]
	s_delay_alu instid0(SALU_CYCLE_2) | instskip(NEXT) | instid1(SALU_CYCLE_3)
	s_fmamk_f32 s16, s23, 0x4f800000, s16
	v_s_rcp_f32 s16, s16
	s_delay_alu instid0(TRANS32_DEP_1) | instskip(NEXT) | instid1(SALU_CYCLE_3)
	s_mul_f32 s16, s16, 0x5f7ffffc
	s_mul_f32 s23, s16, 0x2f800000
	s_delay_alu instid0(SALU_CYCLE_3) | instskip(NEXT) | instid1(SALU_CYCLE_3)
	s_trunc_f32 s23, s23
	s_fmamk_f32 s16, s23, 0xcf800000, s16
	s_cvt_u32_f32 s25, s23
	s_delay_alu instid0(SALU_CYCLE_2) | instskip(NEXT) | instid1(SALU_CYCLE_3)
	s_cvt_u32_f32 s24, s16
	s_mul_u64 s[28:29], s[26:27], s[24:25]
	s_delay_alu instid0(SALU_CYCLE_1)
	s_mul_hi_u32 s37, s24, s29
	s_mul_i32 s36, s24, s29
	s_mul_hi_u32 s16, s24, s28
	s_mul_i32 s33, s25, s28
	s_add_nc_u64 s[36:37], s[16:17], s[36:37]
	s_mul_hi_u32 s23, s25, s28
	s_mul_hi_u32 s38, s25, s29
	s_add_co_u32 s16, s36, s33
	s_add_co_ci_u32 s16, s37, s23
	s_mul_i32 s28, s25, s29
	s_add_co_ci_u32 s29, s38, 0
	s_delay_alu instid0(SALU_CYCLE_1) | instskip(NEXT) | instid1(SALU_CYCLE_1)
	s_add_nc_u64 s[28:29], s[16:17], s[28:29]
	s_add_co_u32 s24, s24, s28
	s_cselect_b32 s16, -1, 0
	s_delay_alu instid0(SALU_CYCLE_1) | instskip(SKIP_1) | instid1(SALU_CYCLE_1)
	s_cmp_lg_u32 s16, 0
	s_add_co_ci_u32 s25, s25, s29
	s_mul_u64 s[26:27], s[26:27], s[24:25]
	s_delay_alu instid0(SALU_CYCLE_1)
	s_mul_hi_u32 s29, s24, s27
	s_mul_i32 s28, s24, s27
	s_mul_hi_u32 s16, s24, s26
	s_mul_i32 s33, s25, s26
	s_add_nc_u64 s[28:29], s[16:17], s[28:29]
	s_mul_hi_u32 s23, s25, s26
	s_mul_hi_u32 s36, s25, s27
	s_add_co_u32 s16, s28, s33
	s_add_co_ci_u32 s16, s29, s23
	s_mul_i32 s26, s25, s27
	s_add_co_ci_u32 s27, s36, 0
	s_delay_alu instid0(SALU_CYCLE_1) | instskip(NEXT) | instid1(SALU_CYCLE_1)
	s_add_nc_u64 s[26:27], s[16:17], s[26:27]
	s_add_co_u32 s23, s24, s26
	s_cselect_b32 s24, -1, 0
	s_mul_hi_u32 s16, s2, s23
	s_cmp_lg_u32 s24, 0
	s_mul_hi_u32 s28, s3, s23
	s_add_co_ci_u32 s26, s25, s27
	s_mul_i32 s23, s3, s23
	s_mul_hi_u32 s25, s2, s26
	s_mul_i32 s24, s2, s26
	s_mul_hi_u32 s27, s3, s26
	s_add_nc_u64 s[24:25], s[16:17], s[24:25]
	s_mul_i32 s26, s3, s26
	s_add_co_u32 s16, s24, s23
	s_add_co_ci_u32 s16, s25, s28
	s_add_co_ci_u32 s27, s27, 0
	s_delay_alu instid0(SALU_CYCLE_1) | instskip(NEXT) | instid1(SALU_CYCLE_1)
	s_add_nc_u64 s[24:25], s[16:17], s[26:27]
	s_and_b64 s[26:27], s[24:25], 0xffffffff00000000
	s_delay_alu instid0(SALU_CYCLE_1) | instskip(NEXT) | instid1(SALU_CYCLE_1)
	s_or_b32 s26, s26, s24
	s_mul_u64 s[24:25], s[20:21], s[26:27]
	s_delay_alu instid0(SALU_CYCLE_1)
	s_sub_co_u32 s16, s2, s24
	s_cselect_b32 s23, -1, 0
	s_sub_co_i32 s24, s3, s25
	s_cmp_lg_u32 s23, 0
	s_sub_co_ci_u32 s24, s24, s21
	s_sub_co_u32 s28, s16, s20
	s_cselect_b32 s29, -1, 0
	s_delay_alu instid0(SALU_CYCLE_1) | instskip(SKIP_1) | instid1(SALU_CYCLE_1)
	s_cmp_lg_u32 s29, 0
	s_sub_co_ci_u32 s24, s24, 0
	s_cmp_ge_u32 s24, s21
	s_cselect_b32 s33, -1, 0
	s_cmp_ge_u32 s28, s20
	s_add_nc_u64 s[28:29], s[26:27], 1
	s_cselect_b32 s36, -1, 0
	s_cmp_eq_u32 s24, s21
	s_cselect_b32 s24, s36, s33
	s_add_nc_u64 s[36:37], s[26:27], 2
	s_cmp_lg_u32 s24, 0
	s_cselect_b32 s24, s36, s28
	s_cselect_b32 s28, s37, s29
	s_cmp_lg_u32 s23, 0
	s_sub_co_ci_u32 s23, s3, s25
	s_delay_alu instid0(SALU_CYCLE_1)
	s_cmp_ge_u32 s23, s21
	s_cselect_b32 s25, -1, 0
	s_cmp_ge_u32 s16, s20
	s_cselect_b32 s16, -1, 0
	s_cmp_eq_u32 s23, s21
	s_cselect_b32 s16, s16, s25
	s_delay_alu instid0(SALU_CYCLE_1)
	s_cmp_lg_u32 s16, 0
	s_mov_b32 s16, 0
	s_cselect_b32 s51, s28, s27
	s_cselect_b32 s50, s24, s26
.LBB129_21:                             ;   in Loop: Header=BB129_19 Depth=1
	s_and_not1_b32 vcc_lo, exec_lo, s16
	s_cbranch_vccnz .LBB129_23
; %bb.22:                               ;   in Loop: Header=BB129_19 Depth=1
	v_cvt_f32_u32_e32 v1, s20
	s_sub_co_i32 s23, 0, s20
	s_delay_alu instid0(VALU_DEP_1) | instskip(SKIP_1) | instid1(TRANS32_DEP_1)
	v_rcp_iflag_f32_e32 v1, v1
	v_nop
	v_mul_f32_e32 v1, 0x4f7ffffe, v1
	s_delay_alu instid0(VALU_DEP_1) | instskip(NEXT) | instid1(VALU_DEP_1)
	v_cvt_u32_f32_e32 v1, v1
	v_readfirstlane_b32 s16, v1
	s_mul_i32 s23, s23, s16
	s_delay_alu instid0(SALU_CYCLE_1) | instskip(NEXT) | instid1(SALU_CYCLE_1)
	s_mul_hi_u32 s23, s16, s23
	s_add_co_i32 s16, s16, s23
	s_delay_alu instid0(SALU_CYCLE_1) | instskip(NEXT) | instid1(SALU_CYCLE_1)
	s_mul_hi_u32 s16, s2, s16
	s_mul_i32 s23, s16, s20
	s_add_co_i32 s24, s16, 1
	s_sub_co_i32 s23, s2, s23
	s_delay_alu instid0(SALU_CYCLE_1)
	s_sub_co_i32 s25, s23, s20
	s_cmp_ge_u32 s23, s20
	s_cselect_b32 s16, s24, s16
	s_cselect_b32 s23, s25, s23
	s_add_co_i32 s24, s16, 1
	s_cmp_ge_u32 s23, s20
	s_cselect_b32 s16, s24, s16
	s_delay_alu instid0(SALU_CYCLE_1)
	s_mov_b64 s[50:51], s[16:17]
.LBB129_23:                             ;   in Loop: Header=BB129_19 Depth=1
	s_load_b64 s[24:25], s[18:19], 0xc8
	s_mul_u64 s[20:21], s[50:51], s[20:21]
	s_add_co_i32 s22, s22, -1
	s_sub_nc_u64 s[2:3], s[2:3], s[20:21]
	s_cmp_gt_u32 s22, 2
	s_wait_xcnt 0x0
	s_add_nc_u64 s[18:19], s[18:19], -8
	s_wait_kmcnt 0x0
	s_mul_u64 s[2:3], s[24:25], s[2:3]
	s_delay_alu instid0(SALU_CYCLE_1)
	s_add_nc_u64 s[46:47], s[2:3], s[46:47]
	s_cbranch_scc0 .LBB129_26
; %bb.24:                               ;   in Loop: Header=BB129_19 Depth=1
	s_mov_b64 s[2:3], s[50:51]
	s_branch .LBB129_19
.LBB129_25:
	s_mov_b64 s[50:51], s[2:3]
.LBB129_26:
	s_clause 0x2
	s_load_b64 s[2:3], s[4:5], 0xd0
	s_load_b128 s[36:39], s[0:1], 0x1a0
	s_load_b64 s[16:17], s[0:1], 0x0
                                        ; implicit-def: $vgpr54 : SGPR spill to VGPR lane
	s_wait_xcnt 0x0
	v_cmp_eq_u32_e64 s5, 0, v0
	s_mov_b32 s29, 0
	s_wait_kmcnt 0x0
	v_writelane_b32 v54, s2, 0
	v_writelane_b32 v54, s3, 1
	s_and_saveexec_b32 s2, s5
	s_cbranch_execz .LBB129_28
; %bb.27:
	v_dual_mov_b32 v2, 0 :: v_dual_mov_b32 v4, s36
	s_delay_alu instid0(VALU_DEP_1)
	v_dual_mov_b32 v5, s37 :: v_dual_mov_b32 v3, v2
	ds_store_b32 v2, v2 offset:5144
	ds_store_b128 v2, v[2:5] offset:5120
.LBB129_28:
	s_or_b32 exec_lo, exec_lo, s2
	s_load_b64 s[2:3], s[0:1], 0x440
	v_dual_mov_b32 v3, 0 :: v_dual_add_nc_u32 v2, 2, v0
	s_mul_u64 s[14:15], s[14:15], s[6:7]
	s_wait_dscnt 0x0
	s_barrier_signal -1
	s_delay_alu instid0(VALU_DEP_1)
	v_dual_mov_b32 v1, v3 :: v_dual_lshlrev_b32 v16, 2, v0
	v_max_u64 v[4:5], s[36:37], v[2:3]
	s_barrier_wait -1
	s_load_b32 s18, s[12:13], 0xc
	v_dual_mov_b32 v9, -1 :: v_dual_mov_b32 v17, v3
	v_not_b32_e32 v8, v0
	v_mbcnt_lo_u32_b32 v13, -1, 0
	v_dual_mov_b32 v44, 0 :: v_dual_bitop2_b32 v2, 3, v16 bitop3:0x54
	v_mul_u64_e32 v[6:7], s[30:31], v[0:1]
	v_cmp_gt_u32_e32 vcc_lo, 32, v0
	s_wait_kmcnt 0x0
	v_writelane_b32 v54, s2, 2
	v_cmp_gt_i32_e64 s7, 4, v13
	v_mul_u64_e32 v[22:23], s[30:31], v[2:3]
	v_dual_mov_b32 v41, 0 :: v_dual_bitop2_b32 v2, 2, v16 bitop3:0x54
	v_writelane_b32 v54, s3, 3
	s_clause 0x1
	s_load_b64 s[2:3], s[0:1], 0x1c8
	s_load_b32 s4, s[0:1], 0x1b0
	v_mul_u64_e32 v[24:25], s[30:31], v[2:3]
	v_mad_nc_u64_u32 v[26:27], s30, v16, s[30:31]
	v_lshlrev_b64_e64 v[10:11], v13, -1
	v_cmp_lt_u64_e64 s33, 0xc00, s[36:37]
	v_mov_b64_e32 v[32:33], s[38:39]
	s_mov_b32 s41, s29
	v_cmp_gt_u32_e64 s6, 2, v0
	v_lshl_or_b32 v42, v13, 3, 0xc00
	v_mov_b32_e32 v43, 0
	v_not_b32_e32 v12, v10
	s_mov_b32 s89, s30
	s_mov_b32 s90, s31
	v_add_nc_u64_e32 v[4:5], v[4:5], v[8:9]
	v_mad_u32 v27, s31, v16, v27
	s_mov_b32 s91, s30
	s_mov_b32 s92, s31
	;; [unrolled: 1-line block ×4, first 2 shown]
	s_wait_kmcnt 0x0
	v_writelane_b32 v54, s2, 4
	s_bitcmp1_b32 s4, 0
	v_dual_mov_b32 v19, v5 :: v_dual_bitop2_b32 v18, -4, v4 bitop3:0x40
	s_cselect_b32 s4, -1, 0
	v_writelane_b32 v54, s3, 5
	s_load_b64 s[2:3], s[0:1], 0x370
	s_xor_b32 s87, s4, -1
	s_and_b32 s86, vcc_lo, s7
	s_and_b32 s40, s18, 0xffff
	v_cmp_ne_u64_e64 s7, v[4:5], v[18:19]
	v_add_nc_u64_e32 v[20:21], v[18:19], v[0:1]
	v_lshlrev_b64_e32 v[28:29], 2, v[6:7]
	s_add_nc_u64 s[62:63], s[40:41], -1
	s_mov_b32 s99, 6
	s_add_nc_u64 s[64:65], s[62:63], s[36:37]
	s_mul_u64 s[44:45], s[30:31], s[40:41]
	s_mov_b32 s100, 0x4f800000
	s_mov_b32 s101, 0
	;; [unrolled: 1-line block ×3, first 2 shown]
                                        ; implicit-def: $sgpr102
                                        ; implicit-def: $sgpr52
                                        ; implicit-def: $vcc_hi
                                        ; implicit-def: $sgpr53
                                        ; implicit-def: $sgpr104
                                        ; implicit-def: $sgpr57
                                        ; implicit-def: $sgpr58
                                        ; implicit-def: $sgpr54
                                        ; implicit-def: $sgpr56
                                        ; implicit-def: $sgpr55
	s_wait_kmcnt 0x0
	v_writelane_b32 v54, s2, 6
	v_writelane_b32 v54, s3, 7
	s_add_nc_u64 s[2:3], s[16:17], s[14:15]
	s_delay_alu instid0(SALU_CYCLE_1) | instskip(SKIP_3) | instid1(VALU_DEP_3)
	s_add_nc_u64 s[60:61], s[2:3], s[10:11]
	v_cmp_gt_u64_e64 s3, s[36:37], v[0:1]
	v_add_nc_u64_e32 v[14:15], s[60:61], v[6:7]
	v_cmp_eq_u32_e64 s2, 0, v13
	v_writelane_b32 v54, s3, 8
	s_bfe_u32 s3, s18, 0xb0005
	s_cmp_gt_u32 s40, 31
	s_cselect_b32 s88, -1, 0
	v_writelane_b32 v54, s4, 9
	s_movk_i32 s4, 0x3e0
	s_cmp_lt_u32 s9, s8
	v_and_or_b32 v40, v0, s4, 0xc00
	v_cmp_lt_u64_e64 s4, 3, v[4:5]
	s_cselect_b32 s28, 12, 18
	s_add_nc_u64 s[8:9], s[10:11], s[14:15]
	s_add_nc_u64 s[70:71], s[12:13], s[28:29]
	;; [unrolled: 1-line block ×3, first 2 shown]
	v_writelane_b32 v54, s4, 10
	s_add_co_i32 s4, s3, -1
	s_delay_alu instid0(SALU_CYCLE_1)
	s_and_b32 s4, s4, 0xffff
	v_writelane_b32 v54, s7, 11
	s_bfe_u32 s7, s40, 0x30005
	s_cmp_gt_u32 s4, 6
	s_cselect_b32 s96, -1, 0
	s_and_b32 s97, s3, 0x7f8
	v_writelane_b32 v54, s7, 12
	s_cmp_lg_u32 s7, 0
	s_cselect_b32 s98, -1, 0
	s_lshl_b64 s[10:11], s[30:31], 2
	s_and_b64 s[68:69], s[36:37], 0xffffffff00000000
	v_writelane_b32 v54, s10, 13
	v_writelane_b32 v54, s11, 14
	;; [unrolled: 1-line block ×3, first 2 shown]
	v_add_nc_u64_e32 v[30:31], s[8:9], v[6:7]
	v_writelane_b32 v54, s9, 16
	s_branch .LBB129_31
.LBB129_29:                             ;   in Loop: Header=BB129_31 Depth=1
	s_or_b32 exec_lo, exec_lo, s4
	v_mov_b64_e32 v[32:33], v[4:5]
	s_and_not1_b32 s3, s55, exec_lo
	s_and_b32 s4, s9, exec_lo
	s_and_not1_b32 s56, s56, exec_lo
	s_or_b32 s55, s3, s4
	s_and_not1_b32 s54, s54, exec_lo
	s_and_not1_b32 s58, s58, exec_lo
	;; [unrolled: 1-line block ×3, first 2 shown]
	s_or_not1_b32 s8, s8, exec_lo
.LBB129_30:                             ;   in Loop: Header=BB129_31 Depth=1
	s_or_b32 exec_lo, exec_lo, s7
	s_delay_alu instid0(SALU_CYCLE_1) | instskip(NEXT) | instid1(SALU_CYCLE_1)
	s_and_b32 s3, exec_lo, s8
	s_or_b32 s101, s3, s101
	s_and_not1_b32 s3, s104, exec_lo
	s_and_b32 s4, s55, exec_lo
	s_and_not1_b32 s7, s53, exec_lo
	s_or_b32 s104, s3, s4
	s_and_b32 s3, s56, exec_lo
	s_and_not1_b32 s4, vcc_hi, exec_lo
	s_and_b32 s8, s54, exec_lo
	s_or_b32 s53, s7, s3
	s_or_b32 vcc_hi, s4, s8
	s_and_not1_b32 s3, s52, exec_lo
	s_and_b32 s4, s58, exec_lo
	s_and_not1_b32 s7, s102, exec_lo
	s_and_b32 s8, s57, exec_lo
	s_or_b32 s52, s3, s4
	s_or_b32 s102, s7, s8
	s_and_not1_b32 exec_lo, exec_lo, s101
	s_cbranch_execz .LBB129_493
.LBB129_31:                             ; =>This Loop Header: Depth=1
                                        ;     Child Loop BB129_36 Depth 2
                                        ;     Child Loop BB129_50 Depth 2
	;; [unrolled: 1-line block ×25, first 2 shown]
	ds_load_b128 v[4:7], v3 offset:5120
	s_wait_dscnt 0x0
	v_readfirstlane_b32 s73, v5
	v_readfirstlane_b32 s72, v4
	s_cmp_lg_u64 s[72:73], 0
	s_cbranch_scc1 .LBB129_63
; %bb.32:                               ;   in Loop: Header=BB129_31 Depth=1
	s_and_b32 vcc_lo, exec_lo, s33
	s_cbranch_vccz .LBB129_44
; %bb.33:                               ;   in Loop: Header=BB129_31 Depth=1
	v_cmp_gt_u64_e32 vcc_lo, 0xc01, v[6:7]
	s_mov_b32 s8, 0
	s_mov_b32 s7, 0
	s_cbranch_vccz .LBB129_45
; %bb.34:                               ;   in Loop: Header=BB129_31 Depth=1
	global_load_u16 v2, v3, s[70:71]
	global_load_u8 v10, v[14:15], off
	v_readlane_b32 s10, v54, 15
	v_readlane_b32 s11, v54, 16
	s_wait_loadcnt 0x1
	v_and_b32_e32 v2, 0xffff, v2
	s_delay_alu instid0(VALU_DEP_1) | instskip(SKIP_1) | instid1(VALU_DEP_1)
	v_mul_u64_e32 v[4:5], s[30:31], v[2:3]
	v_add_nc_u32_e32 v8, v0, v2
	v_mad_nc_u64_u32 v[6:7], s30, v8, s[10:11]
	s_mov_b32 s11, 0
	s_delay_alu instid0(VALU_DEP_1)
	v_mad_u32 v7, s31, v8, v7
	v_mov_b64_e32 v[8:9], v[0:1]
	s_branch .LBB129_36
.LBB129_35:                             ;   in Loop: Header=BB129_36 Depth=2
	s_or_b32 exec_lo, exec_lo, s4
	v_add_nc_u64_e32 v[6:7], v[6:7], v[4:5]
	v_mov_b32_e32 v10, v11
	s_and_not1_b32 exec_lo, exec_lo, s11
	s_cbranch_execz .LBB129_117
.LBB129_36:                             ;   Parent Loop BB129_31 Depth=1
                                        ; =>  This Inner Loop Header: Depth=2
	s_delay_alu instid0(VALU_DEP_1) | instskip(SKIP_3) | instid1(VALU_DEP_2)
	v_add_nc_u64_e32 v[8:9], v[8:9], v[2:3]
	s_wait_dscnt 0x0
	v_dual_mov_b32 v34, 0 :: v_dual_mov_b32 v11, 0
	s_mov_b32 s4, exec_lo
	v_cmp_le_u64_e32 vcc_lo, s[36:37], v[8:9]
	s_wait_xcnt 0x0
	v_cmpx_gt_u64_e64 s[36:37], v[8:9]
	s_cbranch_execz .LBB129_38
; %bb.37:                               ;   in Loop: Header=BB129_36 Depth=2
	global_load_u8 v11, v[6:7], off
.LBB129_38:                             ;   in Loop: Header=BB129_36 Depth=2
	s_wait_xcnt 0x0
	s_or_b32 exec_lo, exec_lo, s4
	s_wait_loadcnt 0x0
	v_bitop3_b32 v35, v10, 0xff, v43 bitop3:0x80
	s_delay_alu instid0(VALU_DEP_1) | instskip(SKIP_2) | instid1(SALU_CYCLE_1)
	v_cmp_eq_u32_e64 s9, v35, v41
	s_cmp_lg_u32 s9, 0
	s_cselect_b32 s3, -1, 0
	s_and_b32 s3, s2, s3
	s_delay_alu instid0(SALU_CYCLE_1)
	s_and_saveexec_b32 s7, s3
	s_cbranch_execz .LBB129_42
; %bb.39:                               ;   in Loop: Header=BB129_36 Depth=2
	s_mov_b32 s13, exec_lo
	s_bcnt1_i32_b32 s4, s9
	v_mbcnt_lo_u32_b32 v34, s13, 0
	s_mov_b32 s12, exec_lo
                                        ; implicit-def: $vgpr35
	s_delay_alu instid0(VALU_DEP_1)
	v_cmpx_eq_u32_e32 0, v34
; %bb.40:                               ;   in Loop: Header=BB129_36 Depth=2
	s_bcnt1_i32_b32 s3, s13
	s_delay_alu instid0(SALU_CYCLE_1) | instskip(NEXT) | instid1(SALU_CYCLE_1)
	s_mul_i32 s3, s4, s3
	v_mov_b32_e32 v35, s3
	ds_add_rtn_u32 v35, v3, v35 offset:5144
; %bb.41:                               ;   in Loop: Header=BB129_36 Depth=2
	s_or_b32 exec_lo, exec_lo, s12
	s_wait_dscnt 0x0
	v_readfirstlane_b32 s3, v35
	s_delay_alu instid0(VALU_DEP_1)
	v_mad_u32_u24 v34, s4, v34, s3
.LBB129_42:                             ;   in Loop: Header=BB129_36 Depth=2
	s_or_b32 exec_lo, exec_lo, s7
	ds_bpermute_b32 v34, v3, v34
	s_and_b32 s3, exec_lo, vcc_lo
	s_delay_alu instid0(SALU_CYCLE_1)
	s_or_b32 s11, s3, s11
	s_and_saveexec_b32 s4, s9
	s_cbranch_execz .LBB129_35
; %bb.43:                               ;   in Loop: Header=BB129_36 Depth=2
	v_and_b32_e32 v35, s9, v12
	s_wait_dscnt 0x0
	s_delay_alu instid0(VALU_DEP_1)
	v_bcnt_u32_b32 v34, v35, v34
	ds_store_b8 v34, v10
	s_branch .LBB129_35
.LBB129_44:                             ;   in Loop: Header=BB129_31 Depth=1
	s_mov_b32 s8, -1
	s_mov_b32 s7, 0
.LBB129_45:                             ;   in Loop: Header=BB129_31 Depth=1
	s_and_b32 vcc_lo, exec_lo, s8
	s_cbranch_vccz .LBB129_61
.LBB129_46:                             ;   in Loop: Header=BB129_31 Depth=1
	s_mov_b32 s8, exec_lo
	v_readlane_b32 s3, v54, 8
	s_and_b32 s3, s8, s3
	s_delay_alu instid0(SALU_CYCLE_1)
	s_mov_b32 exec_lo, s3
	s_cbranch_execz .LBB129_58
; %bb.47:                               ;   in Loop: Header=BB129_31 Depth=1
	global_load_u16 v4, v3, s[70:71]
	global_load_u8 v36, v[14:15], off
	s_mov_b32 s9, exec_lo
	v_mov_b32_e32 v8, v0
	s_wait_loadcnt 0x1
	v_and_b32_e32 v2, 0xffff, v4
	v_readfirstlane_b32 s4, v4
	s_delay_alu instid0(VALU_DEP_2) | instskip(SKIP_1) | instid1(VALU_DEP_1)
	v_add_nc_u32_e32 v2, v2, v0
	s_wait_xcnt 0x0
	v_cmpx_gt_u64_e64 s[36:37], v[2:3]
	s_cbranch_execz .LBB129_57
; %bb.48:                               ;   in Loop: Header=BB129_31 Depth=1
	s_and_b32 s28, s4, 0xffff
	v_mov_b64_e32 v[6:7], v[0:1]
	v_mov_b64_e32 v[4:5], v[2:3]
	v_readlane_b32 s4, v54, 10
	s_cmp_eq_u32 s28, 1
	s_mov_b32 s11, -1
	s_cselect_b32 s3, -1, 0
                                        ; implicit-def: $vgpr8_vgpr9
	s_delay_alu instid0(SALU_CYCLE_1) | instskip(NEXT) | instid1(SALU_CYCLE_1)
	s_and_b32 s3, s4, s3
	s_and_saveexec_b32 s10, s3
	s_cbranch_execz .LBB129_52
; %bb.49:                               ;   in Loop: Header=BB129_31 Depth=1
	v_add_nc_u64_e32 v[8:9], 3, v[2:3]
	v_add_nc_u64_e32 v[6:7], 2, v[2:3]
	;; [unrolled: 1-line block ×3, first 2 shown]
	v_mov_b64_e32 v[34:35], v[18:19]
	s_wait_loadcnt 0x0
	v_dual_mov_b32 v37, v0 :: v_dual_lshlrev_b32 v38, 24, v36
	s_mov_b32 s11, 0
	v_mov_b64_e32 v[10:11], v[8:9]
	v_mov_b64_e32 v[8:9], v[6:7]
	;; [unrolled: 1-line block ×4, first 2 shown]
.LBB129_50:                             ;   Parent Loop BB129_31 Depth=1
                                        ; =>  This Inner Loop Header: Depth=2
	s_delay_alu instid0(VALU_DEP_2) | instskip(NEXT) | instid1(VALU_DEP_2)
	v_mad_nc_u64_u32 v[46:47], v6, s30, s[60:61]
	v_mad_nc_u64_u32 v[48:49], v4, s89, s[60:61]
	;; [unrolled: 1-line block ×4, first 2 shown]
	v_add_nc_u64_e32 v[34:35], -4, v[34:35]
	s_delay_alu instid0(VALU_DEP_1)
	v_cmp_eq_u64_e32 vcc_lo, 0, v[34:35]
	v_mad_u32 v36, v7, s30, v47
	v_mad_u32 v39, v5, s89, v49
	;; [unrolled: 1-line block ×4, first 2 shown]
	s_or_b32 s11, vcc_lo, s11
	s_delay_alu instid0(VALU_DEP_4) | instskip(NEXT) | instid1(VALU_DEP_4)
	v_mad_u32 v47, v6, s31, v36
	v_mad_u32 v49, v4, s90, v39
	s_delay_alu instid0(VALU_DEP_4) | instskip(NEXT) | instid1(VALU_DEP_4)
	v_mad_u32 v51, v8, s92, v45
	v_mad_u32 v53, v10, s94, v53
	v_add_nc_u64_e32 v[10:11], 4, v[10:11]
	v_add_nc_u64_e32 v[8:9], 4, v[8:9]
	;; [unrolled: 1-line block ×4, first 2 shown]
	s_clause 0x3
	global_load_u8 v39, v[46:47], off
	global_load_u8 v45, v[48:49], off
	global_load_u8 v46, v[50:51], off
	global_load_u8 v36, v[52:53], off
	s_wait_loadcnt 0x2
	v_perm_b32 v38, v38, v45, 0xc0c0007
	s_wait_loadcnt 0x1
	v_perm_b32 v47, v39, v46, 0xc0c0004
	v_perm_b32 v39, v45, v39, 0xc0c0004
	s_wait_loadcnt 0x0
	v_perm_b32 v45, v46, v36, 0xc0c0004
	s_delay_alu instid0(VALU_DEP_3) | instskip(NEXT) | instid1(VALU_DEP_2)
	v_lshl_or_b32 v38, v47, 16, v38
	v_lshl_or_b32 v39, v45, 16, v39
	ds_store_b32 v37, v38
	v_dual_mov_b32 v38, v39 :: v_dual_add_nc_u32 v37, 4, v37
	s_wait_xcnt 0x0
	s_and_not1_b32 exec_lo, exec_lo, s11
	s_cbranch_execnz .LBB129_50
; %bb.51:                               ;   in Loop: Header=BB129_31 Depth=1
	s_or_b32 exec_lo, exec_lo, s11
	v_add_nc_u64_e32 v[4:5], v[2:3], v[18:19]
	v_mov_b64_e32 v[6:7], v[20:21]
	v_readlane_b32 s3, v54, 11
	s_or_not1_b32 s11, s3, exec_lo
	v_add_nc_u64_e32 v[8:9], -1, v[4:5]
.LBB129_52:                             ;   in Loop: Header=BB129_31 Depth=1
	s_or_b32 exec_lo, exec_lo, s10
	s_and_saveexec_b32 s7, s11
	s_cbranch_execz .LBB129_56
; %bb.53:                               ;   in Loop: Header=BB129_31 Depth=1
	v_readlane_b32 s10, v54, 15
	v_readlane_b32 s11, v54, 16
	s_mul_u64 s[12:13], s[30:31], s[28:29]
	s_mov_b32 s14, 0
	v_mad_nc_u64_u32 v[8:9], s30, v4, s[10:11]
	s_sub_nc_u64 s[10:11], 0, s[28:29]
	s_delay_alu instid0(VALU_DEP_1) | instskip(NEXT) | instid1(VALU_DEP_1)
	v_mad_u32 v2, s31, v4, v9
	v_mad_u32 v9, s30, v5, v2
.LBB129_54:                             ;   Parent Loop BB129_31 Depth=1
                                        ; =>  This Inner Loop Header: Depth=2
	global_load_u8 v2, v[8:9], off
	v_mov_b64_e32 v[10:11], v[4:5]
	s_wait_loadcnt 0x1
	ds_store_b8 v6, v36
	s_wait_xcnt 0x0
	v_add_nc_u64_e32 v[8:9], s[12:13], v[8:9]
	v_add_nc_u64_e32 v[4:5], s[28:29], v[10:11]
	v_mov_b64_e32 v[6:7], v[10:11]
	s_delay_alu instid0(VALU_DEP_2)
	v_cmp_le_u64_e32 vcc_lo, s[36:37], v[4:5]
	s_or_b32 s14, vcc_lo, s14
	s_wait_loadcnt 0x0
	v_mov_b32_e32 v36, v2
	s_and_not1_b32 exec_lo, exec_lo, s14
	s_cbranch_execnz .LBB129_54
; %bb.55:                               ;   in Loop: Header=BB129_31 Depth=1
	s_or_b32 exec_lo, exec_lo, s14
	v_add_nc_u64_e32 v[8:9], s[10:11], v[4:5]
	v_mov_b32_e32 v36, v2
.LBB129_56:                             ;   in Loop: Header=BB129_31 Depth=1
	s_or_b32 exec_lo, exec_lo, s7
.LBB129_57:                             ;   in Loop: Header=BB129_31 Depth=1
	s_delay_alu instid0(SALU_CYCLE_1)
	s_or_b32 exec_lo, exec_lo, s9
	s_wait_loadcnt 0x0
	ds_store_b8 v8, v36
.LBB129_58:                             ;   in Loop: Header=BB129_31 Depth=1
	s_or_b32 exec_lo, exec_lo, s8
	s_wait_dscnt 0x0
	s_barrier_signal -1
	s_barrier_wait -1
	s_and_saveexec_b32 s4, s5
; %bb.59:                               ;   in Loop: Header=BB129_31 Depth=1
	v_mov_b64_e32 v[4:5], s[36:37]
	ds_store_b64 v3, v[4:5] offset:5120
; %bb.60:                               ;   in Loop: Header=BB129_31 Depth=1
	s_or_b32 exec_lo, exec_lo, s4
	s_wait_dscnt 0x0
	s_barrier_signal -1
	s_mov_b32 s7, -1
	s_barrier_wait -1
.LBB129_61:                             ;   in Loop: Header=BB129_31 Depth=1
	s_and_b32 vcc_lo, exec_lo, s7
	s_mov_b64 s[72:73], 0
	s_cbranch_vccz .LBB129_63
; %bb.62:                               ;   in Loop: Header=BB129_31 Depth=1
	ds_load_b64 v[4:5], v3 offset:5120
	s_wait_dscnt 0x0
	v_readfirstlane_b32 s72, v4
	v_readfirstlane_b32 s73, v5
.LBB129_63:                             ;   in Loop: Header=BB129_31 Depth=1
	s_delay_alu instid0(VALU_DEP_2)
	s_cmp_lt_i32 s72, 1
	s_mov_b32 s7, -1
                                        ; implicit-def: $vgpr10_vgpr11
                                        ; implicit-def: $vgpr6_vgpr7
	s_cbranch_scc1 .LBB129_73
; %bb.64:                               ;   in Loop: Header=BB129_31 Depth=1
	s_and_b32 vcc_lo, exec_lo, s7
	s_cbranch_vccnz .LBB129_87
.LBB129_65:                             ;   in Loop: Header=BB129_31 Depth=1
	s_lshl_b32 s8, s103, 7
	s_and_saveexec_b32 s4, s2
	s_cbranch_execz .LBB129_67
.LBB129_66:                             ;   in Loop: Header=BB129_31 Depth=1
	v_lshl_add_u32 v2, s8, 3, v40
	ds_store_b128 v2, v[4:7]
	ds_store_b128 v2, v[8:11] offset:16
.LBB129_67:                             ;   in Loop: Header=BB129_31 Depth=1
	s_or_b32 exec_lo, exec_lo, s4
	s_wait_dscnt 0x0
	s_barrier_signal -1
	s_barrier_wait -1
	s_and_saveexec_b32 s9, s86
	s_cbranch_execz .LBB129_101
; %bb.68:                               ;   in Loop: Header=BB129_31 Depth=1
	v_mov_b64_e32 v[4:5], 0
	s_and_not1_b32 vcc_lo, exec_lo, s88
	s_cbranch_vccnz .LBB129_100
; %bb.69:                               ;   in Loop: Header=BB129_31 Depth=1
	v_mov_b64_e32 v[4:5], 0
	s_and_not1_b32 vcc_lo, exec_lo, s96
	s_cbranch_vccnz .LBB129_97
; %bb.70:                               ;   in Loop: Header=BB129_31 Depth=1
	v_lshl_add_u32 v2, s103, 10, v42
	s_mov_b32 s7, 0
.LBB129_71:                             ;   Parent Loop BB129_31 Depth=1
                                        ; =>  This Inner Loop Header: Depth=2
	ds_load_2addr_b64 v[6:9], v2 offset1:4
	ds_load_2addr_b64 v[34:37], v2 offset0:8 offset1:12
	s_add_co_i32 s7, s7, 8
	s_delay_alu instid0(SALU_CYCLE_1) | instskip(SKIP_2) | instid1(VALU_DEP_1)
	s_cmp_eq_u32 s97, s7
	s_wait_dscnt 0x1
	v_add_nc_u64_e32 v[4:5], v[6:7], v[4:5]
	v_add_nc_u64_e32 v[8:9], v[8:9], v[4:5]
	ds_load_2addr_b64 v[4:7], v2 offset0:16 offset1:20
	s_wait_dscnt 0x1
	v_add_nc_u64_e32 v[8:9], v[34:35], v[8:9]
	s_delay_alu instid0(VALU_DEP_1) | instskip(SKIP_4) | instid1(VALU_DEP_1)
	v_add_nc_u64_e32 v[34:35], v[36:37], v[8:9]
	ds_load_2addr_b64 v[8:11], v2 offset0:24 offset1:28
	v_add_nc_u32_e32 v2, 0x100, v2
	s_wait_dscnt 0x1
	v_add_nc_u64_e32 v[4:5], v[4:5], v[34:35]
	v_add_nc_u64_e32 v[4:5], v[6:7], v[4:5]
	s_wait_dscnt 0x0
	s_delay_alu instid0(VALU_DEP_1) | instskip(NEXT) | instid1(VALU_DEP_1)
	v_add_nc_u64_e32 v[4:5], v[8:9], v[4:5]
	v_add_nc_u64_e32 v[4:5], v[10:11], v[4:5]
	s_cbranch_scc0 .LBB129_71
; %bb.72:                               ;   in Loop: Header=BB129_31 Depth=1
	s_mov_b32 s7, s97
	s_and_not1_b32 vcc_lo, exec_lo, s98
	s_cbranch_vccz .LBB129_98
	s_branch .LBB129_100
.LBB129_73:                             ;   in Loop: Header=BB129_31 Depth=1
	global_load_u16 v2, v3, s[70:71]
	s_mov_b32 s75, s29
	s_wait_loadcnt 0x0
	v_readfirstlane_b32 s3, v2
	s_and_b32 s3, 0xffff, s3
	s_delay_alu instid0(SALU_CYCLE_1)
	s_lshl_b32 s74, s3, 2
	s_cmp_lg_u64 s[68:69], 0
	s_cbranch_scc0 .LBB129_96
; %bb.74:                               ;   in Loop: Header=BB129_31 Depth=1
	s_cvt_f32_u32 s3, s74
	s_sub_nc_u64 s[10:11], 0, s[74:75]
	s_delay_alu instid0(SALU_CYCLE_2) | instskip(NEXT) | instid1(SALU_CYCLE_3)
	s_fmamk_f32 s3, s100, 0x0, s3
	v_s_rcp_f32 s3, s3
	s_delay_alu instid0(TRANS32_DEP_1) | instskip(NEXT) | instid1(SALU_CYCLE_3)
	s_mul_f32 s3, s3, 0x5f7ffffc
	s_mul_f32 s4, s3, 0x2f800000
	s_delay_alu instid0(SALU_CYCLE_3) | instskip(NEXT) | instid1(SALU_CYCLE_3)
	s_trunc_f32 s4, s4
	s_fmamk_f32 s3, s4, 0xcf800000, s3
	s_cvt_u32_f32 s9, s4
	s_delay_alu instid0(SALU_CYCLE_2) | instskip(NEXT) | instid1(SALU_CYCLE_3)
	s_cvt_u32_f32 s8, s3
	s_mul_u64 s[12:13], s[10:11], s[8:9]
	s_delay_alu instid0(SALU_CYCLE_1)
	s_mul_hi_u32 s15, s8, s13
	s_mul_i32 s14, s8, s13
	s_mul_hi_u32 s28, s8, s12
	s_mul_i32 s4, s9, s12
	s_add_nc_u64 s[14:15], s[28:29], s[14:15]
	s_mul_hi_u32 s3, s9, s12
	s_mul_hi_u32 s7, s9, s13
	s_add_co_u32 s4, s14, s4
	s_add_co_ci_u32 s28, s15, s3
	s_mul_i32 s12, s9, s13
	s_add_co_ci_u32 s13, s7, 0
	s_delay_alu instid0(SALU_CYCLE_1) | instskip(NEXT) | instid1(SALU_CYCLE_1)
	s_add_nc_u64 s[12:13], s[28:29], s[12:13]
	s_add_co_u32 s8, s8, s12
	s_cselect_b32 s3, -1, 0
	s_delay_alu instid0(SALU_CYCLE_1) | instskip(SKIP_1) | instid1(SALU_CYCLE_1)
	s_cmp_lg_u32 s3, 0
	s_add_co_ci_u32 s9, s9, s13
	s_mul_u64 s[10:11], s[10:11], s[8:9]
	s_delay_alu instid0(SALU_CYCLE_1)
	s_mul_hi_u32 s13, s8, s11
	s_mul_i32 s12, s8, s11
	s_mul_hi_u32 s28, s8, s10
	s_mul_i32 s4, s9, s10
	s_add_nc_u64 s[12:13], s[28:29], s[12:13]
	s_mul_hi_u32 s3, s9, s10
	s_mul_hi_u32 s7, s9, s11
	s_add_co_u32 s4, s12, s4
	s_add_co_ci_u32 s28, s13, s3
	s_mul_i32 s10, s9, s11
	s_add_co_ci_u32 s11, s7, 0
	s_delay_alu instid0(SALU_CYCLE_1) | instskip(NEXT) | instid1(SALU_CYCLE_1)
	s_add_nc_u64 s[10:11], s[28:29], s[10:11]
	s_add_co_u32 s3, s8, s10
	s_cselect_b32 s4, -1, 0
	s_mul_hi_u32 s28, s36, s3
	s_cmp_lg_u32 s4, 0
	s_mul_hi_u32 s4, s37, s3
	s_add_co_ci_u32 s7, s9, s11
	s_mul_i32 s3, s37, s3
	s_mul_hi_u32 s9, s36, s7
	s_mul_i32 s8, s36, s7
	s_mul_hi_u32 s11, s37, s7
	s_add_nc_u64 s[8:9], s[28:29], s[8:9]
	s_mul_i32 s10, s37, s7
	s_add_co_u32 s3, s8, s3
	s_add_co_ci_u32 s28, s9, s4
	s_add_co_ci_u32 s11, s11, 0
	s_delay_alu instid0(SALU_CYCLE_1) | instskip(NEXT) | instid1(SALU_CYCLE_1)
	s_add_nc_u64 s[8:9], s[28:29], s[10:11]
	s_and_b64 s[10:11], s[8:9], 0xffffffff00000000
	s_delay_alu instid0(SALU_CYCLE_1) | instskip(NEXT) | instid1(SALU_CYCLE_1)
	s_or_b32 s10, s10, s8
	s_mul_u64 s[8:9], s[74:75], s[10:11]
	s_delay_alu instid0(SALU_CYCLE_1) | instskip(SKIP_1) | instid1(SALU_CYCLE_1)
	s_sub_co_u32 s3, s36, s8
	s_cselect_b32 s4, -1, 0
	s_cmp_lg_u32 s4, 0
	s_sub_co_ci_u32 s4, s37, s9
	s_sub_co_u32 s7, s3, s74
	s_cselect_b32 s8, -1, 0
	s_delay_alu instid0(SALU_CYCLE_1) | instskip(SKIP_3) | instid1(SALU_CYCLE_1)
	s_cmp_lg_u32 s8, 0
	s_sub_co_ci_u32 s8, s4, 0
	s_sub_co_u32 s9, s7, s74
	s_cselect_b32 s10, -1, 0
	s_cmp_lg_u32 s10, 0
	s_sub_co_ci_u32 s10, s8, 0
	s_cmp_ge_u32 s7, s74
	s_cselect_b32 s11, -1, 0
	s_cmp_eq_u32 s8, 0
	s_cselect_b32 s11, s11, -1
	s_delay_alu instid0(SALU_CYCLE_1)
	s_cmp_lg_u32 s11, 0
	s_cselect_b32 s8, s10, s8
	s_cselect_b32 s7, s9, s7
	s_cmp_ge_u32 s3, s74
	s_cselect_b32 s9, -1, 0
	s_cmp_eq_u32 s4, 0
	s_cselect_b32 s9, s9, -1
	s_delay_alu instid0(SALU_CYCLE_1)
	s_cmp_lg_u32 s9, 0
	s_cselect_b32 s11, s8, s4
	s_cselect_b32 s10, s7, s3
	s_cbranch_execnz .LBB129_76
.LBB129_75:                             ;   in Loop: Header=BB129_31 Depth=1
	v_cvt_f32_u32_e32 v4, s74
	s_sub_co_i32 s4, 0, s74
	s_delay_alu instid0(VALU_DEP_1) | instskip(SKIP_1) | instid1(TRANS32_DEP_1)
	v_rcp_iflag_f32_e32 v4, v4
	v_nop
	v_mul_f32_e32 v4, 0x4f7ffffe, v4
	s_delay_alu instid0(VALU_DEP_1) | instskip(NEXT) | instid1(VALU_DEP_1)
	v_cvt_u32_f32_e32 v4, v4
	v_readfirstlane_b32 s3, v4
	s_mul_i32 s4, s4, s3
	s_delay_alu instid0(SALU_CYCLE_1) | instskip(NEXT) | instid1(SALU_CYCLE_1)
	s_mul_hi_u32 s4, s3, s4
	s_add_co_i32 s3, s3, s4
	s_delay_alu instid0(SALU_CYCLE_1) | instskip(NEXT) | instid1(SALU_CYCLE_1)
	s_mul_hi_u32 s3, s36, s3
	s_mul_i32 s3, s3, s74
	s_delay_alu instid0(SALU_CYCLE_1) | instskip(NEXT) | instid1(SALU_CYCLE_1)
	s_sub_co_i32 s3, s36, s3
	s_sub_co_i32 s4, s3, s74
	s_cmp_ge_u32 s3, s74
	s_cselect_b32 s3, s4, s3
	s_delay_alu instid0(SALU_CYCLE_1) | instskip(SKIP_2) | instid1(SALU_CYCLE_1)
	s_sub_co_i32 s4, s3, s74
	s_cmp_ge_u32 s3, s74
	s_cselect_b32 s28, s4, s3
	s_mov_b64 s[10:11], s[28:29]
.LBB129_76:                             ;   in Loop: Header=BB129_31 Depth=1
	v_mov_b64_e32 v[4:5], 0
	v_mov_b64_e32 v[6:7], 0
	v_mov_b64_e32 v[8:9], 0
	v_mov_b64_e32 v[10:11], 0
	v_and_b32_e32 v2, 0xffff, v2
	s_sub_nc_u64 s[76:77], s[36:37], s[10:11]
	s_mov_b32 s8, exec_lo
	v_cmpx_gt_u64_e64 s[76:77], v[16:17]
	s_cbranch_execz .LBB129_80
; %bb.77:                               ;   in Loop: Header=BB129_31 Depth=1
	v_readlane_b32 s10, v54, 13
	v_readlane_b32 s11, v54, 14
	v_mov_b64_e32 v[36:37], s[60:61]
	v_mov_b64_e32 v[38:39], v[16:17]
	s_mov_b64 s[78:79], 0
	s_mov_b32 s59, 0
	v_mul_u64_e32 v[34:35], s[10:11], v[2:3]
	s_mov_b64 s[80:81], 0
	s_mov_b64 s[82:83], 0
	;; [unrolled: 1-line block ×3, first 2 shown]
.LBB129_78:                             ;   Parent Loop BB129_31 Depth=1
                                        ; =>  This Inner Loop Header: Depth=2
	v_add_nc_u64_e32 v[4:5], v[36:37], v[28:29]
	v_add_nc_u64_e32 v[6:7], v[36:37], v[26:27]
	;; [unrolled: 1-line block ×6, first 2 shown]
	s_clause 0x3
	global_load_u8 v4, v[4:5], off
	global_load_u8 v5, v[6:7], off
	;; [unrolled: 1-line block ×4, first 2 shown]
	v_cmp_le_u64_e32 vcc_lo, s[76:77], v[38:39]
	s_wait_loadcnt 0x3
	s_wait_xcnt 0x1
	v_and_b32_e32 v8, v43, v4
	s_wait_loadcnt 0x2
	v_and_b32_e32 v9, v43, v5
	v_bfe_u32 v4, v4, s99, 2
	v_bfe_u32 v5, v5, s99, 2
	s_wait_loadcnt 0x1
	s_wait_xcnt 0x0
	v_and_b32_e32 v10, v43, v6
	v_bfe_u32 v6, v6, s99, 2
	s_wait_loadcnt 0x0
	v_and_b32_e32 v11, v43, v7
	v_bfe_u32 v7, v7, s99, 2
	v_cmp_eq_u32_e64 s9, v8, v41
	v_cmp_eq_u32_e64 s10, v9, v41
	v_cmp_eq_u32_e64 s13, 0, v4
	v_cmp_eq_u32_e64 s14, 0, v5
	v_cmp_eq_u32_e64 s11, v10, v41
	v_cmp_eq_u32_e64 s15, 0, v6
	v_cmp_eq_u32_e64 s17, 1, v4
	v_cmp_eq_u32_e64 s18, 1, v5
	v_cmp_eq_u32_e64 s12, v11, v41
	v_cmp_eq_u32_e64 s16, 0, v7
	v_cmp_eq_u32_e64 s19, 1, v6
	v_cmp_eq_u32_e64 s21, 2, v4
	v_cmp_eq_u32_e64 s22, 2, v5
	v_cmp_eq_u32_e64 s25, 3, v4
	v_cmp_eq_u32_e64 s26, 3, v5
	s_and_b32 s3, s9, s13
	s_and_b32 s4, s10, s14
	v_cmp_eq_u32_e64 s20, 1, v7
	v_cmp_eq_u32_e64 s23, 2, v6
	;; [unrolled: 1-line block ×3, first 2 shown]
	s_and_b32 s7, s11, s15
	s_and_b32 s14, s9, s17
	;; [unrolled: 1-line block ×3, first 2 shown]
	v_cndmask_b32_e64 v4, 0, 1, s3
	v_cndmask_b32_e64 v5, 0, 1, s4
	v_cmp_eq_u32_e64 s24, 2, v7
	v_cmp_eq_u32_e64 s28, 3, v7
	s_and_b32 s13, s12, s16
	s_and_b32 s16, s11, s19
	;; [unrolled: 1-line block ×4, first 2 shown]
	v_cndmask_b32_e64 v6, 0, 1, s7
	v_cndmask_b32_e64 v8, 0, 1, s14
	;; [unrolled: 1-line block ×3, first 2 shown]
	s_and_b32 s9, s9, s25
	s_and_b32 s10, s10, s26
	;; [unrolled: 1-line block ×4, first 2 shown]
	v_cndmask_b32_e64 v7, 0, 1, s13
	v_cndmask_b32_e64 v10, 0, 1, s16
	v_cndmask_b32_e64 v45, 0, 1, s18
	v_cndmask_b32_e64 v46, 0, 1, s19
	s_and_b32 s11, s11, s27
	v_cndmask_b32_e64 v49, 0, 1, s9
	v_cndmask_b32_e64 v50, 0, 1, s10
	v_cmp_ne_u32_e64 s9, 0, v4
	v_cmp_ne_u32_e64 s10, 0, v5
	s_and_b32 s21, s12, s24
	v_cndmask_b32_e64 v11, 0, 1, s17
	v_cndmask_b32_e64 v47, 0, 1, s20
	s_and_b32 s12, s12, s28
	v_cndmask_b32_e64 v51, 0, 1, s11
	v_cmp_ne_u32_e64 s11, 0, v6
	v_cmp_ne_u32_e64 s13, 0, v8
	;; [unrolled: 1-line block ×3, first 2 shown]
	v_cndmask_b32_e64 v48, 0, 1, s21
	v_cndmask_b32_e64 v52, 0, 1, s12
	v_cmp_ne_u32_e64 s12, 0, v7
	v_cmp_ne_u32_e64 s15, 0, v10
	v_cmp_ne_u32_e64 s17, 0, v45
	v_cmp_ne_u32_e64 s18, 0, v46
	s_bcnt1_i32_b32 s3, s9
	s_bcnt1_i32_b32 s4, s10
	v_cmp_ne_u32_e64 s16, 0, v11
	v_cmp_ne_u32_e64 s19, 0, v47
	;; [unrolled: 1-line block ×4, first 2 shown]
	s_bcnt1_i32_b32 s7, s11
	s_bcnt1_i32_b32 s10, s13
	;; [unrolled: 1-line block ×3, first 2 shown]
	s_add_co_i32 s3, s4, s3
	v_cmp_ne_u32_e64 s20, 0, v48
	v_cmp_ne_u32_e64 s23, 0, v51
	s_bcnt1_i32_b32 s9, s12
	s_bcnt1_i32_b32 s12, s15
	;; [unrolled: 1-line block ×4, first 2 shown]
	s_add_co_i32 s4, s11, s10
	s_add_co_i32 s3, s3, s7
	v_cmp_ne_u32_e64 s24, 0, v52
	s_bcnt1_i32_b32 s13, s16
	s_bcnt1_i32_b32 s16, s19
	;; [unrolled: 1-line block ×4, first 2 shown]
	s_add_co_i32 s10, s15, s14
	s_add_co_i32 s4, s4, s12
	;; [unrolled: 1-line block ×3, first 2 shown]
	s_bcnt1_i32_b32 s17, s20
	s_bcnt1_i32_b32 s20, s23
	s_add_co_i32 s11, s19, s18
	s_add_co_i32 s7, s10, s16
	s_add_nc_u64 s[84:85], s[84:85], s[28:29]
	s_add_co_i32 s28, s4, s13
	s_bcnt1_i32_b32 s21, s24
	s_add_co_i32 s10, s11, s20
	s_add_nc_u64 s[82:83], s[82:83], s[28:29]
	s_add_co_i32 s28, s7, s17
	v_mov_b64_e32 v[4:5], s[84:85]
	s_add_nc_u64 s[80:81], s[80:81], s[28:29]
	s_add_co_i32 s28, s10, s21
	v_mov_b64_e32 v[6:7], s[82:83]
	s_add_nc_u64 s[78:79], s[78:79], s[28:29]
	v_mov_b64_e32 v[8:9], s[80:81]
	v_mov_b64_e32 v[10:11], s[78:79]
	s_or_b32 s59, vcc_lo, s59
	s_delay_alu instid0(SALU_CYCLE_1)
	s_and_not1_b32 exec_lo, exec_lo, s59
	s_cbranch_execnz .LBB129_78
; %bb.79:                               ;   in Loop: Header=BB129_31 Depth=1
	s_or_b32 exec_lo, exec_lo, s59
.LBB129_80:                             ;   in Loop: Header=BB129_31 Depth=1
	s_delay_alu instid0(SALU_CYCLE_1) | instskip(SKIP_2) | instid1(VALU_DEP_1)
	s_or_b32 exec_lo, exec_lo, s8
	v_add_nc_u64_e32 v[34:35], s[76:77], v[0:1]
	s_mov_b32 s8, exec_lo
	v_cmpx_gt_u64_e64 s[36:37], v[34:35]
	s_cbranch_execz .LBB129_86
; %bb.81:                               ;   in Loop: Header=BB129_31 Depth=1
	v_mad_nc_u64_u32 v[36:37], v34, s30, s[60:61]
	s_mov_b32 s12, 0
	s_delay_alu instid0(VALU_DEP_1) | instskip(NEXT) | instid1(VALU_DEP_1)
	v_mad_u32 v37, v35, s30, v37
	v_mad_u32 v37, v34, s31, v37
	global_load_u8 v37, v[36:37], off
	s_branch .LBB129_83
.LBB129_82:                             ;   in Loop: Header=BB129_83 Depth=2
	s_wait_xcnt 0x0
	s_or_b32 exec_lo, exec_lo, s4
	s_wait_loadcnt 0x0
	v_and_b32_e32 v38, 0xff, v37
	v_bitop3_b32 v37, v43, v37, 0xff bitop3:0x80
	s_and_b32 s3, exec_lo, vcc_lo
	s_delay_alu instid0(SALU_CYCLE_1) | instskip(NEXT) | instid1(VALU_DEP_2)
	s_or_b32 s12, s3, s12
	v_bfe_u32 v38, v38, s99, 2
	s_delay_alu instid0(VALU_DEP_2) | instskip(NEXT) | instid1(VALU_DEP_2)
	v_cmp_eq_u32_e64 s9, v37, v41
	v_cmp_eq_u32_e64 s10, 0, v38
	v_cmp_eq_u32_e32 vcc_lo, 1, v38
	s_and_b32 s3, s9, s10
	v_cmp_eq_u32_e64 s10, 2, v38
	v_cndmask_b32_e64 v37, 0, 1, s3
	s_and_b32 s3, s9, vcc_lo
	v_cmp_eq_u32_e32 vcc_lo, 3, v38
	v_cndmask_b32_e64 v39, 0, 1, s3
	s_and_b32 s3, s9, s10
	v_cmp_ne_u32_e64 s11, 0, v37
	v_cndmask_b32_e64 v37, 0, 1, s3
	s_and_b32 s3, s9, vcc_lo
	v_cmp_ne_u32_e64 s10, 0, v39
	v_cndmask_b32_e64 v38, 0, 1, s3
	s_bcnt1_i32_b32 s28, s11
	v_cmp_ne_u32_e32 vcc_lo, 0, v37
	v_add_nc_u64_e32 v[4:5], s[28:29], v[4:5]
	s_bcnt1_i32_b32 s28, s10
	v_cmp_ne_u32_e64 s9, 0, v38
	v_add_nc_u64_e32 v[6:7], s[28:29], v[6:7]
	s_bcnt1_i32_b32 s28, vcc_lo
	v_mov_b32_e32 v37, v36
	v_add_nc_u64_e32 v[8:9], s[28:29], v[8:9]
	s_bcnt1_i32_b32 s28, s9
	s_delay_alu instid0(SALU_CYCLE_1)
	v_add_nc_u64_e32 v[10:11], s[28:29], v[10:11]
	s_and_not1_b32 exec_lo, exec_lo, s12
	s_cbranch_execz .LBB129_85
.LBB129_83:                             ;   Parent Loop BB129_31 Depth=1
                                        ; =>  This Inner Loop Header: Depth=2
	v_add_nc_u64_e32 v[34:35], v[34:35], v[2:3]
	s_wait_xcnt 0x0
	v_mov_b32_e32 v36, 0
	s_mov_b32 s4, exec_lo
	s_delay_alu instid0(VALU_DEP_2)
	v_cmp_le_u64_e32 vcc_lo, s[36:37], v[34:35]
	v_cmpx_gt_u64_e64 s[36:37], v[34:35]
	s_cbranch_execz .LBB129_82
; %bb.84:                               ;   in Loop: Header=BB129_83 Depth=2
	v_mad_nc_u64_u32 v[38:39], v34, s30, s[60:61]
	s_delay_alu instid0(VALU_DEP_1) | instskip(NEXT) | instid1(VALU_DEP_1)
	v_mad_u32 v36, v35, s30, v39
	v_mad_u32 v39, v34, s31, v36
	global_load_u8 v36, v[38:39], off
	s_branch .LBB129_82
.LBB129_85:                             ;   in Loop: Header=BB129_31 Depth=1
	s_or_b32 exec_lo, exec_lo, s12
.LBB129_86:                             ;   in Loop: Header=BB129_31 Depth=1
	s_delay_alu instid0(SALU_CYCLE_1)
	s_or_b32 exec_lo, exec_lo, s8
	s_branch .LBB129_65
.LBB129_87:                             ;   in Loop: Header=BB129_31 Depth=1
	global_load_u16 v2, v3, s[70:71]
	s_mov_b32 s75, s29
	v_mov_b64_e32 v[6:7], 0
	v_mov_b64_e32 v[8:9], 0
	;; [unrolled: 1-line block ×3, first 2 shown]
	s_mov_b32 s59, exec_lo
	s_wait_loadcnt 0x0
	v_readfirstlane_b32 s3, v2
	v_and_b32_e32 v2, 0xffff, v2
	s_and_b32 s8, 0xffff, s3
	s_delay_alu instid0(SALU_CYCLE_1) | instskip(NEXT) | instid1(SALU_CYCLE_1)
	s_lshl_b32 s76, s8, 2
	s_cvt_f32_u32 s3, s76
	s_sub_co_i32 s4, 0, s76
	s_delay_alu instid0(SALU_CYCLE_2) | instskip(SKIP_1) | instid1(TRANS32_DEP_1)
	v_rcp_iflag_f32_e32 v4, s3
	v_nop
	v_readfirstlane_b32 s3, v4
	s_mul_f32 s3, s3, 0x4f7ffffe
	s_delay_alu instid0(SALU_CYCLE_3) | instskip(NEXT) | instid1(SALU_CYCLE_3)
	s_cvt_u32_f32 s3, s3
	s_mul_i32 s4, s4, s3
	s_delay_alu instid0(SALU_CYCLE_1) | instskip(NEXT) | instid1(SALU_CYCLE_1)
	s_mul_hi_u32 s4, s3, s4
	s_add_co_i32 s3, s3, s4
	s_delay_alu instid0(SALU_CYCLE_1) | instskip(NEXT) | instid1(SALU_CYCLE_1)
	s_mul_hi_u32 s3, s72, s3
	s_mul_i32 s4, s3, s76
	s_add_co_i32 s7, s3, 1
	s_sub_co_i32 s4, s72, s4
	s_delay_alu instid0(SALU_CYCLE_1)
	s_sub_co_i32 s9, s4, s76
	s_cmp_ge_u32 s4, s76
	s_cselect_b32 s3, s7, s3
	s_cselect_b32 s4, s9, s4
	s_add_co_i32 s7, s3, 1
	s_cmp_ge_u32 s4, s76
	s_cselect_b32 s74, s7, s3
	s_delay_alu instid0(SALU_CYCLE_1) | instskip(NEXT) | instid1(VALU_DEP_1)
	v_mul_u64_e32 v[4:5], s[74:75], v[2:3]
	v_lshlrev_b64_e32 v[34:35], 2, v[4:5]
	v_mov_b64_e32 v[4:5], 0
	s_delay_alu instid0(VALU_DEP_2)
	v_cmpx_gt_u64_e64 v[34:35], v[16:17]
	s_cbranch_execz .LBB129_91
; %bb.88:                               ;   in Loop: Header=BB129_31 Depth=1
	v_mov_b64_e32 v[36:37], v[16:17]
	v_mov_b32_e32 v38, v16
	s_mov_b32 s77, s29
	s_mov_b64 s[78:79], 0
	s_mov_b32 s75, 0
	s_mov_b64 s[80:81], 0
	s_mov_b64 s[82:83], 0
	;; [unrolled: 1-line block ×3, first 2 shown]
.LBB129_89:                             ;   Parent Loop BB129_31 Depth=1
                                        ; =>  This Inner Loop Header: Depth=2
	ds_load_b32 v4, v38
	v_add_nc_u32_e32 v38, s76, v38
	v_add_nc_u64_e32 v[36:37], s[76:77], v[36:37]
	s_delay_alu instid0(VALU_DEP_1)
	v_cmp_ge_u64_e32 vcc_lo, v[36:37], v[34:35]
	s_wait_dscnt 0x0
	v_dual_lshrrev_b32 v6, 8, v4 :: v_dual_lshrrev_b32 v8, 24, v4
	v_and_b32_e32 v9, 0xff, v4
	v_bfe_u32 v10, v4, 8, 8
	v_lshrrev_b32_e32 v5, 16, v4
	v_bitop3_b32 v7, v43, v4, 0xff bitop3:0x80
	v_bfe_u32 v4, v4, 16, 8
	v_bitop3_b32 v6, v43, v6, 0xff bitop3:0x80
	v_bfe_u32 v9, v9, s99, 2
	v_bfe_u32 v10, v10, s99, 2
	v_bitop3_b32 v5, v43, v5, 0xff bitop3:0x80
	v_bfe_u32 v4, v4, s99, 2
	v_cmp_eq_u32_e64 s9, v7, v41
	v_and_b32_e32 v7, v43, v8
	v_bfe_u32 v8, v8, s99, 2
	v_cmp_eq_u32_e64 s10, v6, v41
	v_cmp_eq_u32_e64 s13, 0, v9
	;; [unrolled: 1-line block ×14, first 2 shown]
	s_and_b32 s3, s9, s13
	s_and_b32 s4, s10, s14
	v_cmp_eq_u32_e64 s20, 1, v8
	v_cmp_eq_u32_e64 s23, 2, v4
	;; [unrolled: 1-line block ×3, first 2 shown]
	s_and_b32 s7, s11, s15
	s_and_b32 s14, s9, s17
	;; [unrolled: 1-line block ×3, first 2 shown]
	v_cndmask_b32_e64 v4, 0, 1, s3
	v_cndmask_b32_e64 v5, 0, 1, s4
	v_cmp_eq_u32_e64 s24, 2, v8
	v_cmp_eq_u32_e64 s28, 3, v8
	s_and_b32 s13, s12, s16
	s_and_b32 s16, s11, s19
	;; [unrolled: 1-line block ×4, first 2 shown]
	v_cndmask_b32_e64 v6, 0, 1, s7
	v_cndmask_b32_e64 v8, 0, 1, s14
	;; [unrolled: 1-line block ×3, first 2 shown]
	s_and_b32 s9, s9, s25
	s_and_b32 s10, s10, s26
	;; [unrolled: 1-line block ×4, first 2 shown]
	v_cndmask_b32_e64 v7, 0, 1, s13
	v_cndmask_b32_e64 v10, 0, 1, s16
	;; [unrolled: 1-line block ×4, first 2 shown]
	s_and_b32 s11, s11, s27
	v_cndmask_b32_e64 v48, 0, 1, s9
	v_cndmask_b32_e64 v49, 0, 1, s10
	v_cmp_ne_u32_e64 s9, 0, v4
	v_cmp_ne_u32_e64 s10, 0, v5
	s_and_b32 s21, s12, s24
	v_cndmask_b32_e64 v11, 0, 1, s17
	v_cndmask_b32_e64 v46, 0, 1, s20
	s_and_b32 s12, s12, s28
	v_cndmask_b32_e64 v50, 0, 1, s11
	v_cmp_ne_u32_e64 s11, 0, v6
	v_cmp_ne_u32_e64 s13, 0, v8
	;; [unrolled: 1-line block ×3, first 2 shown]
	v_cndmask_b32_e64 v47, 0, 1, s21
	v_cndmask_b32_e64 v51, 0, 1, s12
	v_cmp_ne_u32_e64 s12, 0, v7
	v_cmp_ne_u32_e64 s15, 0, v10
	;; [unrolled: 1-line block ×4, first 2 shown]
	s_bcnt1_i32_b32 s3, s9
	s_bcnt1_i32_b32 s4, s10
	v_cmp_ne_u32_e64 s16, 0, v11
	v_cmp_ne_u32_e64 s19, 0, v46
	;; [unrolled: 1-line block ×4, first 2 shown]
	s_bcnt1_i32_b32 s7, s11
	s_bcnt1_i32_b32 s10, s13
	;; [unrolled: 1-line block ×3, first 2 shown]
	s_add_co_i32 s3, s4, s3
	v_cmp_ne_u32_e64 s20, 0, v47
	v_cmp_ne_u32_e64 s23, 0, v50
	s_bcnt1_i32_b32 s9, s12
	s_bcnt1_i32_b32 s12, s15
	;; [unrolled: 1-line block ×4, first 2 shown]
	s_add_co_i32 s4, s11, s10
	s_add_co_i32 s3, s3, s7
	v_cmp_ne_u32_e64 s24, 0, v51
	s_bcnt1_i32_b32 s13, s16
	s_bcnt1_i32_b32 s16, s19
	s_bcnt1_i32_b32 s18, s21
	s_bcnt1_i32_b32 s19, s22
	s_add_co_i32 s10, s15, s14
	s_add_co_i32 s4, s4, s12
	;; [unrolled: 1-line block ×3, first 2 shown]
	s_bcnt1_i32_b32 s17, s20
	s_bcnt1_i32_b32 s20, s23
	s_add_co_i32 s11, s19, s18
	s_add_co_i32 s7, s10, s16
	s_add_nc_u64 s[84:85], s[84:85], s[28:29]
	s_add_co_i32 s28, s4, s13
	s_bcnt1_i32_b32 s21, s24
	s_add_co_i32 s10, s11, s20
	s_add_nc_u64 s[82:83], s[82:83], s[28:29]
	s_add_co_i32 s28, s7, s17
	v_mov_b64_e32 v[4:5], s[84:85]
	s_add_nc_u64 s[80:81], s[80:81], s[28:29]
	s_add_co_i32 s28, s10, s21
	v_mov_b64_e32 v[6:7], s[82:83]
	s_add_nc_u64 s[78:79], s[78:79], s[28:29]
	v_mov_b64_e32 v[8:9], s[80:81]
	v_mov_b64_e32 v[10:11], s[78:79]
	s_or_b32 s75, vcc_lo, s75
	s_delay_alu instid0(SALU_CYCLE_1)
	s_and_not1_b32 exec_lo, exec_lo, s75
	s_cbranch_execnz .LBB129_89
; %bb.90:                               ;   in Loop: Header=BB129_31 Depth=1
	s_or_b32 exec_lo, exec_lo, s75
.LBB129_91:                             ;   in Loop: Header=BB129_31 Depth=1
	s_delay_alu instid0(SALU_CYCLE_1) | instskip(SKIP_3) | instid1(VALU_DEP_1)
	s_or_b32 exec_lo, exec_lo, s59
	v_add_nc_u64_e32 v[34:35], v[34:35], v[0:1]
	s_and_b64 s[14:15], s[72:73], 0x7fffffff
	s_mov_b32 s16, exec_lo
	v_cmpx_gt_u64_e64 s[14:15], v[34:35]
	s_cbranch_execz .LBB129_95
; %bb.92:                               ;   in Loop: Header=BB129_31 Depth=1
	s_mul_i32 s3, s74, s8
	s_mov_b32 s17, 0
	v_lshl_add_u32 v36, s3, 2, v0
.LBB129_93:                             ;   Parent Loop BB129_31 Depth=1
                                        ; =>  This Inner Loop Header: Depth=2
	ds_load_u8 v37, v36
	v_add_nc_u64_e32 v[34:35], v[34:35], v[2:3]
	v_add_nc_u32_e32 v36, s8, v36
	s_delay_alu instid0(VALU_DEP_2) | instskip(SKIP_3) | instid1(VALU_DEP_2)
	v_cmp_le_u64_e32 vcc_lo, s[14:15], v[34:35]
	s_wait_dscnt 0x0
	v_and_b32_e32 v38, v43, v37
	v_bfe_u32 v37, v37, s99, 2
	v_cmp_eq_u32_e64 s9, v38, v41
	s_delay_alu instid0(VALU_DEP_2) | instskip(SKIP_4) | instid1(SALU_CYCLE_1)
	v_cmp_eq_u32_e64 s10, 0, v37
	v_cmp_eq_u32_e64 s11, 1, v37
	;; [unrolled: 1-line block ×4, first 2 shown]
	s_and_b32 s3, s9, s10
	v_cndmask_b32_e64 v37, 0, 1, s3
	s_and_b32 s3, s9, s11
	s_delay_alu instid0(SALU_CYCLE_1) | instskip(SKIP_1) | instid1(SALU_CYCLE_1)
	v_cndmask_b32_e64 v38, 0, 1, s3
	s_and_b32 s3, s9, s12
	v_cndmask_b32_e64 v39, 0, 1, s3
	s_and_b32 s3, s9, s13
	v_cmp_ne_u32_e64 s9, 0, v37
	v_cndmask_b32_e64 v45, 0, 1, s3
	v_cmp_ne_u32_e64 s10, 0, v38
	v_cmp_ne_u32_e64 s11, 0, v39
	s_bcnt1_i32_b32 s28, s9
	v_cmp_ne_u32_e64 s12, 0, v45
	v_add_nc_u64_e32 v[4:5], s[28:29], v[4:5]
	s_bcnt1_i32_b32 s28, s10
	s_delay_alu instid0(SALU_CYCLE_1) | instskip(SKIP_1) | instid1(SALU_CYCLE_1)
	v_add_nc_u64_e32 v[6:7], s[28:29], v[6:7]
	s_bcnt1_i32_b32 s28, s11
	v_add_nc_u64_e32 v[8:9], s[28:29], v[8:9]
	s_bcnt1_i32_b32 s28, s12
	s_or_b32 s17, vcc_lo, s17
	v_add_nc_u64_e32 v[10:11], s[28:29], v[10:11]
	s_and_not1_b32 exec_lo, exec_lo, s17
	s_cbranch_execnz .LBB129_93
; %bb.94:                               ;   in Loop: Header=BB129_31 Depth=1
	s_or_b32 exec_lo, exec_lo, s17
.LBB129_95:                             ;   in Loop: Header=BB129_31 Depth=1
	s_delay_alu instid0(SALU_CYCLE_1)
	s_or_b32 exec_lo, exec_lo, s16
	s_lshl_b32 s8, s103, 7
	s_and_saveexec_b32 s4, s2
	s_cbranch_execnz .LBB129_66
	s_branch .LBB129_67
.LBB129_96:                             ;   in Loop: Header=BB129_31 Depth=1
                                        ; implicit-def: $sgpr10_sgpr11
	s_branch .LBB129_75
.LBB129_97:                             ;   in Loop: Header=BB129_31 Depth=1
	s_mov_b32 s7, 0
	s_and_not1_b32 vcc_lo, exec_lo, s98
	s_cbranch_vccnz .LBB129_100
.LBB129_98:                             ;   in Loop: Header=BB129_31 Depth=1
	s_lshl_b32 s3, s103, 10
	s_lshl_b32 s4, s7, 5
	s_delay_alu instid0(SALU_CYCLE_1)
	v_add3_u32 v2, s3, s4, v42
	v_readlane_b32 s4, v54, 12
.LBB129_99:                             ;   Parent Loop BB129_31 Depth=1
                                        ; =>  This Inner Loop Header: Depth=2
	ds_load_b64 v[6:7], v2
	v_add_nc_u32_e32 v2, 32, v2
	s_add_co_i32 s4, s4, -1
	s_delay_alu instid0(SALU_CYCLE_1)
	s_cmp_lg_u32 s4, 0
	s_wait_dscnt 0x0
	v_add_nc_u64_e32 v[4:5], v[6:7], v[4:5]
	s_cbranch_scc1 .LBB129_99
.LBB129_100:                            ;   in Loop: Header=BB129_31 Depth=1
	v_add_lshl_u32 v2, s8, v13, 3
	ds_store_b64 v2, v[4:5] offset:3072
.LBB129_101:                            ;   in Loop: Header=BB129_31 Depth=1
	s_or_b32 exec_lo, exec_lo, s9
	s_lshl_b32 s3, s8, 3
	s_wait_dscnt 0x0
	v_mov_b32_e32 v2, s3
	s_barrier_signal -1
	s_barrier_wait -1
	v_cmp_eq_u64_e64 s9, 1, v[32:33]
	ds_load_b128 v[4:7], v2 offset:3072
	ds_load_b128 v[8:11], v2 offset:3088
	s_lshl_b32 s24, 3, s99
	s_mov_b32 s74, -1
	s_not_b32 s25, s24
	s_mov_b32 s26, 0
	s_and_not1_b32 vcc_lo, exec_lo, s87
	s_mov_b32 s59, 0
	s_mov_b32 s27, 0
                                        ; implicit-def: $sgpr72
                                        ; implicit-def: $sgpr73
                                        ; implicit-def: $vgpr2
	s_wait_dscnt 0x1
	v_readfirstlane_b32 s13, v5
	v_readfirstlane_b32 s12, v4
	;; [unrolled: 1-line block ×4, first 2 shown]
	s_wait_dscnt 0x0
	v_readfirstlane_b32 s17, v9
	v_readfirstlane_b32 s16, v8
	;; [unrolled: 1-line block ×4, first 2 shown]
                                        ; implicit-def: $vgpr4_vgpr5
                                        ; implicit-def: $vgpr10
                                        ; implicit-def: $vgpr11
                                        ; implicit-def: $vgpr8
	s_cbranch_vccnz .LBB129_296
; %bb.102:                              ;   in Loop: Header=BB129_31 Depth=1
	s_cmp_eq_u64 s[12:13], 1
	v_dual_mov_b32 v10, v41 :: v_dual_mov_b32 v11, v43
	v_mov_b32_e32 v8, v44
	s_cselect_b32 s3, -1, 0
	s_mov_b32 s7, -1
	s_and_b32 s76, s3, s9
                                        ; implicit-def: $sgpr73
                                        ; implicit-def: $sgpr72
	s_delay_alu instid0(SALU_CYCLE_1)
	s_and_saveexec_b32 s27, s76
	s_cbranch_execz .LBB129_137
; %bb.103:                              ;   in Loop: Header=BB129_31 Depth=1
	ds_load_b64 v[4:5], v3 offset:5120
	s_wait_dscnt 0x0
	s_barrier_signal -1
	s_barrier_wait -1
	v_readfirstlane_b32 s10, v4
	v_readfirstlane_b32 s11, v5
	s_and_saveexec_b32 s4, s6
; %bb.104:                              ;   in Loop: Header=BB129_31 Depth=1
	ds_store_b8 v0, v3 offset:3072
; %bb.105:                              ;   in Loop: Header=BB129_31 Depth=1
	s_or_b32 exec_lo, exec_lo, s4
	v_and_b32_e32 v10, s25, v41
	v_or_b32_e32 v11, s24, v43
	s_mov_b32 s72, -1
	s_mov_b32 s73, 0
	s_cmp_eq_u64 s[10:11], 0
	s_mov_b32 s8, 0
	s_mov_b32 s22, -1
	s_wait_dscnt 0x0
	s_barrier_signal -1
	s_barrier_wait -1
                                        ; implicit-def: $vgpr8
	s_cbranch_scc1 .LBB129_122
; %bb.106:                              ;   in Loop: Header=BB129_31 Depth=1
	s_add_nc_u64 s[20:21], s[10:11], s[62:63]
	s_delay_alu instid0(SALU_CYCLE_1) | instskip(NEXT) | instid1(SALU_CYCLE_1)
	s_and_b64 s[22:23], s[20:21], 0xffffffff00000000
	s_cmp_lg_u64 s[22:23], 0
	s_cbranch_scc0 .LBB129_163
; %bb.107:                              ;   in Loop: Header=BB129_31 Depth=1
	s_cvt_f32_u32 s3, s40
	s_sub_nc_u64 s[48:49], 0, s[40:41]
	s_delay_alu instid0(SALU_CYCLE_2) | instskip(NEXT) | instid1(SALU_CYCLE_3)
	s_fmamk_f32 s3, s100, 0x0, s3
	v_s_rcp_f32 s3, s3
	s_delay_alu instid0(TRANS32_DEP_1) | instskip(NEXT) | instid1(SALU_CYCLE_3)
	s_mul_f32 s3, s3, 0x5f7ffffc
	s_mul_f32 s4, s3, 0x2f800000
	s_delay_alu instid0(SALU_CYCLE_3) | instskip(NEXT) | instid1(SALU_CYCLE_3)
	s_trunc_f32 s4, s4
	s_fmamk_f32 s3, s4, 0xcf800000, s3
	s_cvt_u32_f32 s23, s4
	s_delay_alu instid0(SALU_CYCLE_2) | instskip(NEXT) | instid1(SALU_CYCLE_3)
	s_cvt_u32_f32 s22, s3
	s_mul_u64 s[66:67], s[48:49], s[22:23]
	s_delay_alu instid0(SALU_CYCLE_1)
	s_mul_hi_u32 s75, s22, s67
	s_mul_i32 s74, s22, s67
	s_mul_hi_u32 s28, s22, s66
	s_mul_i32 s4, s23, s66
	s_add_nc_u64 s[74:75], s[28:29], s[74:75]
	s_mul_hi_u32 s3, s23, s66
	s_mul_hi_u32 s7, s23, s67
	s_add_co_u32 s4, s74, s4
	s_add_co_ci_u32 s28, s75, s3
	s_mul_i32 s66, s23, s67
	s_add_co_ci_u32 s67, s7, 0
	s_delay_alu instid0(SALU_CYCLE_1) | instskip(NEXT) | instid1(SALU_CYCLE_1)
	s_add_nc_u64 s[66:67], s[28:29], s[66:67]
	s_add_co_u32 s22, s22, s66
	s_cselect_b32 s3, -1, 0
	s_delay_alu instid0(SALU_CYCLE_1) | instskip(SKIP_1) | instid1(SALU_CYCLE_1)
	s_cmp_lg_u32 s3, 0
	s_add_co_ci_u32 s23, s23, s67
	s_mul_u64 s[48:49], s[48:49], s[22:23]
	s_delay_alu instid0(SALU_CYCLE_1)
	s_mul_hi_u32 s67, s22, s49
	s_mul_i32 s66, s22, s49
	s_mul_hi_u32 s28, s22, s48
	s_mul_i32 s4, s23, s48
	s_add_nc_u64 s[66:67], s[28:29], s[66:67]
	s_mul_hi_u32 s3, s23, s48
	s_mul_hi_u32 s7, s23, s49
	s_add_co_u32 s4, s66, s4
	s_add_co_ci_u32 s28, s67, s3
	s_mul_i32 s48, s23, s49
	s_add_co_ci_u32 s49, s7, 0
	s_delay_alu instid0(SALU_CYCLE_1) | instskip(NEXT) | instid1(SALU_CYCLE_1)
	s_add_nc_u64 s[48:49], s[28:29], s[48:49]
	s_add_co_u32 s3, s22, s48
	s_cselect_b32 s4, -1, 0
	s_mul_hi_u32 s28, s20, s3
	s_cmp_lg_u32 s4, 0
	s_mul_hi_u32 s4, s21, s3
	s_add_co_ci_u32 s7, s23, s49
	s_mul_i32 s3, s21, s3
	s_mul_hi_u32 s23, s20, s7
	s_mul_i32 s22, s20, s7
	s_mul_hi_u32 s8, s21, s7
	s_add_nc_u64 s[22:23], s[28:29], s[22:23]
	s_mul_i32 s48, s21, s7
	s_add_co_u32 s3, s22, s3
	s_add_co_ci_u32 s28, s23, s4
	s_add_co_ci_u32 s49, s8, 0
	s_delay_alu instid0(SALU_CYCLE_1) | instskip(NEXT) | instid1(SALU_CYCLE_1)
	s_add_nc_u64 s[22:23], s[28:29], s[48:49]
	s_and_b64 s[48:49], s[22:23], 0xffffffff00000000
	s_delay_alu instid0(SALU_CYCLE_1) | instskip(NEXT) | instid1(SALU_CYCLE_1)
	s_or_b32 s48, s48, s22
	s_mul_u64 s[22:23], s[40:41], s[48:49]
	s_delay_alu instid0(SALU_CYCLE_1) | instskip(SKIP_1) | instid1(SALU_CYCLE_1)
	s_sub_co_u32 s3, s20, s22
	s_cselect_b32 s4, -1, 0
	s_cmp_lg_u32 s4, 0
	s_sub_co_ci_u32 s4, s21, s23
	s_sub_co_u32 s7, s3, s40
	s_cselect_b32 s8, -1, 0
	s_delay_alu instid0(SALU_CYCLE_1) | instskip(SKIP_3) | instid1(SALU_CYCLE_1)
	s_cmp_lg_u32 s8, 0
	s_sub_co_ci_u32 s8, s4, 0
	s_sub_co_u32 s22, s7, s40
	s_cselect_b32 s23, -1, 0
	s_cmp_lg_u32 s23, 0
	s_sub_co_ci_u32 s23, s8, 0
	s_cmp_ge_u32 s7, s40
	s_cselect_b32 s28, -1, 0
	s_cmp_eq_u32 s8, 0
	s_cselect_b32 s28, s28, -1
	s_delay_alu instid0(SALU_CYCLE_1)
	s_cmp_lg_u32 s28, 0
	s_cselect_b32 s8, s23, s8
	s_cselect_b32 s7, s22, s7
	s_cmp_ge_u32 s3, s40
	s_cselect_b32 s22, -1, 0
	s_cmp_eq_u32 s4, 0
	s_cselect_b32 s22, s22, -1
	s_delay_alu instid0(SALU_CYCLE_1)
	s_cmp_lg_u32 s22, 0
	s_cselect_b32 s23, s8, s4
	s_cselect_b32 s22, s7, s3
	s_cbranch_execnz .LBB129_109
.LBB129_108:                            ;   in Loop: Header=BB129_31 Depth=1
	v_cvt_f32_u32_e32 v2, s40
	s_sub_co_i32 s4, 0, s40
	s_delay_alu instid0(VALU_DEP_1) | instskip(SKIP_1) | instid1(TRANS32_DEP_1)
	v_rcp_iflag_f32_e32 v2, v2
	v_nop
	v_mul_f32_e32 v2, 0x4f7ffffe, v2
	s_delay_alu instid0(VALU_DEP_1) | instskip(NEXT) | instid1(VALU_DEP_1)
	v_cvt_u32_f32_e32 v2, v2
	v_readfirstlane_b32 s3, v2
	s_mul_i32 s4, s4, s3
	s_delay_alu instid0(SALU_CYCLE_1) | instskip(NEXT) | instid1(SALU_CYCLE_1)
	s_mul_hi_u32 s4, s3, s4
	s_add_co_i32 s3, s3, s4
	s_delay_alu instid0(SALU_CYCLE_1) | instskip(NEXT) | instid1(SALU_CYCLE_1)
	s_mul_hi_u32 s3, s20, s3
	s_mul_i32 s3, s3, s40
	s_delay_alu instid0(SALU_CYCLE_1) | instskip(NEXT) | instid1(SALU_CYCLE_1)
	s_sub_co_i32 s3, s20, s3
	s_sub_co_i32 s4, s3, s40
	s_cmp_ge_u32 s3, s40
	s_cselect_b32 s3, s4, s3
	s_delay_alu instid0(SALU_CYCLE_1) | instskip(SKIP_2) | instid1(SALU_CYCLE_1)
	s_sub_co_i32 s4, s3, s40
	s_cmp_ge_u32 s3, s40
	s_cselect_b32 s28, s4, s3
	s_mov_b64 s[22:23], s[28:29]
.LBB129_109:                            ;   in Loop: Header=BB129_31 Depth=1
	s_delay_alu instid0(SALU_CYCLE_1)
	s_sub_nc_u64 s[20:21], s[20:21], s[22:23]
	s_mov_b32 s22, 0
	s_mov_b32 s8, 0
	s_mov_b32 s23, exec_lo
                                        ; implicit-def: $vgpr8
	v_cmpx_gt_u64_e64 s[20:21], v[0:1]
	s_cbranch_execz .LBB129_121
; %bb.110:                              ;   in Loop: Header=BB129_31 Depth=1
	v_mov_b64_e32 v[4:5], v[0:1]
	v_mov_b32_e32 v2, v0
                                        ; implicit-def: $sgpr7
	s_branch .LBB129_113
.LBB129_111:                            ;   in Loop: Header=BB129_113 Depth=2
	s_or_b32 exec_lo, exec_lo, s4
	s_wait_dscnt 0x0
	s_barrier_signal -1
	s_barrier_wait -1
	ds_load_u16 v6, v3 offset:3072
	s_mov_b32 s4, -1
	s_mov_b32 s28, -1
	s_wait_dscnt 0x0
	s_barrier_signal -1
	s_barrier_wait -1
	v_and_b32_e32 v7, 0xff, v6
	s_delay_alu instid0(VALU_DEP_1)
	v_cmp_ne_u32_e32 vcc_lo, 0, v7
	s_cbranch_vccz .LBB129_116
.LBB129_112:                            ;   in Loop: Header=BB129_113 Depth=2
	s_and_b32 s3, exec_lo, s4
	s_delay_alu instid0(SALU_CYCLE_1) | instskip(SKIP_2) | instid1(SALU_CYCLE_1)
	s_or_b32 s8, s3, s8
	s_and_not1_b32 s3, s7, exec_lo
	s_and_b32 s4, s28, exec_lo
	s_or_b32 s7, s3, s4
	s_and_not1_b32 exec_lo, exec_lo, s8
	s_cbranch_execz .LBB129_120
.LBB129_113:                            ;   Parent Loop BB129_31 Depth=1
                                        ; =>  This Inner Loop Header: Depth=2
	s_mov_b32 s4, exec_lo
	s_delay_alu instid0(VALU_DEP_2)
	v_cmpx_gt_u64_e64 s[10:11], v[4:5]
	s_cbranch_execz .LBB129_111
; %bb.114:                              ;   in Loop: Header=BB129_113 Depth=2
	ds_load_u8 v6, v2
	s_wait_dscnt 0x0
	v_bitop3_b32 v7, v6, 0xff, v11 bitop3:0x80
	s_delay_alu instid0(VALU_DEP_1)
	v_cmp_eq_u32_e32 vcc_lo, v7, v10
	s_and_b32 exec_lo, exec_lo, vcc_lo
	s_cbranch_execz .LBB129_111
; %bb.115:                              ;   in Loop: Header=BB129_113 Depth=2
	v_lshlrev_b16 v6, 8, v6
	s_delay_alu instid0(VALU_DEP_1)
	v_or_b32_e32 v6, 1, v6
	ds_store_b16 v3, v6 offset:3072
	s_branch .LBB129_111
.LBB129_116:                            ;   in Loop: Header=BB129_113 Depth=2
	v_add_nc_u64_e32 v[4:5], s[40:41], v[4:5]
	v_add_nc_u32_e32 v2, s40, v2
	s_mov_b32 s28, 0
	s_delay_alu instid0(VALU_DEP_2)
	v_cmp_le_u64_e32 vcc_lo, s[20:21], v[4:5]
	s_or_not1_b32 s4, vcc_lo, exec_lo
	s_branch .LBB129_112
.LBB129_117:                            ;   in Loop: Header=BB129_31 Depth=1
	s_or_b32 exec_lo, exec_lo, s11
	s_wait_dscnt 0x0
	s_barrier_signal -1
	s_barrier_wait -1
	s_and_saveexec_b32 s4, s5
	s_cbranch_execz .LBB129_119
; %bb.118:                              ;   in Loop: Header=BB129_31 Depth=1
	ds_load_b32 v4, v3 offset:5144
	s_wait_dscnt 0x0
	v_ashrrev_i32_e32 v5, 31, v4
	ds_store_b64 v3, v[4:5] offset:5120
.LBB129_119:                            ;   in Loop: Header=BB129_31 Depth=1
	s_or_b32 exec_lo, exec_lo, s4
	s_wait_dscnt 0x0
	s_barrier_signal -1
	s_mov_b32 s7, -1
	s_barrier_wait -1
	s_and_b32 vcc_lo, exec_lo, s8
	s_cbranch_vccnz .LBB129_46
	s_branch .LBB129_61
.LBB129_120:                            ;   in Loop: Header=BB129_31 Depth=1
	s_or_b32 exec_lo, exec_lo, s8
	v_and_b32_e32 v2, 0xffff, v6
	s_and_b32 s8, s7, exec_lo
	s_delay_alu instid0(VALU_DEP_1)
	v_lshrrev_b32_e32 v8, 8, v2
.LBB129_121:                            ;   in Loop: Header=BB129_31 Depth=1
	s_or_b32 exec_lo, exec_lo, s23
.LBB129_122:                            ;   in Loop: Header=BB129_31 Depth=1
	s_delay_alu instid0(SALU_CYCLE_1)
	s_and_b32 vcc_lo, exec_lo, s22
	s_cbranch_vccz .LBB129_136
; %bb.123:                              ;   in Loop: Header=BB129_31 Depth=1
	s_and_b64 s[10:11], s[64:65], 0xffffffff00000000
	s_delay_alu instid0(SALU_CYCLE_1)
	s_cmp_lg_u64 s[10:11], 0
	s_cbranch_scc0 .LBB129_164
; %bb.124:                              ;   in Loop: Header=BB129_31 Depth=1
	s_cvt_f32_u32 s3, s40
	s_sub_nc_u64 s[20:21], 0, s[40:41]
	s_delay_alu instid0(SALU_CYCLE_2) | instskip(NEXT) | instid1(SALU_CYCLE_3)
	s_fmamk_f32 s3, s100, 0x0, s3
	v_s_rcp_f32 s3, s3
	s_delay_alu instid0(TRANS32_DEP_1) | instskip(NEXT) | instid1(SALU_CYCLE_3)
	s_mul_f32 s3, s3, 0x5f7ffffc
	s_mul_f32 s4, s3, 0x2f800000
	s_delay_alu instid0(SALU_CYCLE_3) | instskip(NEXT) | instid1(SALU_CYCLE_3)
	s_trunc_f32 s4, s4
	s_fmamk_f32 s3, s4, 0xcf800000, s3
	s_cvt_u32_f32 s11, s4
	s_delay_alu instid0(SALU_CYCLE_2) | instskip(NEXT) | instid1(SALU_CYCLE_3)
	s_cvt_u32_f32 s10, s3
	s_mul_u64 s[22:23], s[20:21], s[10:11]
	s_delay_alu instid0(SALU_CYCLE_1)
	s_mul_hi_u32 s49, s10, s23
	s_mul_i32 s48, s10, s23
	s_mul_hi_u32 s28, s10, s22
	s_mul_i32 s4, s11, s22
	s_add_nc_u64 s[48:49], s[28:29], s[48:49]
	s_mul_hi_u32 s3, s11, s22
	s_mul_hi_u32 s7, s11, s23
	s_add_co_u32 s4, s48, s4
	s_add_co_ci_u32 s28, s49, s3
	s_mul_i32 s22, s11, s23
	s_add_co_ci_u32 s23, s7, 0
	s_delay_alu instid0(SALU_CYCLE_1) | instskip(NEXT) | instid1(SALU_CYCLE_1)
	s_add_nc_u64 s[22:23], s[28:29], s[22:23]
	s_add_co_u32 s10, s10, s22
	s_cselect_b32 s3, -1, 0
	s_delay_alu instid0(SALU_CYCLE_1) | instskip(SKIP_1) | instid1(SALU_CYCLE_1)
	s_cmp_lg_u32 s3, 0
	s_add_co_ci_u32 s11, s11, s23
	s_mul_u64 s[20:21], s[20:21], s[10:11]
	s_delay_alu instid0(SALU_CYCLE_1)
	s_mul_hi_u32 s23, s10, s21
	s_mul_i32 s22, s10, s21
	s_mul_hi_u32 s28, s10, s20
	s_mul_i32 s4, s11, s20
	s_add_nc_u64 s[22:23], s[28:29], s[22:23]
	s_mul_hi_u32 s3, s11, s20
	s_mul_hi_u32 s7, s11, s21
	s_add_co_u32 s4, s22, s4
	s_add_co_ci_u32 s28, s23, s3
	s_mul_i32 s20, s11, s21
	s_add_co_ci_u32 s21, s7, 0
	s_delay_alu instid0(SALU_CYCLE_1) | instskip(NEXT) | instid1(SALU_CYCLE_1)
	s_add_nc_u64 s[20:21], s[28:29], s[20:21]
	s_add_co_u32 s3, s10, s20
	s_cselect_b32 s4, -1, 0
	s_mul_hi_u32 s28, s64, s3
	s_cmp_lg_u32 s4, 0
	s_mul_hi_u32 s4, s65, s3
	s_add_co_ci_u32 s7, s11, s21
	s_mul_i32 s3, s65, s3
	s_mul_hi_u32 s11, s64, s7
	s_mul_i32 s10, s64, s7
	s_mul_hi_u32 s21, s65, s7
	s_add_nc_u64 s[10:11], s[28:29], s[10:11]
	s_mul_i32 s20, s65, s7
	s_add_co_u32 s3, s10, s3
	s_add_co_ci_u32 s28, s11, s4
	s_add_co_ci_u32 s21, s21, 0
	s_delay_alu instid0(SALU_CYCLE_1) | instskip(NEXT) | instid1(SALU_CYCLE_1)
	s_add_nc_u64 s[10:11], s[28:29], s[20:21]
	s_and_b64 s[20:21], s[10:11], 0xffffffff00000000
	s_delay_alu instid0(SALU_CYCLE_1) | instskip(NEXT) | instid1(SALU_CYCLE_1)
	s_or_b32 s20, s20, s10
	s_mul_u64 s[10:11], s[40:41], s[20:21]
	s_delay_alu instid0(SALU_CYCLE_1) | instskip(SKIP_1) | instid1(SALU_CYCLE_1)
	s_sub_co_u32 s3, s64, s10
	s_cselect_b32 s4, -1, 0
	s_cmp_lg_u32 s4, 0
	s_sub_co_ci_u32 s4, s65, s11
	s_sub_co_u32 s7, s3, s40
	s_cselect_b32 s10, -1, 0
	s_delay_alu instid0(SALU_CYCLE_1) | instskip(SKIP_3) | instid1(SALU_CYCLE_1)
	s_cmp_lg_u32 s10, 0
	s_sub_co_ci_u32 s10, s4, 0
	s_sub_co_u32 s11, s7, s40
	s_cselect_b32 s20, -1, 0
	s_cmp_lg_u32 s20, 0
	s_sub_co_ci_u32 s20, s10, 0
	s_cmp_ge_u32 s7, s40
	s_cselect_b32 s21, -1, 0
	s_cmp_eq_u32 s10, 0
	s_cselect_b32 s21, s21, -1
	s_delay_alu instid0(SALU_CYCLE_1)
	s_cmp_lg_u32 s21, 0
	s_cselect_b32 s10, s20, s10
	s_cselect_b32 s7, s11, s7
	s_cmp_ge_u32 s3, s40
	s_cselect_b32 s11, -1, 0
	s_cmp_eq_u32 s4, 0
	s_cselect_b32 s11, s11, -1
	s_delay_alu instid0(SALU_CYCLE_1)
	s_cmp_lg_u32 s11, 0
	s_cselect_b32 s11, s10, s4
	s_cselect_b32 s10, s7, s3
	s_cbranch_execnz .LBB129_126
.LBB129_125:                            ;   in Loop: Header=BB129_31 Depth=1
	v_cvt_f32_u32_e32 v2, s40
	s_sub_co_i32 s4, 0, s40
	s_delay_alu instid0(VALU_DEP_1) | instskip(SKIP_1) | instid1(TRANS32_DEP_1)
	v_rcp_iflag_f32_e32 v2, v2
	v_nop
	v_mul_f32_e32 v2, 0x4f7ffffe, v2
	s_delay_alu instid0(VALU_DEP_1) | instskip(NEXT) | instid1(VALU_DEP_1)
	v_cvt_u32_f32_e32 v2, v2
	v_readfirstlane_b32 s3, v2
	s_mul_i32 s4, s4, s3
	s_delay_alu instid0(SALU_CYCLE_1) | instskip(NEXT) | instid1(SALU_CYCLE_1)
	s_mul_hi_u32 s4, s3, s4
	s_add_co_i32 s3, s3, s4
	s_delay_alu instid0(SALU_CYCLE_1) | instskip(NEXT) | instid1(SALU_CYCLE_1)
	s_mul_hi_u32 s3, s64, s3
	s_mul_i32 s3, s3, s40
	s_delay_alu instid0(SALU_CYCLE_1) | instskip(NEXT) | instid1(SALU_CYCLE_1)
	s_sub_co_i32 s3, s64, s3
	s_sub_co_i32 s4, s3, s40
	s_cmp_ge_u32 s3, s40
	s_cselect_b32 s3, s4, s3
	s_delay_alu instid0(SALU_CYCLE_1) | instskip(SKIP_2) | instid1(SALU_CYCLE_1)
	s_sub_co_i32 s4, s3, s40
	s_cmp_ge_u32 s3, s40
	s_cselect_b32 s28, s4, s3
	s_mov_b64 s[10:11], s[28:29]
.LBB129_126:                            ;   in Loop: Header=BB129_31 Depth=1
	s_delay_alu instid0(SALU_CYCLE_1)
	s_sub_nc_u64 s[10:11], s[64:65], s[10:11]
	s_mov_b32 s20, exec_lo
                                        ; implicit-def: $vgpr8
	v_cmpx_gt_u64_e64 s[10:11], v[0:1]
	s_cbranch_execz .LBB129_135
; %bb.127:                              ;   in Loop: Header=BB129_31 Depth=1
	v_mov_b64_e32 v[4:5], v[30:31]
	v_mov_b64_e32 v[6:7], v[0:1]
	s_mov_b32 s22, 0
                                        ; implicit-def: $sgpr21
	s_branch .LBB129_130
.LBB129_128:                            ;   in Loop: Header=BB129_130 Depth=2
	s_or_b32 exec_lo, exec_lo, s4
	s_wait_dscnt 0x0
	s_barrier_signal -1
	s_barrier_wait -1
	ds_load_u16 v2, v3 offset:3072
	s_mov_b32 s4, -1
	s_mov_b32 s7, -1
	s_wait_dscnt 0x0
	s_barrier_signal -1
	s_barrier_wait -1
	v_and_b32_e32 v8, 0xff, v2
	s_delay_alu instid0(VALU_DEP_1)
	v_cmp_ne_u32_e32 vcc_lo, 0, v8
	s_cbranch_vccz .LBB129_133
.LBB129_129:                            ;   in Loop: Header=BB129_130 Depth=2
	s_and_b32 s3, exec_lo, s4
	s_delay_alu instid0(SALU_CYCLE_1) | instskip(SKIP_2) | instid1(SALU_CYCLE_1)
	s_or_b32 s22, s3, s22
	s_and_not1_b32 s3, s21, exec_lo
	s_and_b32 s4, s7, exec_lo
	s_or_b32 s21, s3, s4
	s_and_not1_b32 exec_lo, exec_lo, s22
	s_cbranch_execz .LBB129_134
.LBB129_130:                            ;   Parent Loop BB129_31 Depth=1
                                        ; =>  This Inner Loop Header: Depth=2
	s_mov_b32 s4, exec_lo
	s_delay_alu instid0(VALU_DEP_1)
	v_cmpx_gt_u64_e64 s[36:37], v[6:7]
	s_cbranch_execz .LBB129_128
; %bb.131:                              ;   in Loop: Header=BB129_130 Depth=2
	global_load_u8 v2, v[4:5], off
	s_wait_loadcnt 0x0
	v_bitop3_b32 v8, v2, 0xff, v11 bitop3:0x80
	s_delay_alu instid0(VALU_DEP_1)
	v_cmp_eq_u32_e32 vcc_lo, v8, v10
	s_and_b32 exec_lo, exec_lo, vcc_lo
	s_cbranch_execz .LBB129_128
; %bb.132:                              ;   in Loop: Header=BB129_130 Depth=2
	v_lshlrev_b16 v2, 8, v2
	s_delay_alu instid0(VALU_DEP_1)
	v_or_b32_e32 v2, 1, v2
	ds_store_b16 v3, v2 offset:3072
	s_branch .LBB129_128
.LBB129_133:                            ;   in Loop: Header=BB129_130 Depth=2
	v_add_nc_u64_e32 v[6:7], s[40:41], v[6:7]
	v_add_nc_u64_e32 v[4:5], s[44:45], v[4:5]
	s_mov_b32 s7, 0
	s_delay_alu instid0(VALU_DEP_2)
	v_cmp_le_u64_e32 vcc_lo, s[10:11], v[6:7]
	s_or_not1_b32 s4, vcc_lo, exec_lo
	s_branch .LBB129_129
.LBB129_134:                            ;   in Loop: Header=BB129_31 Depth=1
	s_or_b32 exec_lo, exec_lo, s22
	v_and_b32_e32 v2, 0xffff, v2
	s_and_not1_b32 s3, s8, exec_lo
	s_and_b32 s4, s21, exec_lo
	s_delay_alu instid0(SALU_CYCLE_1) | instskip(NEXT) | instid1(VALU_DEP_1)
	s_or_b32 s8, s3, s4
	v_lshrrev_b32_e32 v8, 8, v2
.LBB129_135:                            ;   in Loop: Header=BB129_31 Depth=1
	s_or_b32 exec_lo, exec_lo, s20
	s_mov_b32 s72, 0
	s_mov_b32 s73, -1
.LBB129_136:                            ;   in Loop: Header=BB129_31 Depth=1
	s_or_not1_b32 s7, s8, exec_lo
.LBB129_137:                            ;   in Loop: Header=BB129_31 Depth=1
	s_or_b32 exec_lo, exec_lo, s27
	s_mov_b32 s74, 0
	s_mov_b32 s59, 0
	;; [unrolled: 1-line block ×3, first 2 shown]
                                        ; implicit-def: $vgpr4_vgpr5
                                        ; implicit-def: $vgpr2
	s_and_saveexec_b32 s75, s7
	s_cbranch_execz .LBB129_295
; %bb.138:                              ;   in Loop: Header=BB129_31 Depth=1
	v_mov_b64_e32 v[4:5], 1
	v_mov_b32_e32 v2, 1
	s_xor_b32 s3, s76, -1
	s_mov_b32 s10, 0
	s_and_saveexec_b32 s8, s3
	s_cbranch_execz .LBB129_147
; %bb.139:                              ;   in Loop: Header=BB129_31 Depth=1
	s_mov_b32 s3, exec_lo
	v_cmpx_ge_u64_e64 s[12:13], v[32:33]
	s_xor_b32 s7, exec_lo, s3
	s_cbranch_execz .LBB129_144
; %bb.140:                              ;   in Loop: Header=BB129_31 Depth=1
	ds_load_b64 v[4:5], v3 offset:5120
	v_and_b32_e32 v10, s25, v10
	v_or_b32_e32 v11, s24, v11
	s_wait_dscnt 0x0
	v_cmp_ne_u64_e32 vcc_lo, 0, v[4:5]
	s_cbranch_vccnz .LBB129_144
; %bb.141:                              ;   in Loop: Header=BB129_31 Depth=1
	s_and_saveexec_b32 s4, s5
; %bb.142:                              ;   in Loop: Header=BB129_31 Depth=1
	v_mov_b64_e32 v[4:5], s[12:13]
	ds_store_b64 v3, v[4:5] offset:5128
; %bb.143:                              ;   in Loop: Header=BB129_31 Depth=1
	s_or_b32 exec_lo, exec_lo, s4
	s_wait_dscnt 0x0
	s_barrier_signal -1
	s_barrier_wait -1
.LBB129_144:                            ;   in Loop: Header=BB129_31 Depth=1
	s_or_saveexec_b32 s7, s7
	v_mov_b64_e32 v[4:5], v[32:33]
	v_mov_b32_e32 v2, 8
	s_xor_b32 exec_lo, exec_lo, s7
; %bb.145:                              ;   in Loop: Header=BB129_31 Depth=1
	v_sub_nc_u64_e64 v[4:5], v[32:33], s[12:13]
	v_mov_b32_e32 v2, 0
	s_mov_b32 s10, exec_lo
; %bb.146:                              ;   in Loop: Header=BB129_31 Depth=1
	s_or_b32 exec_lo, exec_lo, s7
	s_delay_alu instid0(SALU_CYCLE_1)
	s_and_b32 s10, s10, exec_lo
.LBB129_147:                            ;   in Loop: Header=BB129_31 Depth=1
	s_or_b32 exec_lo, exec_lo, s8
	s_mov_b32 s7, -1
                                        ; implicit-def: $sgpr59
                                        ; implicit-def: $sgpr76
	s_and_saveexec_b32 s3, s10
	s_delay_alu instid0(SALU_CYCLE_1)
	s_xor_b32 s27, exec_lo, s3
	s_cbranch_execz .LBB129_292
; %bb.148:                              ;   in Loop: Header=BB129_31 Depth=1
	v_cmp_eq_u64_e32 vcc_lo, 1, v[4:5]
	s_cmp_eq_u64 s[14:15], 1
                                        ; implicit-def: $sgpr76
                                        ; implicit-def: $sgpr59
	s_cselect_b32 s3, -1, 0
	s_delay_alu instid0(SALU_CYCLE_1) | instskip(NEXT) | instid1(SALU_CYCLE_1)
	s_and_b32 s78, s3, vcc_lo
	s_and_saveexec_b32 s77, s78
	s_cbranch_execz .LBB129_182
; %bb.149:                              ;   in Loop: Header=BB129_31 Depth=1
	ds_load_b64 v[6:7], v3 offset:5120
	s_wait_dscnt 0x0
	s_barrier_signal -1
	s_barrier_wait -1
	v_readfirstlane_b32 s10, v6
	v_readfirstlane_b32 s11, v7
	s_and_saveexec_b32 s4, s6
; %bb.150:                              ;   in Loop: Header=BB129_31 Depth=1
	ds_store_b8 v0, v3 offset:3072
; %bb.151:                              ;   in Loop: Header=BB129_31 Depth=1
	s_or_b32 exec_lo, exec_lo, s4
	s_lshl_b32 s3, 1, s99
	v_or_b32_e32 v11, s24, v11
	v_and_or_b32 v10, v10, s25, s3
	s_mov_b32 s59, -1
	s_mov_b32 s76, 0
	s_cmp_eq_u64 s[10:11], 0
	s_mov_b32 s8, 0
	s_mov_b32 s22, -1
	s_wait_dscnt 0x0
	s_barrier_signal -1
	s_barrier_wait -1
                                        ; implicit-def: $vgpr8
	s_cbranch_scc1 .LBB129_167
; %bb.152:                              ;   in Loop: Header=BB129_31 Depth=1
	s_add_nc_u64 s[20:21], s[10:11], s[62:63]
	s_delay_alu instid0(SALU_CYCLE_1) | instskip(NEXT) | instid1(SALU_CYCLE_1)
	s_and_b64 s[22:23], s[20:21], 0xffffffff00000000
	s_cmp_lg_u64 s[22:23], 0
	s_cbranch_scc0 .LBB129_208
; %bb.153:                              ;   in Loop: Header=BB129_31 Depth=1
	s_cvt_f32_u32 s3, s40
	s_sub_nc_u64 s[48:49], 0, s[40:41]
	s_delay_alu instid0(SALU_CYCLE_2) | instskip(NEXT) | instid1(SALU_CYCLE_3)
	s_fmamk_f32 s3, s100, 0x0, s3
	v_s_rcp_f32 s3, s3
	s_delay_alu instid0(TRANS32_DEP_1) | instskip(NEXT) | instid1(SALU_CYCLE_3)
	s_mul_f32 s3, s3, 0x5f7ffffc
	s_mul_f32 s4, s3, 0x2f800000
	s_delay_alu instid0(SALU_CYCLE_3) | instskip(NEXT) | instid1(SALU_CYCLE_3)
	s_trunc_f32 s4, s4
	s_fmamk_f32 s3, s4, 0xcf800000, s3
	s_cvt_u32_f32 s23, s4
	s_delay_alu instid0(SALU_CYCLE_2) | instskip(NEXT) | instid1(SALU_CYCLE_3)
	s_cvt_u32_f32 s22, s3
	s_mul_u64 s[80:81], s[48:49], s[22:23]
	s_delay_alu instid0(SALU_CYCLE_1)
	s_mul_hi_u32 s83, s22, s81
	s_mul_i32 s82, s22, s81
	s_mul_hi_u32 s28, s22, s80
	s_mul_i32 s4, s23, s80
	s_add_nc_u64 s[82:83], s[28:29], s[82:83]
	s_mul_hi_u32 s3, s23, s80
	s_mul_hi_u32 s7, s23, s81
	s_add_co_u32 s4, s82, s4
	s_add_co_ci_u32 s28, s83, s3
	s_mul_i32 s80, s23, s81
	s_add_co_ci_u32 s81, s7, 0
	s_delay_alu instid0(SALU_CYCLE_1) | instskip(NEXT) | instid1(SALU_CYCLE_1)
	s_add_nc_u64 s[80:81], s[28:29], s[80:81]
	s_add_co_u32 s22, s22, s80
	s_cselect_b32 s3, -1, 0
	s_delay_alu instid0(SALU_CYCLE_1) | instskip(SKIP_1) | instid1(SALU_CYCLE_1)
	s_cmp_lg_u32 s3, 0
	s_add_co_ci_u32 s23, s23, s81
	s_mul_u64 s[48:49], s[48:49], s[22:23]
	s_delay_alu instid0(SALU_CYCLE_1)
	s_mul_hi_u32 s81, s22, s49
	s_mul_i32 s80, s22, s49
	s_mul_hi_u32 s28, s22, s48
	s_mul_i32 s4, s23, s48
	s_add_nc_u64 s[80:81], s[28:29], s[80:81]
	s_mul_hi_u32 s3, s23, s48
	s_mul_hi_u32 s7, s23, s49
	s_add_co_u32 s4, s80, s4
	s_add_co_ci_u32 s28, s81, s3
	s_mul_i32 s48, s23, s49
	s_add_co_ci_u32 s49, s7, 0
	s_delay_alu instid0(SALU_CYCLE_1) | instskip(NEXT) | instid1(SALU_CYCLE_1)
	s_add_nc_u64 s[48:49], s[28:29], s[48:49]
	s_add_co_u32 s3, s22, s48
	s_cselect_b32 s4, -1, 0
	s_mul_hi_u32 s28, s20, s3
	s_cmp_lg_u32 s4, 0
	s_mul_hi_u32 s4, s21, s3
	s_add_co_ci_u32 s7, s23, s49
	s_mul_i32 s3, s21, s3
	s_mul_hi_u32 s23, s20, s7
	s_mul_i32 s22, s20, s7
	s_mul_hi_u32 s8, s21, s7
	s_add_nc_u64 s[22:23], s[28:29], s[22:23]
	s_mul_i32 s48, s21, s7
	s_add_co_u32 s3, s22, s3
	s_add_co_ci_u32 s28, s23, s4
	s_add_co_ci_u32 s49, s8, 0
	s_delay_alu instid0(SALU_CYCLE_1) | instskip(NEXT) | instid1(SALU_CYCLE_1)
	s_add_nc_u64 s[22:23], s[28:29], s[48:49]
	s_and_b64 s[48:49], s[22:23], 0xffffffff00000000
	s_delay_alu instid0(SALU_CYCLE_1) | instskip(NEXT) | instid1(SALU_CYCLE_1)
	s_or_b32 s48, s48, s22
	s_mul_u64 s[22:23], s[40:41], s[48:49]
	s_delay_alu instid0(SALU_CYCLE_1) | instskip(SKIP_1) | instid1(SALU_CYCLE_1)
	s_sub_co_u32 s3, s20, s22
	s_cselect_b32 s4, -1, 0
	s_cmp_lg_u32 s4, 0
	s_sub_co_ci_u32 s4, s21, s23
	s_sub_co_u32 s7, s3, s40
	s_cselect_b32 s8, -1, 0
	s_delay_alu instid0(SALU_CYCLE_1) | instskip(SKIP_3) | instid1(SALU_CYCLE_1)
	s_cmp_lg_u32 s8, 0
	s_sub_co_ci_u32 s8, s4, 0
	s_sub_co_u32 s22, s7, s40
	s_cselect_b32 s23, -1, 0
	s_cmp_lg_u32 s23, 0
	s_sub_co_ci_u32 s23, s8, 0
	s_cmp_ge_u32 s7, s40
	s_cselect_b32 s28, -1, 0
	s_cmp_eq_u32 s8, 0
	s_cselect_b32 s28, s28, -1
	s_delay_alu instid0(SALU_CYCLE_1)
	s_cmp_lg_u32 s28, 0
	s_cselect_b32 s8, s23, s8
	s_cselect_b32 s7, s22, s7
	s_cmp_ge_u32 s3, s40
	s_cselect_b32 s22, -1, 0
	s_cmp_eq_u32 s4, 0
	s_cselect_b32 s22, s22, -1
	s_delay_alu instid0(SALU_CYCLE_1)
	s_cmp_lg_u32 s22, 0
	s_cselect_b32 s23, s8, s4
	s_cselect_b32 s22, s7, s3
	s_cbranch_execnz .LBB129_155
.LBB129_154:                            ;   in Loop: Header=BB129_31 Depth=1
	v_cvt_f32_u32_e32 v6, s40
	s_sub_co_i32 s4, 0, s40
	s_delay_alu instid0(VALU_DEP_1) | instskip(SKIP_1) | instid1(TRANS32_DEP_1)
	v_rcp_iflag_f32_e32 v6, v6
	v_nop
	v_mul_f32_e32 v6, 0x4f7ffffe, v6
	s_delay_alu instid0(VALU_DEP_1) | instskip(NEXT) | instid1(VALU_DEP_1)
	v_cvt_u32_f32_e32 v6, v6
	v_readfirstlane_b32 s3, v6
	s_mul_i32 s4, s4, s3
	s_delay_alu instid0(SALU_CYCLE_1) | instskip(NEXT) | instid1(SALU_CYCLE_1)
	s_mul_hi_u32 s4, s3, s4
	s_add_co_i32 s3, s3, s4
	s_delay_alu instid0(SALU_CYCLE_1) | instskip(NEXT) | instid1(SALU_CYCLE_1)
	s_mul_hi_u32 s3, s20, s3
	s_mul_i32 s3, s3, s40
	s_delay_alu instid0(SALU_CYCLE_1) | instskip(NEXT) | instid1(SALU_CYCLE_1)
	s_sub_co_i32 s3, s20, s3
	s_sub_co_i32 s4, s3, s40
	s_cmp_ge_u32 s3, s40
	s_cselect_b32 s3, s4, s3
	s_delay_alu instid0(SALU_CYCLE_1) | instskip(SKIP_2) | instid1(SALU_CYCLE_1)
	s_sub_co_i32 s4, s3, s40
	s_cmp_ge_u32 s3, s40
	s_cselect_b32 s28, s4, s3
	s_mov_b64 s[22:23], s[28:29]
.LBB129_155:                            ;   in Loop: Header=BB129_31 Depth=1
	s_delay_alu instid0(SALU_CYCLE_1)
	s_sub_nc_u64 s[20:21], s[20:21], s[22:23]
	s_mov_b32 s22, 0
	s_mov_b32 s8, 0
	s_mov_b32 s23, exec_lo
                                        ; implicit-def: $vgpr8
	v_cmpx_gt_u64_e64 s[20:21], v[0:1]
	s_cbranch_execz .LBB129_166
; %bb.156:                              ;   in Loop: Header=BB129_31 Depth=1
	v_mov_b64_e32 v[6:7], v[0:1]
	v_mov_b32_e32 v8, v0
                                        ; implicit-def: $sgpr28
	s_branch .LBB129_159
.LBB129_157:                            ;   in Loop: Header=BB129_159 Depth=2
	s_or_b32 exec_lo, exec_lo, s7
	s_wait_dscnt 0x0
	s_barrier_signal -1
	s_barrier_wait -1
	ds_load_u16 v9, v3 offset:3072
	s_mov_b32 s4, -1
	s_mov_b32 s7, -1
	s_wait_dscnt 0x0
	s_barrier_signal -1
	s_barrier_wait -1
	v_and_b32_e32 v34, 0xff, v9
	s_delay_alu instid0(VALU_DEP_1)
	v_cmp_ne_u32_e32 vcc_lo, 0, v34
	s_cbranch_vccz .LBB129_162
.LBB129_158:                            ;   in Loop: Header=BB129_159 Depth=2
	s_and_b32 s3, exec_lo, s4
	s_delay_alu instid0(SALU_CYCLE_1) | instskip(SKIP_2) | instid1(SALU_CYCLE_1)
	s_or_b32 s8, s3, s8
	s_and_not1_b32 s3, s28, exec_lo
	s_and_b32 s4, s7, exec_lo
	s_or_b32 s28, s3, s4
	s_and_not1_b32 exec_lo, exec_lo, s8
	s_cbranch_execz .LBB129_165
.LBB129_159:                            ;   Parent Loop BB129_31 Depth=1
                                        ; =>  This Inner Loop Header: Depth=2
	s_mov_b32 s7, exec_lo
	s_delay_alu instid0(VALU_DEP_2)
	v_cmpx_gt_u64_e64 s[10:11], v[6:7]
	s_cbranch_execz .LBB129_157
; %bb.160:                              ;   in Loop: Header=BB129_159 Depth=2
	ds_load_u8 v9, v8
	s_wait_dscnt 0x0
	v_bitop3_b32 v34, v9, 0xff, v11 bitop3:0x80
	s_delay_alu instid0(VALU_DEP_1)
	v_cmp_eq_u32_e32 vcc_lo, v34, v10
	s_and_b32 exec_lo, exec_lo, vcc_lo
	s_cbranch_execz .LBB129_157
; %bb.161:                              ;   in Loop: Header=BB129_159 Depth=2
	v_lshlrev_b16 v9, 8, v9
	s_delay_alu instid0(VALU_DEP_1)
	v_or_b32_e32 v9, 1, v9
	ds_store_b16 v3, v9 offset:3072
	s_branch .LBB129_157
.LBB129_162:                            ;   in Loop: Header=BB129_159 Depth=2
	v_add_nc_u64_e32 v[6:7], s[40:41], v[6:7]
	v_add_nc_u32_e32 v8, s40, v8
	s_mov_b32 s7, 0
	s_delay_alu instid0(VALU_DEP_2)
	v_cmp_le_u64_e32 vcc_lo, s[20:21], v[6:7]
	s_or_not1_b32 s4, vcc_lo, exec_lo
	s_branch .LBB129_158
.LBB129_163:                            ;   in Loop: Header=BB129_31 Depth=1
                                        ; implicit-def: $sgpr22_sgpr23
	s_branch .LBB129_108
.LBB129_164:                            ;   in Loop: Header=BB129_31 Depth=1
                                        ; implicit-def: $sgpr10_sgpr11
	s_branch .LBB129_125
.LBB129_165:                            ;   in Loop: Header=BB129_31 Depth=1
	s_or_b32 exec_lo, exec_lo, s8
	v_and_b32_e32 v6, 0xffff, v9
	s_and_b32 s8, s28, exec_lo
	s_delay_alu instid0(VALU_DEP_1)
	v_lshrrev_b32_e32 v8, 8, v6
.LBB129_166:                            ;   in Loop: Header=BB129_31 Depth=1
	s_or_b32 exec_lo, exec_lo, s23
.LBB129_167:                            ;   in Loop: Header=BB129_31 Depth=1
	s_delay_alu instid0(SALU_CYCLE_1)
	s_and_b32 vcc_lo, exec_lo, s22
	s_cbranch_vccz .LBB129_181
; %bb.168:                              ;   in Loop: Header=BB129_31 Depth=1
	s_and_b64 s[10:11], s[64:65], 0xffffffff00000000
	s_delay_alu instid0(SALU_CYCLE_1)
	s_cmp_lg_u64 s[10:11], 0
	s_cbranch_scc0 .LBB129_209
; %bb.169:                              ;   in Loop: Header=BB129_31 Depth=1
	s_cvt_f32_u32 s3, s40
	s_sub_nc_u64 s[20:21], 0, s[40:41]
	s_delay_alu instid0(SALU_CYCLE_2) | instskip(NEXT) | instid1(SALU_CYCLE_3)
	s_fmamk_f32 s3, s100, 0x0, s3
	v_s_rcp_f32 s3, s3
	s_delay_alu instid0(TRANS32_DEP_1) | instskip(NEXT) | instid1(SALU_CYCLE_3)
	s_mul_f32 s3, s3, 0x5f7ffffc
	s_mul_f32 s4, s3, 0x2f800000
	s_delay_alu instid0(SALU_CYCLE_3) | instskip(NEXT) | instid1(SALU_CYCLE_3)
	s_trunc_f32 s4, s4
	s_fmamk_f32 s3, s4, 0xcf800000, s3
	s_cvt_u32_f32 s11, s4
	s_delay_alu instid0(SALU_CYCLE_2) | instskip(NEXT) | instid1(SALU_CYCLE_3)
	s_cvt_u32_f32 s10, s3
	s_mul_u64 s[22:23], s[20:21], s[10:11]
	s_delay_alu instid0(SALU_CYCLE_1)
	s_mul_hi_u32 s49, s10, s23
	s_mul_i32 s48, s10, s23
	s_mul_hi_u32 s28, s10, s22
	s_mul_i32 s4, s11, s22
	s_add_nc_u64 s[48:49], s[28:29], s[48:49]
	s_mul_hi_u32 s3, s11, s22
	s_mul_hi_u32 s7, s11, s23
	s_add_co_u32 s4, s48, s4
	s_add_co_ci_u32 s28, s49, s3
	s_mul_i32 s22, s11, s23
	s_add_co_ci_u32 s23, s7, 0
	s_delay_alu instid0(SALU_CYCLE_1) | instskip(NEXT) | instid1(SALU_CYCLE_1)
	s_add_nc_u64 s[22:23], s[28:29], s[22:23]
	s_add_co_u32 s10, s10, s22
	s_cselect_b32 s3, -1, 0
	s_delay_alu instid0(SALU_CYCLE_1) | instskip(SKIP_1) | instid1(SALU_CYCLE_1)
	s_cmp_lg_u32 s3, 0
	s_add_co_ci_u32 s11, s11, s23
	s_mul_u64 s[20:21], s[20:21], s[10:11]
	s_delay_alu instid0(SALU_CYCLE_1)
	s_mul_hi_u32 s23, s10, s21
	s_mul_i32 s22, s10, s21
	s_mul_hi_u32 s28, s10, s20
	s_mul_i32 s4, s11, s20
	s_add_nc_u64 s[22:23], s[28:29], s[22:23]
	s_mul_hi_u32 s3, s11, s20
	s_mul_hi_u32 s7, s11, s21
	s_add_co_u32 s4, s22, s4
	s_add_co_ci_u32 s28, s23, s3
	s_mul_i32 s20, s11, s21
	s_add_co_ci_u32 s21, s7, 0
	s_delay_alu instid0(SALU_CYCLE_1) | instskip(NEXT) | instid1(SALU_CYCLE_1)
	s_add_nc_u64 s[20:21], s[28:29], s[20:21]
	s_add_co_u32 s3, s10, s20
	s_cselect_b32 s4, -1, 0
	s_mul_hi_u32 s28, s64, s3
	s_cmp_lg_u32 s4, 0
	s_mul_hi_u32 s4, s65, s3
	s_add_co_ci_u32 s7, s11, s21
	s_mul_i32 s3, s65, s3
	s_mul_hi_u32 s11, s64, s7
	s_mul_i32 s10, s64, s7
	s_mul_hi_u32 s21, s65, s7
	s_add_nc_u64 s[10:11], s[28:29], s[10:11]
	s_mul_i32 s20, s65, s7
	s_add_co_u32 s3, s10, s3
	s_add_co_ci_u32 s28, s11, s4
	s_add_co_ci_u32 s21, s21, 0
	s_delay_alu instid0(SALU_CYCLE_1) | instskip(NEXT) | instid1(SALU_CYCLE_1)
	s_add_nc_u64 s[10:11], s[28:29], s[20:21]
	s_and_b64 s[20:21], s[10:11], 0xffffffff00000000
	s_delay_alu instid0(SALU_CYCLE_1) | instskip(NEXT) | instid1(SALU_CYCLE_1)
	s_or_b32 s20, s20, s10
	s_mul_u64 s[10:11], s[40:41], s[20:21]
	s_delay_alu instid0(SALU_CYCLE_1) | instskip(SKIP_1) | instid1(SALU_CYCLE_1)
	s_sub_co_u32 s3, s64, s10
	s_cselect_b32 s4, -1, 0
	s_cmp_lg_u32 s4, 0
	s_sub_co_ci_u32 s4, s65, s11
	s_sub_co_u32 s7, s3, s40
	s_cselect_b32 s10, -1, 0
	s_delay_alu instid0(SALU_CYCLE_1) | instskip(SKIP_3) | instid1(SALU_CYCLE_1)
	s_cmp_lg_u32 s10, 0
	s_sub_co_ci_u32 s10, s4, 0
	s_sub_co_u32 s11, s7, s40
	s_cselect_b32 s20, -1, 0
	s_cmp_lg_u32 s20, 0
	s_sub_co_ci_u32 s20, s10, 0
	s_cmp_ge_u32 s7, s40
	s_cselect_b32 s21, -1, 0
	s_cmp_eq_u32 s10, 0
	s_cselect_b32 s21, s21, -1
	s_delay_alu instid0(SALU_CYCLE_1)
	s_cmp_lg_u32 s21, 0
	s_cselect_b32 s10, s20, s10
	s_cselect_b32 s7, s11, s7
	s_cmp_ge_u32 s3, s40
	s_cselect_b32 s11, -1, 0
	s_cmp_eq_u32 s4, 0
	s_cselect_b32 s11, s11, -1
	s_delay_alu instid0(SALU_CYCLE_1)
	s_cmp_lg_u32 s11, 0
	s_cselect_b32 s11, s10, s4
	s_cselect_b32 s10, s7, s3
	s_cbranch_execnz .LBB129_171
.LBB129_170:                            ;   in Loop: Header=BB129_31 Depth=1
	v_cvt_f32_u32_e32 v6, s40
	s_sub_co_i32 s4, 0, s40
	s_delay_alu instid0(VALU_DEP_1) | instskip(SKIP_1) | instid1(TRANS32_DEP_1)
	v_rcp_iflag_f32_e32 v6, v6
	v_nop
	v_mul_f32_e32 v6, 0x4f7ffffe, v6
	s_delay_alu instid0(VALU_DEP_1) | instskip(NEXT) | instid1(VALU_DEP_1)
	v_cvt_u32_f32_e32 v6, v6
	v_readfirstlane_b32 s3, v6
	s_mul_i32 s4, s4, s3
	s_delay_alu instid0(SALU_CYCLE_1) | instskip(NEXT) | instid1(SALU_CYCLE_1)
	s_mul_hi_u32 s4, s3, s4
	s_add_co_i32 s3, s3, s4
	s_delay_alu instid0(SALU_CYCLE_1) | instskip(NEXT) | instid1(SALU_CYCLE_1)
	s_mul_hi_u32 s3, s64, s3
	s_mul_i32 s3, s3, s40
	s_delay_alu instid0(SALU_CYCLE_1) | instskip(NEXT) | instid1(SALU_CYCLE_1)
	s_sub_co_i32 s3, s64, s3
	s_sub_co_i32 s4, s3, s40
	s_cmp_ge_u32 s3, s40
	s_cselect_b32 s3, s4, s3
	s_delay_alu instid0(SALU_CYCLE_1) | instskip(SKIP_2) | instid1(SALU_CYCLE_1)
	s_sub_co_i32 s4, s3, s40
	s_cmp_ge_u32 s3, s40
	s_cselect_b32 s28, s4, s3
	s_mov_b64 s[10:11], s[28:29]
.LBB129_171:                            ;   in Loop: Header=BB129_31 Depth=1
	s_delay_alu instid0(SALU_CYCLE_1)
	s_sub_nc_u64 s[10:11], s[64:65], s[10:11]
	s_mov_b32 s20, exec_lo
                                        ; implicit-def: $vgpr8
	v_cmpx_gt_u64_e64 s[10:11], v[0:1]
	s_cbranch_execz .LBB129_180
; %bb.172:                              ;   in Loop: Header=BB129_31 Depth=1
	v_mov_b64_e32 v[6:7], v[30:31]
	v_mov_b64_e32 v[8:9], v[0:1]
	s_mov_b32 s21, 0
                                        ; implicit-def: $sgpr22
	s_branch .LBB129_175
.LBB129_173:                            ;   in Loop: Header=BB129_175 Depth=2
	s_or_b32 exec_lo, exec_lo, s7
	s_wait_dscnt 0x0
	s_barrier_signal -1
	s_barrier_wait -1
	ds_load_u16 v34, v3 offset:3072
	s_mov_b32 s4, -1
	s_mov_b32 s7, -1
	s_wait_dscnt 0x0
	s_barrier_signal -1
	s_barrier_wait -1
	v_and_b32_e32 v35, 0xff, v34
	s_delay_alu instid0(VALU_DEP_1)
	v_cmp_eq_u32_e32 vcc_lo, 0, v35
	s_cbranch_vccnz .LBB129_178
.LBB129_174:                            ;   in Loop: Header=BB129_175 Depth=2
	s_and_b32 s3, exec_lo, s4
	s_delay_alu instid0(SALU_CYCLE_1) | instskip(SKIP_2) | instid1(SALU_CYCLE_1)
	s_or_b32 s21, s3, s21
	s_and_not1_b32 s3, s22, exec_lo
	s_and_b32 s4, s7, exec_lo
	s_or_b32 s22, s3, s4
	s_and_not1_b32 exec_lo, exec_lo, s21
	s_cbranch_execz .LBB129_179
.LBB129_175:                            ;   Parent Loop BB129_31 Depth=1
                                        ; =>  This Inner Loop Header: Depth=2
	s_mov_b32 s7, exec_lo
	s_delay_alu instid0(VALU_DEP_1)
	v_cmpx_gt_u64_e64 s[36:37], v[8:9]
	s_cbranch_execz .LBB129_173
; %bb.176:                              ;   in Loop: Header=BB129_175 Depth=2
	global_load_u8 v34, v[6:7], off
	s_wait_loadcnt 0x0
	v_bitop3_b32 v35, v34, 0xff, v11 bitop3:0x80
	s_delay_alu instid0(VALU_DEP_1)
	v_cmp_eq_u32_e32 vcc_lo, v35, v10
	s_and_b32 exec_lo, exec_lo, vcc_lo
	s_cbranch_execz .LBB129_173
; %bb.177:                              ;   in Loop: Header=BB129_175 Depth=2
	v_lshlrev_b16 v34, 8, v34
	s_delay_alu instid0(VALU_DEP_1)
	v_or_b32_e32 v34, 1, v34
	ds_store_b16 v3, v34 offset:3072
	s_branch .LBB129_173
.LBB129_178:                            ;   in Loop: Header=BB129_175 Depth=2
	v_add_nc_u64_e32 v[8:9], s[40:41], v[8:9]
	v_add_nc_u64_e32 v[6:7], s[44:45], v[6:7]
	s_mov_b32 s7, 0
	s_delay_alu instid0(VALU_DEP_2)
	v_cmp_le_u64_e32 vcc_lo, s[10:11], v[8:9]
	s_or_not1_b32 s4, vcc_lo, exec_lo
	s_branch .LBB129_174
.LBB129_179:                            ;   in Loop: Header=BB129_31 Depth=1
	s_or_b32 exec_lo, exec_lo, s21
	v_and_b32_e32 v6, 0xffff, v34
	s_and_not1_b32 s3, s8, exec_lo
	s_and_b32 s4, s22, exec_lo
	s_delay_alu instid0(SALU_CYCLE_1) | instskip(NEXT) | instid1(VALU_DEP_1)
	s_or_b32 s8, s3, s4
	v_lshrrev_b32_e32 v8, 8, v6
.LBB129_180:                            ;   in Loop: Header=BB129_31 Depth=1
	s_or_b32 exec_lo, exec_lo, s20
	s_mov_b32 s59, 0
	s_mov_b32 s76, -1
.LBB129_181:                            ;   in Loop: Header=BB129_31 Depth=1
	s_or_not1_b32 s7, s8, exec_lo
.LBB129_182:                            ;   in Loop: Header=BB129_31 Depth=1
	s_or_b32 exec_lo, exec_lo, s77
	s_mov_b32 s8, 0
	s_and_saveexec_b32 s77, s7
	s_cbranch_execz .LBB129_291
; %bb.183:                              ;   in Loop: Header=BB129_31 Depth=1
	v_mov_b64_e32 v[6:7], 1
	v_mov_b32_e32 v2, 1
	s_xor_b32 s3, s78, -1
	s_mov_b32 s10, 0
	s_and_saveexec_b32 s8, s3
	s_cbranch_execz .LBB129_192
; %bb.184:                              ;   in Loop: Header=BB129_31 Depth=1
	s_mov_b32 s3, exec_lo
	v_cmpx_ge_u64_e64 s[14:15], v[4:5]
	s_xor_b32 s7, exec_lo, s3
	s_cbranch_execz .LBB129_189
; %bb.185:                              ;   in Loop: Header=BB129_31 Depth=1
	ds_load_b64 v[6:7], v3 offset:5120
	s_lshl_b32 s3, 1, s99
	v_or_b32_e32 v11, s24, v11
	v_and_or_b32 v10, v10, s25, s3
	s_wait_dscnt 0x0
	v_cmp_ne_u64_e32 vcc_lo, 0, v[6:7]
	s_cbranch_vccnz .LBB129_189
; %bb.186:                              ;   in Loop: Header=BB129_31 Depth=1
	s_and_saveexec_b32 s4, s5
; %bb.187:                              ;   in Loop: Header=BB129_31 Depth=1
	v_mov_b64_e32 v[6:7], s[14:15]
	ds_store_b64 v3, v[6:7] offset:5128
; %bb.188:                              ;   in Loop: Header=BB129_31 Depth=1
	s_or_b32 exec_lo, exec_lo, s4
	s_wait_dscnt 0x0
	s_barrier_signal -1
	s_barrier_wait -1
.LBB129_189:                            ;   in Loop: Header=BB129_31 Depth=1
	s_or_saveexec_b32 s7, s7
	v_mov_b32_e32 v2, 8
	s_xor_b32 exec_lo, exec_lo, s7
; %bb.190:                              ;   in Loop: Header=BB129_31 Depth=1
	v_sub_nc_u64_e64 v[4:5], v[4:5], s[14:15]
	v_mov_b32_e32 v2, 0
	s_mov_b32 s10, exec_lo
; %bb.191:                              ;   in Loop: Header=BB129_31 Depth=1
	s_or_b32 exec_lo, exec_lo, s7
	s_delay_alu instid0(VALU_DEP_2)
	v_mov_b64_e32 v[6:7], v[4:5]
	s_and_b32 s10, s10, exec_lo
.LBB129_192:                            ;   in Loop: Header=BB129_31 Depth=1
	s_or_b32 exec_lo, exec_lo, s8
	s_mov_b32 s7, -1
                                        ; implicit-def: $sgpr79
                                        ; implicit-def: $sgpr80
	s_and_saveexec_b32 s78, s10
	s_cbranch_execz .LBB129_290
; %bb.193:                              ;   in Loop: Header=BB129_31 Depth=1
	s_delay_alu instid0(VALU_DEP_1) | instskip(SKIP_2) | instid1(SALU_CYCLE_1)
	v_cmp_eq_u64_e32 vcc_lo, 1, v[6:7]
	s_cmp_eq_u64 s[16:17], 1
                                        ; implicit-def: $sgpr80
                                        ; implicit-def: $sgpr79
	s_cselect_b32 s3, -1, 0
	s_and_b32 s82, s3, vcc_lo
	s_delay_alu instid0(SALU_CYCLE_1)
	s_and_saveexec_b32 s81, s82
	s_cbranch_execz .LBB129_227
; %bb.194:                              ;   in Loop: Header=BB129_31 Depth=1
	ds_load_b64 v[4:5], v3 offset:5120
	s_wait_dscnt 0x0
	s_barrier_signal -1
	s_barrier_wait -1
	v_readfirstlane_b32 s10, v4
	v_readfirstlane_b32 s11, v5
	s_and_saveexec_b32 s4, s6
; %bb.195:                              ;   in Loop: Header=BB129_31 Depth=1
	ds_store_b8 v0, v3 offset:3072
; %bb.196:                              ;   in Loop: Header=BB129_31 Depth=1
	s_or_b32 exec_lo, exec_lo, s4
	s_lshl_b32 s3, 2, s99
	v_or_b32_e32 v11, s24, v11
	v_and_or_b32 v10, v10, s25, s3
	s_mov_b32 s79, -1
	s_mov_b32 s80, 0
	s_cmp_eq_u64 s[10:11], 0
	s_mov_b32 s8, 0
	s_mov_b32 s22, -1
	s_wait_dscnt 0x0
	s_barrier_signal -1
	s_barrier_wait -1
                                        ; implicit-def: $vgpr8
	s_cbranch_scc1 .LBB129_212
; %bb.197:                              ;   in Loop: Header=BB129_31 Depth=1
	s_add_nc_u64 s[20:21], s[10:11], s[62:63]
	s_delay_alu instid0(SALU_CYCLE_1) | instskip(NEXT) | instid1(SALU_CYCLE_1)
	s_and_b64 s[22:23], s[20:21], 0xffffffff00000000
	s_cmp_lg_u64 s[22:23], 0
	s_cbranch_scc0 .LBB129_244
; %bb.198:                              ;   in Loop: Header=BB129_31 Depth=1
	s_cvt_f32_u32 s3, s40
	s_sub_nc_u64 s[48:49], 0, s[40:41]
	s_delay_alu instid0(SALU_CYCLE_2) | instskip(NEXT) | instid1(SALU_CYCLE_3)
	s_fmamk_f32 s3, s100, 0x0, s3
	v_s_rcp_f32 s3, s3
	s_delay_alu instid0(TRANS32_DEP_1) | instskip(NEXT) | instid1(SALU_CYCLE_3)
	s_mul_f32 s3, s3, 0x5f7ffffc
	s_mul_f32 s4, s3, 0x2f800000
	s_delay_alu instid0(SALU_CYCLE_3) | instskip(NEXT) | instid1(SALU_CYCLE_3)
	s_trunc_f32 s4, s4
	s_fmamk_f32 s3, s4, 0xcf800000, s3
	s_cvt_u32_f32 s23, s4
	s_delay_alu instid0(SALU_CYCLE_2) | instskip(NEXT) | instid1(SALU_CYCLE_3)
	s_cvt_u32_f32 s22, s3
	s_mul_u64 s[84:85], s[48:49], s[22:23]
	s_delay_alu instid0(SALU_CYCLE_1)
	s_mul_hi_u32 s67, s22, s85
	s_mul_i32 s66, s22, s85
	s_mul_hi_u32 s28, s22, s84
	s_mul_i32 s4, s23, s84
	s_add_nc_u64 s[66:67], s[28:29], s[66:67]
	s_mul_hi_u32 s3, s23, s84
	s_mul_hi_u32 s7, s23, s85
	s_add_co_u32 s4, s66, s4
	s_add_co_ci_u32 s28, s67, s3
	s_mul_i32 s84, s23, s85
	s_add_co_ci_u32 s85, s7, 0
	s_delay_alu instid0(SALU_CYCLE_1) | instskip(NEXT) | instid1(SALU_CYCLE_1)
	s_add_nc_u64 s[66:67], s[28:29], s[84:85]
	s_add_co_u32 s22, s22, s66
	s_cselect_b32 s3, -1, 0
	s_delay_alu instid0(SALU_CYCLE_1) | instskip(SKIP_1) | instid1(SALU_CYCLE_1)
	s_cmp_lg_u32 s3, 0
	s_add_co_ci_u32 s23, s23, s67
	s_mul_u64 s[48:49], s[48:49], s[22:23]
	s_delay_alu instid0(SALU_CYCLE_1)
	s_mul_hi_u32 s67, s22, s49
	s_mul_i32 s66, s22, s49
	s_mul_hi_u32 s28, s22, s48
	s_mul_i32 s4, s23, s48
	s_add_nc_u64 s[66:67], s[28:29], s[66:67]
	s_mul_hi_u32 s3, s23, s48
	s_mul_hi_u32 s7, s23, s49
	s_add_co_u32 s4, s66, s4
	s_add_co_ci_u32 s28, s67, s3
	s_mul_i32 s48, s23, s49
	s_add_co_ci_u32 s49, s7, 0
	s_delay_alu instid0(SALU_CYCLE_1) | instskip(NEXT) | instid1(SALU_CYCLE_1)
	s_add_nc_u64 s[48:49], s[28:29], s[48:49]
	s_add_co_u32 s3, s22, s48
	s_cselect_b32 s4, -1, 0
	s_mul_hi_u32 s28, s20, s3
	s_cmp_lg_u32 s4, 0
	s_mul_hi_u32 s4, s21, s3
	s_add_co_ci_u32 s7, s23, s49
	s_mul_i32 s3, s21, s3
	s_mul_hi_u32 s23, s20, s7
	s_mul_i32 s22, s20, s7
	s_mul_hi_u32 s8, s21, s7
	s_add_nc_u64 s[22:23], s[28:29], s[22:23]
	s_mul_i32 s48, s21, s7
	s_add_co_u32 s3, s22, s3
	s_add_co_ci_u32 s28, s23, s4
	s_add_co_ci_u32 s49, s8, 0
	s_delay_alu instid0(SALU_CYCLE_1) | instskip(NEXT) | instid1(SALU_CYCLE_1)
	s_add_nc_u64 s[22:23], s[28:29], s[48:49]
	s_and_b64 s[48:49], s[22:23], 0xffffffff00000000
	s_delay_alu instid0(SALU_CYCLE_1) | instskip(NEXT) | instid1(SALU_CYCLE_1)
	s_or_b32 s48, s48, s22
	s_mul_u64 s[22:23], s[40:41], s[48:49]
	s_delay_alu instid0(SALU_CYCLE_1) | instskip(SKIP_1) | instid1(SALU_CYCLE_1)
	s_sub_co_u32 s3, s20, s22
	s_cselect_b32 s4, -1, 0
	s_cmp_lg_u32 s4, 0
	s_sub_co_ci_u32 s4, s21, s23
	s_sub_co_u32 s7, s3, s40
	s_cselect_b32 s8, -1, 0
	s_delay_alu instid0(SALU_CYCLE_1) | instskip(SKIP_3) | instid1(SALU_CYCLE_1)
	s_cmp_lg_u32 s8, 0
	s_sub_co_ci_u32 s8, s4, 0
	s_sub_co_u32 s22, s7, s40
	s_cselect_b32 s23, -1, 0
	s_cmp_lg_u32 s23, 0
	s_sub_co_ci_u32 s23, s8, 0
	s_cmp_ge_u32 s7, s40
	s_cselect_b32 s28, -1, 0
	s_cmp_eq_u32 s8, 0
	s_cselect_b32 s28, s28, -1
	s_delay_alu instid0(SALU_CYCLE_1)
	s_cmp_lg_u32 s28, 0
	s_cselect_b32 s8, s23, s8
	s_cselect_b32 s7, s22, s7
	s_cmp_ge_u32 s3, s40
	s_cselect_b32 s22, -1, 0
	s_cmp_eq_u32 s4, 0
	s_cselect_b32 s22, s22, -1
	s_delay_alu instid0(SALU_CYCLE_1)
	s_cmp_lg_u32 s22, 0
	s_cselect_b32 s23, s8, s4
	s_cselect_b32 s22, s7, s3
	s_cbranch_execnz .LBB129_200
.LBB129_199:                            ;   in Loop: Header=BB129_31 Depth=1
	v_cvt_f32_u32_e32 v4, s40
	s_sub_co_i32 s4, 0, s40
	s_delay_alu instid0(VALU_DEP_1) | instskip(SKIP_1) | instid1(TRANS32_DEP_1)
	v_rcp_iflag_f32_e32 v4, v4
	v_nop
	v_mul_f32_e32 v4, 0x4f7ffffe, v4
	s_delay_alu instid0(VALU_DEP_1) | instskip(NEXT) | instid1(VALU_DEP_1)
	v_cvt_u32_f32_e32 v4, v4
	v_readfirstlane_b32 s3, v4
	s_mul_i32 s4, s4, s3
	s_delay_alu instid0(SALU_CYCLE_1) | instskip(NEXT) | instid1(SALU_CYCLE_1)
	s_mul_hi_u32 s4, s3, s4
	s_add_co_i32 s3, s3, s4
	s_delay_alu instid0(SALU_CYCLE_1) | instskip(NEXT) | instid1(SALU_CYCLE_1)
	s_mul_hi_u32 s3, s20, s3
	s_mul_i32 s3, s3, s40
	s_delay_alu instid0(SALU_CYCLE_1) | instskip(NEXT) | instid1(SALU_CYCLE_1)
	s_sub_co_i32 s3, s20, s3
	s_sub_co_i32 s4, s3, s40
	s_cmp_ge_u32 s3, s40
	s_cselect_b32 s3, s4, s3
	s_delay_alu instid0(SALU_CYCLE_1) | instskip(SKIP_2) | instid1(SALU_CYCLE_1)
	s_sub_co_i32 s4, s3, s40
	s_cmp_ge_u32 s3, s40
	s_cselect_b32 s28, s4, s3
	s_mov_b64 s[22:23], s[28:29]
.LBB129_200:                            ;   in Loop: Header=BB129_31 Depth=1
	s_delay_alu instid0(SALU_CYCLE_1)
	s_sub_nc_u64 s[20:21], s[20:21], s[22:23]
	s_mov_b32 s22, 0
	s_mov_b32 s8, 0
	s_mov_b32 s23, exec_lo
                                        ; implicit-def: $vgpr8
	v_cmpx_gt_u64_e64 s[20:21], v[0:1]
	s_cbranch_execz .LBB129_211
; %bb.201:                              ;   in Loop: Header=BB129_31 Depth=1
	v_mov_b64_e32 v[4:5], v[0:1]
	v_mov_b32_e32 v8, v0
                                        ; implicit-def: $sgpr28
	s_branch .LBB129_204
.LBB129_202:                            ;   in Loop: Header=BB129_204 Depth=2
	s_or_b32 exec_lo, exec_lo, s7
	s_wait_dscnt 0x0
	s_barrier_signal -1
	s_barrier_wait -1
	ds_load_u16 v9, v3 offset:3072
	s_mov_b32 s4, -1
	s_mov_b32 s7, -1
	s_wait_dscnt 0x0
	s_barrier_signal -1
	s_barrier_wait -1
	v_and_b32_e32 v34, 0xff, v9
	s_delay_alu instid0(VALU_DEP_1)
	v_cmp_ne_u32_e32 vcc_lo, 0, v34
	s_cbranch_vccz .LBB129_207
.LBB129_203:                            ;   in Loop: Header=BB129_204 Depth=2
	s_and_b32 s3, exec_lo, s4
	s_delay_alu instid0(SALU_CYCLE_1) | instskip(SKIP_2) | instid1(SALU_CYCLE_1)
	s_or_b32 s8, s3, s8
	s_and_not1_b32 s3, s28, exec_lo
	s_and_b32 s4, s7, exec_lo
	s_or_b32 s28, s3, s4
	s_and_not1_b32 exec_lo, exec_lo, s8
	s_cbranch_execz .LBB129_210
.LBB129_204:                            ;   Parent Loop BB129_31 Depth=1
                                        ; =>  This Inner Loop Header: Depth=2
	s_mov_b32 s7, exec_lo
	s_delay_alu instid0(VALU_DEP_2)
	v_cmpx_gt_u64_e64 s[10:11], v[4:5]
	s_cbranch_execz .LBB129_202
; %bb.205:                              ;   in Loop: Header=BB129_204 Depth=2
	ds_load_u8 v9, v8
	s_wait_dscnt 0x0
	v_bitop3_b32 v34, v9, 0xff, v11 bitop3:0x80
	s_delay_alu instid0(VALU_DEP_1)
	v_cmp_eq_u32_e32 vcc_lo, v34, v10
	s_and_b32 exec_lo, exec_lo, vcc_lo
	s_cbranch_execz .LBB129_202
; %bb.206:                              ;   in Loop: Header=BB129_204 Depth=2
	v_lshlrev_b16 v9, 8, v9
	s_delay_alu instid0(VALU_DEP_1)
	v_or_b32_e32 v9, 1, v9
	ds_store_b16 v3, v9 offset:3072
	s_branch .LBB129_202
.LBB129_207:                            ;   in Loop: Header=BB129_204 Depth=2
	v_add_nc_u64_e32 v[4:5], s[40:41], v[4:5]
	v_add_nc_u32_e32 v8, s40, v8
	s_mov_b32 s7, 0
	s_delay_alu instid0(VALU_DEP_2)
	v_cmp_le_u64_e32 vcc_lo, s[20:21], v[4:5]
	s_or_not1_b32 s4, vcc_lo, exec_lo
	s_branch .LBB129_203
.LBB129_208:                            ;   in Loop: Header=BB129_31 Depth=1
                                        ; implicit-def: $sgpr22_sgpr23
	s_branch .LBB129_154
.LBB129_209:                            ;   in Loop: Header=BB129_31 Depth=1
                                        ; implicit-def: $sgpr10_sgpr11
	s_branch .LBB129_170
.LBB129_210:                            ;   in Loop: Header=BB129_31 Depth=1
	s_or_b32 exec_lo, exec_lo, s8
	v_and_b32_e32 v4, 0xffff, v9
	s_and_b32 s8, s28, exec_lo
	s_delay_alu instid0(VALU_DEP_1)
	v_lshrrev_b32_e32 v8, 8, v4
.LBB129_211:                            ;   in Loop: Header=BB129_31 Depth=1
	s_or_b32 exec_lo, exec_lo, s23
.LBB129_212:                            ;   in Loop: Header=BB129_31 Depth=1
	s_delay_alu instid0(SALU_CYCLE_1)
	s_and_b32 vcc_lo, exec_lo, s22
	s_cbranch_vccz .LBB129_226
; %bb.213:                              ;   in Loop: Header=BB129_31 Depth=1
	s_and_b64 s[10:11], s[64:65], 0xffffffff00000000
	s_delay_alu instid0(SALU_CYCLE_1)
	s_cmp_lg_u64 s[10:11], 0
	s_cbranch_scc0 .LBB129_245
; %bb.214:                              ;   in Loop: Header=BB129_31 Depth=1
	s_cvt_f32_u32 s3, s40
	s_sub_nc_u64 s[20:21], 0, s[40:41]
	s_delay_alu instid0(SALU_CYCLE_2) | instskip(NEXT) | instid1(SALU_CYCLE_3)
	s_fmamk_f32 s3, s100, 0x0, s3
	v_s_rcp_f32 s3, s3
	s_delay_alu instid0(TRANS32_DEP_1) | instskip(NEXT) | instid1(SALU_CYCLE_3)
	s_mul_f32 s3, s3, 0x5f7ffffc
	s_mul_f32 s4, s3, 0x2f800000
	s_delay_alu instid0(SALU_CYCLE_3) | instskip(NEXT) | instid1(SALU_CYCLE_3)
	s_trunc_f32 s4, s4
	s_fmamk_f32 s3, s4, 0xcf800000, s3
	s_cvt_u32_f32 s11, s4
	s_delay_alu instid0(SALU_CYCLE_2) | instskip(NEXT) | instid1(SALU_CYCLE_3)
	s_cvt_u32_f32 s10, s3
	s_mul_u64 s[22:23], s[20:21], s[10:11]
	s_delay_alu instid0(SALU_CYCLE_1)
	s_mul_hi_u32 s49, s10, s23
	s_mul_i32 s48, s10, s23
	s_mul_hi_u32 s28, s10, s22
	s_mul_i32 s4, s11, s22
	s_add_nc_u64 s[48:49], s[28:29], s[48:49]
	s_mul_hi_u32 s3, s11, s22
	s_mul_hi_u32 s7, s11, s23
	s_add_co_u32 s4, s48, s4
	s_add_co_ci_u32 s28, s49, s3
	s_mul_i32 s22, s11, s23
	s_add_co_ci_u32 s23, s7, 0
	s_delay_alu instid0(SALU_CYCLE_1) | instskip(NEXT) | instid1(SALU_CYCLE_1)
	s_add_nc_u64 s[22:23], s[28:29], s[22:23]
	s_add_co_u32 s10, s10, s22
	s_cselect_b32 s3, -1, 0
	s_delay_alu instid0(SALU_CYCLE_1) | instskip(SKIP_1) | instid1(SALU_CYCLE_1)
	s_cmp_lg_u32 s3, 0
	s_add_co_ci_u32 s11, s11, s23
	s_mul_u64 s[20:21], s[20:21], s[10:11]
	s_delay_alu instid0(SALU_CYCLE_1)
	s_mul_hi_u32 s23, s10, s21
	s_mul_i32 s22, s10, s21
	s_mul_hi_u32 s28, s10, s20
	s_mul_i32 s4, s11, s20
	s_add_nc_u64 s[22:23], s[28:29], s[22:23]
	s_mul_hi_u32 s3, s11, s20
	s_mul_hi_u32 s7, s11, s21
	s_add_co_u32 s4, s22, s4
	s_add_co_ci_u32 s28, s23, s3
	s_mul_i32 s20, s11, s21
	s_add_co_ci_u32 s21, s7, 0
	s_delay_alu instid0(SALU_CYCLE_1) | instskip(NEXT) | instid1(SALU_CYCLE_1)
	s_add_nc_u64 s[20:21], s[28:29], s[20:21]
	s_add_co_u32 s3, s10, s20
	s_cselect_b32 s4, -1, 0
	s_mul_hi_u32 s28, s64, s3
	s_cmp_lg_u32 s4, 0
	s_mul_hi_u32 s4, s65, s3
	s_add_co_ci_u32 s7, s11, s21
	s_mul_i32 s3, s65, s3
	s_mul_hi_u32 s11, s64, s7
	s_mul_i32 s10, s64, s7
	s_mul_hi_u32 s21, s65, s7
	s_add_nc_u64 s[10:11], s[28:29], s[10:11]
	s_mul_i32 s20, s65, s7
	s_add_co_u32 s3, s10, s3
	s_add_co_ci_u32 s28, s11, s4
	s_add_co_ci_u32 s21, s21, 0
	s_delay_alu instid0(SALU_CYCLE_1) | instskip(NEXT) | instid1(SALU_CYCLE_1)
	s_add_nc_u64 s[10:11], s[28:29], s[20:21]
	s_and_b64 s[20:21], s[10:11], 0xffffffff00000000
	s_delay_alu instid0(SALU_CYCLE_1) | instskip(NEXT) | instid1(SALU_CYCLE_1)
	s_or_b32 s20, s20, s10
	s_mul_u64 s[10:11], s[40:41], s[20:21]
	s_delay_alu instid0(SALU_CYCLE_1) | instskip(SKIP_1) | instid1(SALU_CYCLE_1)
	s_sub_co_u32 s3, s64, s10
	s_cselect_b32 s4, -1, 0
	s_cmp_lg_u32 s4, 0
	s_sub_co_ci_u32 s4, s65, s11
	s_sub_co_u32 s7, s3, s40
	s_cselect_b32 s10, -1, 0
	s_delay_alu instid0(SALU_CYCLE_1) | instskip(SKIP_3) | instid1(SALU_CYCLE_1)
	s_cmp_lg_u32 s10, 0
	s_sub_co_ci_u32 s10, s4, 0
	s_sub_co_u32 s11, s7, s40
	s_cselect_b32 s20, -1, 0
	s_cmp_lg_u32 s20, 0
	s_sub_co_ci_u32 s20, s10, 0
	s_cmp_ge_u32 s7, s40
	s_cselect_b32 s21, -1, 0
	s_cmp_eq_u32 s10, 0
	s_cselect_b32 s21, s21, -1
	s_delay_alu instid0(SALU_CYCLE_1)
	s_cmp_lg_u32 s21, 0
	s_cselect_b32 s10, s20, s10
	s_cselect_b32 s7, s11, s7
	s_cmp_ge_u32 s3, s40
	s_cselect_b32 s11, -1, 0
	s_cmp_eq_u32 s4, 0
	s_cselect_b32 s11, s11, -1
	s_delay_alu instid0(SALU_CYCLE_1)
	s_cmp_lg_u32 s11, 0
	s_cselect_b32 s11, s10, s4
	s_cselect_b32 s10, s7, s3
	s_cbranch_execnz .LBB129_216
.LBB129_215:                            ;   in Loop: Header=BB129_31 Depth=1
	v_cvt_f32_u32_e32 v4, s40
	s_sub_co_i32 s4, 0, s40
	s_delay_alu instid0(VALU_DEP_1) | instskip(SKIP_1) | instid1(TRANS32_DEP_1)
	v_rcp_iflag_f32_e32 v4, v4
	v_nop
	v_mul_f32_e32 v4, 0x4f7ffffe, v4
	s_delay_alu instid0(VALU_DEP_1) | instskip(NEXT) | instid1(VALU_DEP_1)
	v_cvt_u32_f32_e32 v4, v4
	v_readfirstlane_b32 s3, v4
	s_mul_i32 s4, s4, s3
	s_delay_alu instid0(SALU_CYCLE_1) | instskip(NEXT) | instid1(SALU_CYCLE_1)
	s_mul_hi_u32 s4, s3, s4
	s_add_co_i32 s3, s3, s4
	s_delay_alu instid0(SALU_CYCLE_1) | instskip(NEXT) | instid1(SALU_CYCLE_1)
	s_mul_hi_u32 s3, s64, s3
	s_mul_i32 s3, s3, s40
	s_delay_alu instid0(SALU_CYCLE_1) | instskip(NEXT) | instid1(SALU_CYCLE_1)
	s_sub_co_i32 s3, s64, s3
	s_sub_co_i32 s4, s3, s40
	s_cmp_ge_u32 s3, s40
	s_cselect_b32 s3, s4, s3
	s_delay_alu instid0(SALU_CYCLE_1) | instskip(SKIP_2) | instid1(SALU_CYCLE_1)
	s_sub_co_i32 s4, s3, s40
	s_cmp_ge_u32 s3, s40
	s_cselect_b32 s28, s4, s3
	s_mov_b64 s[10:11], s[28:29]
.LBB129_216:                            ;   in Loop: Header=BB129_31 Depth=1
	s_delay_alu instid0(SALU_CYCLE_1)
	s_sub_nc_u64 s[10:11], s[64:65], s[10:11]
	s_mov_b32 s20, exec_lo
                                        ; implicit-def: $vgpr8
	v_cmpx_gt_u64_e64 s[10:11], v[0:1]
	s_cbranch_execz .LBB129_225
; %bb.217:                              ;   in Loop: Header=BB129_31 Depth=1
	v_mov_b64_e32 v[4:5], v[30:31]
	v_mov_b64_e32 v[8:9], v[0:1]
	s_mov_b32 s21, 0
                                        ; implicit-def: $sgpr22
	s_branch .LBB129_220
.LBB129_218:                            ;   in Loop: Header=BB129_220 Depth=2
	s_or_b32 exec_lo, exec_lo, s7
	s_wait_dscnt 0x0
	s_barrier_signal -1
	s_barrier_wait -1
	ds_load_u16 v34, v3 offset:3072
	s_mov_b32 s4, -1
	s_mov_b32 s7, -1
	s_wait_dscnt 0x0
	s_barrier_signal -1
	s_barrier_wait -1
	v_and_b32_e32 v35, 0xff, v34
	s_delay_alu instid0(VALU_DEP_1)
	v_cmp_eq_u32_e32 vcc_lo, 0, v35
	s_cbranch_vccnz .LBB129_223
.LBB129_219:                            ;   in Loop: Header=BB129_220 Depth=2
	s_and_b32 s3, exec_lo, s4
	s_delay_alu instid0(SALU_CYCLE_1) | instskip(SKIP_2) | instid1(SALU_CYCLE_1)
	s_or_b32 s21, s3, s21
	s_and_not1_b32 s3, s22, exec_lo
	s_and_b32 s4, s7, exec_lo
	s_or_b32 s22, s3, s4
	s_and_not1_b32 exec_lo, exec_lo, s21
	s_cbranch_execz .LBB129_224
.LBB129_220:                            ;   Parent Loop BB129_31 Depth=1
                                        ; =>  This Inner Loop Header: Depth=2
	s_mov_b32 s7, exec_lo
	s_delay_alu instid0(VALU_DEP_1)
	v_cmpx_gt_u64_e64 s[36:37], v[8:9]
	s_cbranch_execz .LBB129_218
; %bb.221:                              ;   in Loop: Header=BB129_220 Depth=2
	global_load_u8 v34, v[4:5], off
	s_wait_loadcnt 0x0
	v_bitop3_b32 v35, v34, 0xff, v11 bitop3:0x80
	s_delay_alu instid0(VALU_DEP_1)
	v_cmp_eq_u32_e32 vcc_lo, v35, v10
	s_and_b32 exec_lo, exec_lo, vcc_lo
	s_cbranch_execz .LBB129_218
; %bb.222:                              ;   in Loop: Header=BB129_220 Depth=2
	v_lshlrev_b16 v34, 8, v34
	s_delay_alu instid0(VALU_DEP_1)
	v_or_b32_e32 v34, 1, v34
	ds_store_b16 v3, v34 offset:3072
	s_branch .LBB129_218
.LBB129_223:                            ;   in Loop: Header=BB129_220 Depth=2
	v_add_nc_u64_e32 v[8:9], s[40:41], v[8:9]
	v_add_nc_u64_e32 v[4:5], s[44:45], v[4:5]
	s_mov_b32 s7, 0
	s_delay_alu instid0(VALU_DEP_2)
	v_cmp_le_u64_e32 vcc_lo, s[10:11], v[8:9]
	s_or_not1_b32 s4, vcc_lo, exec_lo
	s_branch .LBB129_219
.LBB129_224:                            ;   in Loop: Header=BB129_31 Depth=1
	s_or_b32 exec_lo, exec_lo, s21
	v_and_b32_e32 v4, 0xffff, v34
	s_and_not1_b32 s3, s8, exec_lo
	s_and_b32 s4, s22, exec_lo
	s_delay_alu instid0(SALU_CYCLE_1) | instskip(NEXT) | instid1(VALU_DEP_1)
	s_or_b32 s8, s3, s4
	v_lshrrev_b32_e32 v8, 8, v4
.LBB129_225:                            ;   in Loop: Header=BB129_31 Depth=1
	s_or_b32 exec_lo, exec_lo, s20
	s_mov_b32 s79, 0
	s_mov_b32 s80, -1
.LBB129_226:                            ;   in Loop: Header=BB129_31 Depth=1
	s_or_not1_b32 s7, s8, exec_lo
.LBB129_227:                            ;   in Loop: Header=BB129_31 Depth=1
	s_or_b32 exec_lo, exec_lo, s81
	s_mov_b32 s8, 0
	s_and_saveexec_b32 s81, s7
	s_cbranch_execz .LBB129_289
; %bb.228:                              ;   in Loop: Header=BB129_31 Depth=1
	v_mov_b64_e32 v[4:5], 1
	v_mov_b32_e32 v2, 1
	s_xor_b32 s3, s82, -1
	s_mov_b32 s10, 0
	s_and_saveexec_b32 s8, s3
	s_cbranch_execz .LBB129_237
; %bb.229:                              ;   in Loop: Header=BB129_31 Depth=1
	s_mov_b32 s3, exec_lo
	v_cmpx_ge_u64_e64 s[16:17], v[6:7]
	s_xor_b32 s7, exec_lo, s3
	s_cbranch_execz .LBB129_234
; %bb.230:                              ;   in Loop: Header=BB129_31 Depth=1
	ds_load_b64 v[4:5], v3 offset:5120
	s_lshl_b32 s3, 2, s99
	v_or_b32_e32 v11, s24, v11
	v_and_or_b32 v10, v10, s25, s3
	s_wait_dscnt 0x0
	v_cmp_ne_u64_e32 vcc_lo, 0, v[4:5]
	s_cbranch_vccnz .LBB129_234
; %bb.231:                              ;   in Loop: Header=BB129_31 Depth=1
	s_and_saveexec_b32 s4, s5
; %bb.232:                              ;   in Loop: Header=BB129_31 Depth=1
	v_mov_b64_e32 v[4:5], s[16:17]
	ds_store_b64 v3, v[4:5] offset:5128
; %bb.233:                              ;   in Loop: Header=BB129_31 Depth=1
	s_or_b32 exec_lo, exec_lo, s4
	s_wait_dscnt 0x0
	s_barrier_signal -1
	s_barrier_wait -1
.LBB129_234:                            ;   in Loop: Header=BB129_31 Depth=1
	s_or_saveexec_b32 s7, s7
	v_mov_b32_e32 v2, 8
	s_xor_b32 exec_lo, exec_lo, s7
; %bb.235:                              ;   in Loop: Header=BB129_31 Depth=1
	v_sub_nc_u64_e64 v[6:7], v[6:7], s[16:17]
	v_mov_b32_e32 v2, 0
	s_mov_b32 s10, exec_lo
; %bb.236:                              ;   in Loop: Header=BB129_31 Depth=1
	s_or_b32 exec_lo, exec_lo, s7
	s_delay_alu instid0(VALU_DEP_2)
	v_mov_b64_e32 v[4:5], v[6:7]
	s_and_b32 s10, s10, exec_lo
.LBB129_237:                            ;   in Loop: Header=BB129_31 Depth=1
	s_or_b32 exec_lo, exec_lo, s8
	s_mov_b32 s7, -1
                                        ; implicit-def: $sgpr8
                                        ; implicit-def: $sgpr95
	s_and_saveexec_b32 s82, s10
	s_cbranch_execz .LBB129_288
; %bb.238:                              ;   in Loop: Header=BB129_31 Depth=1
	s_delay_alu instid0(VALU_DEP_1) | instskip(SKIP_2) | instid1(SALU_CYCLE_1)
	v_cmp_eq_u64_e32 vcc_lo, 1, v[4:5]
	s_cmp_eq_u64 s[18:19], 1
                                        ; implicit-def: $sgpr8
                                        ; implicit-def: $sgpr95
	s_cselect_b32 s3, -1, 0
	s_and_b32 s83, s3, vcc_lo
	s_delay_alu instid0(SALU_CYCLE_1)
	s_and_saveexec_b32 s3, s83
	s_cbranch_execz .LBB129_276
; %bb.239:                              ;   in Loop: Header=BB129_31 Depth=1
	ds_load_b64 v[6:7], v3 offset:5120
	s_wait_dscnt 0x0
	s_barrier_signal -1
	s_barrier_wait -1
	v_readfirstlane_b32 s10, v6
	v_readfirstlane_b32 s11, v7
	s_and_saveexec_b32 s4, s6
; %bb.240:                              ;   in Loop: Header=BB129_31 Depth=1
	ds_store_b8 v0, v3 offset:3072
; %bb.241:                              ;   in Loop: Header=BB129_31 Depth=1
	s_or_b32 exec_lo, exec_lo, s4
	v_or_b32_e32 v10, s24, v10
	v_or_b32_e32 v11, s24, v11
	s_mov_b32 s95, -1
	s_mov_b32 s8, 0
	s_cmp_eq_u64 s[10:11], 0
	s_mov_b32 s22, 0
	s_mov_b32 s23, -1
	s_wait_dscnt 0x0
	s_barrier_signal -1
	s_barrier_wait -1
                                        ; implicit-def: $vgpr8
	s_cbranch_scc1 .LBB129_259
; %bb.242:                              ;   in Loop: Header=BB129_31 Depth=1
	s_add_nc_u64 s[20:21], s[10:11], s[62:63]
	s_delay_alu instid0(SALU_CYCLE_1) | instskip(NEXT) | instid1(SALU_CYCLE_1)
	s_and_b64 s[22:23], s[20:21], 0xffffffff00000000
	s_cmp_lg_u64 s[22:23], 0
	s_cbranch_scc0 .LBB129_246
; %bb.243:                              ;   in Loop: Header=BB129_31 Depth=1
	s_cvt_f32_u32 s4, s40
	s_sub_nc_u64 s[48:49], 0, s[40:41]
	s_delay_alu instid0(SALU_CYCLE_2) | instskip(NEXT) | instid1(SALU_CYCLE_3)
	s_fmamk_f32 s4, s100, 0x0, s4
	v_s_rcp_f32 s4, s4
	s_delay_alu instid0(TRANS32_DEP_1) | instskip(NEXT) | instid1(SALU_CYCLE_3)
	s_mul_f32 s4, s4, 0x5f7ffffc
	s_mul_f32 s7, s4, 0x2f800000
	s_delay_alu instid0(SALU_CYCLE_3) | instskip(NEXT) | instid1(SALU_CYCLE_3)
	s_trunc_f32 s7, s7
	s_fmamk_f32 s4, s7, 0xcf800000, s4
	s_cvt_u32_f32 s23, s7
	s_delay_alu instid0(SALU_CYCLE_2) | instskip(NEXT) | instid1(SALU_CYCLE_3)
	s_cvt_u32_f32 s22, s4
	s_mul_u64 s[66:67], s[48:49], s[22:23]
	s_delay_alu instid0(SALU_CYCLE_1)
	s_mul_hi_u32 s85, s22, s67
	s_mul_i32 s84, s22, s67
	s_mul_hi_u32 s28, s22, s66
	s_mul_i32 s7, s23, s66
	s_add_nc_u64 s[84:85], s[28:29], s[84:85]
	s_mul_hi_u32 s4, s23, s66
	s_mul_hi_u32 vcc_lo, s23, s67
	s_add_co_u32 s7, s84, s7
	s_add_co_ci_u32 s28, s85, s4
	s_mul_i32 s66, s23, s67
	s_add_co_ci_u32 s67, vcc_lo, 0
	s_delay_alu instid0(SALU_CYCLE_1) | instskip(NEXT) | instid1(SALU_CYCLE_1)
	s_add_nc_u64 s[66:67], s[28:29], s[66:67]
	s_add_co_u32 s22, s22, s66
	s_cselect_b32 s4, -1, 0
	s_delay_alu instid0(SALU_CYCLE_1) | instskip(SKIP_1) | instid1(SALU_CYCLE_1)
	s_cmp_lg_u32 s4, 0
	s_add_co_ci_u32 s23, s23, s67
	s_mul_u64 s[48:49], s[48:49], s[22:23]
	s_delay_alu instid0(SALU_CYCLE_1)
	s_mul_hi_u32 s67, s22, s49
	s_mul_i32 s66, s22, s49
	s_mul_hi_u32 s28, s22, s48
	s_mul_i32 s7, s23, s48
	s_add_nc_u64 s[66:67], s[28:29], s[66:67]
	s_mul_hi_u32 s4, s23, s48
	s_mul_hi_u32 s84, s23, s49
	s_add_co_u32 s7, s66, s7
	s_add_co_ci_u32 s28, s67, s4
	s_mul_i32 s48, s23, s49
	s_add_co_ci_u32 s49, s84, 0
	s_delay_alu instid0(SALU_CYCLE_1) | instskip(NEXT) | instid1(SALU_CYCLE_1)
	s_add_nc_u64 s[48:49], s[28:29], s[48:49]
	s_add_co_u32 s4, s22, s48
	s_cselect_b32 s7, -1, 0
	s_mul_hi_u32 s28, s20, s4
	s_cmp_lg_u32 s7, 0
	s_mul_hi_u32 s7, s21, s4
	s_add_co_ci_u32 s48, s23, s49
	s_mul_i32 s4, s21, s4
	s_mul_hi_u32 s23, s20, s48
	s_mul_i32 s22, s20, s48
	s_mul_hi_u32 s49, s21, s48
	s_add_nc_u64 s[22:23], s[28:29], s[22:23]
	s_mul_i32 s48, s21, s48
	s_add_co_u32 s4, s22, s4
	s_add_co_ci_u32 s28, s23, s7
	s_add_co_ci_u32 s49, s49, 0
	s_delay_alu instid0(SALU_CYCLE_1) | instskip(NEXT) | instid1(SALU_CYCLE_1)
	s_add_nc_u64 s[22:23], s[28:29], s[48:49]
	s_and_b64 s[48:49], s[22:23], 0xffffffff00000000
	s_delay_alu instid0(SALU_CYCLE_1) | instskip(NEXT) | instid1(SALU_CYCLE_1)
	s_or_b32 s48, s48, s22
	s_mul_u64 s[22:23], s[40:41], s[48:49]
	s_delay_alu instid0(SALU_CYCLE_1) | instskip(SKIP_1) | instid1(SALU_CYCLE_1)
	s_sub_co_u32 s4, s20, s22
	s_cselect_b32 s7, -1, 0
	s_cmp_lg_u32 s7, 0
	s_sub_co_ci_u32 s7, s21, s23
	s_sub_co_u32 s22, s4, s40
	s_cselect_b32 s23, -1, 0
	s_delay_alu instid0(SALU_CYCLE_1) | instskip(SKIP_3) | instid1(SALU_CYCLE_1)
	s_cmp_lg_u32 s23, 0
	s_sub_co_ci_u32 s23, s7, 0
	s_sub_co_u32 s28, s22, s40
	s_cselect_b32 s48, -1, 0
	s_cmp_lg_u32 s48, 0
	s_sub_co_ci_u32 s48, s23, 0
	s_cmp_ge_u32 s22, s40
	s_cselect_b32 s49, -1, 0
	s_cmp_eq_u32 s23, 0
	s_cselect_b32 s49, s49, -1
	s_delay_alu instid0(SALU_CYCLE_1)
	s_cmp_lg_u32 s49, 0
	s_cselect_b32 s23, s48, s23
	s_cselect_b32 s22, s28, s22
	s_cmp_ge_u32 s4, s40
	s_cselect_b32 s28, -1, 0
	s_cmp_eq_u32 s7, 0
	s_cselect_b32 s28, s28, -1
	s_delay_alu instid0(SALU_CYCLE_1)
	s_cmp_lg_u32 s28, 0
	s_cselect_b32 s23, s23, s7
	s_cselect_b32 s22, s22, s4
	s_mov_b32 s4, 0
	s_branch .LBB129_247
.LBB129_244:                            ;   in Loop: Header=BB129_31 Depth=1
                                        ; implicit-def: $sgpr22_sgpr23
	s_branch .LBB129_199
.LBB129_245:                            ;   in Loop: Header=BB129_31 Depth=1
                                        ; implicit-def: $sgpr10_sgpr11
	s_branch .LBB129_215
.LBB129_246:                            ;   in Loop: Header=BB129_31 Depth=1
	s_mov_b32 s4, -1
                                        ; implicit-def: $sgpr22_sgpr23
.LBB129_247:                            ;   in Loop: Header=BB129_31 Depth=1
	s_delay_alu instid0(SALU_CYCLE_1)
	s_and_not1_b32 vcc_lo, exec_lo, s4
	s_cbranch_vccnz .LBB129_249
; %bb.248:                              ;   in Loop: Header=BB129_31 Depth=1
	v_cvt_f32_u32_e32 v6, s40
	s_sub_co_i32 s7, 0, s40
	s_delay_alu instid0(VALU_DEP_1) | instskip(SKIP_1) | instid1(TRANS32_DEP_1)
	v_rcp_iflag_f32_e32 v6, v6
	v_nop
	v_mul_f32_e32 v6, 0x4f7ffffe, v6
	s_delay_alu instid0(VALU_DEP_1) | instskip(NEXT) | instid1(VALU_DEP_1)
	v_cvt_u32_f32_e32 v6, v6
	v_readfirstlane_b32 s4, v6
	s_mul_i32 s7, s7, s4
	s_delay_alu instid0(SALU_CYCLE_1) | instskip(NEXT) | instid1(SALU_CYCLE_1)
	s_mul_hi_u32 s7, s4, s7
	s_add_co_i32 s4, s4, s7
	s_delay_alu instid0(SALU_CYCLE_1) | instskip(NEXT) | instid1(SALU_CYCLE_1)
	s_mul_hi_u32 s4, s20, s4
	s_mul_i32 s4, s4, s40
	s_delay_alu instid0(SALU_CYCLE_1) | instskip(NEXT) | instid1(SALU_CYCLE_1)
	s_sub_co_i32 s4, s20, s4
	s_sub_co_i32 s7, s4, s40
	s_cmp_ge_u32 s4, s40
	s_cselect_b32 s4, s7, s4
	s_delay_alu instid0(SALU_CYCLE_1) | instskip(SKIP_2) | instid1(SALU_CYCLE_1)
	s_sub_co_i32 s7, s4, s40
	s_cmp_ge_u32 s4, s40
	s_cselect_b32 s28, s7, s4
	s_mov_b64 s[22:23], s[28:29]
.LBB129_249:                            ;   in Loop: Header=BB129_31 Depth=1
	s_delay_alu instid0(SALU_CYCLE_1)
	s_sub_nc_u64 s[20:21], s[20:21], s[22:23]
	s_mov_b32 s23, 0
	s_mov_b32 s22, 0
	s_mov_b32 s28, exec_lo
                                        ; implicit-def: $vgpr8
	v_cmpx_gt_u64_e64 s[20:21], v[0:1]
	s_cbranch_execz .LBB129_258
; %bb.250:                              ;   in Loop: Header=BB129_31 Depth=1
	v_mov_b64_e32 v[6:7], v[0:1]
	v_mov_b32_e32 v8, v0
                                        ; implicit-def: $sgpr7
	s_branch .LBB129_253
.LBB129_251:                            ;   in Loop: Header=BB129_253 Depth=2
	s_or_b32 exec_lo, exec_lo, s4
	s_wait_dscnt 0x0
	s_barrier_signal -1
	s_barrier_wait -1
	ds_load_u16 v9, v3 offset:3072
	s_mov_b32 s4, -1
	s_mov_b32 s48, -1
	s_wait_dscnt 0x0
	s_barrier_signal -1
	s_barrier_wait -1
	v_and_b32_e32 v34, 0xff, v9
	s_delay_alu instid0(VALU_DEP_1)
	v_cmp_ne_u32_e32 vcc_lo, 0, v34
	s_cbranch_vccz .LBB129_256
.LBB129_252:                            ;   in Loop: Header=BB129_253 Depth=2
	s_and_b32 s4, exec_lo, s4
	s_delay_alu instid0(SALU_CYCLE_1) | instskip(SKIP_2) | instid1(SALU_CYCLE_1)
	s_or_b32 s22, s4, s22
	s_and_not1_b32 s4, s7, exec_lo
	s_and_b32 s7, s48, exec_lo
	s_or_b32 s7, s4, s7
	s_and_not1_b32 exec_lo, exec_lo, s22
	s_cbranch_execz .LBB129_257
.LBB129_253:                            ;   Parent Loop BB129_31 Depth=1
                                        ; =>  This Inner Loop Header: Depth=2
	s_mov_b32 s4, exec_lo
	s_delay_alu instid0(VALU_DEP_2)
	v_cmpx_gt_u64_e64 s[10:11], v[6:7]
	s_cbranch_execz .LBB129_251
; %bb.254:                              ;   in Loop: Header=BB129_253 Depth=2
	ds_load_u8 v9, v8
	s_wait_dscnt 0x0
	v_bitop3_b32 v34, v9, 0xff, v11 bitop3:0x80
	s_delay_alu instid0(VALU_DEP_1)
	v_cmp_eq_u32_e32 vcc_lo, v34, v10
	s_and_b32 exec_lo, exec_lo, vcc_lo
	s_cbranch_execz .LBB129_251
; %bb.255:                              ;   in Loop: Header=BB129_253 Depth=2
	v_lshlrev_b16 v9, 8, v9
	s_delay_alu instid0(VALU_DEP_1)
	v_or_b32_e32 v9, 1, v9
	ds_store_b16 v3, v9 offset:3072
	s_branch .LBB129_251
.LBB129_256:                            ;   in Loop: Header=BB129_253 Depth=2
	v_add_nc_u64_e32 v[6:7], s[40:41], v[6:7]
	v_add_nc_u32_e32 v8, s40, v8
	s_mov_b32 s48, 0
	s_delay_alu instid0(VALU_DEP_2)
	v_cmp_le_u64_e32 vcc_lo, s[20:21], v[6:7]
	s_or_not1_b32 s4, vcc_lo, exec_lo
	s_branch .LBB129_252
.LBB129_257:                            ;   in Loop: Header=BB129_31 Depth=1
	s_or_b32 exec_lo, exec_lo, s22
	v_and_b32_e32 v6, 0xffff, v9
	s_and_b32 s22, s7, exec_lo
	s_delay_alu instid0(VALU_DEP_1)
	v_lshrrev_b32_e32 v8, 8, v6
.LBB129_258:                            ;   in Loop: Header=BB129_31 Depth=1
	s_or_b32 exec_lo, exec_lo, s28
.LBB129_259:                            ;   in Loop: Header=BB129_31 Depth=1
	s_delay_alu instid0(SALU_CYCLE_1)
	s_and_b32 vcc_lo, exec_lo, s23
	s_cbranch_vccz .LBB129_275
; %bb.260:                              ;   in Loop: Header=BB129_31 Depth=1
	s_and_b64 s[10:11], s[64:65], 0xffffffff00000000
	s_delay_alu instid0(SALU_CYCLE_1)
	s_cmp_lg_u64 s[10:11], 0
	s_cbranch_scc0 .LBB129_262
; %bb.261:                              ;   in Loop: Header=BB129_31 Depth=1
	s_cvt_f32_u32 s4, s40
	s_sub_nc_u64 s[20:21], 0, s[40:41]
	s_delay_alu instid0(SALU_CYCLE_2) | instskip(NEXT) | instid1(SALU_CYCLE_3)
	s_fmamk_f32 s4, s100, 0x0, s4
	v_s_rcp_f32 s4, s4
	s_delay_alu instid0(TRANS32_DEP_1) | instskip(NEXT) | instid1(SALU_CYCLE_3)
	s_mul_f32 s4, s4, 0x5f7ffffc
	s_mul_f32 s7, s4, 0x2f800000
	s_delay_alu instid0(SALU_CYCLE_3) | instskip(NEXT) | instid1(SALU_CYCLE_3)
	s_trunc_f32 s7, s7
	s_fmamk_f32 s4, s7, 0xcf800000, s4
	s_cvt_u32_f32 s11, s7
	s_delay_alu instid0(SALU_CYCLE_2) | instskip(NEXT) | instid1(SALU_CYCLE_3)
	s_cvt_u32_f32 s10, s4
	s_mul_u64 s[48:49], s[20:21], s[10:11]
	s_delay_alu instid0(SALU_CYCLE_1)
	s_mul_hi_u32 s67, s10, s49
	s_mul_i32 s66, s10, s49
	s_mul_hi_u32 s28, s10, s48
	s_mul_i32 s7, s11, s48
	s_add_nc_u64 s[66:67], s[28:29], s[66:67]
	s_mul_hi_u32 s4, s11, s48
	s_mul_hi_u32 s8, s11, s49
	s_add_co_u32 s7, s66, s7
	s_add_co_ci_u32 s28, s67, s4
	s_mul_i32 s48, s11, s49
	s_add_co_ci_u32 s49, s8, 0
	s_delay_alu instid0(SALU_CYCLE_1) | instskip(NEXT) | instid1(SALU_CYCLE_1)
	s_add_nc_u64 s[48:49], s[28:29], s[48:49]
	s_add_co_u32 s10, s10, s48
	s_cselect_b32 s4, -1, 0
	s_delay_alu instid0(SALU_CYCLE_1) | instskip(SKIP_1) | instid1(SALU_CYCLE_1)
	s_cmp_lg_u32 s4, 0
	s_add_co_ci_u32 s11, s11, s49
	s_mul_u64 s[20:21], s[20:21], s[10:11]
	s_delay_alu instid0(SALU_CYCLE_1)
	s_mul_hi_u32 s49, s10, s21
	s_mul_i32 s48, s10, s21
	s_mul_hi_u32 s28, s10, s20
	s_mul_i32 s7, s11, s20
	s_add_nc_u64 s[48:49], s[28:29], s[48:49]
	s_mul_hi_u32 s4, s11, s20
	s_mul_hi_u32 s8, s11, s21
	s_add_co_u32 s7, s48, s7
	s_add_co_ci_u32 s28, s49, s4
	s_mul_i32 s20, s11, s21
	s_add_co_ci_u32 s21, s8, 0
	s_delay_alu instid0(SALU_CYCLE_1) | instskip(NEXT) | instid1(SALU_CYCLE_1)
	s_add_nc_u64 s[20:21], s[28:29], s[20:21]
	s_add_co_u32 s4, s10, s20
	s_cselect_b32 s7, -1, 0
	s_mul_hi_u32 s28, s64, s4
	s_cmp_lg_u32 s7, 0
	s_mul_hi_u32 s7, s65, s4
	s_add_co_ci_u32 s8, s11, s21
	s_mul_i32 s4, s65, s4
	s_mul_hi_u32 s11, s64, s8
	s_mul_i32 s10, s64, s8
	s_mul_hi_u32 s21, s65, s8
	s_add_nc_u64 s[10:11], s[28:29], s[10:11]
	s_mul_i32 s20, s65, s8
	s_add_co_u32 s4, s10, s4
	s_add_co_ci_u32 s28, s11, s7
	s_add_co_ci_u32 s21, s21, 0
	s_delay_alu instid0(SALU_CYCLE_1) | instskip(NEXT) | instid1(SALU_CYCLE_1)
	s_add_nc_u64 s[10:11], s[28:29], s[20:21]
	s_and_b64 s[20:21], s[10:11], 0xffffffff00000000
	s_delay_alu instid0(SALU_CYCLE_1) | instskip(NEXT) | instid1(SALU_CYCLE_1)
	s_or_b32 s20, s20, s10
	s_mul_u64 s[10:11], s[40:41], s[20:21]
	s_delay_alu instid0(SALU_CYCLE_1) | instskip(SKIP_1) | instid1(SALU_CYCLE_1)
	s_sub_co_u32 s4, s64, s10
	s_cselect_b32 s7, -1, 0
	s_cmp_lg_u32 s7, 0
	s_sub_co_ci_u32 s7, s65, s11
	s_sub_co_u32 s8, s4, s40
	s_cselect_b32 s10, -1, 0
	s_delay_alu instid0(SALU_CYCLE_1) | instskip(SKIP_3) | instid1(SALU_CYCLE_1)
	s_cmp_lg_u32 s10, 0
	s_sub_co_ci_u32 s10, s7, 0
	s_sub_co_u32 s11, s8, s40
	s_cselect_b32 s20, -1, 0
	s_cmp_lg_u32 s20, 0
	s_sub_co_ci_u32 s20, s10, 0
	s_cmp_ge_u32 s8, s40
	s_cselect_b32 s21, -1, 0
	s_cmp_eq_u32 s10, 0
	s_cselect_b32 s21, s21, -1
	s_delay_alu instid0(SALU_CYCLE_1)
	s_cmp_lg_u32 s21, 0
	s_cselect_b32 s10, s20, s10
	s_cselect_b32 s8, s11, s8
	s_cmp_ge_u32 s4, s40
	s_cselect_b32 s11, -1, 0
	s_cmp_eq_u32 s7, 0
	s_cselect_b32 s11, s11, -1
	s_delay_alu instid0(SALU_CYCLE_1)
	s_cmp_lg_u32 s11, 0
	s_cselect_b32 s11, s10, s7
	s_cselect_b32 s10, s8, s4
	s_mov_b32 s4, 0
	s_branch .LBB129_263
.LBB129_262:                            ;   in Loop: Header=BB129_31 Depth=1
	s_mov_b32 s4, -1
                                        ; implicit-def: $sgpr10_sgpr11
.LBB129_263:                            ;   in Loop: Header=BB129_31 Depth=1
	s_delay_alu instid0(SALU_CYCLE_1)
	s_and_not1_b32 vcc_lo, exec_lo, s4
	s_cbranch_vccnz .LBB129_265
; %bb.264:                              ;   in Loop: Header=BB129_31 Depth=1
	v_cvt_f32_u32_e32 v6, s40
	s_sub_co_i32 s7, 0, s40
	s_delay_alu instid0(VALU_DEP_1) | instskip(SKIP_1) | instid1(TRANS32_DEP_1)
	v_rcp_iflag_f32_e32 v6, v6
	v_nop
	v_mul_f32_e32 v6, 0x4f7ffffe, v6
	s_delay_alu instid0(VALU_DEP_1) | instskip(NEXT) | instid1(VALU_DEP_1)
	v_cvt_u32_f32_e32 v6, v6
	v_readfirstlane_b32 s4, v6
	s_mul_i32 s7, s7, s4
	s_delay_alu instid0(SALU_CYCLE_1) | instskip(NEXT) | instid1(SALU_CYCLE_1)
	s_mul_hi_u32 s7, s4, s7
	s_add_co_i32 s4, s4, s7
	s_delay_alu instid0(SALU_CYCLE_1) | instskip(NEXT) | instid1(SALU_CYCLE_1)
	s_mul_hi_u32 s4, s64, s4
	s_mul_i32 s4, s4, s40
	s_delay_alu instid0(SALU_CYCLE_1) | instskip(NEXT) | instid1(SALU_CYCLE_1)
	s_sub_co_i32 s4, s64, s4
	s_sub_co_i32 s7, s4, s40
	s_cmp_ge_u32 s4, s40
	s_cselect_b32 s4, s7, s4
	s_delay_alu instid0(SALU_CYCLE_1) | instskip(SKIP_2) | instid1(SALU_CYCLE_1)
	s_sub_co_i32 s7, s4, s40
	s_cmp_ge_u32 s4, s40
	s_cselect_b32 s28, s7, s4
	s_mov_b64 s[10:11], s[28:29]
.LBB129_265:                            ;   in Loop: Header=BB129_31 Depth=1
	s_delay_alu instid0(SALU_CYCLE_1)
	s_sub_nc_u64 s[10:11], s[64:65], s[10:11]
	s_mov_b32 s8, exec_lo
                                        ; implicit-def: $vgpr8
	v_cmpx_gt_u64_e64 s[10:11], v[0:1]
	s_cbranch_execz .LBB129_274
; %bb.266:                              ;   in Loop: Header=BB129_31 Depth=1
	v_mov_b64_e32 v[6:7], v[30:31]
	v_mov_b64_e32 v[8:9], v[0:1]
	s_mov_b32 s20, 0
                                        ; implicit-def: $sgpr21
	s_branch .LBB129_269
.LBB129_267:                            ;   in Loop: Header=BB129_269 Depth=2
	s_or_b32 exec_lo, exec_lo, s4
	s_wait_dscnt 0x0
	s_barrier_signal -1
	s_barrier_wait -1
	ds_load_u16 v34, v3 offset:3072
	s_mov_b32 s4, -1
	s_mov_b32 s7, -1
	s_wait_dscnt 0x0
	s_barrier_signal -1
	s_barrier_wait -1
	v_and_b32_e32 v35, 0xff, v34
	s_delay_alu instid0(VALU_DEP_1)
	v_cmp_eq_u32_e32 vcc_lo, 0, v35
	s_cbranch_vccnz .LBB129_272
.LBB129_268:                            ;   in Loop: Header=BB129_269 Depth=2
	s_and_b32 s4, exec_lo, s4
	s_delay_alu instid0(SALU_CYCLE_1) | instskip(SKIP_2) | instid1(SALU_CYCLE_1)
	s_or_b32 s20, s4, s20
	s_and_not1_b32 s4, s21, exec_lo
	s_and_b32 s7, s7, exec_lo
	s_or_b32 s21, s4, s7
	s_and_not1_b32 exec_lo, exec_lo, s20
	s_cbranch_execz .LBB129_273
.LBB129_269:                            ;   Parent Loop BB129_31 Depth=1
                                        ; =>  This Inner Loop Header: Depth=2
	s_mov_b32 s4, exec_lo
	s_delay_alu instid0(VALU_DEP_1)
	v_cmpx_gt_u64_e64 s[36:37], v[8:9]
	s_cbranch_execz .LBB129_267
; %bb.270:                              ;   in Loop: Header=BB129_269 Depth=2
	global_load_u8 v34, v[6:7], off
	s_wait_loadcnt 0x0
	v_bitop3_b32 v35, v34, 0xff, v11 bitop3:0x80
	s_delay_alu instid0(VALU_DEP_1)
	v_cmp_eq_u32_e32 vcc_lo, v35, v10
	s_and_b32 exec_lo, exec_lo, vcc_lo
	s_cbranch_execz .LBB129_267
; %bb.271:                              ;   in Loop: Header=BB129_269 Depth=2
	v_lshlrev_b16 v34, 8, v34
	s_delay_alu instid0(VALU_DEP_1)
	v_or_b32_e32 v34, 1, v34
	ds_store_b16 v3, v34 offset:3072
	s_branch .LBB129_267
.LBB129_272:                            ;   in Loop: Header=BB129_269 Depth=2
	v_add_nc_u64_e32 v[8:9], s[40:41], v[8:9]
	v_add_nc_u64_e32 v[6:7], s[44:45], v[6:7]
	s_mov_b32 s7, 0
	s_delay_alu instid0(VALU_DEP_2)
	v_cmp_le_u64_e32 vcc_lo, s[10:11], v[8:9]
	s_or_not1_b32 s4, vcc_lo, exec_lo
	s_branch .LBB129_268
.LBB129_273:                            ;   in Loop: Header=BB129_31 Depth=1
	s_or_b32 exec_lo, exec_lo, s20
	v_and_b32_e32 v6, 0xffff, v34
	s_and_not1_b32 s4, s22, exec_lo
	s_and_b32 s7, s21, exec_lo
	s_delay_alu instid0(SALU_CYCLE_1) | instskip(NEXT) | instid1(VALU_DEP_1)
	s_or_b32 s22, s4, s7
	v_lshrrev_b32_e32 v8, 8, v6
.LBB129_274:                            ;   in Loop: Header=BB129_31 Depth=1
	s_or_b32 exec_lo, exec_lo, s8
	s_mov_b32 s95, 0
	s_mov_b32 s8, -1
.LBB129_275:                            ;   in Loop: Header=BB129_31 Depth=1
	s_or_not1_b32 s7, s22, exec_lo
.LBB129_276:                            ;   in Loop: Header=BB129_31 Depth=1
	s_or_b32 exec_lo, exec_lo, s3
	s_mov_b32 s11, 0
	s_and_saveexec_b32 s10, s7
	s_cbranch_execz .LBB129_287
; %bb.277:                              ;   in Loop: Header=BB129_31 Depth=1
	v_mov_b64_e32 v[6:7], 1
	v_mov_b32_e32 v2, 1
	s_xor_b32 s3, s83, -1
	s_delay_alu instid0(SALU_CYCLE_1)
	s_and_saveexec_b32 s11, s3
	s_cbranch_execz .LBB129_286
; %bb.278:                              ;   in Loop: Header=BB129_31 Depth=1
	s_mov_b32 s3, exec_lo
	v_cmpx_ge_u64_e64 s[18:19], v[4:5]
	s_xor_b32 s7, exec_lo, s3
	s_cbranch_execz .LBB129_283
; %bb.279:                              ;   in Loop: Header=BB129_31 Depth=1
	ds_load_b64 v[6:7], v3 offset:5120
	v_or_b32_e32 v10, s24, v10
	v_or_b32_e32 v11, s24, v11
	s_wait_dscnt 0x0
	v_cmp_ne_u64_e32 vcc_lo, 0, v[6:7]
	s_cbranch_vccnz .LBB129_283
; %bb.280:                              ;   in Loop: Header=BB129_31 Depth=1
	s_and_saveexec_b32 s4, s5
; %bb.281:                              ;   in Loop: Header=BB129_31 Depth=1
	v_mov_b64_e32 v[6:7], s[18:19]
	ds_store_b64 v3, v[6:7] offset:5128
; %bb.282:                              ;   in Loop: Header=BB129_31 Depth=1
	s_or_b32 exec_lo, exec_lo, s4
	s_wait_dscnt 0x0
	s_barrier_signal -1
	s_barrier_wait -1
.LBB129_283:                            ;   in Loop: Header=BB129_31 Depth=1
	s_and_not1_saveexec_b32 s4, s7
; %bb.284:                              ;   in Loop: Header=BB129_31 Depth=1
	v_sub_nc_u64_e64 v[4:5], v[4:5], s[18:19]
; %bb.285:                              ;   in Loop: Header=BB129_31 Depth=1
	s_or_b32 exec_lo, exec_lo, s4
	s_delay_alu instid0(VALU_DEP_1)
	v_mov_b64_e32 v[6:7], v[4:5]
	v_mov_b32_e32 v2, 8
.LBB129_286:                            ;   in Loop: Header=BB129_31 Depth=1
	s_or_b32 exec_lo, exec_lo, s11
	s_delay_alu instid0(VALU_DEP_2)
	v_mov_b64_e32 v[4:5], v[6:7]
	s_mov_b32 s11, exec_lo
.LBB129_287:                            ;   in Loop: Header=BB129_31 Depth=1
	s_or_b32 exec_lo, exec_lo, s10
	s_delay_alu instid0(SALU_CYCLE_1)
	s_or_not1_b32 s7, s11, exec_lo
.LBB129_288:                            ;   in Loop: Header=BB129_31 Depth=1
	s_or_b32 exec_lo, exec_lo, s82
	s_delay_alu instid0(VALU_DEP_1)
	v_mov_b64_e32 v[6:7], v[4:5]
	s_and_not1_b32 s3, s80, exec_lo
	s_and_b32 s4, s8, exec_lo
	s_and_not1_b32 s8, s79, exec_lo
	s_and_b32 s10, s95, exec_lo
	s_or_b32 s80, s3, s4
	s_or_b32 s79, s8, s10
	s_and_b32 s8, s7, exec_lo
.LBB129_289:                            ;   in Loop: Header=BB129_31 Depth=1
	s_or_b32 exec_lo, exec_lo, s81
	s_delay_alu instid0(SALU_CYCLE_1)
	s_or_not1_b32 s7, s8, exec_lo
.LBB129_290:                            ;   in Loop: Header=BB129_31 Depth=1
	s_or_b32 exec_lo, exec_lo, s78
	v_mov_b64_e32 v[4:5], v[6:7]
	s_and_not1_b32 s3, s76, exec_lo
	s_and_b32 s4, s80, exec_lo
	s_and_not1_b32 s8, s59, exec_lo
	s_and_b32 s10, s79, exec_lo
	s_or_b32 s76, s3, s4
	s_or_b32 s59, s8, s10
	s_and_b32 s8, s7, exec_lo
.LBB129_291:                            ;   in Loop: Header=BB129_31 Depth=1
	s_or_b32 exec_lo, exec_lo, s77
	s_delay_alu instid0(SALU_CYCLE_1)
	s_or_not1_b32 s7, s8, exec_lo
.LBB129_292:                            ;   in Loop: Header=BB129_31 Depth=1
	s_or_b32 exec_lo, exec_lo, s27
	s_mov_b32 s8, 0
	s_mov_b32 s11, 0
	s_and_saveexec_b32 s3, s7
	s_delay_alu instid0(SALU_CYCLE_1)
	s_xor_b32 s4, exec_lo, s3
; %bb.293:                              ;   in Loop: Header=BB129_31 Depth=1
	v_cmp_ne_u32_e32 vcc_lo, 8, v2
	v_cmp_eq_u32_e64 s10, 8, v2
	s_and_b32 s11, vcc_lo, exec_lo
	s_and_b32 s8, s10, exec_lo
; %bb.294:                              ;   in Loop: Header=BB129_31 Depth=1
	s_or_b32 exec_lo, exec_lo, s4
	s_delay_alu instid0(SALU_CYCLE_1)
	s_and_not1_b32 s3, s73, exec_lo
	s_and_b32 s4, s76, exec_lo
	s_and_not1_b32 s7, s72, exec_lo
	s_and_b32 s10, s59, exec_lo
	s_or_b32 s73, s3, s4
	s_or_b32 s72, s7, s10
	s_and_b32 s27, s11, exec_lo
	s_and_b32 s59, s8, exec_lo
.LBB129_295:                            ;   in Loop: Header=BB129_31 Depth=1
	s_or_b32 exec_lo, exec_lo, s75
.LBB129_296:                            ;   in Loop: Header=BB129_31 Depth=1
	s_delay_alu instid0(SALU_CYCLE_1)
	s_and_b32 vcc_lo, exec_lo, s74
	s_cbranch_vccz .LBB129_312
; %bb.297:                              ;   in Loop: Header=BB129_31 Depth=1
	s_cmp_eq_u64 s[18:19], 1
	s_mov_b32 s7, -1
	s_cselect_b32 s3, -1, 0
                                        ; implicit-def: $sgpr74
                                        ; implicit-def: $sgpr26
	s_delay_alu instid0(SALU_CYCLE_1) | instskip(NEXT) | instid1(SALU_CYCLE_1)
	s_and_b32 s9, s3, s9
	s_and_saveexec_b32 s72, s9
	s_cbranch_execz .LBB129_330
; %bb.298:                              ;   in Loop: Header=BB129_31 Depth=1
	ds_load_b64 v[4:5], v3 offset:5120
	s_wait_dscnt 0x0
	s_barrier_signal -1
	s_barrier_wait -1
	v_readfirstlane_b32 s10, v4
	v_readfirstlane_b32 s11, v5
	s_and_saveexec_b32 s4, s6
; %bb.299:                              ;   in Loop: Header=BB129_31 Depth=1
	ds_store_b8 v0, v3 offset:3072
; %bb.300:                              ;   in Loop: Header=BB129_31 Depth=1
	s_or_b32 exec_lo, exec_lo, s4
	v_or_b32_e32 v41, s24, v41
	v_or_b32_e32 v43, s24, v43
	s_mov_b32 s26, -1
	s_mov_b32 s74, 0
	s_cmp_eq_u64 s[10:11], 0
	s_mov_b32 s8, 0
	s_mov_b32 s22, -1
	s_wait_dscnt 0x0
	s_barrier_signal -1
	s_barrier_wait -1
                                        ; implicit-def: $vgpr44
	s_cbranch_scc1 .LBB129_315
; %bb.301:                              ;   in Loop: Header=BB129_31 Depth=1
	s_add_nc_u64 s[20:21], s[10:11], s[62:63]
	s_delay_alu instid0(SALU_CYCLE_1) | instskip(NEXT) | instid1(SALU_CYCLE_1)
	s_and_b64 s[22:23], s[20:21], 0xffffffff00000000
	s_cmp_lg_u64 s[22:23], 0
	s_cbranch_scc0 .LBB129_353
; %bb.302:                              ;   in Loop: Header=BB129_31 Depth=1
	s_cvt_f32_u32 s3, s40
	s_sub_nc_u64 s[48:49], 0, s[40:41]
	s_delay_alu instid0(SALU_CYCLE_2) | instskip(NEXT) | instid1(SALU_CYCLE_3)
	s_fmamk_f32 s3, s100, 0x0, s3
	v_s_rcp_f32 s3, s3
	s_delay_alu instid0(TRANS32_DEP_1) | instskip(NEXT) | instid1(SALU_CYCLE_3)
	s_mul_f32 s3, s3, 0x5f7ffffc
	s_mul_f32 s4, s3, 0x2f800000
	s_delay_alu instid0(SALU_CYCLE_3) | instskip(NEXT) | instid1(SALU_CYCLE_3)
	s_trunc_f32 s4, s4
	s_fmamk_f32 s3, s4, 0xcf800000, s3
	s_cvt_u32_f32 s23, s4
	s_delay_alu instid0(SALU_CYCLE_2) | instskip(NEXT) | instid1(SALU_CYCLE_3)
	s_cvt_u32_f32 s22, s3
	s_mul_u64 s[76:77], s[48:49], s[22:23]
	s_delay_alu instid0(SALU_CYCLE_1)
	s_mul_hi_u32 s79, s22, s77
	s_mul_i32 s78, s22, s77
	s_mul_hi_u32 s28, s22, s76
	s_mul_i32 s4, s23, s76
	s_add_nc_u64 s[78:79], s[28:29], s[78:79]
	s_mul_hi_u32 s3, s23, s76
	s_mul_hi_u32 s7, s23, s77
	s_add_co_u32 s4, s78, s4
	s_add_co_ci_u32 s28, s79, s3
	s_mul_i32 s76, s23, s77
	s_add_co_ci_u32 s77, s7, 0
	s_delay_alu instid0(SALU_CYCLE_1) | instskip(NEXT) | instid1(SALU_CYCLE_1)
	s_add_nc_u64 s[76:77], s[28:29], s[76:77]
	s_add_co_u32 s22, s22, s76
	s_cselect_b32 s3, -1, 0
	s_delay_alu instid0(SALU_CYCLE_1) | instskip(SKIP_1) | instid1(SALU_CYCLE_1)
	s_cmp_lg_u32 s3, 0
	s_add_co_ci_u32 s23, s23, s77
	s_mul_u64 s[48:49], s[48:49], s[22:23]
	s_delay_alu instid0(SALU_CYCLE_1)
	s_mul_hi_u32 s77, s22, s49
	s_mul_i32 s76, s22, s49
	s_mul_hi_u32 s28, s22, s48
	s_mul_i32 s4, s23, s48
	s_add_nc_u64 s[76:77], s[28:29], s[76:77]
	s_mul_hi_u32 s3, s23, s48
	s_mul_hi_u32 s7, s23, s49
	s_add_co_u32 s4, s76, s4
	s_add_co_ci_u32 s28, s77, s3
	s_mul_i32 s48, s23, s49
	s_add_co_ci_u32 s49, s7, 0
	s_delay_alu instid0(SALU_CYCLE_1) | instskip(NEXT) | instid1(SALU_CYCLE_1)
	s_add_nc_u64 s[48:49], s[28:29], s[48:49]
	s_add_co_u32 s3, s22, s48
	s_cselect_b32 s4, -1, 0
	s_mul_hi_u32 s28, s20, s3
	s_cmp_lg_u32 s4, 0
	s_mul_hi_u32 s4, s21, s3
	s_add_co_ci_u32 s7, s23, s49
	s_mul_i32 s3, s21, s3
	s_mul_hi_u32 s23, s20, s7
	s_mul_i32 s22, s20, s7
	s_mul_hi_u32 s8, s21, s7
	s_add_nc_u64 s[22:23], s[28:29], s[22:23]
	s_mul_i32 s48, s21, s7
	s_add_co_u32 s3, s22, s3
	s_add_co_ci_u32 s28, s23, s4
	s_add_co_ci_u32 s49, s8, 0
	s_delay_alu instid0(SALU_CYCLE_1) | instskip(NEXT) | instid1(SALU_CYCLE_1)
	s_add_nc_u64 s[22:23], s[28:29], s[48:49]
	s_and_b64 s[48:49], s[22:23], 0xffffffff00000000
	s_delay_alu instid0(SALU_CYCLE_1) | instskip(NEXT) | instid1(SALU_CYCLE_1)
	s_or_b32 s48, s48, s22
	s_mul_u64 s[22:23], s[40:41], s[48:49]
	s_delay_alu instid0(SALU_CYCLE_1) | instskip(SKIP_1) | instid1(SALU_CYCLE_1)
	s_sub_co_u32 s3, s20, s22
	s_cselect_b32 s4, -1, 0
	s_cmp_lg_u32 s4, 0
	s_sub_co_ci_u32 s4, s21, s23
	s_sub_co_u32 s7, s3, s40
	s_cselect_b32 s8, -1, 0
	s_delay_alu instid0(SALU_CYCLE_1) | instskip(SKIP_3) | instid1(SALU_CYCLE_1)
	s_cmp_lg_u32 s8, 0
	s_sub_co_ci_u32 s8, s4, 0
	s_sub_co_u32 s22, s7, s40
	s_cselect_b32 s23, -1, 0
	s_cmp_lg_u32 s23, 0
	s_sub_co_ci_u32 s23, s8, 0
	s_cmp_ge_u32 s7, s40
	s_cselect_b32 s28, -1, 0
	s_cmp_eq_u32 s8, 0
	s_cselect_b32 s28, s28, -1
	s_delay_alu instid0(SALU_CYCLE_1)
	s_cmp_lg_u32 s28, 0
	s_cselect_b32 s8, s23, s8
	s_cselect_b32 s7, s22, s7
	s_cmp_ge_u32 s3, s40
	s_cselect_b32 s22, -1, 0
	s_cmp_eq_u32 s4, 0
	s_cselect_b32 s22, s22, -1
	s_delay_alu instid0(SALU_CYCLE_1)
	s_cmp_lg_u32 s22, 0
	s_cselect_b32 s23, s8, s4
	s_cselect_b32 s22, s7, s3
	s_cbranch_execnz .LBB129_304
.LBB129_303:                            ;   in Loop: Header=BB129_31 Depth=1
	v_cvt_f32_u32_e32 v2, s40
	s_sub_co_i32 s4, 0, s40
	s_delay_alu instid0(VALU_DEP_1) | instskip(SKIP_1) | instid1(TRANS32_DEP_1)
	v_rcp_iflag_f32_e32 v2, v2
	v_nop
	v_mul_f32_e32 v2, 0x4f7ffffe, v2
	s_delay_alu instid0(VALU_DEP_1) | instskip(NEXT) | instid1(VALU_DEP_1)
	v_cvt_u32_f32_e32 v2, v2
	v_readfirstlane_b32 s3, v2
	s_mul_i32 s4, s4, s3
	s_delay_alu instid0(SALU_CYCLE_1) | instskip(NEXT) | instid1(SALU_CYCLE_1)
	s_mul_hi_u32 s4, s3, s4
	s_add_co_i32 s3, s3, s4
	s_delay_alu instid0(SALU_CYCLE_1) | instskip(NEXT) | instid1(SALU_CYCLE_1)
	s_mul_hi_u32 s3, s20, s3
	s_mul_i32 s3, s3, s40
	s_delay_alu instid0(SALU_CYCLE_1) | instskip(NEXT) | instid1(SALU_CYCLE_1)
	s_sub_co_i32 s3, s20, s3
	s_sub_co_i32 s4, s3, s40
	s_cmp_ge_u32 s3, s40
	s_cselect_b32 s3, s4, s3
	s_delay_alu instid0(SALU_CYCLE_1) | instskip(SKIP_2) | instid1(SALU_CYCLE_1)
	s_sub_co_i32 s4, s3, s40
	s_cmp_ge_u32 s3, s40
	s_cselect_b32 s28, s4, s3
	s_mov_b64 s[22:23], s[28:29]
.LBB129_304:                            ;   in Loop: Header=BB129_31 Depth=1
	s_delay_alu instid0(SALU_CYCLE_1)
	s_sub_nc_u64 s[20:21], s[20:21], s[22:23]
	s_mov_b32 s22, 0
	s_mov_b32 s8, 0
	s_mov_b32 s23, exec_lo
                                        ; implicit-def: $vgpr44
	v_cmpx_gt_u64_e64 s[20:21], v[0:1]
	s_cbranch_execz .LBB129_314
; %bb.305:                              ;   in Loop: Header=BB129_31 Depth=1
	v_mov_b64_e32 v[4:5], v[0:1]
	v_mov_b32_e32 v2, v0
                                        ; implicit-def: $sgpr28
	s_branch .LBB129_308
.LBB129_306:                            ;   in Loop: Header=BB129_308 Depth=2
	s_or_b32 exec_lo, exec_lo, s7
	s_wait_dscnt 0x0
	s_barrier_signal -1
	s_barrier_wait -1
	ds_load_u16 v6, v3 offset:3072
	s_mov_b32 s4, -1
	s_mov_b32 s7, -1
	s_wait_dscnt 0x0
	s_barrier_signal -1
	s_barrier_wait -1
	v_and_b32_e32 v7, 0xff, v6
	s_delay_alu instid0(VALU_DEP_1)
	v_cmp_ne_u32_e32 vcc_lo, 0, v7
	s_cbranch_vccz .LBB129_311
.LBB129_307:                            ;   in Loop: Header=BB129_308 Depth=2
	s_and_b32 s3, exec_lo, s4
	s_delay_alu instid0(SALU_CYCLE_1) | instskip(SKIP_2) | instid1(SALU_CYCLE_1)
	s_or_b32 s8, s3, s8
	s_and_not1_b32 s3, s28, exec_lo
	s_and_b32 s4, s7, exec_lo
	s_or_b32 s28, s3, s4
	s_and_not1_b32 exec_lo, exec_lo, s8
	s_cbranch_execz .LBB129_313
.LBB129_308:                            ;   Parent Loop BB129_31 Depth=1
                                        ; =>  This Inner Loop Header: Depth=2
	s_mov_b32 s7, exec_lo
	s_delay_alu instid0(VALU_DEP_2)
	v_cmpx_gt_u64_e64 s[10:11], v[4:5]
	s_cbranch_execz .LBB129_306
; %bb.309:                              ;   in Loop: Header=BB129_308 Depth=2
	ds_load_u8 v6, v2
	s_wait_dscnt 0x0
	v_bitop3_b32 v7, v6, 0xff, v43 bitop3:0x80
	s_delay_alu instid0(VALU_DEP_1)
	v_cmp_eq_u32_e32 vcc_lo, v7, v41
	s_and_b32 exec_lo, exec_lo, vcc_lo
	s_cbranch_execz .LBB129_306
; %bb.310:                              ;   in Loop: Header=BB129_308 Depth=2
	v_lshlrev_b16 v6, 8, v6
	s_delay_alu instid0(VALU_DEP_1)
	v_or_b32_e32 v6, 1, v6
	ds_store_b16 v3, v6 offset:3072
	s_branch .LBB129_306
.LBB129_311:                            ;   in Loop: Header=BB129_308 Depth=2
	v_add_nc_u64_e32 v[4:5], s[40:41], v[4:5]
	v_add_nc_u32_e32 v2, s40, v2
	s_mov_b32 s7, 0
	s_delay_alu instid0(VALU_DEP_2)
	v_cmp_le_u64_e32 vcc_lo, s[20:21], v[4:5]
	s_or_not1_b32 s4, vcc_lo, exec_lo
	s_branch .LBB129_307
.LBB129_312:                            ;   in Loop: Header=BB129_31 Depth=1
	v_dual_mov_b32 v41, v10 :: v_dual_mov_b32 v43, v11
	v_mov_b32_e32 v44, v8
	s_mov_b32 s74, 0
	s_and_saveexec_b32 s4, s59
	s_cbranch_execnz .LBB129_489
	s_branch .LBB129_490
.LBB129_313:                            ;   in Loop: Header=BB129_31 Depth=1
	s_or_b32 exec_lo, exec_lo, s8
	v_and_b32_e32 v2, 0xffff, v6
	s_and_b32 s8, s28, exec_lo
	s_delay_alu instid0(VALU_DEP_1)
	v_lshrrev_b32_e32 v44, 8, v2
.LBB129_314:                            ;   in Loop: Header=BB129_31 Depth=1
	s_or_b32 exec_lo, exec_lo, s23
.LBB129_315:                            ;   in Loop: Header=BB129_31 Depth=1
	s_delay_alu instid0(SALU_CYCLE_1)
	s_and_b32 vcc_lo, exec_lo, s22
	s_cbranch_vccz .LBB129_329
; %bb.316:                              ;   in Loop: Header=BB129_31 Depth=1
	s_and_b64 s[10:11], s[64:65], 0xffffffff00000000
	s_delay_alu instid0(SALU_CYCLE_1)
	s_cmp_lg_u64 s[10:11], 0
	s_cbranch_scc0 .LBB129_354
; %bb.317:                              ;   in Loop: Header=BB129_31 Depth=1
	s_cvt_f32_u32 s3, s40
	s_sub_nc_u64 s[20:21], 0, s[40:41]
	s_delay_alu instid0(SALU_CYCLE_2) | instskip(NEXT) | instid1(SALU_CYCLE_3)
	s_fmamk_f32 s3, s100, 0x0, s3
	v_s_rcp_f32 s3, s3
	s_delay_alu instid0(TRANS32_DEP_1) | instskip(NEXT) | instid1(SALU_CYCLE_3)
	s_mul_f32 s3, s3, 0x5f7ffffc
	s_mul_f32 s4, s3, 0x2f800000
	s_delay_alu instid0(SALU_CYCLE_3) | instskip(NEXT) | instid1(SALU_CYCLE_3)
	s_trunc_f32 s4, s4
	s_fmamk_f32 s3, s4, 0xcf800000, s3
	s_cvt_u32_f32 s11, s4
	s_delay_alu instid0(SALU_CYCLE_2) | instskip(NEXT) | instid1(SALU_CYCLE_3)
	s_cvt_u32_f32 s10, s3
	s_mul_u64 s[22:23], s[20:21], s[10:11]
	s_delay_alu instid0(SALU_CYCLE_1)
	s_mul_hi_u32 s49, s10, s23
	s_mul_i32 s48, s10, s23
	s_mul_hi_u32 s28, s10, s22
	s_mul_i32 s4, s11, s22
	s_add_nc_u64 s[48:49], s[28:29], s[48:49]
	s_mul_hi_u32 s3, s11, s22
	s_mul_hi_u32 s7, s11, s23
	s_add_co_u32 s4, s48, s4
	s_add_co_ci_u32 s28, s49, s3
	s_mul_i32 s22, s11, s23
	s_add_co_ci_u32 s23, s7, 0
	s_delay_alu instid0(SALU_CYCLE_1) | instskip(NEXT) | instid1(SALU_CYCLE_1)
	s_add_nc_u64 s[22:23], s[28:29], s[22:23]
	s_add_co_u32 s10, s10, s22
	s_cselect_b32 s3, -1, 0
	s_delay_alu instid0(SALU_CYCLE_1) | instskip(SKIP_1) | instid1(SALU_CYCLE_1)
	s_cmp_lg_u32 s3, 0
	s_add_co_ci_u32 s11, s11, s23
	s_mul_u64 s[20:21], s[20:21], s[10:11]
	s_delay_alu instid0(SALU_CYCLE_1)
	s_mul_hi_u32 s23, s10, s21
	s_mul_i32 s22, s10, s21
	s_mul_hi_u32 s28, s10, s20
	s_mul_i32 s4, s11, s20
	s_add_nc_u64 s[22:23], s[28:29], s[22:23]
	s_mul_hi_u32 s3, s11, s20
	s_mul_hi_u32 s7, s11, s21
	s_add_co_u32 s4, s22, s4
	s_add_co_ci_u32 s28, s23, s3
	s_mul_i32 s20, s11, s21
	s_add_co_ci_u32 s21, s7, 0
	s_delay_alu instid0(SALU_CYCLE_1) | instskip(NEXT) | instid1(SALU_CYCLE_1)
	s_add_nc_u64 s[20:21], s[28:29], s[20:21]
	s_add_co_u32 s3, s10, s20
	s_cselect_b32 s4, -1, 0
	s_mul_hi_u32 s28, s64, s3
	s_cmp_lg_u32 s4, 0
	s_mul_hi_u32 s4, s65, s3
	s_add_co_ci_u32 s7, s11, s21
	s_mul_i32 s3, s65, s3
	s_mul_hi_u32 s11, s64, s7
	s_mul_i32 s10, s64, s7
	s_mul_hi_u32 s21, s65, s7
	s_add_nc_u64 s[10:11], s[28:29], s[10:11]
	s_mul_i32 s20, s65, s7
	s_add_co_u32 s3, s10, s3
	s_add_co_ci_u32 s28, s11, s4
	s_add_co_ci_u32 s21, s21, 0
	s_delay_alu instid0(SALU_CYCLE_1) | instskip(NEXT) | instid1(SALU_CYCLE_1)
	s_add_nc_u64 s[10:11], s[28:29], s[20:21]
	s_and_b64 s[20:21], s[10:11], 0xffffffff00000000
	s_delay_alu instid0(SALU_CYCLE_1) | instskip(NEXT) | instid1(SALU_CYCLE_1)
	s_or_b32 s20, s20, s10
	s_mul_u64 s[10:11], s[40:41], s[20:21]
	s_delay_alu instid0(SALU_CYCLE_1) | instskip(SKIP_1) | instid1(SALU_CYCLE_1)
	s_sub_co_u32 s3, s64, s10
	s_cselect_b32 s4, -1, 0
	s_cmp_lg_u32 s4, 0
	s_sub_co_ci_u32 s4, s65, s11
	s_sub_co_u32 s7, s3, s40
	s_cselect_b32 s10, -1, 0
	s_delay_alu instid0(SALU_CYCLE_1) | instskip(SKIP_3) | instid1(SALU_CYCLE_1)
	s_cmp_lg_u32 s10, 0
	s_sub_co_ci_u32 s10, s4, 0
	s_sub_co_u32 s11, s7, s40
	s_cselect_b32 s20, -1, 0
	s_cmp_lg_u32 s20, 0
	s_sub_co_ci_u32 s20, s10, 0
	s_cmp_ge_u32 s7, s40
	s_cselect_b32 s21, -1, 0
	s_cmp_eq_u32 s10, 0
	s_cselect_b32 s21, s21, -1
	s_delay_alu instid0(SALU_CYCLE_1)
	s_cmp_lg_u32 s21, 0
	s_cselect_b32 s10, s20, s10
	s_cselect_b32 s7, s11, s7
	s_cmp_ge_u32 s3, s40
	s_cselect_b32 s11, -1, 0
	s_cmp_eq_u32 s4, 0
	s_cselect_b32 s11, s11, -1
	s_delay_alu instid0(SALU_CYCLE_1)
	s_cmp_lg_u32 s11, 0
	s_cselect_b32 s11, s10, s4
	s_cselect_b32 s10, s7, s3
	s_cbranch_execnz .LBB129_319
.LBB129_318:                            ;   in Loop: Header=BB129_31 Depth=1
	v_cvt_f32_u32_e32 v2, s40
	s_sub_co_i32 s4, 0, s40
	s_delay_alu instid0(VALU_DEP_1) | instskip(SKIP_1) | instid1(TRANS32_DEP_1)
	v_rcp_iflag_f32_e32 v2, v2
	v_nop
	v_mul_f32_e32 v2, 0x4f7ffffe, v2
	s_delay_alu instid0(VALU_DEP_1) | instskip(NEXT) | instid1(VALU_DEP_1)
	v_cvt_u32_f32_e32 v2, v2
	v_readfirstlane_b32 s3, v2
	s_mul_i32 s4, s4, s3
	s_delay_alu instid0(SALU_CYCLE_1) | instskip(NEXT) | instid1(SALU_CYCLE_1)
	s_mul_hi_u32 s4, s3, s4
	s_add_co_i32 s3, s3, s4
	s_delay_alu instid0(SALU_CYCLE_1) | instskip(NEXT) | instid1(SALU_CYCLE_1)
	s_mul_hi_u32 s3, s64, s3
	s_mul_i32 s3, s3, s40
	s_delay_alu instid0(SALU_CYCLE_1) | instskip(NEXT) | instid1(SALU_CYCLE_1)
	s_sub_co_i32 s3, s64, s3
	s_sub_co_i32 s4, s3, s40
	s_cmp_ge_u32 s3, s40
	s_cselect_b32 s3, s4, s3
	s_delay_alu instid0(SALU_CYCLE_1) | instskip(SKIP_2) | instid1(SALU_CYCLE_1)
	s_sub_co_i32 s4, s3, s40
	s_cmp_ge_u32 s3, s40
	s_cselect_b32 s28, s4, s3
	s_mov_b64 s[10:11], s[28:29]
.LBB129_319:                            ;   in Loop: Header=BB129_31 Depth=1
	s_delay_alu instid0(SALU_CYCLE_1)
	s_sub_nc_u64 s[10:11], s[64:65], s[10:11]
	s_mov_b32 s20, exec_lo
                                        ; implicit-def: $vgpr44
	v_cmpx_gt_u64_e64 s[10:11], v[0:1]
	s_cbranch_execz .LBB129_328
; %bb.320:                              ;   in Loop: Header=BB129_31 Depth=1
	v_mov_b64_e32 v[4:5], v[30:31]
	v_mov_b64_e32 v[6:7], v[0:1]
	s_mov_b32 s22, 0
                                        ; implicit-def: $sgpr21
	s_branch .LBB129_323
.LBB129_321:                            ;   in Loop: Header=BB129_323 Depth=2
	s_or_b32 exec_lo, exec_lo, s7
	s_wait_dscnt 0x0
	s_barrier_signal -1
	s_barrier_wait -1
	ds_load_u16 v2, v3 offset:3072
	s_mov_b32 s4, -1
	s_mov_b32 s7, -1
	s_wait_dscnt 0x0
	s_barrier_signal -1
	s_barrier_wait -1
	v_and_b32_e32 v8, 0xff, v2
	s_delay_alu instid0(VALU_DEP_1)
	v_cmp_ne_u32_e32 vcc_lo, 0, v8
	s_cbranch_vccz .LBB129_326
.LBB129_322:                            ;   in Loop: Header=BB129_323 Depth=2
	s_and_b32 s3, exec_lo, s4
	s_delay_alu instid0(SALU_CYCLE_1) | instskip(SKIP_2) | instid1(SALU_CYCLE_1)
	s_or_b32 s22, s3, s22
	s_and_not1_b32 s3, s21, exec_lo
	s_and_b32 s4, s7, exec_lo
	s_or_b32 s21, s3, s4
	s_and_not1_b32 exec_lo, exec_lo, s22
	s_cbranch_execz .LBB129_327
.LBB129_323:                            ;   Parent Loop BB129_31 Depth=1
                                        ; =>  This Inner Loop Header: Depth=2
	s_mov_b32 s7, exec_lo
	s_delay_alu instid0(VALU_DEP_1)
	v_cmpx_gt_u64_e64 s[36:37], v[6:7]
	s_cbranch_execz .LBB129_321
; %bb.324:                              ;   in Loop: Header=BB129_323 Depth=2
	global_load_u8 v2, v[4:5], off
	s_wait_loadcnt 0x0
	v_bitop3_b32 v8, v2, 0xff, v43 bitop3:0x80
	s_delay_alu instid0(VALU_DEP_1)
	v_cmp_eq_u32_e32 vcc_lo, v8, v41
	s_and_b32 exec_lo, exec_lo, vcc_lo
	s_cbranch_execz .LBB129_321
; %bb.325:                              ;   in Loop: Header=BB129_323 Depth=2
	v_lshlrev_b16 v2, 8, v2
	s_delay_alu instid0(VALU_DEP_1)
	v_or_b32_e32 v2, 1, v2
	ds_store_b16 v3, v2 offset:3072
	s_branch .LBB129_321
.LBB129_326:                            ;   in Loop: Header=BB129_323 Depth=2
	v_add_nc_u64_e32 v[6:7], s[40:41], v[6:7]
	v_add_nc_u64_e32 v[4:5], s[44:45], v[4:5]
	s_mov_b32 s7, 0
	s_delay_alu instid0(VALU_DEP_2)
	v_cmp_le_u64_e32 vcc_lo, s[10:11], v[6:7]
	s_or_not1_b32 s4, vcc_lo, exec_lo
	s_branch .LBB129_322
.LBB129_327:                            ;   in Loop: Header=BB129_31 Depth=1
	s_or_b32 exec_lo, exec_lo, s22
	v_and_b32_e32 v2, 0xffff, v2
	s_and_not1_b32 s3, s8, exec_lo
	s_and_b32 s4, s21, exec_lo
	s_delay_alu instid0(SALU_CYCLE_1) | instskip(NEXT) | instid1(VALU_DEP_1)
	s_or_b32 s8, s3, s4
	v_lshrrev_b32_e32 v44, 8, v2
.LBB129_328:                            ;   in Loop: Header=BB129_31 Depth=1
	s_or_b32 exec_lo, exec_lo, s20
	s_mov_b32 s26, 0
	s_mov_b32 s74, -1
.LBB129_329:                            ;   in Loop: Header=BB129_31 Depth=1
	s_or_not1_b32 s7, s8, exec_lo
.LBB129_330:                            ;   in Loop: Header=BB129_31 Depth=1
	s_or_b32 exec_lo, exec_lo, s72
                                        ; implicit-def: $vgpr4_vgpr5
                                        ; implicit-def: $vgpr2
	s_and_saveexec_b32 s22, s7
	s_cbranch_execz .LBB129_488
; %bb.331:                              ;   in Loop: Header=BB129_31 Depth=1
	v_mov_b64_e32 v[4:5], 1
	v_mov_b32_e32 v2, 1
	s_xor_b32 s3, s9, -1
	s_mov_b32 s9, 0
	s_and_saveexec_b32 s8, s3
	s_cbranch_execz .LBB129_337
; %bb.332:                              ;   in Loop: Header=BB129_31 Depth=1
	s_mov_b32 s3, exec_lo
	v_cmpx_ge_u64_e64 s[18:19], v[32:33]
	s_xor_b32 s7, exec_lo, s3
	s_cbranch_execz .LBB129_334
; %bb.333:                              ;   in Loop: Header=BB129_31 Depth=1
	ds_load_b64 v[4:5], v3 offset:5120
	v_or_b32_e32 v41, s24, v41
	v_or_b32_e32 v43, s24, v43
	s_wait_dscnt 0x0
	v_cmp_ne_u64_e32 vcc_lo, 0, v[4:5]
	s_cbranch_vccz .LBB129_355
.LBB129_334:                            ;   in Loop: Header=BB129_31 Depth=1
	s_or_saveexec_b32 s7, s7
	v_mov_b32_e32 v2, 5
	s_xor_b32 exec_lo, exec_lo, s7
.LBB129_335:                            ;   in Loop: Header=BB129_31 Depth=1
	v_sub_nc_u64_e64 v[32:33], v[32:33], s[18:19]
	v_mov_b32_e32 v2, 0
	s_mov_b32 s9, exec_lo
.LBB129_336:                            ;   in Loop: Header=BB129_31 Depth=1
	s_or_b32 exec_lo, exec_lo, s7
	s_delay_alu instid0(VALU_DEP_2)
	v_mov_b64_e32 v[4:5], v[32:33]
	s_and_b32 s9, s9, exec_lo
.LBB129_337:                            ;   in Loop: Header=BB129_31 Depth=1
	s_or_b32 exec_lo, exec_lo, s8
	s_mov_b32 s7, -1
                                        ; implicit-def: $sgpr23
                                        ; implicit-def: $sgpr72
	s_and_saveexec_b32 s3, s9
	s_delay_alu instid0(SALU_CYCLE_1)
	s_xor_b32 s9, exec_lo, s3
	s_cbranch_execz .LBB129_485
; %bb.338:                              ;   in Loop: Header=BB129_31 Depth=1
	v_cmp_eq_u64_e32 vcc_lo, 1, v[4:5]
	s_cmp_eq_u64 s[16:17], 1
                                        ; implicit-def: $sgpr72
                                        ; implicit-def: $sgpr23
	s_cselect_b32 s3, -1, 0
	s_delay_alu instid0(SALU_CYCLE_1) | instskip(NEXT) | instid1(SALU_CYCLE_1)
	s_and_b32 s73, s3, vcc_lo
	s_and_saveexec_b32 s75, s73
	s_cbranch_execz .LBB129_375
; %bb.339:                              ;   in Loop: Header=BB129_31 Depth=1
	ds_load_b64 v[6:7], v3 offset:5120
	s_wait_dscnt 0x0
	s_barrier_signal -1
	s_barrier_wait -1
	v_readfirstlane_b32 s10, v6
	v_readfirstlane_b32 s11, v7
	s_and_saveexec_b32 s4, s6
; %bb.340:                              ;   in Loop: Header=BB129_31 Depth=1
	ds_store_b8 v0, v3 offset:3072
; %bb.341:                              ;   in Loop: Header=BB129_31 Depth=1
	s_or_b32 exec_lo, exec_lo, s4
	s_lshl_b32 s3, 2, s99
	v_or_b32_e32 v43, s24, v43
	v_and_or_b32 v41, v41, s25, s3
	s_mov_b32 s23, -1
	s_mov_b32 s72, 0
	s_cmp_eq_u64 s[10:11], 0
	s_mov_b32 s8, 0
	s_mov_b32 s20, -1
	s_wait_dscnt 0x0
	s_barrier_signal -1
	s_barrier_wait -1
                                        ; implicit-def: $vgpr44
	s_cbranch_scc1 .LBB129_360
; %bb.342:                              ;   in Loop: Header=BB129_31 Depth=1
	s_add_nc_u64 s[18:19], s[10:11], s[62:63]
	s_delay_alu instid0(SALU_CYCLE_1) | instskip(NEXT) | instid1(SALU_CYCLE_1)
	s_and_b64 s[20:21], s[18:19], 0xffffffff00000000
	s_cmp_lg_u64 s[20:21], 0
	s_cbranch_scc0 .LBB129_401
; %bb.343:                              ;   in Loop: Header=BB129_31 Depth=1
	s_cvt_f32_u32 s3, s40
	s_sub_nc_u64 s[48:49], 0, s[40:41]
	s_delay_alu instid0(SALU_CYCLE_2) | instskip(NEXT) | instid1(SALU_CYCLE_3)
	s_fmamk_f32 s3, s100, 0x0, s3
	v_s_rcp_f32 s3, s3
	s_delay_alu instid0(TRANS32_DEP_1) | instskip(NEXT) | instid1(SALU_CYCLE_3)
	s_mul_f32 s3, s3, 0x5f7ffffc
	s_mul_f32 s4, s3, 0x2f800000
	s_delay_alu instid0(SALU_CYCLE_3) | instskip(NEXT) | instid1(SALU_CYCLE_3)
	s_trunc_f32 s4, s4
	s_fmamk_f32 s3, s4, 0xcf800000, s3
	s_cvt_u32_f32 s21, s4
	s_delay_alu instid0(SALU_CYCLE_2) | instskip(NEXT) | instid1(SALU_CYCLE_3)
	s_cvt_u32_f32 s20, s3
	s_mul_u64 s[76:77], s[48:49], s[20:21]
	s_delay_alu instid0(SALU_CYCLE_1)
	s_mul_hi_u32 s79, s20, s77
	s_mul_i32 s78, s20, s77
	s_mul_hi_u32 s28, s20, s76
	s_mul_i32 s4, s21, s76
	s_add_nc_u64 s[78:79], s[28:29], s[78:79]
	s_mul_hi_u32 s3, s21, s76
	s_mul_hi_u32 s7, s21, s77
	s_add_co_u32 s4, s78, s4
	s_add_co_ci_u32 s28, s79, s3
	s_mul_i32 s76, s21, s77
	s_add_co_ci_u32 s77, s7, 0
	s_delay_alu instid0(SALU_CYCLE_1) | instskip(NEXT) | instid1(SALU_CYCLE_1)
	s_add_nc_u64 s[76:77], s[28:29], s[76:77]
	s_add_co_u32 s20, s20, s76
	s_cselect_b32 s3, -1, 0
	s_delay_alu instid0(SALU_CYCLE_1) | instskip(SKIP_1) | instid1(SALU_CYCLE_1)
	s_cmp_lg_u32 s3, 0
	s_add_co_ci_u32 s21, s21, s77
	s_mul_u64 s[48:49], s[48:49], s[20:21]
	s_delay_alu instid0(SALU_CYCLE_1)
	s_mul_hi_u32 s77, s20, s49
	s_mul_i32 s76, s20, s49
	s_mul_hi_u32 s28, s20, s48
	s_mul_i32 s4, s21, s48
	s_add_nc_u64 s[76:77], s[28:29], s[76:77]
	s_mul_hi_u32 s3, s21, s48
	s_mul_hi_u32 s7, s21, s49
	s_add_co_u32 s4, s76, s4
	s_add_co_ci_u32 s28, s77, s3
	s_mul_i32 s48, s21, s49
	s_add_co_ci_u32 s49, s7, 0
	s_delay_alu instid0(SALU_CYCLE_1) | instskip(NEXT) | instid1(SALU_CYCLE_1)
	s_add_nc_u64 s[48:49], s[28:29], s[48:49]
	s_add_co_u32 s3, s20, s48
	s_cselect_b32 s4, -1, 0
	s_mul_hi_u32 s28, s18, s3
	s_cmp_lg_u32 s4, 0
	s_mul_hi_u32 s4, s19, s3
	s_add_co_ci_u32 s7, s21, s49
	s_mul_i32 s3, s19, s3
	s_mul_hi_u32 s21, s18, s7
	s_mul_i32 s20, s18, s7
	s_mul_hi_u32 s8, s19, s7
	s_add_nc_u64 s[20:21], s[28:29], s[20:21]
	s_mul_i32 s48, s19, s7
	s_add_co_u32 s3, s20, s3
	s_add_co_ci_u32 s28, s21, s4
	s_add_co_ci_u32 s49, s8, 0
	s_delay_alu instid0(SALU_CYCLE_1) | instskip(NEXT) | instid1(SALU_CYCLE_1)
	s_add_nc_u64 s[20:21], s[28:29], s[48:49]
	s_and_b64 s[48:49], s[20:21], 0xffffffff00000000
	s_delay_alu instid0(SALU_CYCLE_1) | instskip(NEXT) | instid1(SALU_CYCLE_1)
	s_or_b32 s48, s48, s20
	s_mul_u64 s[20:21], s[40:41], s[48:49]
	s_delay_alu instid0(SALU_CYCLE_1) | instskip(SKIP_1) | instid1(SALU_CYCLE_1)
	s_sub_co_u32 s3, s18, s20
	s_cselect_b32 s4, -1, 0
	s_cmp_lg_u32 s4, 0
	s_sub_co_ci_u32 s4, s19, s21
	s_sub_co_u32 s7, s3, s40
	s_cselect_b32 s8, -1, 0
	s_delay_alu instid0(SALU_CYCLE_1) | instskip(SKIP_3) | instid1(SALU_CYCLE_1)
	s_cmp_lg_u32 s8, 0
	s_sub_co_ci_u32 s8, s4, 0
	s_sub_co_u32 s20, s7, s40
	s_cselect_b32 s21, -1, 0
	s_cmp_lg_u32 s21, 0
	s_sub_co_ci_u32 s21, s8, 0
	s_cmp_ge_u32 s7, s40
	s_cselect_b32 s28, -1, 0
	s_cmp_eq_u32 s8, 0
	s_cselect_b32 s28, s28, -1
	s_delay_alu instid0(SALU_CYCLE_1)
	s_cmp_lg_u32 s28, 0
	s_cselect_b32 s8, s21, s8
	s_cselect_b32 s7, s20, s7
	s_cmp_ge_u32 s3, s40
	s_cselect_b32 s20, -1, 0
	s_cmp_eq_u32 s4, 0
	s_cselect_b32 s20, s20, -1
	s_delay_alu instid0(SALU_CYCLE_1)
	s_cmp_lg_u32 s20, 0
	s_cselect_b32 s21, s8, s4
	s_cselect_b32 s20, s7, s3
	s_cbranch_execnz .LBB129_345
.LBB129_344:                            ;   in Loop: Header=BB129_31 Depth=1
	v_cvt_f32_u32_e32 v6, s40
	s_sub_co_i32 s4, 0, s40
	s_delay_alu instid0(VALU_DEP_1) | instskip(SKIP_1) | instid1(TRANS32_DEP_1)
	v_rcp_iflag_f32_e32 v6, v6
	v_nop
	v_mul_f32_e32 v6, 0x4f7ffffe, v6
	s_delay_alu instid0(VALU_DEP_1) | instskip(NEXT) | instid1(VALU_DEP_1)
	v_cvt_u32_f32_e32 v6, v6
	v_readfirstlane_b32 s3, v6
	s_mul_i32 s4, s4, s3
	s_delay_alu instid0(SALU_CYCLE_1) | instskip(NEXT) | instid1(SALU_CYCLE_1)
	s_mul_hi_u32 s4, s3, s4
	s_add_co_i32 s3, s3, s4
	s_delay_alu instid0(SALU_CYCLE_1) | instskip(NEXT) | instid1(SALU_CYCLE_1)
	s_mul_hi_u32 s3, s18, s3
	s_mul_i32 s3, s3, s40
	s_delay_alu instid0(SALU_CYCLE_1) | instskip(NEXT) | instid1(SALU_CYCLE_1)
	s_sub_co_i32 s3, s18, s3
	s_sub_co_i32 s4, s3, s40
	s_cmp_ge_u32 s3, s40
	s_cselect_b32 s3, s4, s3
	s_delay_alu instid0(SALU_CYCLE_1) | instskip(SKIP_2) | instid1(SALU_CYCLE_1)
	s_sub_co_i32 s4, s3, s40
	s_cmp_ge_u32 s3, s40
	s_cselect_b32 s28, s4, s3
	s_mov_b64 s[20:21], s[28:29]
.LBB129_345:                            ;   in Loop: Header=BB129_31 Depth=1
	s_delay_alu instid0(SALU_CYCLE_1)
	s_sub_nc_u64 s[18:19], s[18:19], s[20:21]
	s_mov_b32 s20, 0
	s_mov_b32 s8, 0
	s_mov_b32 s21, exec_lo
                                        ; implicit-def: $vgpr44
	v_cmpx_gt_u64_e64 s[18:19], v[0:1]
	s_cbranch_execz .LBB129_359
; %bb.346:                              ;   in Loop: Header=BB129_31 Depth=1
	v_mov_b64_e32 v[6:7], v[0:1]
	v_mov_b32_e32 v8, v0
                                        ; implicit-def: $sgpr28
	s_branch .LBB129_349
.LBB129_347:                            ;   in Loop: Header=BB129_349 Depth=2
	s_or_b32 exec_lo, exec_lo, s7
	s_wait_dscnt 0x0
	s_barrier_signal -1
	s_barrier_wait -1
	ds_load_u16 v9, v3 offset:3072
	s_mov_b32 s4, -1
	s_mov_b32 s7, -1
	s_wait_dscnt 0x0
	s_barrier_signal -1
	s_barrier_wait -1
	v_and_b32_e32 v10, 0xff, v9
	s_delay_alu instid0(VALU_DEP_1)
	v_cmp_ne_u32_e32 vcc_lo, 0, v10
	s_cbranch_vccz .LBB129_352
.LBB129_348:                            ;   in Loop: Header=BB129_349 Depth=2
	s_and_b32 s3, exec_lo, s4
	s_delay_alu instid0(SALU_CYCLE_1) | instskip(SKIP_2) | instid1(SALU_CYCLE_1)
	s_or_b32 s8, s3, s8
	s_and_not1_b32 s3, s28, exec_lo
	s_and_b32 s4, s7, exec_lo
	s_or_b32 s28, s3, s4
	s_and_not1_b32 exec_lo, exec_lo, s8
	s_cbranch_execz .LBB129_358
.LBB129_349:                            ;   Parent Loop BB129_31 Depth=1
                                        ; =>  This Inner Loop Header: Depth=2
	s_mov_b32 s7, exec_lo
	s_delay_alu instid0(VALU_DEP_2)
	v_cmpx_gt_u64_e64 s[10:11], v[6:7]
	s_cbranch_execz .LBB129_347
; %bb.350:                              ;   in Loop: Header=BB129_349 Depth=2
	ds_load_u8 v9, v8
	s_wait_dscnt 0x0
	v_bitop3_b32 v10, v9, 0xff, v43 bitop3:0x80
	s_delay_alu instid0(VALU_DEP_1)
	v_cmp_eq_u32_e32 vcc_lo, v10, v41
	s_and_b32 exec_lo, exec_lo, vcc_lo
	s_cbranch_execz .LBB129_347
; %bb.351:                              ;   in Loop: Header=BB129_349 Depth=2
	v_lshlrev_b16 v9, 8, v9
	s_delay_alu instid0(VALU_DEP_1)
	v_or_b32_e32 v9, 1, v9
	ds_store_b16 v3, v9 offset:3072
	s_branch .LBB129_347
.LBB129_352:                            ;   in Loop: Header=BB129_349 Depth=2
	v_add_nc_u64_e32 v[6:7], s[40:41], v[6:7]
	v_add_nc_u32_e32 v8, s40, v8
	s_mov_b32 s7, 0
	s_delay_alu instid0(VALU_DEP_2)
	v_cmp_le_u64_e32 vcc_lo, s[18:19], v[6:7]
	s_or_not1_b32 s4, vcc_lo, exec_lo
	s_branch .LBB129_348
.LBB129_353:                            ;   in Loop: Header=BB129_31 Depth=1
                                        ; implicit-def: $sgpr22_sgpr23
	s_branch .LBB129_303
.LBB129_354:                            ;   in Loop: Header=BB129_31 Depth=1
                                        ; implicit-def: $sgpr10_sgpr11
	s_branch .LBB129_318
.LBB129_355:                            ;   in Loop: Header=BB129_31 Depth=1
	s_and_saveexec_b32 s4, s5
; %bb.356:                              ;   in Loop: Header=BB129_31 Depth=1
	v_mov_b64_e32 v[4:5], s[18:19]
	ds_store_b64 v3, v[4:5] offset:5128
; %bb.357:                              ;   in Loop: Header=BB129_31 Depth=1
	s_or_b32 exec_lo, exec_lo, s4
	s_wait_dscnt 0x0
	s_barrier_signal -1
	s_barrier_wait -1
	s_or_saveexec_b32 s7, s7
	v_mov_b32_e32 v2, 5
	s_xor_b32 exec_lo, exec_lo, s7
	s_cbranch_execnz .LBB129_335
	s_branch .LBB129_336
.LBB129_358:                            ;   in Loop: Header=BB129_31 Depth=1
	s_or_b32 exec_lo, exec_lo, s8
	v_and_b32_e32 v6, 0xffff, v9
	s_and_b32 s8, s28, exec_lo
	s_delay_alu instid0(VALU_DEP_1)
	v_lshrrev_b32_e32 v44, 8, v6
.LBB129_359:                            ;   in Loop: Header=BB129_31 Depth=1
	s_or_b32 exec_lo, exec_lo, s21
.LBB129_360:                            ;   in Loop: Header=BB129_31 Depth=1
	s_delay_alu instid0(SALU_CYCLE_1)
	s_and_b32 vcc_lo, exec_lo, s20
	s_cbranch_vccz .LBB129_374
; %bb.361:                              ;   in Loop: Header=BB129_31 Depth=1
	s_and_b64 s[10:11], s[64:65], 0xffffffff00000000
	s_delay_alu instid0(SALU_CYCLE_1)
	s_cmp_lg_u64 s[10:11], 0
	s_cbranch_scc0 .LBB129_402
; %bb.362:                              ;   in Loop: Header=BB129_31 Depth=1
	s_cvt_f32_u32 s3, s40
	s_sub_nc_u64 s[18:19], 0, s[40:41]
	s_delay_alu instid0(SALU_CYCLE_2) | instskip(NEXT) | instid1(SALU_CYCLE_3)
	s_fmamk_f32 s3, s100, 0x0, s3
	v_s_rcp_f32 s3, s3
	s_delay_alu instid0(TRANS32_DEP_1) | instskip(NEXT) | instid1(SALU_CYCLE_3)
	s_mul_f32 s3, s3, 0x5f7ffffc
	s_mul_f32 s4, s3, 0x2f800000
	s_delay_alu instid0(SALU_CYCLE_3) | instskip(NEXT) | instid1(SALU_CYCLE_3)
	s_trunc_f32 s4, s4
	s_fmamk_f32 s3, s4, 0xcf800000, s3
	s_cvt_u32_f32 s11, s4
	s_delay_alu instid0(SALU_CYCLE_2) | instskip(NEXT) | instid1(SALU_CYCLE_3)
	s_cvt_u32_f32 s10, s3
	s_mul_u64 s[20:21], s[18:19], s[10:11]
	s_delay_alu instid0(SALU_CYCLE_1)
	s_mul_hi_u32 s49, s10, s21
	s_mul_i32 s48, s10, s21
	s_mul_hi_u32 s28, s10, s20
	s_mul_i32 s4, s11, s20
	s_add_nc_u64 s[48:49], s[28:29], s[48:49]
	s_mul_hi_u32 s3, s11, s20
	s_mul_hi_u32 s7, s11, s21
	s_add_co_u32 s4, s48, s4
	s_add_co_ci_u32 s28, s49, s3
	s_mul_i32 s20, s11, s21
	s_add_co_ci_u32 s21, s7, 0
	s_delay_alu instid0(SALU_CYCLE_1) | instskip(NEXT) | instid1(SALU_CYCLE_1)
	s_add_nc_u64 s[20:21], s[28:29], s[20:21]
	s_add_co_u32 s10, s10, s20
	s_cselect_b32 s3, -1, 0
	s_delay_alu instid0(SALU_CYCLE_1) | instskip(SKIP_1) | instid1(SALU_CYCLE_1)
	s_cmp_lg_u32 s3, 0
	s_add_co_ci_u32 s11, s11, s21
	s_mul_u64 s[18:19], s[18:19], s[10:11]
	s_delay_alu instid0(SALU_CYCLE_1)
	s_mul_hi_u32 s21, s10, s19
	s_mul_i32 s20, s10, s19
	s_mul_hi_u32 s28, s10, s18
	s_mul_i32 s4, s11, s18
	s_add_nc_u64 s[20:21], s[28:29], s[20:21]
	s_mul_hi_u32 s3, s11, s18
	s_mul_hi_u32 s7, s11, s19
	s_add_co_u32 s4, s20, s4
	s_add_co_ci_u32 s28, s21, s3
	s_mul_i32 s18, s11, s19
	s_add_co_ci_u32 s19, s7, 0
	s_delay_alu instid0(SALU_CYCLE_1) | instskip(NEXT) | instid1(SALU_CYCLE_1)
	s_add_nc_u64 s[18:19], s[28:29], s[18:19]
	s_add_co_u32 s3, s10, s18
	s_cselect_b32 s4, -1, 0
	s_mul_hi_u32 s28, s64, s3
	s_cmp_lg_u32 s4, 0
	s_mul_hi_u32 s4, s65, s3
	s_add_co_ci_u32 s7, s11, s19
	s_mul_i32 s3, s65, s3
	s_mul_hi_u32 s11, s64, s7
	s_mul_i32 s10, s64, s7
	s_mul_hi_u32 s19, s65, s7
	s_add_nc_u64 s[10:11], s[28:29], s[10:11]
	s_mul_i32 s18, s65, s7
	s_add_co_u32 s3, s10, s3
	s_add_co_ci_u32 s28, s11, s4
	s_add_co_ci_u32 s19, s19, 0
	s_delay_alu instid0(SALU_CYCLE_1) | instskip(NEXT) | instid1(SALU_CYCLE_1)
	s_add_nc_u64 s[10:11], s[28:29], s[18:19]
	s_and_b64 s[18:19], s[10:11], 0xffffffff00000000
	s_delay_alu instid0(SALU_CYCLE_1) | instskip(NEXT) | instid1(SALU_CYCLE_1)
	s_or_b32 s18, s18, s10
	s_mul_u64 s[10:11], s[40:41], s[18:19]
	s_delay_alu instid0(SALU_CYCLE_1) | instskip(SKIP_1) | instid1(SALU_CYCLE_1)
	s_sub_co_u32 s3, s64, s10
	s_cselect_b32 s4, -1, 0
	s_cmp_lg_u32 s4, 0
	s_sub_co_ci_u32 s4, s65, s11
	s_sub_co_u32 s7, s3, s40
	s_cselect_b32 s10, -1, 0
	s_delay_alu instid0(SALU_CYCLE_1) | instskip(SKIP_3) | instid1(SALU_CYCLE_1)
	s_cmp_lg_u32 s10, 0
	s_sub_co_ci_u32 s10, s4, 0
	s_sub_co_u32 s11, s7, s40
	s_cselect_b32 s18, -1, 0
	s_cmp_lg_u32 s18, 0
	s_sub_co_ci_u32 s18, s10, 0
	s_cmp_ge_u32 s7, s40
	s_cselect_b32 s19, -1, 0
	s_cmp_eq_u32 s10, 0
	s_cselect_b32 s19, s19, -1
	s_delay_alu instid0(SALU_CYCLE_1)
	s_cmp_lg_u32 s19, 0
	s_cselect_b32 s10, s18, s10
	s_cselect_b32 s7, s11, s7
	s_cmp_ge_u32 s3, s40
	s_cselect_b32 s11, -1, 0
	s_cmp_eq_u32 s4, 0
	s_cselect_b32 s11, s11, -1
	s_delay_alu instid0(SALU_CYCLE_1)
	s_cmp_lg_u32 s11, 0
	s_cselect_b32 s11, s10, s4
	s_cselect_b32 s10, s7, s3
	s_cbranch_execnz .LBB129_364
.LBB129_363:                            ;   in Loop: Header=BB129_31 Depth=1
	v_cvt_f32_u32_e32 v6, s40
	s_sub_co_i32 s4, 0, s40
	s_delay_alu instid0(VALU_DEP_1) | instskip(SKIP_1) | instid1(TRANS32_DEP_1)
	v_rcp_iflag_f32_e32 v6, v6
	v_nop
	v_mul_f32_e32 v6, 0x4f7ffffe, v6
	s_delay_alu instid0(VALU_DEP_1) | instskip(NEXT) | instid1(VALU_DEP_1)
	v_cvt_u32_f32_e32 v6, v6
	v_readfirstlane_b32 s3, v6
	s_mul_i32 s4, s4, s3
	s_delay_alu instid0(SALU_CYCLE_1) | instskip(NEXT) | instid1(SALU_CYCLE_1)
	s_mul_hi_u32 s4, s3, s4
	s_add_co_i32 s3, s3, s4
	s_delay_alu instid0(SALU_CYCLE_1) | instskip(NEXT) | instid1(SALU_CYCLE_1)
	s_mul_hi_u32 s3, s64, s3
	s_mul_i32 s3, s3, s40
	s_delay_alu instid0(SALU_CYCLE_1) | instskip(NEXT) | instid1(SALU_CYCLE_1)
	s_sub_co_i32 s3, s64, s3
	s_sub_co_i32 s4, s3, s40
	s_cmp_ge_u32 s3, s40
	s_cselect_b32 s3, s4, s3
	s_delay_alu instid0(SALU_CYCLE_1) | instskip(SKIP_2) | instid1(SALU_CYCLE_1)
	s_sub_co_i32 s4, s3, s40
	s_cmp_ge_u32 s3, s40
	s_cselect_b32 s28, s4, s3
	s_mov_b64 s[10:11], s[28:29]
.LBB129_364:                            ;   in Loop: Header=BB129_31 Depth=1
	s_delay_alu instid0(SALU_CYCLE_1)
	s_sub_nc_u64 s[10:11], s[64:65], s[10:11]
	s_mov_b32 s18, exec_lo
                                        ; implicit-def: $vgpr44
	v_cmpx_gt_u64_e64 s[10:11], v[0:1]
	s_cbranch_execz .LBB129_373
; %bb.365:                              ;   in Loop: Header=BB129_31 Depth=1
	v_mov_b64_e32 v[6:7], v[30:31]
	v_mov_b64_e32 v[8:9], v[0:1]
	s_mov_b32 s19, 0
                                        ; implicit-def: $sgpr20
	s_branch .LBB129_368
.LBB129_366:                            ;   in Loop: Header=BB129_368 Depth=2
	s_or_b32 exec_lo, exec_lo, s7
	s_wait_dscnt 0x0
	s_barrier_signal -1
	s_barrier_wait -1
	ds_load_u16 v10, v3 offset:3072
	s_mov_b32 s4, -1
	s_mov_b32 s7, -1
	s_wait_dscnt 0x0
	s_barrier_signal -1
	s_barrier_wait -1
	v_and_b32_e32 v11, 0xff, v10
	s_delay_alu instid0(VALU_DEP_1)
	v_cmp_eq_u32_e32 vcc_lo, 0, v11
	s_cbranch_vccnz .LBB129_371
.LBB129_367:                            ;   in Loop: Header=BB129_368 Depth=2
	s_and_b32 s3, exec_lo, s4
	s_delay_alu instid0(SALU_CYCLE_1) | instskip(SKIP_2) | instid1(SALU_CYCLE_1)
	s_or_b32 s19, s3, s19
	s_and_not1_b32 s3, s20, exec_lo
	s_and_b32 s4, s7, exec_lo
	s_or_b32 s20, s3, s4
	s_and_not1_b32 exec_lo, exec_lo, s19
	s_cbranch_execz .LBB129_372
.LBB129_368:                            ;   Parent Loop BB129_31 Depth=1
                                        ; =>  This Inner Loop Header: Depth=2
	s_mov_b32 s7, exec_lo
	s_delay_alu instid0(VALU_DEP_1)
	v_cmpx_gt_u64_e64 s[36:37], v[8:9]
	s_cbranch_execz .LBB129_366
; %bb.369:                              ;   in Loop: Header=BB129_368 Depth=2
	global_load_u8 v10, v[6:7], off
	s_wait_loadcnt 0x0
	v_bitop3_b32 v11, v10, 0xff, v43 bitop3:0x80
	s_delay_alu instid0(VALU_DEP_1)
	v_cmp_eq_u32_e32 vcc_lo, v11, v41
	s_and_b32 exec_lo, exec_lo, vcc_lo
	s_cbranch_execz .LBB129_366
; %bb.370:                              ;   in Loop: Header=BB129_368 Depth=2
	v_lshlrev_b16 v10, 8, v10
	s_delay_alu instid0(VALU_DEP_1)
	v_or_b32_e32 v10, 1, v10
	ds_store_b16 v3, v10 offset:3072
	s_branch .LBB129_366
.LBB129_371:                            ;   in Loop: Header=BB129_368 Depth=2
	v_add_nc_u64_e32 v[8:9], s[40:41], v[8:9]
	v_add_nc_u64_e32 v[6:7], s[44:45], v[6:7]
	s_mov_b32 s7, 0
	s_delay_alu instid0(VALU_DEP_2)
	v_cmp_le_u64_e32 vcc_lo, s[10:11], v[8:9]
	s_or_not1_b32 s4, vcc_lo, exec_lo
	s_branch .LBB129_367
.LBB129_372:                            ;   in Loop: Header=BB129_31 Depth=1
	s_or_b32 exec_lo, exec_lo, s19
	v_and_b32_e32 v6, 0xffff, v10
	s_and_not1_b32 s3, s8, exec_lo
	s_and_b32 s4, s20, exec_lo
	s_delay_alu instid0(SALU_CYCLE_1) | instskip(NEXT) | instid1(VALU_DEP_1)
	s_or_b32 s8, s3, s4
	v_lshrrev_b32_e32 v44, 8, v6
.LBB129_373:                            ;   in Loop: Header=BB129_31 Depth=1
	s_or_b32 exec_lo, exec_lo, s18
	s_mov_b32 s23, 0
	s_mov_b32 s72, -1
.LBB129_374:                            ;   in Loop: Header=BB129_31 Depth=1
	s_or_not1_b32 s7, s8, exec_lo
.LBB129_375:                            ;   in Loop: Header=BB129_31 Depth=1
	s_or_b32 exec_lo, exec_lo, s75
	s_mov_b32 s8, 0
	s_and_saveexec_b32 s20, s7
	s_cbranch_execz .LBB129_484
; %bb.376:                              ;   in Loop: Header=BB129_31 Depth=1
	v_mov_b64_e32 v[6:7], 1
	v_mov_b32_e32 v2, 1
	s_xor_b32 s3, s73, -1
	s_mov_b32 s10, 0
	s_and_saveexec_b32 s8, s3
	s_cbranch_execz .LBB129_385
; %bb.377:                              ;   in Loop: Header=BB129_31 Depth=1
	s_mov_b32 s3, exec_lo
	v_cmpx_ge_u64_e64 s[16:17], v[4:5]
	s_xor_b32 s7, exec_lo, s3
	s_cbranch_execz .LBB129_382
; %bb.378:                              ;   in Loop: Header=BB129_31 Depth=1
	ds_load_b64 v[6:7], v3 offset:5120
	s_lshl_b32 s3, 2, s99
	v_or_b32_e32 v43, s24, v43
	v_and_or_b32 v41, v41, s25, s3
	s_wait_dscnt 0x0
	v_cmp_ne_u64_e32 vcc_lo, 0, v[6:7]
	s_cbranch_vccnz .LBB129_382
; %bb.379:                              ;   in Loop: Header=BB129_31 Depth=1
	s_and_saveexec_b32 s4, s5
; %bb.380:                              ;   in Loop: Header=BB129_31 Depth=1
	v_mov_b64_e32 v[6:7], s[16:17]
	ds_store_b64 v3, v[6:7] offset:5128
; %bb.381:                              ;   in Loop: Header=BB129_31 Depth=1
	s_or_b32 exec_lo, exec_lo, s4
	s_wait_dscnt 0x0
	s_barrier_signal -1
	s_barrier_wait -1
.LBB129_382:                            ;   in Loop: Header=BB129_31 Depth=1
	s_or_saveexec_b32 s7, s7
	v_mov_b32_e32 v2, 5
	s_xor_b32 exec_lo, exec_lo, s7
; %bb.383:                              ;   in Loop: Header=BB129_31 Depth=1
	v_sub_nc_u64_e64 v[4:5], v[4:5], s[16:17]
	v_mov_b32_e32 v2, 0
	s_mov_b32 s10, exec_lo
; %bb.384:                              ;   in Loop: Header=BB129_31 Depth=1
	s_or_b32 exec_lo, exec_lo, s7
	s_delay_alu instid0(VALU_DEP_2)
	v_mov_b64_e32 v[6:7], v[4:5]
	s_and_b32 s10, s10, exec_lo
.LBB129_385:                            ;   in Loop: Header=BB129_31 Depth=1
	s_or_b32 exec_lo, exec_lo, s8
	s_mov_b32 s7, -1
                                        ; implicit-def: $sgpr73
                                        ; implicit-def: $sgpr75
	s_and_saveexec_b32 s21, s10
	s_cbranch_execz .LBB129_483
; %bb.386:                              ;   in Loop: Header=BB129_31 Depth=1
	s_delay_alu instid0(VALU_DEP_1) | instskip(SKIP_2) | instid1(SALU_CYCLE_1)
	v_cmp_eq_u64_e32 vcc_lo, 1, v[6:7]
	s_cmp_eq_u64 s[14:15], 1
                                        ; implicit-def: $sgpr75
                                        ; implicit-def: $sgpr73
	s_cselect_b32 s3, -1, 0
	s_and_b32 s76, s3, vcc_lo
	s_delay_alu instid0(SALU_CYCLE_1)
	s_and_saveexec_b32 s77, s76
	s_cbranch_execz .LBB129_420
; %bb.387:                              ;   in Loop: Header=BB129_31 Depth=1
	ds_load_b64 v[4:5], v3 offset:5120
	s_wait_dscnt 0x0
	s_barrier_signal -1
	s_barrier_wait -1
	v_readfirstlane_b32 s10, v4
	v_readfirstlane_b32 s11, v5
	s_and_saveexec_b32 s4, s6
; %bb.388:                              ;   in Loop: Header=BB129_31 Depth=1
	ds_store_b8 v0, v3 offset:3072
; %bb.389:                              ;   in Loop: Header=BB129_31 Depth=1
	s_or_b32 exec_lo, exec_lo, s4
	s_lshl_b32 s3, 1, s99
	v_or_b32_e32 v43, s24, v43
	v_and_or_b32 v41, v41, s25, s3
	s_mov_b32 s73, -1
	s_mov_b32 s75, 0
	s_cmp_eq_u64 s[10:11], 0
	s_mov_b32 s8, 0
	s_mov_b32 s18, -1
	s_wait_dscnt 0x0
	s_barrier_signal -1
	s_barrier_wait -1
                                        ; implicit-def: $vgpr44
	s_cbranch_scc1 .LBB129_405
; %bb.390:                              ;   in Loop: Header=BB129_31 Depth=1
	s_add_nc_u64 s[16:17], s[10:11], s[62:63]
	s_delay_alu instid0(SALU_CYCLE_1) | instskip(NEXT) | instid1(SALU_CYCLE_1)
	s_and_b64 s[18:19], s[16:17], 0xffffffff00000000
	s_cmp_lg_u64 s[18:19], 0
	s_cbranch_scc0 .LBB129_437
; %bb.391:                              ;   in Loop: Header=BB129_31 Depth=1
	s_cvt_f32_u32 s3, s40
	s_sub_nc_u64 s[48:49], 0, s[40:41]
	s_delay_alu instid0(SALU_CYCLE_2) | instskip(NEXT) | instid1(SALU_CYCLE_3)
	s_fmamk_f32 s3, s100, 0x0, s3
	v_s_rcp_f32 s3, s3
	s_delay_alu instid0(TRANS32_DEP_1) | instskip(NEXT) | instid1(SALU_CYCLE_3)
	s_mul_f32 s3, s3, 0x5f7ffffc
	s_mul_f32 s4, s3, 0x2f800000
	s_delay_alu instid0(SALU_CYCLE_3) | instskip(NEXT) | instid1(SALU_CYCLE_3)
	s_trunc_f32 s4, s4
	s_fmamk_f32 s3, s4, 0xcf800000, s3
	s_cvt_u32_f32 s19, s4
	s_delay_alu instid0(SALU_CYCLE_2) | instskip(NEXT) | instid1(SALU_CYCLE_3)
	s_cvt_u32_f32 s18, s3
	s_mul_u64 s[78:79], s[48:49], s[18:19]
	s_delay_alu instid0(SALU_CYCLE_1)
	s_mul_hi_u32 s81, s18, s79
	s_mul_i32 s80, s18, s79
	s_mul_hi_u32 s28, s18, s78
	s_mul_i32 s4, s19, s78
	s_add_nc_u64 s[80:81], s[28:29], s[80:81]
	s_mul_hi_u32 s3, s19, s78
	s_mul_hi_u32 s7, s19, s79
	s_add_co_u32 s4, s80, s4
	s_add_co_ci_u32 s28, s81, s3
	s_mul_i32 s78, s19, s79
	s_add_co_ci_u32 s79, s7, 0
	s_delay_alu instid0(SALU_CYCLE_1) | instskip(NEXT) | instid1(SALU_CYCLE_1)
	s_add_nc_u64 s[78:79], s[28:29], s[78:79]
	s_add_co_u32 s18, s18, s78
	s_cselect_b32 s3, -1, 0
	s_delay_alu instid0(SALU_CYCLE_1) | instskip(SKIP_1) | instid1(SALU_CYCLE_1)
	s_cmp_lg_u32 s3, 0
	s_add_co_ci_u32 s19, s19, s79
	s_mul_u64 s[48:49], s[48:49], s[18:19]
	s_delay_alu instid0(SALU_CYCLE_1)
	s_mul_hi_u32 s79, s18, s49
	s_mul_i32 s78, s18, s49
	s_mul_hi_u32 s28, s18, s48
	s_mul_i32 s4, s19, s48
	s_add_nc_u64 s[78:79], s[28:29], s[78:79]
	s_mul_hi_u32 s3, s19, s48
	s_mul_hi_u32 s7, s19, s49
	s_add_co_u32 s4, s78, s4
	s_add_co_ci_u32 s28, s79, s3
	s_mul_i32 s48, s19, s49
	s_add_co_ci_u32 s49, s7, 0
	s_delay_alu instid0(SALU_CYCLE_1) | instskip(NEXT) | instid1(SALU_CYCLE_1)
	s_add_nc_u64 s[48:49], s[28:29], s[48:49]
	s_add_co_u32 s3, s18, s48
	s_cselect_b32 s4, -1, 0
	s_mul_hi_u32 s28, s16, s3
	s_cmp_lg_u32 s4, 0
	s_mul_hi_u32 s4, s17, s3
	s_add_co_ci_u32 s7, s19, s49
	s_mul_i32 s3, s17, s3
	s_mul_hi_u32 s19, s16, s7
	s_mul_i32 s18, s16, s7
	s_mul_hi_u32 s8, s17, s7
	s_add_nc_u64 s[18:19], s[28:29], s[18:19]
	s_mul_i32 s48, s17, s7
	s_add_co_u32 s3, s18, s3
	s_add_co_ci_u32 s28, s19, s4
	s_add_co_ci_u32 s49, s8, 0
	s_delay_alu instid0(SALU_CYCLE_1) | instskip(NEXT) | instid1(SALU_CYCLE_1)
	s_add_nc_u64 s[18:19], s[28:29], s[48:49]
	s_and_b64 s[48:49], s[18:19], 0xffffffff00000000
	s_delay_alu instid0(SALU_CYCLE_1) | instskip(NEXT) | instid1(SALU_CYCLE_1)
	s_or_b32 s48, s48, s18
	s_mul_u64 s[18:19], s[40:41], s[48:49]
	s_delay_alu instid0(SALU_CYCLE_1) | instskip(SKIP_1) | instid1(SALU_CYCLE_1)
	s_sub_co_u32 s3, s16, s18
	s_cselect_b32 s4, -1, 0
	s_cmp_lg_u32 s4, 0
	s_sub_co_ci_u32 s4, s17, s19
	s_sub_co_u32 s7, s3, s40
	s_cselect_b32 s8, -1, 0
	s_delay_alu instid0(SALU_CYCLE_1) | instskip(SKIP_3) | instid1(SALU_CYCLE_1)
	s_cmp_lg_u32 s8, 0
	s_sub_co_ci_u32 s8, s4, 0
	s_sub_co_u32 s18, s7, s40
	s_cselect_b32 s19, -1, 0
	s_cmp_lg_u32 s19, 0
	s_sub_co_ci_u32 s19, s8, 0
	s_cmp_ge_u32 s7, s40
	s_cselect_b32 s28, -1, 0
	s_cmp_eq_u32 s8, 0
	s_cselect_b32 s28, s28, -1
	s_delay_alu instid0(SALU_CYCLE_1)
	s_cmp_lg_u32 s28, 0
	s_cselect_b32 s8, s19, s8
	s_cselect_b32 s7, s18, s7
	s_cmp_ge_u32 s3, s40
	s_cselect_b32 s18, -1, 0
	s_cmp_eq_u32 s4, 0
	s_cselect_b32 s18, s18, -1
	s_delay_alu instid0(SALU_CYCLE_1)
	s_cmp_lg_u32 s18, 0
	s_cselect_b32 s19, s8, s4
	s_cselect_b32 s18, s7, s3
	s_cbranch_execnz .LBB129_393
.LBB129_392:                            ;   in Loop: Header=BB129_31 Depth=1
	v_cvt_f32_u32_e32 v4, s40
	s_sub_co_i32 s4, 0, s40
	s_delay_alu instid0(VALU_DEP_1) | instskip(SKIP_1) | instid1(TRANS32_DEP_1)
	v_rcp_iflag_f32_e32 v4, v4
	v_nop
	v_mul_f32_e32 v4, 0x4f7ffffe, v4
	s_delay_alu instid0(VALU_DEP_1) | instskip(NEXT) | instid1(VALU_DEP_1)
	v_cvt_u32_f32_e32 v4, v4
	v_readfirstlane_b32 s3, v4
	s_mul_i32 s4, s4, s3
	s_delay_alu instid0(SALU_CYCLE_1) | instskip(NEXT) | instid1(SALU_CYCLE_1)
	s_mul_hi_u32 s4, s3, s4
	s_add_co_i32 s3, s3, s4
	s_delay_alu instid0(SALU_CYCLE_1) | instskip(NEXT) | instid1(SALU_CYCLE_1)
	s_mul_hi_u32 s3, s16, s3
	s_mul_i32 s3, s3, s40
	s_delay_alu instid0(SALU_CYCLE_1) | instskip(NEXT) | instid1(SALU_CYCLE_1)
	s_sub_co_i32 s3, s16, s3
	s_sub_co_i32 s4, s3, s40
	s_cmp_ge_u32 s3, s40
	s_cselect_b32 s3, s4, s3
	s_delay_alu instid0(SALU_CYCLE_1) | instskip(SKIP_2) | instid1(SALU_CYCLE_1)
	s_sub_co_i32 s4, s3, s40
	s_cmp_ge_u32 s3, s40
	s_cselect_b32 s28, s4, s3
	s_mov_b64 s[18:19], s[28:29]
.LBB129_393:                            ;   in Loop: Header=BB129_31 Depth=1
	s_delay_alu instid0(SALU_CYCLE_1)
	s_sub_nc_u64 s[16:17], s[16:17], s[18:19]
	s_mov_b32 s18, 0
	s_mov_b32 s8, 0
	s_mov_b32 s19, exec_lo
                                        ; implicit-def: $vgpr44
	v_cmpx_gt_u64_e64 s[16:17], v[0:1]
	s_cbranch_execz .LBB129_404
; %bb.394:                              ;   in Loop: Header=BB129_31 Depth=1
	v_mov_b64_e32 v[4:5], v[0:1]
	v_mov_b32_e32 v8, v0
                                        ; implicit-def: $sgpr28
	s_branch .LBB129_397
.LBB129_395:                            ;   in Loop: Header=BB129_397 Depth=2
	s_or_b32 exec_lo, exec_lo, s7
	s_wait_dscnt 0x0
	s_barrier_signal -1
	s_barrier_wait -1
	ds_load_u16 v9, v3 offset:3072
	s_mov_b32 s4, -1
	s_mov_b32 s7, -1
	s_wait_dscnt 0x0
	s_barrier_signal -1
	s_barrier_wait -1
	v_and_b32_e32 v10, 0xff, v9
	s_delay_alu instid0(VALU_DEP_1)
	v_cmp_ne_u32_e32 vcc_lo, 0, v10
	s_cbranch_vccz .LBB129_400
.LBB129_396:                            ;   in Loop: Header=BB129_397 Depth=2
	s_and_b32 s3, exec_lo, s4
	s_delay_alu instid0(SALU_CYCLE_1) | instskip(SKIP_2) | instid1(SALU_CYCLE_1)
	s_or_b32 s8, s3, s8
	s_and_not1_b32 s3, s28, exec_lo
	s_and_b32 s4, s7, exec_lo
	s_or_b32 s28, s3, s4
	s_and_not1_b32 exec_lo, exec_lo, s8
	s_cbranch_execz .LBB129_403
.LBB129_397:                            ;   Parent Loop BB129_31 Depth=1
                                        ; =>  This Inner Loop Header: Depth=2
	s_mov_b32 s7, exec_lo
	s_delay_alu instid0(VALU_DEP_2)
	v_cmpx_gt_u64_e64 s[10:11], v[4:5]
	s_cbranch_execz .LBB129_395
; %bb.398:                              ;   in Loop: Header=BB129_397 Depth=2
	ds_load_u8 v9, v8
	s_wait_dscnt 0x0
	v_bitop3_b32 v10, v9, 0xff, v43 bitop3:0x80
	s_delay_alu instid0(VALU_DEP_1)
	v_cmp_eq_u32_e32 vcc_lo, v10, v41
	s_and_b32 exec_lo, exec_lo, vcc_lo
	s_cbranch_execz .LBB129_395
; %bb.399:                              ;   in Loop: Header=BB129_397 Depth=2
	v_lshlrev_b16 v9, 8, v9
	s_delay_alu instid0(VALU_DEP_1)
	v_or_b32_e32 v9, 1, v9
	ds_store_b16 v3, v9 offset:3072
	s_branch .LBB129_395
.LBB129_400:                            ;   in Loop: Header=BB129_397 Depth=2
	v_add_nc_u64_e32 v[4:5], s[40:41], v[4:5]
	v_add_nc_u32_e32 v8, s40, v8
	s_mov_b32 s7, 0
	s_delay_alu instid0(VALU_DEP_2)
	v_cmp_le_u64_e32 vcc_lo, s[16:17], v[4:5]
	s_or_not1_b32 s4, vcc_lo, exec_lo
	s_branch .LBB129_396
.LBB129_401:                            ;   in Loop: Header=BB129_31 Depth=1
                                        ; implicit-def: $sgpr20_sgpr21
	s_branch .LBB129_344
.LBB129_402:                            ;   in Loop: Header=BB129_31 Depth=1
                                        ; implicit-def: $sgpr10_sgpr11
	s_branch .LBB129_363
.LBB129_403:                            ;   in Loop: Header=BB129_31 Depth=1
	s_or_b32 exec_lo, exec_lo, s8
	v_and_b32_e32 v4, 0xffff, v9
	s_and_b32 s8, s28, exec_lo
	s_delay_alu instid0(VALU_DEP_1)
	v_lshrrev_b32_e32 v44, 8, v4
.LBB129_404:                            ;   in Loop: Header=BB129_31 Depth=1
	s_or_b32 exec_lo, exec_lo, s19
.LBB129_405:                            ;   in Loop: Header=BB129_31 Depth=1
	s_delay_alu instid0(SALU_CYCLE_1)
	s_and_b32 vcc_lo, exec_lo, s18
	s_cbranch_vccz .LBB129_419
; %bb.406:                              ;   in Loop: Header=BB129_31 Depth=1
	s_and_b64 s[10:11], s[64:65], 0xffffffff00000000
	s_delay_alu instid0(SALU_CYCLE_1)
	s_cmp_lg_u64 s[10:11], 0
	s_cbranch_scc0 .LBB129_438
; %bb.407:                              ;   in Loop: Header=BB129_31 Depth=1
	s_cvt_f32_u32 s3, s40
	s_sub_nc_u64 s[16:17], 0, s[40:41]
	s_delay_alu instid0(SALU_CYCLE_2) | instskip(NEXT) | instid1(SALU_CYCLE_3)
	s_fmamk_f32 s3, s100, 0x0, s3
	v_s_rcp_f32 s3, s3
	s_delay_alu instid0(TRANS32_DEP_1) | instskip(NEXT) | instid1(SALU_CYCLE_3)
	s_mul_f32 s3, s3, 0x5f7ffffc
	s_mul_f32 s4, s3, 0x2f800000
	s_delay_alu instid0(SALU_CYCLE_3) | instskip(NEXT) | instid1(SALU_CYCLE_3)
	s_trunc_f32 s4, s4
	s_fmamk_f32 s3, s4, 0xcf800000, s3
	s_cvt_u32_f32 s11, s4
	s_delay_alu instid0(SALU_CYCLE_2) | instskip(NEXT) | instid1(SALU_CYCLE_3)
	s_cvt_u32_f32 s10, s3
	s_mul_u64 s[18:19], s[16:17], s[10:11]
	s_delay_alu instid0(SALU_CYCLE_1)
	s_mul_hi_u32 s49, s10, s19
	s_mul_i32 s48, s10, s19
	s_mul_hi_u32 s28, s10, s18
	s_mul_i32 s4, s11, s18
	s_add_nc_u64 s[48:49], s[28:29], s[48:49]
	s_mul_hi_u32 s3, s11, s18
	s_mul_hi_u32 s7, s11, s19
	s_add_co_u32 s4, s48, s4
	s_add_co_ci_u32 s28, s49, s3
	s_mul_i32 s18, s11, s19
	s_add_co_ci_u32 s19, s7, 0
	s_delay_alu instid0(SALU_CYCLE_1) | instskip(NEXT) | instid1(SALU_CYCLE_1)
	s_add_nc_u64 s[18:19], s[28:29], s[18:19]
	s_add_co_u32 s10, s10, s18
	s_cselect_b32 s3, -1, 0
	s_delay_alu instid0(SALU_CYCLE_1) | instskip(SKIP_1) | instid1(SALU_CYCLE_1)
	s_cmp_lg_u32 s3, 0
	s_add_co_ci_u32 s11, s11, s19
	s_mul_u64 s[16:17], s[16:17], s[10:11]
	s_delay_alu instid0(SALU_CYCLE_1)
	s_mul_hi_u32 s19, s10, s17
	s_mul_i32 s18, s10, s17
	s_mul_hi_u32 s28, s10, s16
	s_mul_i32 s4, s11, s16
	s_add_nc_u64 s[18:19], s[28:29], s[18:19]
	s_mul_hi_u32 s3, s11, s16
	s_mul_hi_u32 s7, s11, s17
	s_add_co_u32 s4, s18, s4
	s_add_co_ci_u32 s28, s19, s3
	s_mul_i32 s16, s11, s17
	s_add_co_ci_u32 s17, s7, 0
	s_delay_alu instid0(SALU_CYCLE_1) | instskip(NEXT) | instid1(SALU_CYCLE_1)
	s_add_nc_u64 s[16:17], s[28:29], s[16:17]
	s_add_co_u32 s3, s10, s16
	s_cselect_b32 s4, -1, 0
	s_mul_hi_u32 s28, s64, s3
	s_cmp_lg_u32 s4, 0
	s_mul_hi_u32 s4, s65, s3
	s_add_co_ci_u32 s7, s11, s17
	s_mul_i32 s3, s65, s3
	s_mul_hi_u32 s11, s64, s7
	s_mul_i32 s10, s64, s7
	s_mul_hi_u32 s17, s65, s7
	s_add_nc_u64 s[10:11], s[28:29], s[10:11]
	s_mul_i32 s16, s65, s7
	s_add_co_u32 s3, s10, s3
	s_add_co_ci_u32 s28, s11, s4
	s_add_co_ci_u32 s17, s17, 0
	s_delay_alu instid0(SALU_CYCLE_1) | instskip(NEXT) | instid1(SALU_CYCLE_1)
	s_add_nc_u64 s[10:11], s[28:29], s[16:17]
	s_and_b64 s[16:17], s[10:11], 0xffffffff00000000
	s_delay_alu instid0(SALU_CYCLE_1) | instskip(NEXT) | instid1(SALU_CYCLE_1)
	s_or_b32 s16, s16, s10
	s_mul_u64 s[10:11], s[40:41], s[16:17]
	s_delay_alu instid0(SALU_CYCLE_1) | instskip(SKIP_1) | instid1(SALU_CYCLE_1)
	s_sub_co_u32 s3, s64, s10
	s_cselect_b32 s4, -1, 0
	s_cmp_lg_u32 s4, 0
	s_sub_co_ci_u32 s4, s65, s11
	s_sub_co_u32 s7, s3, s40
	s_cselect_b32 s10, -1, 0
	s_delay_alu instid0(SALU_CYCLE_1) | instskip(SKIP_3) | instid1(SALU_CYCLE_1)
	s_cmp_lg_u32 s10, 0
	s_sub_co_ci_u32 s10, s4, 0
	s_sub_co_u32 s11, s7, s40
	s_cselect_b32 s16, -1, 0
	s_cmp_lg_u32 s16, 0
	s_sub_co_ci_u32 s16, s10, 0
	s_cmp_ge_u32 s7, s40
	s_cselect_b32 s17, -1, 0
	s_cmp_eq_u32 s10, 0
	s_cselect_b32 s17, s17, -1
	s_delay_alu instid0(SALU_CYCLE_1)
	s_cmp_lg_u32 s17, 0
	s_cselect_b32 s10, s16, s10
	s_cselect_b32 s7, s11, s7
	s_cmp_ge_u32 s3, s40
	s_cselect_b32 s11, -1, 0
	s_cmp_eq_u32 s4, 0
	s_cselect_b32 s11, s11, -1
	s_delay_alu instid0(SALU_CYCLE_1)
	s_cmp_lg_u32 s11, 0
	s_cselect_b32 s11, s10, s4
	s_cselect_b32 s10, s7, s3
	s_cbranch_execnz .LBB129_409
.LBB129_408:                            ;   in Loop: Header=BB129_31 Depth=1
	v_cvt_f32_u32_e32 v4, s40
	s_sub_co_i32 s4, 0, s40
	s_delay_alu instid0(VALU_DEP_1) | instskip(SKIP_1) | instid1(TRANS32_DEP_1)
	v_rcp_iflag_f32_e32 v4, v4
	v_nop
	v_mul_f32_e32 v4, 0x4f7ffffe, v4
	s_delay_alu instid0(VALU_DEP_1) | instskip(NEXT) | instid1(VALU_DEP_1)
	v_cvt_u32_f32_e32 v4, v4
	v_readfirstlane_b32 s3, v4
	s_mul_i32 s4, s4, s3
	s_delay_alu instid0(SALU_CYCLE_1) | instskip(NEXT) | instid1(SALU_CYCLE_1)
	s_mul_hi_u32 s4, s3, s4
	s_add_co_i32 s3, s3, s4
	s_delay_alu instid0(SALU_CYCLE_1) | instskip(NEXT) | instid1(SALU_CYCLE_1)
	s_mul_hi_u32 s3, s64, s3
	s_mul_i32 s3, s3, s40
	s_delay_alu instid0(SALU_CYCLE_1) | instskip(NEXT) | instid1(SALU_CYCLE_1)
	s_sub_co_i32 s3, s64, s3
	s_sub_co_i32 s4, s3, s40
	s_cmp_ge_u32 s3, s40
	s_cselect_b32 s3, s4, s3
	s_delay_alu instid0(SALU_CYCLE_1) | instskip(SKIP_2) | instid1(SALU_CYCLE_1)
	s_sub_co_i32 s4, s3, s40
	s_cmp_ge_u32 s3, s40
	s_cselect_b32 s28, s4, s3
	s_mov_b64 s[10:11], s[28:29]
.LBB129_409:                            ;   in Loop: Header=BB129_31 Depth=1
	s_delay_alu instid0(SALU_CYCLE_1)
	s_sub_nc_u64 s[10:11], s[64:65], s[10:11]
	s_mov_b32 s16, exec_lo
                                        ; implicit-def: $vgpr44
	v_cmpx_gt_u64_e64 s[10:11], v[0:1]
	s_cbranch_execz .LBB129_418
; %bb.410:                              ;   in Loop: Header=BB129_31 Depth=1
	v_mov_b64_e32 v[4:5], v[30:31]
	v_mov_b64_e32 v[8:9], v[0:1]
	s_mov_b32 s17, 0
                                        ; implicit-def: $sgpr18
	s_branch .LBB129_413
.LBB129_411:                            ;   in Loop: Header=BB129_413 Depth=2
	s_or_b32 exec_lo, exec_lo, s7
	s_wait_dscnt 0x0
	s_barrier_signal -1
	s_barrier_wait -1
	ds_load_u16 v10, v3 offset:3072
	s_mov_b32 s4, -1
	s_mov_b32 s7, -1
	s_wait_dscnt 0x0
	s_barrier_signal -1
	s_barrier_wait -1
	v_and_b32_e32 v11, 0xff, v10
	s_delay_alu instid0(VALU_DEP_1)
	v_cmp_eq_u32_e32 vcc_lo, 0, v11
	s_cbranch_vccnz .LBB129_416
.LBB129_412:                            ;   in Loop: Header=BB129_413 Depth=2
	s_and_b32 s3, exec_lo, s4
	s_delay_alu instid0(SALU_CYCLE_1) | instskip(SKIP_2) | instid1(SALU_CYCLE_1)
	s_or_b32 s17, s3, s17
	s_and_not1_b32 s3, s18, exec_lo
	s_and_b32 s4, s7, exec_lo
	s_or_b32 s18, s3, s4
	s_and_not1_b32 exec_lo, exec_lo, s17
	s_cbranch_execz .LBB129_417
.LBB129_413:                            ;   Parent Loop BB129_31 Depth=1
                                        ; =>  This Inner Loop Header: Depth=2
	s_mov_b32 s7, exec_lo
	s_delay_alu instid0(VALU_DEP_1)
	v_cmpx_gt_u64_e64 s[36:37], v[8:9]
	s_cbranch_execz .LBB129_411
; %bb.414:                              ;   in Loop: Header=BB129_413 Depth=2
	global_load_u8 v10, v[4:5], off
	s_wait_loadcnt 0x0
	v_bitop3_b32 v11, v10, 0xff, v43 bitop3:0x80
	s_delay_alu instid0(VALU_DEP_1)
	v_cmp_eq_u32_e32 vcc_lo, v11, v41
	s_and_b32 exec_lo, exec_lo, vcc_lo
	s_cbranch_execz .LBB129_411
; %bb.415:                              ;   in Loop: Header=BB129_413 Depth=2
	v_lshlrev_b16 v10, 8, v10
	s_delay_alu instid0(VALU_DEP_1)
	v_or_b32_e32 v10, 1, v10
	ds_store_b16 v3, v10 offset:3072
	s_branch .LBB129_411
.LBB129_416:                            ;   in Loop: Header=BB129_413 Depth=2
	v_add_nc_u64_e32 v[8:9], s[40:41], v[8:9]
	v_add_nc_u64_e32 v[4:5], s[44:45], v[4:5]
	s_mov_b32 s7, 0
	s_delay_alu instid0(VALU_DEP_2)
	v_cmp_le_u64_e32 vcc_lo, s[10:11], v[8:9]
	s_or_not1_b32 s4, vcc_lo, exec_lo
	s_branch .LBB129_412
.LBB129_417:                            ;   in Loop: Header=BB129_31 Depth=1
	s_or_b32 exec_lo, exec_lo, s17
	v_and_b32_e32 v4, 0xffff, v10
	s_and_not1_b32 s3, s8, exec_lo
	s_and_b32 s4, s18, exec_lo
	s_delay_alu instid0(SALU_CYCLE_1) | instskip(NEXT) | instid1(VALU_DEP_1)
	s_or_b32 s8, s3, s4
	v_lshrrev_b32_e32 v44, 8, v4
.LBB129_418:                            ;   in Loop: Header=BB129_31 Depth=1
	s_or_b32 exec_lo, exec_lo, s16
	s_mov_b32 s73, 0
	s_mov_b32 s75, -1
.LBB129_419:                            ;   in Loop: Header=BB129_31 Depth=1
	s_or_not1_b32 s7, s8, exec_lo
.LBB129_420:                            ;   in Loop: Header=BB129_31 Depth=1
	s_or_b32 exec_lo, exec_lo, s77
	s_mov_b32 s8, 0
	s_and_saveexec_b32 s18, s7
	s_cbranch_execz .LBB129_482
; %bb.421:                              ;   in Loop: Header=BB129_31 Depth=1
	v_mov_b64_e32 v[4:5], 1
	v_mov_b32_e32 v2, 1
	s_xor_b32 s3, s76, -1
	s_mov_b32 s10, 0
	s_and_saveexec_b32 s8, s3
	s_cbranch_execz .LBB129_430
; %bb.422:                              ;   in Loop: Header=BB129_31 Depth=1
	s_mov_b32 s3, exec_lo
	v_cmpx_ge_u64_e64 s[14:15], v[6:7]
	s_xor_b32 s7, exec_lo, s3
	s_cbranch_execz .LBB129_427
; %bb.423:                              ;   in Loop: Header=BB129_31 Depth=1
	ds_load_b64 v[4:5], v3 offset:5120
	s_lshl_b32 s3, 1, s99
	v_or_b32_e32 v43, s24, v43
	v_and_or_b32 v41, v41, s25, s3
	s_wait_dscnt 0x0
	v_cmp_ne_u64_e32 vcc_lo, 0, v[4:5]
	s_cbranch_vccnz .LBB129_427
; %bb.424:                              ;   in Loop: Header=BB129_31 Depth=1
	s_and_saveexec_b32 s4, s5
; %bb.425:                              ;   in Loop: Header=BB129_31 Depth=1
	v_mov_b64_e32 v[4:5], s[14:15]
	ds_store_b64 v3, v[4:5] offset:5128
; %bb.426:                              ;   in Loop: Header=BB129_31 Depth=1
	s_or_b32 exec_lo, exec_lo, s4
	s_wait_dscnt 0x0
	s_barrier_signal -1
	s_barrier_wait -1
.LBB129_427:                            ;   in Loop: Header=BB129_31 Depth=1
	s_or_saveexec_b32 s7, s7
	v_mov_b32_e32 v2, 5
	s_xor_b32 exec_lo, exec_lo, s7
; %bb.428:                              ;   in Loop: Header=BB129_31 Depth=1
	v_sub_nc_u64_e64 v[6:7], v[6:7], s[14:15]
	v_mov_b32_e32 v2, 0
	s_mov_b32 s10, exec_lo
; %bb.429:                              ;   in Loop: Header=BB129_31 Depth=1
	s_or_b32 exec_lo, exec_lo, s7
	s_delay_alu instid0(VALU_DEP_2)
	v_mov_b64_e32 v[4:5], v[6:7]
	s_and_b32 s10, s10, exec_lo
.LBB129_430:                            ;   in Loop: Header=BB129_31 Depth=1
	s_or_b32 exec_lo, exec_lo, s8
	s_mov_b32 s7, -1
                                        ; implicit-def: $sgpr79
                                        ; implicit-def: $sgpr78
	s_and_saveexec_b32 s19, s10
	s_cbranch_execz .LBB129_481
; %bb.431:                              ;   in Loop: Header=BB129_31 Depth=1
	s_delay_alu instid0(VALU_DEP_1) | instskip(SKIP_2) | instid1(SALU_CYCLE_1)
	v_cmp_eq_u64_e32 vcc_lo, 1, v[4:5]
	s_cmp_eq_u64 s[12:13], 1
                                        ; implicit-def: $sgpr79
                                        ; implicit-def: $sgpr78
	s_cselect_b32 s3, -1, 0
	s_and_b32 s76, s3, vcc_lo
	s_delay_alu instid0(SALU_CYCLE_1)
	s_and_saveexec_b32 s77, s76
	s_cbranch_execz .LBB129_469
; %bb.432:                              ;   in Loop: Header=BB129_31 Depth=1
	ds_load_b64 v[6:7], v3 offset:5120
	s_wait_dscnt 0x0
	s_barrier_signal -1
	s_barrier_wait -1
	v_readfirstlane_b32 s10, v6
	v_readfirstlane_b32 s11, v7
	s_and_saveexec_b32 s4, s6
; %bb.433:                              ;   in Loop: Header=BB129_31 Depth=1
	ds_store_b8 v0, v3 offset:3072
; %bb.434:                              ;   in Loop: Header=BB129_31 Depth=1
	s_or_b32 exec_lo, exec_lo, s4
	v_and_b32_e32 v41, s25, v41
	v_or_b32_e32 v43, s24, v43
	s_mov_b32 s78, -1
	s_mov_b32 s79, 0
	s_cmp_eq_u64 s[10:11], 0
	s_mov_b32 s8, 0
	s_mov_b32 s16, -1
	s_wait_dscnt 0x0
	s_barrier_signal -1
	s_barrier_wait -1
                                        ; implicit-def: $vgpr44
	s_cbranch_scc1 .LBB129_452
; %bb.435:                              ;   in Loop: Header=BB129_31 Depth=1
	s_add_nc_u64 s[14:15], s[10:11], s[62:63]
	s_delay_alu instid0(SALU_CYCLE_1) | instskip(NEXT) | instid1(SALU_CYCLE_1)
	s_and_b64 s[16:17], s[14:15], 0xffffffff00000000
	s_cmp_lg_u64 s[16:17], 0
	s_cbranch_scc0 .LBB129_439
; %bb.436:                              ;   in Loop: Header=BB129_31 Depth=1
	s_cvt_f32_u32 s3, s40
	s_sub_nc_u64 s[48:49], 0, s[40:41]
	s_delay_alu instid0(SALU_CYCLE_2) | instskip(NEXT) | instid1(SALU_CYCLE_3)
	s_fmamk_f32 s3, s100, 0x0, s3
	v_s_rcp_f32 s3, s3
	s_delay_alu instid0(TRANS32_DEP_1) | instskip(NEXT) | instid1(SALU_CYCLE_3)
	s_mul_f32 s3, s3, 0x5f7ffffc
	s_mul_f32 s4, s3, 0x2f800000
	s_delay_alu instid0(SALU_CYCLE_3) | instskip(NEXT) | instid1(SALU_CYCLE_3)
	s_trunc_f32 s4, s4
	s_fmamk_f32 s3, s4, 0xcf800000, s3
	s_cvt_u32_f32 s17, s4
	s_delay_alu instid0(SALU_CYCLE_2) | instskip(NEXT) | instid1(SALU_CYCLE_3)
	s_cvt_u32_f32 s16, s3
	s_mul_u64 s[80:81], s[48:49], s[16:17]
	s_delay_alu instid0(SALU_CYCLE_1)
	s_mul_hi_u32 s83, s16, s81
	s_mul_i32 s82, s16, s81
	s_mul_hi_u32 s28, s16, s80
	s_mul_i32 s4, s17, s80
	s_add_nc_u64 s[82:83], s[28:29], s[82:83]
	s_mul_hi_u32 s3, s17, s80
	s_mul_hi_u32 s7, s17, s81
	s_add_co_u32 s4, s82, s4
	s_add_co_ci_u32 s28, s83, s3
	s_mul_i32 s80, s17, s81
	s_add_co_ci_u32 s81, s7, 0
	s_delay_alu instid0(SALU_CYCLE_1) | instskip(NEXT) | instid1(SALU_CYCLE_1)
	s_add_nc_u64 s[80:81], s[28:29], s[80:81]
	s_add_co_u32 s16, s16, s80
	s_cselect_b32 s3, -1, 0
	s_delay_alu instid0(SALU_CYCLE_1) | instskip(SKIP_1) | instid1(SALU_CYCLE_1)
	s_cmp_lg_u32 s3, 0
	s_add_co_ci_u32 s17, s17, s81
	s_mul_u64 s[48:49], s[48:49], s[16:17]
	s_delay_alu instid0(SALU_CYCLE_1)
	s_mul_hi_u32 s81, s16, s49
	s_mul_i32 s80, s16, s49
	s_mul_hi_u32 s28, s16, s48
	s_mul_i32 s4, s17, s48
	s_add_nc_u64 s[80:81], s[28:29], s[80:81]
	s_mul_hi_u32 s3, s17, s48
	s_mul_hi_u32 s7, s17, s49
	s_add_co_u32 s4, s80, s4
	s_add_co_ci_u32 s28, s81, s3
	s_mul_i32 s48, s17, s49
	s_add_co_ci_u32 s49, s7, 0
	s_delay_alu instid0(SALU_CYCLE_1) | instskip(NEXT) | instid1(SALU_CYCLE_1)
	s_add_nc_u64 s[48:49], s[28:29], s[48:49]
	s_add_co_u32 s3, s16, s48
	s_cselect_b32 s4, -1, 0
	s_mul_hi_u32 s28, s14, s3
	s_cmp_lg_u32 s4, 0
	s_mul_hi_u32 s4, s15, s3
	s_add_co_ci_u32 s7, s17, s49
	s_mul_i32 s3, s15, s3
	s_mul_hi_u32 s17, s14, s7
	s_mul_i32 s16, s14, s7
	s_mul_hi_u32 s8, s15, s7
	s_add_nc_u64 s[16:17], s[28:29], s[16:17]
	s_mul_i32 s48, s15, s7
	s_add_co_u32 s3, s16, s3
	s_add_co_ci_u32 s28, s17, s4
	s_add_co_ci_u32 s49, s8, 0
	s_delay_alu instid0(SALU_CYCLE_1) | instskip(NEXT) | instid1(SALU_CYCLE_1)
	s_add_nc_u64 s[16:17], s[28:29], s[48:49]
	s_and_b64 s[48:49], s[16:17], 0xffffffff00000000
	s_delay_alu instid0(SALU_CYCLE_1) | instskip(NEXT) | instid1(SALU_CYCLE_1)
	s_or_b32 s48, s48, s16
	s_mul_u64 s[16:17], s[40:41], s[48:49]
	s_delay_alu instid0(SALU_CYCLE_1) | instskip(SKIP_1) | instid1(SALU_CYCLE_1)
	s_sub_co_u32 s3, s14, s16
	s_cselect_b32 s4, -1, 0
	s_cmp_lg_u32 s4, 0
	s_sub_co_ci_u32 s4, s15, s17
	s_sub_co_u32 s7, s3, s40
	s_cselect_b32 s8, -1, 0
	s_delay_alu instid0(SALU_CYCLE_1) | instskip(SKIP_3) | instid1(SALU_CYCLE_1)
	s_cmp_lg_u32 s8, 0
	s_sub_co_ci_u32 s8, s4, 0
	s_sub_co_u32 s16, s7, s40
	s_cselect_b32 s17, -1, 0
	s_cmp_lg_u32 s17, 0
	s_sub_co_ci_u32 s17, s8, 0
	s_cmp_ge_u32 s7, s40
	s_cselect_b32 s28, -1, 0
	s_cmp_eq_u32 s8, 0
	s_cselect_b32 s28, s28, -1
	s_delay_alu instid0(SALU_CYCLE_1)
	s_cmp_lg_u32 s28, 0
	s_cselect_b32 s8, s17, s8
	s_cselect_b32 s7, s16, s7
	s_cmp_ge_u32 s3, s40
	s_cselect_b32 s16, -1, 0
	s_cmp_eq_u32 s4, 0
	s_cselect_b32 s16, s16, -1
	s_delay_alu instid0(SALU_CYCLE_1)
	s_cmp_lg_u32 s16, 0
	s_cselect_b32 s17, s8, s4
	s_cselect_b32 s16, s7, s3
	s_mov_b32 s4, 0
	s_branch .LBB129_440
.LBB129_437:                            ;   in Loop: Header=BB129_31 Depth=1
                                        ; implicit-def: $sgpr18_sgpr19
	s_branch .LBB129_392
.LBB129_438:                            ;   in Loop: Header=BB129_31 Depth=1
                                        ; implicit-def: $sgpr10_sgpr11
	s_branch .LBB129_408
.LBB129_439:                            ;   in Loop: Header=BB129_31 Depth=1
	s_mov_b32 s4, -1
                                        ; implicit-def: $sgpr16_sgpr17
.LBB129_440:                            ;   in Loop: Header=BB129_31 Depth=1
	s_delay_alu instid0(SALU_CYCLE_1)
	s_and_not1_b32 vcc_lo, exec_lo, s4
	s_cbranch_vccnz .LBB129_442
; %bb.441:                              ;   in Loop: Header=BB129_31 Depth=1
	v_cvt_f32_u32_e32 v6, s40
	s_sub_co_i32 s4, 0, s40
	s_delay_alu instid0(VALU_DEP_1) | instskip(SKIP_1) | instid1(TRANS32_DEP_1)
	v_rcp_iflag_f32_e32 v6, v6
	v_nop
	v_mul_f32_e32 v6, 0x4f7ffffe, v6
	s_delay_alu instid0(VALU_DEP_1) | instskip(NEXT) | instid1(VALU_DEP_1)
	v_cvt_u32_f32_e32 v6, v6
	v_readfirstlane_b32 s3, v6
	s_mul_i32 s4, s4, s3
	s_delay_alu instid0(SALU_CYCLE_1) | instskip(NEXT) | instid1(SALU_CYCLE_1)
	s_mul_hi_u32 s4, s3, s4
	s_add_co_i32 s3, s3, s4
	s_delay_alu instid0(SALU_CYCLE_1) | instskip(NEXT) | instid1(SALU_CYCLE_1)
	s_mul_hi_u32 s3, s14, s3
	s_mul_i32 s3, s3, s40
	s_delay_alu instid0(SALU_CYCLE_1) | instskip(NEXT) | instid1(SALU_CYCLE_1)
	s_sub_co_i32 s3, s14, s3
	s_sub_co_i32 s4, s3, s40
	s_cmp_ge_u32 s3, s40
	s_cselect_b32 s3, s4, s3
	s_delay_alu instid0(SALU_CYCLE_1) | instskip(SKIP_2) | instid1(SALU_CYCLE_1)
	s_sub_co_i32 s4, s3, s40
	s_cmp_ge_u32 s3, s40
	s_cselect_b32 s28, s4, s3
	s_mov_b64 s[16:17], s[28:29]
.LBB129_442:                            ;   in Loop: Header=BB129_31 Depth=1
	s_delay_alu instid0(SALU_CYCLE_1)
	s_sub_nc_u64 s[14:15], s[14:15], s[16:17]
	s_mov_b32 s16, 0
	s_mov_b32 s8, 0
	s_mov_b32 s17, exec_lo
                                        ; implicit-def: $vgpr44
	v_cmpx_gt_u64_e64 s[14:15], v[0:1]
	s_cbranch_execz .LBB129_451
; %bb.443:                              ;   in Loop: Header=BB129_31 Depth=1
	v_mov_b64_e32 v[6:7], v[0:1]
	v_mov_b32_e32 v8, v0
                                        ; implicit-def: $sgpr28
	s_branch .LBB129_446
.LBB129_444:                            ;   in Loop: Header=BB129_446 Depth=2
	s_or_b32 exec_lo, exec_lo, s7
	s_wait_dscnt 0x0
	s_barrier_signal -1
	s_barrier_wait -1
	ds_load_u16 v9, v3 offset:3072
	s_mov_b32 s4, -1
	s_mov_b32 s7, -1
	s_wait_dscnt 0x0
	s_barrier_signal -1
	s_barrier_wait -1
	v_and_b32_e32 v10, 0xff, v9
	s_delay_alu instid0(VALU_DEP_1)
	v_cmp_ne_u32_e32 vcc_lo, 0, v10
	s_cbranch_vccz .LBB129_449
.LBB129_445:                            ;   in Loop: Header=BB129_446 Depth=2
	s_and_b32 s3, exec_lo, s4
	s_delay_alu instid0(SALU_CYCLE_1) | instskip(SKIP_2) | instid1(SALU_CYCLE_1)
	s_or_b32 s8, s3, s8
	s_and_not1_b32 s3, s28, exec_lo
	s_and_b32 s4, s7, exec_lo
	s_or_b32 s28, s3, s4
	s_and_not1_b32 exec_lo, exec_lo, s8
	s_cbranch_execz .LBB129_450
.LBB129_446:                            ;   Parent Loop BB129_31 Depth=1
                                        ; =>  This Inner Loop Header: Depth=2
	s_mov_b32 s7, exec_lo
	s_delay_alu instid0(VALU_DEP_2)
	v_cmpx_gt_u64_e64 s[10:11], v[6:7]
	s_cbranch_execz .LBB129_444
; %bb.447:                              ;   in Loop: Header=BB129_446 Depth=2
	ds_load_u8 v9, v8
	s_wait_dscnt 0x0
	v_bitop3_b32 v10, v9, 0xff, v43 bitop3:0x80
	s_delay_alu instid0(VALU_DEP_1)
	v_cmp_eq_u32_e32 vcc_lo, v10, v41
	s_and_b32 exec_lo, exec_lo, vcc_lo
	s_cbranch_execz .LBB129_444
; %bb.448:                              ;   in Loop: Header=BB129_446 Depth=2
	v_lshlrev_b16 v9, 8, v9
	s_delay_alu instid0(VALU_DEP_1)
	v_or_b32_e32 v9, 1, v9
	ds_store_b16 v3, v9 offset:3072
	s_branch .LBB129_444
.LBB129_449:                            ;   in Loop: Header=BB129_446 Depth=2
	v_add_nc_u64_e32 v[6:7], s[40:41], v[6:7]
	v_add_nc_u32_e32 v8, s40, v8
	s_mov_b32 s7, 0
	s_delay_alu instid0(VALU_DEP_2)
	v_cmp_le_u64_e32 vcc_lo, s[14:15], v[6:7]
	s_or_not1_b32 s4, vcc_lo, exec_lo
	s_branch .LBB129_445
.LBB129_450:                            ;   in Loop: Header=BB129_31 Depth=1
	s_or_b32 exec_lo, exec_lo, s8
	v_and_b32_e32 v6, 0xffff, v9
	s_and_b32 s8, s28, exec_lo
	s_delay_alu instid0(VALU_DEP_1)
	v_lshrrev_b32_e32 v44, 8, v6
.LBB129_451:                            ;   in Loop: Header=BB129_31 Depth=1
	s_or_b32 exec_lo, exec_lo, s17
.LBB129_452:                            ;   in Loop: Header=BB129_31 Depth=1
	s_delay_alu instid0(SALU_CYCLE_1)
	s_and_b32 vcc_lo, exec_lo, s16
	s_cbranch_vccz .LBB129_468
; %bb.453:                              ;   in Loop: Header=BB129_31 Depth=1
	s_and_b64 s[10:11], s[64:65], 0xffffffff00000000
	s_delay_alu instid0(SALU_CYCLE_1)
	s_cmp_lg_u64 s[10:11], 0
	s_cbranch_scc0 .LBB129_455
; %bb.454:                              ;   in Loop: Header=BB129_31 Depth=1
	s_cvt_f32_u32 s3, s40
	s_sub_nc_u64 s[14:15], 0, s[40:41]
	s_delay_alu instid0(SALU_CYCLE_2) | instskip(NEXT) | instid1(SALU_CYCLE_3)
	s_fmamk_f32 s3, s100, 0x0, s3
	v_s_rcp_f32 s3, s3
	s_delay_alu instid0(TRANS32_DEP_1) | instskip(NEXT) | instid1(SALU_CYCLE_3)
	s_mul_f32 s3, s3, 0x5f7ffffc
	s_mul_f32 s4, s3, 0x2f800000
	s_delay_alu instid0(SALU_CYCLE_3) | instskip(NEXT) | instid1(SALU_CYCLE_3)
	s_trunc_f32 s4, s4
	s_fmamk_f32 s3, s4, 0xcf800000, s3
	s_cvt_u32_f32 s11, s4
	s_delay_alu instid0(SALU_CYCLE_2) | instskip(NEXT) | instid1(SALU_CYCLE_3)
	s_cvt_u32_f32 s10, s3
	s_mul_u64 s[16:17], s[14:15], s[10:11]
	s_delay_alu instid0(SALU_CYCLE_1)
	s_mul_hi_u32 s49, s10, s17
	s_mul_i32 s48, s10, s17
	s_mul_hi_u32 s28, s10, s16
	s_mul_i32 s4, s11, s16
	s_add_nc_u64 s[48:49], s[28:29], s[48:49]
	s_mul_hi_u32 s3, s11, s16
	s_mul_hi_u32 s7, s11, s17
	s_add_co_u32 s4, s48, s4
	s_add_co_ci_u32 s28, s49, s3
	s_mul_i32 s16, s11, s17
	s_add_co_ci_u32 s17, s7, 0
	s_delay_alu instid0(SALU_CYCLE_1) | instskip(NEXT) | instid1(SALU_CYCLE_1)
	s_add_nc_u64 s[16:17], s[28:29], s[16:17]
	s_add_co_u32 s10, s10, s16
	s_cselect_b32 s3, -1, 0
	s_delay_alu instid0(SALU_CYCLE_1) | instskip(SKIP_1) | instid1(SALU_CYCLE_1)
	s_cmp_lg_u32 s3, 0
	s_add_co_ci_u32 s11, s11, s17
	s_mul_u64 s[14:15], s[14:15], s[10:11]
	s_delay_alu instid0(SALU_CYCLE_1)
	s_mul_hi_u32 s17, s10, s15
	s_mul_i32 s16, s10, s15
	s_mul_hi_u32 s28, s10, s14
	s_mul_i32 s4, s11, s14
	s_add_nc_u64 s[16:17], s[28:29], s[16:17]
	s_mul_hi_u32 s3, s11, s14
	s_mul_hi_u32 s7, s11, s15
	s_add_co_u32 s4, s16, s4
	s_add_co_ci_u32 s28, s17, s3
	s_mul_i32 s14, s11, s15
	s_add_co_ci_u32 s15, s7, 0
	s_delay_alu instid0(SALU_CYCLE_1) | instskip(NEXT) | instid1(SALU_CYCLE_1)
	s_add_nc_u64 s[14:15], s[28:29], s[14:15]
	s_add_co_u32 s3, s10, s14
	s_cselect_b32 s4, -1, 0
	s_mul_hi_u32 s28, s64, s3
	s_cmp_lg_u32 s4, 0
	s_mul_hi_u32 s4, s65, s3
	s_add_co_ci_u32 s7, s11, s15
	s_mul_i32 s3, s65, s3
	s_mul_hi_u32 s11, s64, s7
	s_mul_i32 s10, s64, s7
	s_mul_hi_u32 s15, s65, s7
	s_add_nc_u64 s[10:11], s[28:29], s[10:11]
	s_mul_i32 s14, s65, s7
	s_add_co_u32 s3, s10, s3
	s_add_co_ci_u32 s28, s11, s4
	s_add_co_ci_u32 s15, s15, 0
	s_delay_alu instid0(SALU_CYCLE_1) | instskip(NEXT) | instid1(SALU_CYCLE_1)
	s_add_nc_u64 s[10:11], s[28:29], s[14:15]
	s_and_b64 s[14:15], s[10:11], 0xffffffff00000000
	s_delay_alu instid0(SALU_CYCLE_1) | instskip(NEXT) | instid1(SALU_CYCLE_1)
	s_or_b32 s14, s14, s10
	s_mul_u64 s[10:11], s[40:41], s[14:15]
	s_delay_alu instid0(SALU_CYCLE_1) | instskip(SKIP_1) | instid1(SALU_CYCLE_1)
	s_sub_co_u32 s3, s64, s10
	s_cselect_b32 s4, -1, 0
	s_cmp_lg_u32 s4, 0
	s_sub_co_ci_u32 s4, s65, s11
	s_sub_co_u32 s7, s3, s40
	s_cselect_b32 s10, -1, 0
	s_delay_alu instid0(SALU_CYCLE_1) | instskip(SKIP_3) | instid1(SALU_CYCLE_1)
	s_cmp_lg_u32 s10, 0
	s_sub_co_ci_u32 s10, s4, 0
	s_sub_co_u32 s11, s7, s40
	s_cselect_b32 s14, -1, 0
	s_cmp_lg_u32 s14, 0
	s_sub_co_ci_u32 s14, s10, 0
	s_cmp_ge_u32 s7, s40
	s_cselect_b32 s15, -1, 0
	s_cmp_eq_u32 s10, 0
	s_cselect_b32 s15, s15, -1
	s_delay_alu instid0(SALU_CYCLE_1)
	s_cmp_lg_u32 s15, 0
	s_cselect_b32 s10, s14, s10
	s_cselect_b32 s7, s11, s7
	s_cmp_ge_u32 s3, s40
	s_cselect_b32 s11, -1, 0
	s_cmp_eq_u32 s4, 0
	s_cselect_b32 s11, s11, -1
	s_delay_alu instid0(SALU_CYCLE_1)
	s_cmp_lg_u32 s11, 0
	s_cselect_b32 s11, s10, s4
	s_cselect_b32 s10, s7, s3
	s_mov_b32 s4, 0
	s_branch .LBB129_456
.LBB129_455:                            ;   in Loop: Header=BB129_31 Depth=1
	s_mov_b32 s4, -1
                                        ; implicit-def: $sgpr10_sgpr11
.LBB129_456:                            ;   in Loop: Header=BB129_31 Depth=1
	s_delay_alu instid0(SALU_CYCLE_1)
	s_and_not1_b32 vcc_lo, exec_lo, s4
	s_cbranch_vccnz .LBB129_458
; %bb.457:                              ;   in Loop: Header=BB129_31 Depth=1
	v_cvt_f32_u32_e32 v6, s40
	s_sub_co_i32 s4, 0, s40
	s_delay_alu instid0(VALU_DEP_1) | instskip(SKIP_1) | instid1(TRANS32_DEP_1)
	v_rcp_iflag_f32_e32 v6, v6
	v_nop
	v_mul_f32_e32 v6, 0x4f7ffffe, v6
	s_delay_alu instid0(VALU_DEP_1) | instskip(NEXT) | instid1(VALU_DEP_1)
	v_cvt_u32_f32_e32 v6, v6
	v_readfirstlane_b32 s3, v6
	s_mul_i32 s4, s4, s3
	s_delay_alu instid0(SALU_CYCLE_1) | instskip(NEXT) | instid1(SALU_CYCLE_1)
	s_mul_hi_u32 s4, s3, s4
	s_add_co_i32 s3, s3, s4
	s_delay_alu instid0(SALU_CYCLE_1) | instskip(NEXT) | instid1(SALU_CYCLE_1)
	s_mul_hi_u32 s3, s64, s3
	s_mul_i32 s3, s3, s40
	s_delay_alu instid0(SALU_CYCLE_1) | instskip(NEXT) | instid1(SALU_CYCLE_1)
	s_sub_co_i32 s3, s64, s3
	s_sub_co_i32 s4, s3, s40
	s_cmp_ge_u32 s3, s40
	s_cselect_b32 s3, s4, s3
	s_delay_alu instid0(SALU_CYCLE_1) | instskip(SKIP_2) | instid1(SALU_CYCLE_1)
	s_sub_co_i32 s4, s3, s40
	s_cmp_ge_u32 s3, s40
	s_cselect_b32 s28, s4, s3
	s_mov_b64 s[10:11], s[28:29]
.LBB129_458:                            ;   in Loop: Header=BB129_31 Depth=1
	s_delay_alu instid0(SALU_CYCLE_1)
	s_sub_nc_u64 s[10:11], s[64:65], s[10:11]
	s_mov_b32 s14, exec_lo
                                        ; implicit-def: $vgpr44
	v_cmpx_gt_u64_e64 s[10:11], v[0:1]
	s_cbranch_execz .LBB129_467
; %bb.459:                              ;   in Loop: Header=BB129_31 Depth=1
	v_mov_b64_e32 v[6:7], v[30:31]
	v_mov_b64_e32 v[8:9], v[0:1]
	s_mov_b32 s15, 0
                                        ; implicit-def: $sgpr16
	s_branch .LBB129_462
.LBB129_460:                            ;   in Loop: Header=BB129_462 Depth=2
	s_or_b32 exec_lo, exec_lo, s7
	s_wait_dscnt 0x0
	s_barrier_signal -1
	s_barrier_wait -1
	ds_load_u16 v10, v3 offset:3072
	s_mov_b32 s4, -1
	s_mov_b32 s7, -1
	s_wait_dscnt 0x0
	s_barrier_signal -1
	s_barrier_wait -1
	v_and_b32_e32 v11, 0xff, v10
	s_delay_alu instid0(VALU_DEP_1)
	v_cmp_eq_u32_e32 vcc_lo, 0, v11
	s_cbranch_vccnz .LBB129_465
.LBB129_461:                            ;   in Loop: Header=BB129_462 Depth=2
	s_and_b32 s3, exec_lo, s4
	s_delay_alu instid0(SALU_CYCLE_1) | instskip(SKIP_2) | instid1(SALU_CYCLE_1)
	s_or_b32 s15, s3, s15
	s_and_not1_b32 s3, s16, exec_lo
	s_and_b32 s4, s7, exec_lo
	s_or_b32 s16, s3, s4
	s_and_not1_b32 exec_lo, exec_lo, s15
	s_cbranch_execz .LBB129_466
.LBB129_462:                            ;   Parent Loop BB129_31 Depth=1
                                        ; =>  This Inner Loop Header: Depth=2
	s_mov_b32 s7, exec_lo
	s_delay_alu instid0(VALU_DEP_1)
	v_cmpx_gt_u64_e64 s[36:37], v[8:9]
	s_cbranch_execz .LBB129_460
; %bb.463:                              ;   in Loop: Header=BB129_462 Depth=2
	global_load_u8 v10, v[6:7], off
	s_wait_loadcnt 0x0
	v_bitop3_b32 v11, v10, 0xff, v43 bitop3:0x80
	s_delay_alu instid0(VALU_DEP_1)
	v_cmp_eq_u32_e32 vcc_lo, v11, v41
	s_and_b32 exec_lo, exec_lo, vcc_lo
	s_cbranch_execz .LBB129_460
; %bb.464:                              ;   in Loop: Header=BB129_462 Depth=2
	v_lshlrev_b16 v10, 8, v10
	s_delay_alu instid0(VALU_DEP_1)
	v_or_b32_e32 v10, 1, v10
	ds_store_b16 v3, v10 offset:3072
	s_branch .LBB129_460
.LBB129_465:                            ;   in Loop: Header=BB129_462 Depth=2
	v_add_nc_u64_e32 v[8:9], s[40:41], v[8:9]
	v_add_nc_u64_e32 v[6:7], s[44:45], v[6:7]
	s_mov_b32 s7, 0
	s_delay_alu instid0(VALU_DEP_2)
	v_cmp_le_u64_e32 vcc_lo, s[10:11], v[8:9]
	s_or_not1_b32 s4, vcc_lo, exec_lo
	s_branch .LBB129_461
.LBB129_466:                            ;   in Loop: Header=BB129_31 Depth=1
	s_or_b32 exec_lo, exec_lo, s15
	v_and_b32_e32 v6, 0xffff, v10
	s_and_not1_b32 s3, s8, exec_lo
	s_and_b32 s4, s16, exec_lo
	s_delay_alu instid0(SALU_CYCLE_1) | instskip(NEXT) | instid1(VALU_DEP_1)
	s_or_b32 s8, s3, s4
	v_lshrrev_b32_e32 v44, 8, v6
.LBB129_467:                            ;   in Loop: Header=BB129_31 Depth=1
	s_or_b32 exec_lo, exec_lo, s14
	s_mov_b32 s78, 0
	s_mov_b32 s79, -1
.LBB129_468:                            ;   in Loop: Header=BB129_31 Depth=1
	s_or_not1_b32 s7, s8, exec_lo
.LBB129_469:                            ;   in Loop: Header=BB129_31 Depth=1
	s_or_b32 exec_lo, exec_lo, s77
	s_mov_b32 s10, 0
	s_and_saveexec_b32 s8, s7
	s_cbranch_execz .LBB129_480
; %bb.470:                              ;   in Loop: Header=BB129_31 Depth=1
	v_mov_b64_e32 v[6:7], 1
	v_mov_b32_e32 v2, 1
	s_xor_b32 s3, s76, -1
	s_delay_alu instid0(SALU_CYCLE_1)
	s_and_saveexec_b32 s10, s3
	s_cbranch_execz .LBB129_479
; %bb.471:                              ;   in Loop: Header=BB129_31 Depth=1
	s_mov_b32 s3, exec_lo
	v_cmpx_ge_u64_e64 s[12:13], v[4:5]
	s_xor_b32 s7, exec_lo, s3
	s_cbranch_execz .LBB129_476
; %bb.472:                              ;   in Loop: Header=BB129_31 Depth=1
	ds_load_b64 v[6:7], v3 offset:5120
	v_and_b32_e32 v41, s25, v41
	v_or_b32_e32 v43, s24, v43
	s_wait_dscnt 0x0
	v_cmp_ne_u64_e32 vcc_lo, 0, v[6:7]
	s_cbranch_vccnz .LBB129_476
; %bb.473:                              ;   in Loop: Header=BB129_31 Depth=1
	s_and_saveexec_b32 s4, s5
; %bb.474:                              ;   in Loop: Header=BB129_31 Depth=1
	v_mov_b64_e32 v[6:7], s[12:13]
	ds_store_b64 v3, v[6:7] offset:5128
; %bb.475:                              ;   in Loop: Header=BB129_31 Depth=1
	s_or_b32 exec_lo, exec_lo, s4
	s_wait_dscnt 0x0
	s_barrier_signal -1
	s_barrier_wait -1
.LBB129_476:                            ;   in Loop: Header=BB129_31 Depth=1
	s_and_not1_saveexec_b32 s7, s7
; %bb.477:                              ;   in Loop: Header=BB129_31 Depth=1
	v_sub_nc_u64_e64 v[4:5], v[4:5], s[12:13]
; %bb.478:                              ;   in Loop: Header=BB129_31 Depth=1
	s_or_b32 exec_lo, exec_lo, s7
	s_delay_alu instid0(VALU_DEP_1)
	v_mov_b64_e32 v[6:7], v[4:5]
	v_mov_b32_e32 v2, 5
.LBB129_479:                            ;   in Loop: Header=BB129_31 Depth=1
	s_or_b32 exec_lo, exec_lo, s10
	s_delay_alu instid0(VALU_DEP_2)
	v_mov_b64_e32 v[4:5], v[6:7]
	s_mov_b32 s10, exec_lo
.LBB129_480:                            ;   in Loop: Header=BB129_31 Depth=1
	s_or_b32 exec_lo, exec_lo, s8
	s_delay_alu instid0(SALU_CYCLE_1)
	s_or_not1_b32 s7, s10, exec_lo
.LBB129_481:                            ;   in Loop: Header=BB129_31 Depth=1
	s_or_b32 exec_lo, exec_lo, s19
	s_delay_alu instid0(VALU_DEP_1)
	v_mov_b64_e32 v[6:7], v[4:5]
	s_and_not1_b32 s3, s75, exec_lo
	s_and_b32 s4, s79, exec_lo
	s_and_not1_b32 s8, s73, exec_lo
	s_and_b32 s10, s78, exec_lo
	s_or_b32 s75, s3, s4
	s_or_b32 s73, s8, s10
	s_and_b32 s8, s7, exec_lo
.LBB129_482:                            ;   in Loop: Header=BB129_31 Depth=1
	s_or_b32 exec_lo, exec_lo, s18
	s_delay_alu instid0(SALU_CYCLE_1)
	s_or_not1_b32 s7, s8, exec_lo
.LBB129_483:                            ;   in Loop: Header=BB129_31 Depth=1
	s_or_b32 exec_lo, exec_lo, s21
	v_mov_b64_e32 v[4:5], v[6:7]
	s_and_not1_b32 s3, s72, exec_lo
	s_and_b32 s4, s75, exec_lo
	s_and_not1_b32 s8, s23, exec_lo
	s_and_b32 s10, s73, exec_lo
	s_or_b32 s72, s3, s4
	s_or_b32 s23, s8, s10
	s_and_b32 s8, s7, exec_lo
.LBB129_484:                            ;   in Loop: Header=BB129_31 Depth=1
	s_or_b32 exec_lo, exec_lo, s20
	s_delay_alu instid0(SALU_CYCLE_1)
	s_or_not1_b32 s7, s8, exec_lo
.LBB129_485:                            ;   in Loop: Header=BB129_31 Depth=1
	s_or_b32 exec_lo, exec_lo, s9
	s_mov_b32 s8, s59
	s_mov_b32 s9, s27
	s_and_saveexec_b32 s10, s7
; %bb.486:                              ;   in Loop: Header=BB129_31 Depth=1
	v_cmp_ne_u32_e32 vcc_lo, 5, v2
	v_cmp_eq_u32_e64 s9, 5, v2
	s_and_not1_b32 s3, s27, exec_lo
	s_and_not1_b32 s4, s59, exec_lo
	s_and_b32 s7, vcc_lo, exec_lo
	s_and_b32 s8, s9, exec_lo
	s_or_b32 s9, s3, s7
	s_or_b32 s8, s4, s8
; %bb.487:                              ;   in Loop: Header=BB129_31 Depth=1
	s_or_b32 exec_lo, exec_lo, s10
	s_delay_alu instid0(SALU_CYCLE_1)
	s_and_not1_b32 s3, s74, exec_lo
	s_and_b32 s4, s72, exec_lo
	s_and_not1_b32 s7, s26, exec_lo
	s_and_b32 s10, s23, exec_lo
	s_or_b32 s74, s3, s4
	s_or_b32 s26, s7, s10
	s_and_not1_b32 s3, s27, exec_lo
	s_and_b32 s4, s9, exec_lo
	s_and_not1_b32 s7, s59, exec_lo
	s_and_b32 s8, s8, exec_lo
	s_or_b32 s27, s3, s4
	s_or_b32 s59, s7, s8
.LBB129_488:                            ;   in Loop: Header=BB129_31 Depth=1
	s_or_b32 exec_lo, exec_lo, s22
	s_mov_b32 s72, 0
	s_mov_b32 s73, 0
	s_and_saveexec_b32 s4, s59
.LBB129_489:                            ;   in Loop: Header=BB129_31 Depth=1
	v_mov_b32_e32 v2, 0
	s_or_b32 s27, s27, exec_lo
.LBB129_490:                            ;   in Loop: Header=BB129_31 Depth=1
	s_or_b32 exec_lo, exec_lo, s4
	v_mov_b64_e32 v[32:33], v[4:5]
	s_and_not1_b32 s3, s56, exec_lo
	s_and_b32 s4, s74, exec_lo
	s_and_not1_b32 s7, s54, exec_lo
	s_and_b32 s9, s26, exec_lo
	s_or_b32 s56, s3, s4
	s_or_b32 s54, s7, s9
	s_and_not1_b32 s3, s58, exec_lo
	s_and_b32 s4, s73, exec_lo
	s_and_not1_b32 s7, s57, exec_lo
	s_and_b32 s9, s72, exec_lo
	s_mov_b32 s8, -1
	s_and_not1_b32 s55, s55, exec_lo
	s_or_b32 s58, s3, s4
	s_or_b32 s57, s7, s9
	s_and_saveexec_b32 s3, s27
	s_delay_alu instid0(SALU_CYCLE_1)
	s_xor_b32 s7, exec_lo, s3
	s_cbranch_execz .LBB129_30
; %bb.491:                              ;   in Loop: Header=BB129_31 Depth=1
	s_mov_b32 s9, -1
	s_mov_b32 s4, exec_lo
	v_cmpx_eq_u32_e32 0, v2
	s_cbranch_execz .LBB129_29
; %bb.492:                              ;   in Loop: Header=BB129_31 Depth=1
	s_xor_b32 s103, s103, 1
	s_add_co_i32 s3, s99, -2
	s_cmp_eq_u32 s99, 0
	s_mov_b32 s99, s3
	s_cselect_b32 s8, -1, 0
	s_xor_b32 s9, exec_lo, -1
	s_or_not1_b32 s8, s8, exec_lo
	s_branch .LBB129_29
.LBB129_493:
	s_or_b32 exec_lo, exec_lo, s101
	s_xor_b32 s7, s53, -1
	s_xor_b32 s9, vcc_hi, -1
	s_xor_b32 s4, s52, -1
	s_xor_b32 s3, s102, -1
	;; [unrolled: 1-line block ×3, first 2 shown]
	s_mov_b32 s8, 0
	s_and_saveexec_b32 s10, s3
	s_delay_alu instid0(SALU_CYCLE_1)
	s_xor_b32 s16, exec_lo, s10
	s_cbranch_execnz .LBB129_498
; %bb.494:
	s_and_not1_saveexec_b32 s0, s16
	s_cbranch_execnz .LBB129_517
.LBB129_495:
	s_or_b32 exec_lo, exec_lo, s0
	s_and_saveexec_b32 s0, s8
.LBB129_496:
	; divergent unreachable
.LBB129_497:
	s_endpgm
.LBB129_498:
	s_and_saveexec_b32 s3, s4
	s_delay_alu instid0(SALU_CYCLE_1)
	s_xor_b32 s17, exec_lo, s3
	s_cbranch_execz .LBB129_515
; %bb.499:
	s_and_saveexec_b32 s3, s9
	s_delay_alu instid0(SALU_CYCLE_1)
	s_xor_b32 s18, exec_lo, s3
	s_cbranch_execz .LBB129_513
; %bb.500:
	;; [unrolled: 5-line block ×3, first 2 shown]
	s_and_saveexec_b32 s3, s6
	s_delay_alu instid0(SALU_CYCLE_1)
	s_xor_b32 s4, exec_lo, s3
; %bb.502:
	v_mov_b32_e32 v44, v41
; %bb.503:
	s_or_b32 exec_lo, exec_lo, s4
	s_and_saveexec_b32 s4, s5
	v_readlane_b32 s28, v54, 9
; %bb.504:
	v_mov_b64_e32 v[2:3], 0
	v_mov_b32_e32 v4, 0
	ds_store_b64 v4, v[2:3] offset:5136
; %bb.505:
	s_or_b32 exec_lo, exec_lo, s4
	v_mov_b32_e32 v13, 0
	s_wait_dscnt 0x0
	s_barrier_signal -1
	s_barrier_wait -1
	s_mov_b32 s4, exec_lo
	v_readlane_b32 s3, v54, 8
	s_and_b32 s3, s4, s3
	s_delay_alu instid0(SALU_CYCLE_1)
	s_mov_b32 exec_lo, s3
	s_cbranch_execz .LBB129_507
; %bb.506:
	global_load_u8 v13, v[14:15], off
.LBB129_507:
	s_wait_xcnt 0x0
	s_or_b32 exec_lo, exec_lo, s4
	s_clause 0x1
	s_load_b64 s[6:7], s[0:1], 0x368
	s_load_b64 s[8:9], s[0:1], 0x510
	s_wait_xcnt 0x0
	s_add_nc_u64 s[0:1], s[36:37], 31
	s_mov_b64 s[4:5], 0xffffffffffffffe0
	v_readlane_b32 s12, v54, 4
	s_and_b64 s[10:11], s[0:1], s[4:5]
	v_readlane_b32 s4, v54, 0
	v_readlane_b32 s5, v54, 1
	;; [unrolled: 1-line block ×5, first 2 shown]
	v_cmp_gt_u64_e32 vcc_lo, s[10:11], v[0:1]
	s_mul_u64 s[4:5], s[4:5], s[42:43]
	s_lshl_b64 s[14:15], s[46:47], 3
	s_add_nc_u64 s[4:5], s[12:13], s[4:5]
	v_readlane_b32 s12, v54, 6
	v_readlane_b32 s13, v54, 7
	s_mul_u64 s[0:1], s[0:1], s[50:51]
	s_delay_alu instid0(SALU_CYCLE_1) | instskip(NEXT) | instid1(SALU_CYCLE_1)
	s_lshl_b64 s[0:1], s[0:1], 3
	s_add_nc_u64 s[0:1], s[12:13], s[0:1]
	s_add_nc_u64 s[12:13], s[4:5], s[34:35]
	;; [unrolled: 1-line block ×3, first 2 shown]
	s_mov_b32 s0, -1
	s_mov_b32 s5, 0
	s_mov_b32 s1, 0
	s_and_saveexec_b32 s20, vcc_lo
	s_cbranch_execnz .LBB129_518
; %bb.508:
	s_or_b32 exec_lo, exec_lo, s20
	s_and_saveexec_b32 s4, s0
	s_cbranch_execnz .LBB129_533
.LBB129_509:
	s_or_b32 exec_lo, exec_lo, s4
	s_and_saveexec_b32 s0, s1
	s_delay_alu instid0(SALU_CYCLE_1)
	s_xor_b32 s0, exec_lo, s0
	s_cbranch_execnz .LBB129_556
.LBB129_510:
	s_or_b32 exec_lo, exec_lo, s0
	s_wait_kmcnt 0x0
	s_and_b32 s8, s5, exec_lo
.LBB129_511:
	s_and_not1_saveexec_b32 s0, s19
	s_cbranch_execnz .LBB129_558
.LBB129_512:
	s_or_b32 exec_lo, exec_lo, s0
	s_delay_alu instid0(SALU_CYCLE_1)
	s_and_b32 s8, s8, exec_lo
.LBB129_513:
	s_and_not1_saveexec_b32 s0, s18
	s_cbranch_execnz .LBB129_557
.LBB129_514:
	s_or_b32 exec_lo, exec_lo, s0
	s_delay_alu instid0(SALU_CYCLE_1)
	s_and_b32 s8, s8, exec_lo
.LBB129_515:
	s_and_not1_saveexec_b32 s0, s17
	s_cbranch_execnz .LBB129_552
.LBB129_516:
	s_or_b32 exec_lo, exec_lo, s0
	s_delay_alu instid0(SALU_CYCLE_1)
	s_and_b32 s8, s8, exec_lo
	s_and_not1_saveexec_b32 s0, s16
	s_cbranch_execz .LBB129_495
.LBB129_517:
	s_or_b32 s8, s8, exec_lo
	s_trap 2
	s_or_b32 exec_lo, exec_lo, s0
	s_and_saveexec_b32 s0, s8
	s_cbranch_execnz .LBB129_496
	s_branch .LBB129_497
.LBB129_518:
	v_readlane_b32 s0, v54, 15
	v_dual_mov_b32 v5, 0 :: v_dual_add_nc_u32 v4, s40, v0
	v_readlane_b32 s1, v54, 16
	v_mov_b64_e32 v[10:11], v[0:1]
	v_and_b32_e32 v18, 0xff, v44
	s_mov_b32 s21, 0
                                        ; implicit-def: $sgpr22
                                        ; implicit-def: $vgpr8_vgpr9
	v_mad_nc_u64_u32 v[2:3], s30, v4, s[0:1]
	s_delay_alu instid0(VALU_DEP_1)
	v_mad_u32 v3, s31, v4, v3
	s_branch .LBB129_520
.LBB129_519:                            ;   in Loop: Header=BB129_520 Depth=1
	s_or_b32 exec_lo, exec_lo, s23
	s_xor_b32 s0, s4, -1
	s_and_b32 s1, exec_lo, s1
	v_mov_b64_e32 v[10:11], v[6:7]
	v_mov_b32_e32 v13, v19
	s_or_b32 s21, s1, s21
	s_and_not1_b32 s1, s22, exec_lo
	s_and_b32 s0, s0, exec_lo
	s_delay_alu instid0(SALU_CYCLE_1)
	s_or_b32 s22, s1, s0
	s_and_not1_b32 exec_lo, exec_lo, s21
	s_cbranch_execz .LBB129_532
.LBB129_520:                            ; =>This Inner Loop Header: Depth=1
	s_delay_alu instid0(VALU_DEP_4) | instskip(SKIP_2) | instid1(VALU_DEP_2)
	v_add_nc_u64_e32 v[6:7], s[40:41], v[10:11]
	v_mov_b32_e32 v19, 0
	s_mov_b32 s1, exec_lo
	v_cmpx_gt_u64_e64 s[36:37], v[6:7]
	s_cbranch_execz .LBB129_522
; %bb.521:                              ;   in Loop: Header=BB129_520 Depth=1
	global_load_u8 v19, v[2:3], off
.LBB129_522:                            ;   in Loop: Header=BB129_520 Depth=1
	s_wait_xcnt 0x0
	s_or_b32 exec_lo, exec_lo, s1
	s_wait_loadcnt 0x0
	v_and_b32_e32 v4, 0xff, v13
	s_delay_alu instid0(VALU_DEP_1) | instskip(NEXT) | instid1(VALU_DEP_1)
	v_cmp_gt_u16_e64 s0, v4, v18
	v_cndmask_b32_e64 v16, 0, 1, s0
	v_cmp_lt_u16_e64 s0, v4, v18
	s_delay_alu instid0(VALU_DEP_1) | instskip(SKIP_1) | instid1(VALU_DEP_2)
	v_cndmask_b32_e64 v4, 0, 1, s0
	v_cmp_gt_u64_e64 s0, s[36:37], v[10:11]
	v_cndmask_b32_e64 v4, v4, v16, s28
	s_delay_alu instid0(VALU_DEP_1) | instskip(NEXT) | instid1(VALU_DEP_1)
	v_and_b32_e32 v4, 1, v4
	v_cmp_eq_u32_e64 s1, 1, v4
	s_and_b32 s23, s0, s1
	s_delay_alu instid0(SALU_CYCLE_1) | instskip(NEXT) | instid1(VALU_DEP_1)
	v_cndmask_b32_e64 v4, 0, 1, s23
	v_cmp_ne_u32_e64 s0, 0, v4
	s_cmp_lg_u32 s0, 0
	s_cselect_b32 s1, -1, 0
	s_delay_alu instid0(SALU_CYCLE_1) | instskip(NEXT) | instid1(SALU_CYCLE_1)
	s_and_b32 s1, s2, s1
	s_and_saveexec_b32 s24, s1
	s_cbranch_execz .LBB129_526
; %bb.523:                              ;   in Loop: Header=BB129_520 Depth=1
	s_mov_b32 s26, exec_lo
	s_bcnt1_i32_b32 s25, s0
	v_mbcnt_lo_u32_b32 v16, s26, 0
	s_mov_b32 s4, exec_lo
                                        ; implicit-def: $vgpr8_vgpr9
	s_delay_alu instid0(VALU_DEP_1)
	v_cmpx_eq_u32_e32 0, v16
	s_cbranch_execz .LBB129_525
; %bb.524:                              ;   in Loop: Header=BB129_520 Depth=1
	s_bcnt1_i32_b32 s1, s26
	s_delay_alu instid0(SALU_CYCLE_1) | instskip(NEXT) | instid1(SALU_CYCLE_1)
	s_mul_i32 s1, s25, s1
	v_mov_b32_e32 v4, s1
	s_wait_dscnt 0x0
	ds_add_rtn_u64 v[8:9], v5, v[4:5] offset:5136
.LBB129_525:                            ;   in Loop: Header=BB129_520 Depth=1
	s_or_b32 exec_lo, exec_lo, s4
	s_wait_dscnt 0x0
	v_readfirstlane_b32 s27, v9
	v_readfirstlane_b32 s26, v8
	s_delay_alu instid0(VALU_DEP_1)
	v_mad_nc_u64_u32 v[8:9], s25, v16, s[26:27]
.LBB129_526:                            ;   in Loop: Header=BB129_520 Depth=1
	s_or_b32 exec_lo, exec_lo, s24
	s_wait_dscnt 0x1
	ds_bpermute_b32 v8, v5, v8
	s_wait_dscnt 0x1
	ds_bpermute_b32 v9, v5, v9
	s_mov_b32 s1, -1
	s_mov_b32 s25, -1
	s_and_saveexec_b32 s24, s23
	s_cbranch_execz .LBB129_530
; %bb.527:                              ;   in Loop: Header=BB129_520 Depth=1
	v_and_b32_e32 v4, s0, v12
	s_mov_b32 s23, 0
	s_mov_b32 s25, exec_lo
	s_delay_alu instid0(VALU_DEP_1) | instskip(SKIP_1) | instid1(VALU_DEP_1)
	v_bcnt_u32_b32 v4, v4, 0
	s_wait_dscnt 0x0
	v_add_nc_u64_e32 v[16:17], v[8:9], v[4:5]
	s_delay_alu instid0(VALU_DEP_1)
	v_cmpx_gt_u64_e64 s[38:39], v[16:17]
	s_cbranch_execz .LBB129_529
; %bb.528:                              ;   in Loop: Header=BB129_520 Depth=1
	s_wait_kmcnt 0x0
	v_mul_u64_e32 v[20:21], s[8:9], v[16:17]
	v_mad_nc_u64_u32 v[22:23], v16, s6, s[12:13]
	s_mov_b32 s23, exec_lo
	s_delay_alu instid0(VALU_DEP_1) | instskip(NEXT) | instid1(VALU_DEP_1)
	v_mad_u32 v4, v17, s6, v23
	v_mad_u32 v23, v16, s7, v4
	s_delay_alu instid0(VALU_DEP_4)
	v_lshl_add_u64 v[16:17], v[20:21], 3, s[14:15]
	global_store_b8 v[22:23], v13, off
	global_store_b64 v[16:17], v[10:11], off
.LBB129_529:                            ;   in Loop: Header=BB129_520 Depth=1
	s_wait_xcnt 0x0
	s_or_b32 exec_lo, exec_lo, s25
	s_delay_alu instid0(SALU_CYCLE_1)
	s_or_not1_b32 s25, s23, exec_lo
.LBB129_530:                            ;   in Loop: Header=BB129_520 Depth=1
	s_or_b32 exec_lo, exec_lo, s24
	s_mov_b32 s4, -1
	s_and_saveexec_b32 s23, s25
	s_cbranch_execz .LBB129_519
; %bb.531:                              ;   in Loop: Header=BB129_520 Depth=1
	v_cmp_le_u64_e64 s0, s[10:11], v[6:7]
	v_add_nc_u64_e32 v[2:3], s[44:45], v[2:3]
	s_xor_b32 s4, exec_lo, -1
	s_or_not1_b32 s1, s0, exec_lo
	s_branch .LBB129_519
.LBB129_532:
	s_or_b32 exec_lo, exec_lo, s21
	s_delay_alu instid0(SALU_CYCLE_1)
	s_mov_b32 s1, exec_lo
	s_or_not1_b32 s0, s22, exec_lo
	s_or_b32 exec_lo, exec_lo, s20
	s_and_saveexec_b32 s4, s0
	s_cbranch_execz .LBB129_509
.LBB129_533:
	v_mov_b32_e32 v4, 0
	s_wait_storecnt 0x0
	s_wait_loadcnt_dscnt 0x0
	s_barrier_signal -1
	s_barrier_wait -1
	s_mov_b32 s0, exec_lo
	v_readlane_b32 s3, v54, 8
	s_and_b32 s3, s0, s3
	s_delay_alu instid0(SALU_CYCLE_1)
	s_mov_b32 exec_lo, s3
	s_cbranch_execz .LBB129_535
; %bb.534:
	global_load_u8 v4, v[14:15], off
.LBB129_535:
	s_wait_xcnt 0x0
	s_or_b32 exec_lo, exec_lo, s0
	s_mov_b32 s0, 0
	s_and_saveexec_b32 s3, vcc_lo
	s_cbranch_execz .LBB129_555
; %bb.536:
	v_readlane_b32 s20, v54, 15
	v_add_nc_u32_e32 v5, s40, v0
	v_readlane_b32 s21, v54, 16
	v_and_b32_e32 v13, 0xff, v44
	s_mov_b32 s5, 0
                                        ; implicit-def: $vgpr8_vgpr9
	v_mad_nc_u64_u32 v[2:3], s30, v5, s[20:21]
                                        ; implicit-def: $sgpr20
	s_delay_alu instid0(VALU_DEP_1)
	v_mad_u32 v3, s31, v5, v3
	v_mov_b32_e32 v5, 0
	s_branch .LBB129_539
.LBB129_537:                            ;   in Loop: Header=BB129_539 Depth=1
	s_or_b32 exec_lo, exec_lo, s21
	s_delay_alu instid0(SALU_CYCLE_1)
	s_or_not1_b32 s23, s23, exec_lo
	s_or_not1_b32 s22, s22, exec_lo
.LBB129_538:                            ;   in Loop: Header=BB129_539 Depth=1
	s_or_b32 exec_lo, exec_lo, s0
	s_xor_b32 s0, s23, -1
	s_and_b32 s21, exec_lo, s22
	v_mov_b64_e32 v[0:1], v[6:7]
	s_or_b32 s5, s21, s5
	v_mov_b32_e32 v4, v14
	s_and_not1_b32 s20, s20, exec_lo
	s_and_b32 s0, s0, exec_lo
	s_delay_alu instid0(SALU_CYCLE_1)
	s_or_b32 s20, s20, s0
	s_and_not1_b32 exec_lo, exec_lo, s5
	s_cbranch_execz .LBB129_553
.LBB129_539:                            ; =>This Inner Loop Header: Depth=1
	v_add_nc_u64_e32 v[6:7], s[40:41], v[0:1]
	v_mov_b32_e32 v14, 0
	s_mov_b32 s0, exec_lo
	s_delay_alu instid0(VALU_DEP_2)
	v_cmpx_gt_u64_e64 s[36:37], v[6:7]
	s_cbranch_execz .LBB129_541
; %bb.540:                              ;   in Loop: Header=BB129_539 Depth=1
	global_load_u8 v14, v[2:3], off
.LBB129_541:                            ;   in Loop: Header=BB129_539 Depth=1
	s_wait_xcnt 0x0
	s_or_b32 exec_lo, exec_lo, s0
	s_wait_loadcnt 0x0
	v_and_b32_e32 v4, 0xff, v4
	v_cmp_gt_u64_e32 vcc_lo, s[36:37], v[0:1]
	s_delay_alu instid0(VALU_DEP_2) | instskip(SKIP_1) | instid1(SALU_CYCLE_1)
	v_cmp_eq_u16_e64 s0, v4, v13
	s_and_b32 s21, vcc_lo, s0
	v_cndmask_b32_e64 v4, 0, 1, s21
	s_delay_alu instid0(VALU_DEP_1) | instskip(SKIP_2) | instid1(SALU_CYCLE_1)
	v_cmp_ne_u32_e32 vcc_lo, 0, v4
	s_cmp_lg_u32 vcc_lo, 0
	s_cselect_b32 s0, -1, 0
	s_and_b32 s0, s2, s0
	s_delay_alu instid0(SALU_CYCLE_1)
	s_and_saveexec_b32 s22, s0
	s_cbranch_execz .LBB129_545
; %bb.542:                              ;   in Loop: Header=BB129_539 Depth=1
	s_mov_b32 s25, exec_lo
	s_bcnt1_i32_b32 s23, vcc_lo
	v_mbcnt_lo_u32_b32 v10, s25, 0
	s_mov_b32 s24, exec_lo
                                        ; implicit-def: $vgpr8_vgpr9
	s_delay_alu instid0(VALU_DEP_1)
	v_cmpx_eq_u32_e32 0, v10
; %bb.543:                              ;   in Loop: Header=BB129_539 Depth=1
	s_bcnt1_i32_b32 s0, s25
	s_delay_alu instid0(SALU_CYCLE_1) | instskip(NEXT) | instid1(SALU_CYCLE_1)
	s_mul_i32 s0, s23, s0
	v_mov_b32_e32 v4, s0
	ds_add_rtn_u64 v[8:9], v5, v[4:5] offset:5136
; %bb.544:                              ;   in Loop: Header=BB129_539 Depth=1
	s_or_b32 exec_lo, exec_lo, s24
	s_wait_dscnt 0x0
	v_readfirstlane_b32 s25, v9
	v_readfirstlane_b32 s24, v8
	s_delay_alu instid0(VALU_DEP_1)
	v_mad_nc_u64_u32 v[8:9], s23, v10, s[24:25]
.LBB129_545:                            ;   in Loop: Header=BB129_539 Depth=1
	s_or_b32 exec_lo, exec_lo, s22
	ds_bpermute_b32 v8, v5, v8
	ds_bpermute_b32 v9, v5, v9
	s_cmp_eq_u32 vcc_lo, 0
	s_mov_b32 s22, -1
	s_cselect_b32 s23, -1, 0
	s_wait_dscnt 0x0
	v_cmp_gt_u64_e64 s0, s[38:39], v[8:9]
	s_or_b32 s24, s23, s0
	s_mov_b32 s23, -1
	s_and_saveexec_b32 s0, s24
	s_cbranch_execz .LBB129_538
; %bb.546:                              ;   in Loop: Header=BB129_539 Depth=1
	v_and_b32_e32 v4, vcc_lo, v12
	v_sub_nc_u64_e32 v[10:11], s[38:39], v[8:9]
	s_mov_b32 s24, -1
	s_delay_alu instid0(VALU_DEP_2) | instskip(NEXT) | instid1(VALU_DEP_1)
	v_bcnt_u32_b32 v4, v4, 0
	v_bcnt_u32_b32 v4, 0, v4
	s_delay_alu instid0(VALU_DEP_1) | instskip(SKIP_1) | instid1(SALU_CYCLE_1)
	v_cmp_gt_u64_e32 vcc_lo, v[10:11], v[4:5]
	s_and_b32 s25, s21, vcc_lo
	s_and_saveexec_b32 s21, s25
	s_cbranch_execz .LBB129_550
; %bb.547:                              ;   in Loop: Header=BB129_539 Depth=1
	v_add_nc_u64_e32 v[10:11], v[8:9], v[4:5]
	s_mov_b32 s24, 0
	s_mov_b32 s23, exec_lo
	s_delay_alu instid0(VALU_DEP_1)
	v_cmpx_gt_u64_e64 s[38:39], v[10:11]
	s_cbranch_execz .LBB129_549
; %bb.548:                              ;   in Loop: Header=BB129_539 Depth=1
	s_wait_kmcnt 0x0
	v_mul_u64_e32 v[16:17], s[8:9], v[10:11]
	v_mad_nc_u64_u32 v[18:19], v10, s6, s[12:13]
	s_mov_b32 s24, exec_lo
	s_delay_alu instid0(VALU_DEP_1) | instskip(NEXT) | instid1(VALU_DEP_1)
	v_mad_u32 v4, v11, s6, v19
	v_mad_u32 v19, v10, s7, v4
	s_delay_alu instid0(VALU_DEP_4)
	v_lshl_add_u64 v[10:11], v[16:17], 3, s[14:15]
	global_store_b8 v[18:19], v44, off
	global_store_b64 v[10:11], v[0:1], off
.LBB129_549:                            ;   in Loop: Header=BB129_539 Depth=1
	s_wait_xcnt 0x0
	s_or_b32 exec_lo, exec_lo, s23
	s_delay_alu instid0(SALU_CYCLE_1)
	s_xor_b32 s23, exec_lo, -1
	s_or_not1_b32 s24, s24, exec_lo
.LBB129_550:                            ;   in Loop: Header=BB129_539 Depth=1
	s_or_b32 exec_lo, exec_lo, s21
	s_and_saveexec_b32 s21, s24
	s_cbranch_execz .LBB129_537
; %bb.551:                              ;   in Loop: Header=BB129_539 Depth=1
	v_cmp_le_u64_e32 vcc_lo, s[10:11], v[6:7]
	v_add_nc_u64_e32 v[2:3], s[44:45], v[2:3]
	s_or_b32 s23, s23, exec_lo
	s_or_not1_b32 s22, vcc_lo, exec_lo
	s_branch .LBB129_537
.LBB129_552:
	s_or_b32 s8, s8, exec_lo
	s_trap 2
	s_branch .LBB129_516
.LBB129_553:
	s_or_b32 exec_lo, exec_lo, s5
	s_mov_b32 s0, 0
	s_and_saveexec_b32 s2, s20
	s_delay_alu instid0(SALU_CYCLE_1)
	s_xor_b32 s2, exec_lo, s2
	s_cbranch_execnz .LBB129_559
.LBB129_554:
	s_or_b32 exec_lo, exec_lo, s2
	s_delay_alu instid0(SALU_CYCLE_1)
	s_and_b32 s0, s0, exec_lo
.LBB129_555:
	s_or_b32 exec_lo, exec_lo, s3
	s_delay_alu instid0(SALU_CYCLE_1) | instskip(SKIP_3) | instid1(SALU_CYCLE_1)
	s_and_b32 s5, s0, exec_lo
	s_and_not1_b32 s1, s1, exec_lo
	s_or_b32 exec_lo, exec_lo, s4
	s_and_saveexec_b32 s0, s1
	s_xor_b32 s0, exec_lo, s0
	s_cbranch_execz .LBB129_510
.LBB129_556:
	s_or_b32 s5, s5, exec_lo
	s_trap 2
	s_branch .LBB129_510
.LBB129_557:
	s_or_b32 s8, s8, exec_lo
	s_trap 2
	s_branch .LBB129_514
.LBB129_558:
	s_or_b32 s8, s8, exec_lo
	s_trap 2
	s_branch .LBB129_512
.LBB129_559:
	s_mov_b32 s0, exec_lo
	s_trap 2
	s_branch .LBB129_554
	.section	.rodata,"a",@progbits
	.p2align	6, 0x0
	.amdhsa_kernel _ZN2at6native6sbtopk10gatherTopKIhmLin1ELb0EEEvNS_4cuda6detail10TensorInfoIKT_T0_EES8_S8_bS8_S8_NS5_IS6_S8_EES8_NS5_IlS8_EES8_PS6_
		.amdhsa_group_segment_fixed_size 5152
		.amdhsa_private_segment_fixed_size 0
		.amdhsa_kernarg_size 1568
		.amdhsa_user_sgpr_count 2
		.amdhsa_user_sgpr_dispatch_ptr 0
		.amdhsa_user_sgpr_queue_ptr 0
		.amdhsa_user_sgpr_kernarg_segment_ptr 1
		.amdhsa_user_sgpr_dispatch_id 0
		.amdhsa_user_sgpr_kernarg_preload_length 0
		.amdhsa_user_sgpr_kernarg_preload_offset 0
		.amdhsa_user_sgpr_private_segment_size 0
		.amdhsa_wavefront_size32 1
		.amdhsa_uses_dynamic_stack 0
		.amdhsa_enable_private_segment 0
		.amdhsa_system_sgpr_workgroup_id_x 1
		.amdhsa_system_sgpr_workgroup_id_y 1
		.amdhsa_system_sgpr_workgroup_id_z 1
		.amdhsa_system_sgpr_workgroup_info 0
		.amdhsa_system_vgpr_workitem_id 0
		.amdhsa_next_free_vgpr 55
		.amdhsa_next_free_sgpr 105
		.amdhsa_named_barrier_count 0
		.amdhsa_reserve_vcc 1
		.amdhsa_float_round_mode_32 0
		.amdhsa_float_round_mode_16_64 0
		.amdhsa_float_denorm_mode_32 3
		.amdhsa_float_denorm_mode_16_64 3
		.amdhsa_fp16_overflow 0
		.amdhsa_memory_ordered 1
		.amdhsa_forward_progress 1
		.amdhsa_inst_pref_size 214
		.amdhsa_round_robin_scheduling 0
		.amdhsa_exception_fp_ieee_invalid_op 0
		.amdhsa_exception_fp_denorm_src 0
		.amdhsa_exception_fp_ieee_div_zero 0
		.amdhsa_exception_fp_ieee_overflow 0
		.amdhsa_exception_fp_ieee_underflow 0
		.amdhsa_exception_fp_ieee_inexact 0
		.amdhsa_exception_int_div_zero 0
	.end_amdhsa_kernel
	.section	.text._ZN2at6native6sbtopk10gatherTopKIhmLin1ELb0EEEvNS_4cuda6detail10TensorInfoIKT_T0_EES8_S8_bS8_S8_NS5_IS6_S8_EES8_NS5_IlS8_EES8_PS6_,"axG",@progbits,_ZN2at6native6sbtopk10gatherTopKIhmLin1ELb0EEEvNS_4cuda6detail10TensorInfoIKT_T0_EES8_S8_bS8_S8_NS5_IS6_S8_EES8_NS5_IlS8_EES8_PS6_,comdat
.Lfunc_end129:
	.size	_ZN2at6native6sbtopk10gatherTopKIhmLin1ELb0EEEvNS_4cuda6detail10TensorInfoIKT_T0_EES8_S8_bS8_S8_NS5_IS6_S8_EES8_NS5_IlS8_EES8_PS6_, .Lfunc_end129-_ZN2at6native6sbtopk10gatherTopKIhmLin1ELb0EEEvNS_4cuda6detail10TensorInfoIKT_T0_EES8_S8_bS8_S8_NS5_IS6_S8_EES8_NS5_IlS8_EES8_PS6_
                                        ; -- End function
	.set _ZN2at6native6sbtopk10gatherTopKIhmLin1ELb0EEEvNS_4cuda6detail10TensorInfoIKT_T0_EES8_S8_bS8_S8_NS5_IS6_S8_EES8_NS5_IlS8_EES8_PS6_.num_vgpr, 55
	.set _ZN2at6native6sbtopk10gatherTopKIhmLin1ELb0EEEvNS_4cuda6detail10TensorInfoIKT_T0_EES8_S8_bS8_S8_NS5_IS6_S8_EES8_NS5_IlS8_EES8_PS6_.num_agpr, 0
	.set _ZN2at6native6sbtopk10gatherTopKIhmLin1ELb0EEEvNS_4cuda6detail10TensorInfoIKT_T0_EES8_S8_bS8_S8_NS5_IS6_S8_EES8_NS5_IlS8_EES8_PS6_.numbered_sgpr, 105
	.set _ZN2at6native6sbtopk10gatherTopKIhmLin1ELb0EEEvNS_4cuda6detail10TensorInfoIKT_T0_EES8_S8_bS8_S8_NS5_IS6_S8_EES8_NS5_IlS8_EES8_PS6_.num_named_barrier, 0
	.set _ZN2at6native6sbtopk10gatherTopKIhmLin1ELb0EEEvNS_4cuda6detail10TensorInfoIKT_T0_EES8_S8_bS8_S8_NS5_IS6_S8_EES8_NS5_IlS8_EES8_PS6_.private_seg_size, 0
	.set _ZN2at6native6sbtopk10gatherTopKIhmLin1ELb0EEEvNS_4cuda6detail10TensorInfoIKT_T0_EES8_S8_bS8_S8_NS5_IS6_S8_EES8_NS5_IlS8_EES8_PS6_.uses_vcc, 1
	.set _ZN2at6native6sbtopk10gatherTopKIhmLin1ELb0EEEvNS_4cuda6detail10TensorInfoIKT_T0_EES8_S8_bS8_S8_NS5_IS6_S8_EES8_NS5_IlS8_EES8_PS6_.uses_flat_scratch, 0
	.set _ZN2at6native6sbtopk10gatherTopKIhmLin1ELb0EEEvNS_4cuda6detail10TensorInfoIKT_T0_EES8_S8_bS8_S8_NS5_IS6_S8_EES8_NS5_IlS8_EES8_PS6_.has_dyn_sized_stack, 0
	.set _ZN2at6native6sbtopk10gatherTopKIhmLin1ELb0EEEvNS_4cuda6detail10TensorInfoIKT_T0_EES8_S8_bS8_S8_NS5_IS6_S8_EES8_NS5_IlS8_EES8_PS6_.has_recursion, 0
	.set _ZN2at6native6sbtopk10gatherTopKIhmLin1ELb0EEEvNS_4cuda6detail10TensorInfoIKT_T0_EES8_S8_bS8_S8_NS5_IS6_S8_EES8_NS5_IlS8_EES8_PS6_.has_indirect_call, 0
	.section	.AMDGPU.csdata,"",@progbits
; Kernel info:
; codeLenInByte = 27304
; TotalNumSgprs: 107
; NumVgprs: 55
; ScratchSize: 0
; MemoryBound: 0
; FloatMode: 240
; IeeeMode: 1
; LDSByteSize: 5152 bytes/workgroup (compile time only)
; SGPRBlocks: 0
; VGPRBlocks: 3
; NumSGPRsForWavesPerEU: 107
; NumVGPRsForWavesPerEU: 55
; NamedBarCnt: 0
; Occupancy: 16
; WaveLimiterHint : 1
; COMPUTE_PGM_RSRC2:SCRATCH_EN: 0
; COMPUTE_PGM_RSRC2:USER_SGPR: 2
; COMPUTE_PGM_RSRC2:TRAP_HANDLER: 0
; COMPUTE_PGM_RSRC2:TGID_X_EN: 1
; COMPUTE_PGM_RSRC2:TGID_Y_EN: 1
; COMPUTE_PGM_RSRC2:TGID_Z_EN: 1
; COMPUTE_PGM_RSRC2:TIDIG_COMP_CNT: 0
	.section	.text._ZN2at6native6mbtopk23computeBlockDigitCountsIamjLi1EEEvNS_4cuda6detail10TensorInfoIKT_T0_EEjPjjS8_iijT1_PSB_Ps,"axG",@progbits,_ZN2at6native6mbtopk23computeBlockDigitCountsIamjLi1EEEvNS_4cuda6detail10TensorInfoIKT_T0_EEjPjjS8_iijT1_PSB_Ps,comdat
	.protected	_ZN2at6native6mbtopk23computeBlockDigitCountsIamjLi1EEEvNS_4cuda6detail10TensorInfoIKT_T0_EEjPjjS8_iijT1_PSB_Ps ; -- Begin function _ZN2at6native6mbtopk23computeBlockDigitCountsIamjLi1EEEvNS_4cuda6detail10TensorInfoIKT_T0_EEjPjjS8_iijT1_PSB_Ps
	.globl	_ZN2at6native6mbtopk23computeBlockDigitCountsIamjLi1EEEvNS_4cuda6detail10TensorInfoIKT_T0_EEjPjjS8_iijT1_PSB_Ps
	.p2align	8
	.type	_ZN2at6native6mbtopk23computeBlockDigitCountsIamjLi1EEEvNS_4cuda6detail10TensorInfoIKT_T0_EEjPjjS8_iijT1_PSB_Ps,@function
_ZN2at6native6mbtopk23computeBlockDigitCountsIamjLi1EEEvNS_4cuda6detail10TensorInfoIKT_T0_EEjPjjS8_iijT1_PSB_Ps: ; @_ZN2at6native6mbtopk23computeBlockDigitCountsIamjLi1EEEvNS_4cuda6detail10TensorInfoIKT_T0_EEjPjjS8_iijT1_PSB_Ps
; %bb.0:
	s_load_b128 s[4:7], s[0:1], 0x1c0
	s_bfe_u32 s2, ttmp6, 0x40010
	s_and_b32 s8, ttmp7, 0xffff
	s_add_co_i32 s9, s2, 1
	s_bfe_u32 s10, ttmp6, 0x40004
	s_mul_i32 s9, s8, s9
	s_load_b64 s[2:3], s[0:1], 0x1e0
	s_add_co_i32 s10, s10, s9
	s_bfe_u32 s11, ttmp6, 0x4000c
	s_bfe_u32 s13, ttmp6, 0x40014
	s_add_co_i32 s11, s11, 1
	s_and_b32 s12, ttmp6, 15
	s_mul_i32 s11, ttmp9, s11
	s_add_co_i32 s13, s13, 1
	s_add_co_i32 s12, s12, s11
	s_getreg_b32 s14, hwreg(HW_REG_IB_STS2, 6, 4)
	s_wait_kmcnt 0x0
	s_cvt_f32_u32 s9, s6
	s_delay_alu instid0(SALU_CYCLE_3) | instskip(SKIP_1) | instid1(SALU_CYCLE_1)
	v_rcp_iflag_f32_e32 v1, s9
	s_lshr_b32 s9, ttmp7, 16
	s_mul_i32 s11, s9, s13
	s_bfe_u32 s13, ttmp6, 0x40008
	s_delay_alu instid0(SALU_CYCLE_1) | instskip(SKIP_1) | instid1(TRANS32_DEP_1)
	s_add_co_i32 s13, s13, s11
	v_nop
	v_readfirstlane_b32 s15, v1
	s_cmp_eq_u32 s14, 0
	s_cselect_b32 s9, s9, s13
	s_load_b32 s13, s[0:1], 0x1b0
	s_mul_f32 s11, s15, 0x4f7ffffe
	s_mul_i32 s3, s3, s9
	s_cselect_b32 s9, ttmp9, s12
	s_cselect_b32 s8, s8, s10
	s_cvt_u32_f32 s11, s11
	s_sub_co_i32 s10, 0, s6
	s_add_co_i32 s3, s3, s8
	s_delay_alu instid0(SALU_CYCLE_1) | instskip(SKIP_3) | instid1(SALU_CYCLE_1)
	s_mul_i32 s16, s3, s2
	s_mul_i32 s10, s10, s11
	s_add_co_i32 s16, s16, s9
	s_mul_hi_u32 s2, s11, s10
	s_add_co_i32 s11, s11, s2
	s_delay_alu instid0(SALU_CYCLE_1) | instskip(NEXT) | instid1(SALU_CYCLE_1)
	s_mul_hi_u32 s2, s16, s11
	s_mul_i32 s3, s2, s6
	s_add_co_i32 s8, s2, 1
	s_sub_co_i32 s3, s16, s3
	s_delay_alu instid0(SALU_CYCLE_1)
	s_sub_co_i32 s9, s3, s6
	s_cmp_ge_u32 s3, s6
	s_cselect_b32 s2, s8, s2
	s_cselect_b32 s3, s9, s3
	s_add_co_i32 s8, s2, 1
	s_cmp_ge_u32 s3, s6
	s_cselect_b32 s12, s8, s2
	s_wait_kmcnt 0x0
	s_cmp_ge_u32 s12, s13
	s_mov_b32 s13, 0
	s_cbranch_scc1 .LBB130_21
; %bb.1:
	v_cmp_gt_u32_e32 vcc_lo, 0x100, v0
	v_lshlrev_b32_e32 v1, 2, v0
	s_and_saveexec_b32 s2, vcc_lo
; %bb.2:
	v_mov_b32_e32 v2, 0
	ds_store_b32 v1, v2
; %bb.3:
	s_or_b32 exec_lo, exec_lo, s2
	s_clause 0x1
	s_load_b32 s17, s[0:1], 0x1a0
	s_load_b128 s[8:11], s[0:1], 0x1d0
	s_mul_i32 s2, s12, s6
	s_mov_b32 s15, 0
	s_sub_co_i32 s19, s16, s2
	s_wait_dscnt 0x0
	s_mul_i32 s2, s5, s19
	s_add_co_i32 s19, s19, 1
	s_lshl_b32 s18, s2, 8
	s_barrier_signal -1
	s_barrier_wait -1
	s_wait_kmcnt 0x0
	s_sub_co_i32 s14, s17, s18
	s_delay_alu instid0(SALU_CYCLE_1) | instskip(NEXT) | instid1(SALU_CYCLE_1)
	s_add_nc_u64 s[2:3], s[14:15], 0xff
	s_lshr_b64 s[2:3], s[2:3], 8
	s_cmp_lt_u32 s19, s6
	s_cselect_b32 s6, s5, s2
	s_delay_alu instid0(SALU_CYCLE_1)
	s_cmp_lt_i32 s6, 1
	s_cbranch_scc1 .LBB130_19
; %bb.4:
	s_clause 0x2
	s_load_b64 s[20:21], s[0:1], 0xd0
	s_load_b64 s[2:3], s[0:1], 0x1b8
	s_load_b64 s[22:23], s[0:1], 0x0
	s_load_b32 s14, s[8:9], s12 offset:0x0 scale_offset
	v_add_nc_u32_e32 v2, s18, v0
	s_wait_xcnt 0x0
	s_and_b32 s1, s4, 0xff
	s_cmp_eq_u32 s6, 1
	s_wait_kmcnt 0x0
	s_mul_u64 s[8:9], s[20:21], s[12:13]
	s_delay_alu instid0(SALU_CYCLE_1)
	s_add_nc_u64 s[4:5], s[22:23], s[8:9]
	s_cbranch_scc1 .LBB130_14
; %bb.5:
	v_dual_mov_b32 v3, 1 :: v_dual_mov_b32 v4, v2
	s_and_b32 s8, s6, 0x7ffffffe
	s_mov_b32 s9, 0
	s_branch .LBB130_7
.LBB130_6:                              ;   in Loop: Header=BB130_7 Depth=1
	s_or_b32 exec_lo, exec_lo, s12
	v_add_nc_u32_e32 v4, 0x200, v4
	s_add_co_i32 s9, s9, 2
	s_delay_alu instid0(SALU_CYCLE_1)
	s_cmp_eq_u32 s8, s9
	s_cbranch_scc1 .LBB130_13
.LBB130_7:                              ; =>This Inner Loop Header: Depth=1
	s_mov_b32 s12, exec_lo
	v_cmpx_gt_u32_e64 s17, v4
	s_cbranch_execz .LBB130_10
; %bb.8:                                ;   in Loop: Header=BB130_7 Depth=1
	v_mad_nc_u64_u32 v[6:7], s2, v4, s[4:5]
	s_delay_alu instid0(VALU_DEP_1) | instskip(SKIP_4) | instid1(VALU_DEP_1)
	v_mad_u32 v7, s3, v4, v7
	global_load_i8 v5, v[6:7], off
	s_wait_loadcnt 0x0
	v_add_nc_u32_e32 v5, 0x80, v5
	s_wait_xcnt 0x0
	v_bitop3_b32 v6, v5, s7, s14 bitop3:0x48
	s_delay_alu instid0(VALU_DEP_1)
	v_cmp_eq_u32_e64 s0, 0, v6
	s_and_b32 exec_lo, exec_lo, s0
; %bb.9:                                ;   in Loop: Header=BB130_7 Depth=1
	v_lshrrev_b32_e32 v5, s1, v5
	s_delay_alu instid0(VALU_DEP_1)
	v_lshlrev_b32_e32 v5, 2, v5
	ds_add_u32 v5, v3
.LBB130_10:                             ;   in Loop: Header=BB130_7 Depth=1
	s_or_b32 exec_lo, exec_lo, s12
	v_add_nc_u32_e32 v5, 0x100, v4
	s_mov_b32 s12, exec_lo
	s_delay_alu instid0(VALU_DEP_1)
	v_cmpx_gt_u32_e64 s17, v5
	s_cbranch_execz .LBB130_6
; %bb.11:                               ;   in Loop: Header=BB130_7 Depth=1
	v_mad_nc_u64_u32 v[6:7], s2, v5, s[4:5]
	s_delay_alu instid0(VALU_DEP_1) | instskip(SKIP_3) | instid1(VALU_DEP_1)
	v_mad_u32 v7, s3, v5, v7
	global_load_i8 v5, v[6:7], off
	s_wait_loadcnt 0x0
	v_add_nc_u32_e32 v5, 0x80, v5
	v_bitop3_b32 v6, v5, s7, s14 bitop3:0x48
	s_delay_alu instid0(VALU_DEP_1)
	v_cmp_eq_u32_e64 s0, 0, v6
	s_and_b32 exec_lo, exec_lo, s0
	s_cbranch_execz .LBB130_6
; %bb.12:                               ;   in Loop: Header=BB130_7 Depth=1
	v_lshrrev_b32_e32 v5, s1, v5
	s_delay_alu instid0(VALU_DEP_1)
	v_lshlrev_b32_e32 v5, 2, v5
	ds_add_u32 v5, v3
	s_branch .LBB130_6
.LBB130_13:
	s_lshl_b32 s15, s8, 8
.LBB130_14:
	s_bitcmp0_b32 s6, 0
	s_cbranch_scc1 .LBB130_19
; %bb.15:
	v_add_nc_u32_e32 v2, s15, v2
	s_mov_b32 s6, exec_lo
	s_delay_alu instid0(VALU_DEP_1)
	v_cmpx_gt_u32_e64 s17, v2
	s_cbranch_execz .LBB130_18
; %bb.16:
	v_mad_nc_u64_u32 v[4:5], s2, v2, s[4:5]
	s_delay_alu instid0(VALU_DEP_1) | instskip(SKIP_3) | instid1(VALU_DEP_1)
	v_mad_u32 v5, s3, v2, v5
	global_load_i8 v2, v[4:5], off
	s_wait_loadcnt 0x0
	v_add_nc_u32_e32 v2, 0x80, v2
	v_bitop3_b32 v3, v2, s7, s14 bitop3:0x48
	s_delay_alu instid0(VALU_DEP_1)
	v_cmp_eq_u32_e64 s0, 0, v3
	s_and_b32 exec_lo, exec_lo, s0
; %bb.17:
	v_dual_mov_b32 v3, 1 :: v_dual_lshrrev_b32 v2, s1, v2
	s_delay_alu instid0(VALU_DEP_1)
	v_lshlrev_b32_e32 v2, 2, v2
	ds_add_u32 v2, v3
.LBB130_18:
	s_or_b32 exec_lo, exec_lo, s6
.LBB130_19:
	s_wait_dscnt 0x0
	s_barrier_signal -1
	s_barrier_wait -1
	s_and_saveexec_b32 s0, vcc_lo
	s_cbranch_execz .LBB130_21
; %bb.20:
	ds_load_b32 v1, v1
	v_lshl_or_b32 v0, s16, 8, v0
	s_wait_dscnt 0x0
	global_store_b16 v0, v1, s[10:11] scale_offset
.LBB130_21:
	s_endpgm
	.section	.rodata,"a",@progbits
	.p2align	6, 0x0
	.amdhsa_kernel _ZN2at6native6mbtopk23computeBlockDigitCountsIamjLi1EEEvNS_4cuda6detail10TensorInfoIKT_T0_EEjPjjS8_iijT1_PSB_Ps
		.amdhsa_group_segment_fixed_size 1024
		.amdhsa_private_segment_fixed_size 0
		.amdhsa_kernarg_size 736
		.amdhsa_user_sgpr_count 2
		.amdhsa_user_sgpr_dispatch_ptr 0
		.amdhsa_user_sgpr_queue_ptr 0
		.amdhsa_user_sgpr_kernarg_segment_ptr 1
		.amdhsa_user_sgpr_dispatch_id 0
		.amdhsa_user_sgpr_kernarg_preload_length 0
		.amdhsa_user_sgpr_kernarg_preload_offset 0
		.amdhsa_user_sgpr_private_segment_size 0
		.amdhsa_wavefront_size32 1
		.amdhsa_uses_dynamic_stack 0
		.amdhsa_enable_private_segment 0
		.amdhsa_system_sgpr_workgroup_id_x 1
		.amdhsa_system_sgpr_workgroup_id_y 1
		.amdhsa_system_sgpr_workgroup_id_z 1
		.amdhsa_system_sgpr_workgroup_info 0
		.amdhsa_system_vgpr_workitem_id 0
		.amdhsa_next_free_vgpr 8
		.amdhsa_next_free_sgpr 24
		.amdhsa_named_barrier_count 0
		.amdhsa_reserve_vcc 1
		.amdhsa_float_round_mode_32 0
		.amdhsa_float_round_mode_16_64 0
		.amdhsa_float_denorm_mode_32 3
		.amdhsa_float_denorm_mode_16_64 3
		.amdhsa_fp16_overflow 0
		.amdhsa_memory_ordered 1
		.amdhsa_forward_progress 1
		.amdhsa_inst_pref_size 8
		.amdhsa_round_robin_scheduling 0
		.amdhsa_exception_fp_ieee_invalid_op 0
		.amdhsa_exception_fp_denorm_src 0
		.amdhsa_exception_fp_ieee_div_zero 0
		.amdhsa_exception_fp_ieee_overflow 0
		.amdhsa_exception_fp_ieee_underflow 0
		.amdhsa_exception_fp_ieee_inexact 0
		.amdhsa_exception_int_div_zero 0
	.end_amdhsa_kernel
	.section	.text._ZN2at6native6mbtopk23computeBlockDigitCountsIamjLi1EEEvNS_4cuda6detail10TensorInfoIKT_T0_EEjPjjS8_iijT1_PSB_Ps,"axG",@progbits,_ZN2at6native6mbtopk23computeBlockDigitCountsIamjLi1EEEvNS_4cuda6detail10TensorInfoIKT_T0_EEjPjjS8_iijT1_PSB_Ps,comdat
.Lfunc_end130:
	.size	_ZN2at6native6mbtopk23computeBlockDigitCountsIamjLi1EEEvNS_4cuda6detail10TensorInfoIKT_T0_EEjPjjS8_iijT1_PSB_Ps, .Lfunc_end130-_ZN2at6native6mbtopk23computeBlockDigitCountsIamjLi1EEEvNS_4cuda6detail10TensorInfoIKT_T0_EEjPjjS8_iijT1_PSB_Ps
                                        ; -- End function
	.set _ZN2at6native6mbtopk23computeBlockDigitCountsIamjLi1EEEvNS_4cuda6detail10TensorInfoIKT_T0_EEjPjjS8_iijT1_PSB_Ps.num_vgpr, 8
	.set _ZN2at6native6mbtopk23computeBlockDigitCountsIamjLi1EEEvNS_4cuda6detail10TensorInfoIKT_T0_EEjPjjS8_iijT1_PSB_Ps.num_agpr, 0
	.set _ZN2at6native6mbtopk23computeBlockDigitCountsIamjLi1EEEvNS_4cuda6detail10TensorInfoIKT_T0_EEjPjjS8_iijT1_PSB_Ps.numbered_sgpr, 24
	.set _ZN2at6native6mbtopk23computeBlockDigitCountsIamjLi1EEEvNS_4cuda6detail10TensorInfoIKT_T0_EEjPjjS8_iijT1_PSB_Ps.num_named_barrier, 0
	.set _ZN2at6native6mbtopk23computeBlockDigitCountsIamjLi1EEEvNS_4cuda6detail10TensorInfoIKT_T0_EEjPjjS8_iijT1_PSB_Ps.private_seg_size, 0
	.set _ZN2at6native6mbtopk23computeBlockDigitCountsIamjLi1EEEvNS_4cuda6detail10TensorInfoIKT_T0_EEjPjjS8_iijT1_PSB_Ps.uses_vcc, 1
	.set _ZN2at6native6mbtopk23computeBlockDigitCountsIamjLi1EEEvNS_4cuda6detail10TensorInfoIKT_T0_EEjPjjS8_iijT1_PSB_Ps.uses_flat_scratch, 0
	.set _ZN2at6native6mbtopk23computeBlockDigitCountsIamjLi1EEEvNS_4cuda6detail10TensorInfoIKT_T0_EEjPjjS8_iijT1_PSB_Ps.has_dyn_sized_stack, 0
	.set _ZN2at6native6mbtopk23computeBlockDigitCountsIamjLi1EEEvNS_4cuda6detail10TensorInfoIKT_T0_EEjPjjS8_iijT1_PSB_Ps.has_recursion, 0
	.set _ZN2at6native6mbtopk23computeBlockDigitCountsIamjLi1EEEvNS_4cuda6detail10TensorInfoIKT_T0_EEjPjjS8_iijT1_PSB_Ps.has_indirect_call, 0
	.section	.AMDGPU.csdata,"",@progbits
; Kernel info:
; codeLenInByte = 964
; TotalNumSgprs: 26
; NumVgprs: 8
; ScratchSize: 0
; MemoryBound: 0
; FloatMode: 240
; IeeeMode: 1
; LDSByteSize: 1024 bytes/workgroup (compile time only)
; SGPRBlocks: 0
; VGPRBlocks: 0
; NumSGPRsForWavesPerEU: 26
; NumVGPRsForWavesPerEU: 8
; NamedBarCnt: 0
; Occupancy: 16
; WaveLimiterHint : 1
; COMPUTE_PGM_RSRC2:SCRATCH_EN: 0
; COMPUTE_PGM_RSRC2:USER_SGPR: 2
; COMPUTE_PGM_RSRC2:TRAP_HANDLER: 0
; COMPUTE_PGM_RSRC2:TGID_X_EN: 1
; COMPUTE_PGM_RSRC2:TGID_Y_EN: 1
; COMPUTE_PGM_RSRC2:TGID_Z_EN: 1
; COMPUTE_PGM_RSRC2:TIDIG_COMP_CNT: 0
	.section	.text._ZN2at6native6mbtopk10gatherTopKIamLi1EEEvNS_4cuda6detail10TensorInfoIKT_T0_EES8_S8_bjS8_NS5_IS6_S8_EES8_NS5_IlS8_EES8_jjPS6_PjSD_j,"axG",@progbits,_ZN2at6native6mbtopk10gatherTopKIamLi1EEEvNS_4cuda6detail10TensorInfoIKT_T0_EES8_S8_bjS8_NS5_IS6_S8_EES8_NS5_IlS8_EES8_jjPS6_PjSD_j,comdat
	.protected	_ZN2at6native6mbtopk10gatherTopKIamLi1EEEvNS_4cuda6detail10TensorInfoIKT_T0_EES8_S8_bjS8_NS5_IS6_S8_EES8_NS5_IlS8_EES8_jjPS6_PjSD_j ; -- Begin function _ZN2at6native6mbtopk10gatherTopKIamLi1EEEvNS_4cuda6detail10TensorInfoIKT_T0_EES8_S8_bjS8_NS5_IS6_S8_EES8_NS5_IlS8_EES8_jjPS6_PjSD_j
	.globl	_ZN2at6native6mbtopk10gatherTopKIamLi1EEEvNS_4cuda6detail10TensorInfoIKT_T0_EES8_S8_bjS8_NS5_IS6_S8_EES8_NS5_IlS8_EES8_jjPS6_PjSD_j
	.p2align	8
	.type	_ZN2at6native6mbtopk10gatherTopKIamLi1EEEvNS_4cuda6detail10TensorInfoIKT_T0_EES8_S8_bjS8_NS5_IS6_S8_EES8_NS5_IlS8_EES8_jjPS6_PjSD_j,@function
_ZN2at6native6mbtopk10gatherTopKIamLi1EEEvNS_4cuda6detail10TensorInfoIKT_T0_EES8_S8_bjS8_NS5_IS6_S8_EES8_NS5_IlS8_EES8_jjPS6_PjSD_j: ; @_ZN2at6native6mbtopk10gatherTopKIamLi1EEEvNS_4cuda6detail10TensorInfoIKT_T0_EES8_S8_bjS8_NS5_IS6_S8_EES8_NS5_IlS8_EES8_jjPS6_PjSD_j
; %bb.0:
	s_bfe_u32 s2, ttmp6, 0x40010
	s_and_b32 s4, ttmp7, 0xffff
	s_add_co_i32 s5, s2, 1
	s_clause 0x1
	s_load_b32 s6, s[0:1], 0x530
	s_load_b64 s[2:3], s[0:1], 0x538
	s_bfe_u32 s8, ttmp6, 0x4000c
	s_mul_i32 s5, s4, s5
	s_bfe_u32 s7, ttmp6, 0x40004
	s_add_co_i32 s8, s8, 1
	s_bfe_u32 s9, ttmp6, 0x40014
	s_add_co_i32 s7, s7, s5
	s_and_b32 s5, ttmp6, 15
	s_mul_i32 s8, ttmp9, s8
	s_lshr_b32 s10, ttmp7, 16
	s_add_co_i32 s9, s9, 1
	s_add_co_i32 s5, s5, s8
	s_mul_i32 s8, s10, s9
	s_bfe_u32 s9, ttmp6, 0x40008
	s_getreg_b32 s11, hwreg(HW_REG_IB_STS2, 6, 4)
	s_add_co_i32 s9, s9, s8
	s_cmp_eq_u32 s11, 0
	s_cselect_b32 s8, s10, s9
	s_cselect_b32 s4, s4, s7
	s_wait_kmcnt 0x0
	s_mul_i32 s3, s3, s8
	s_cselect_b32 s5, ttmp9, s5
	s_add_co_i32 s3, s3, s4
	s_delay_alu instid0(SALU_CYCLE_1) | instskip(NEXT) | instid1(SALU_CYCLE_1)
	s_mul_i32 s2, s3, s2
	s_add_co_i32 s2, s2, s5
	s_delay_alu instid0(SALU_CYCLE_1)
	s_cmp_ge_u32 s2, s6
	s_cbranch_scc1 .LBB131_42
; %bb.1:
	s_load_b64 s[16:17], s[0:1], 0x510
	s_wait_kmcnt 0x0
	s_cvt_f32_u32 s3, s17
	s_sub_co_i32 s4, 0, s17
	s_lshl_b32 s28, s16, 8
	s_delay_alu instid0(SALU_CYCLE_1) | instskip(SKIP_1) | instid1(TRANS32_DEP_1)
	v_rcp_iflag_f32_e32 v1, s3
	v_nop
	v_readfirstlane_b32 s3, v1
	s_mul_f32 s3, s3, 0x4f7ffffe
	s_delay_alu instid0(SALU_CYCLE_3) | instskip(NEXT) | instid1(SALU_CYCLE_3)
	s_cvt_u32_f32 s3, s3
	s_mul_i32 s4, s4, s3
	s_delay_alu instid0(SALU_CYCLE_1) | instskip(NEXT) | instid1(SALU_CYCLE_1)
	s_mul_hi_u32 s4, s3, s4
	s_add_co_i32 s3, s3, s4
	s_load_b128 s[4:7], s[0:1], 0x1a0
	s_mul_hi_u32 s3, s2, s3
	s_delay_alu instid0(SALU_CYCLE_1) | instskip(SKIP_2) | instid1(SALU_CYCLE_1)
	s_mul_i32 s8, s3, s17
	s_add_co_i32 s9, s3, 1
	s_sub_co_i32 s8, s2, s8
	s_sub_co_i32 s10, s8, s17
	s_cmp_ge_u32 s8, s17
	s_cselect_b32 s3, s9, s3
	s_cselect_b32 s8, s10, s8
	s_add_co_i32 s9, s3, 1
	s_cmp_ge_u32 s8, s17
	s_cselect_b32 s18, s9, s3
	s_delay_alu instid0(SALU_CYCLE_1) | instskip(NEXT) | instid1(SALU_CYCLE_1)
	s_mul_i32 s12, s18, s17
	s_sub_co_i32 s29, s2, s12
	s_delay_alu instid0(SALU_CYCLE_1) | instskip(NEXT) | instid1(SALU_CYCLE_1)
	s_add_co_i32 s2, s29, 1
	s_cmp_lt_u32 s2, s17
	s_cbranch_scc1 .LBB131_3
; %bb.2:
	s_mul_i32 s2, s29, s28
	s_mov_b32 s3, 0
	s_wait_kmcnt 0x0
	s_sub_nc_u64 s[8:9], s[4:5], s[2:3]
	s_delay_alu instid0(SALU_CYCLE_1) | instskip(NEXT) | instid1(SALU_CYCLE_1)
	s_add_nc_u64 s[8:9], s[8:9], 0xff
	s_ashr_i32 s2, s9, 31
	s_delay_alu instid0(SALU_CYCLE_1) | instskip(NEXT) | instid1(SALU_CYCLE_1)
	s_lshr_b32 s2, s2, 24
	s_add_nc_u64 s[2:3], s[8:9], s[2:3]
	s_delay_alu instid0(SALU_CYCLE_1) | instskip(NEXT) | instid1(SALU_CYCLE_1)
	s_lshr_b64 s[2:3], s[2:3], 8
	s_mov_b32 s16, s2
.LBB131_3:
	s_load_b128 s[8:11], s[0:1], 0x518
	v_mov_b32_e32 v1, s18
	v_cmp_ne_u32_e64 s2, 0, v0
	v_cmp_eq_u32_e64 s3, 0, v0
	s_mov_b32 s19, 0
	s_wait_kmcnt 0x0
	global_load_u8 v1, v1, s[8:9]
	s_wait_xcnt 0x0
	s_and_saveexec_b32 s26, s3
	s_cbranch_execz .LBB131_19
; %bb.4:
	s_load_b64 s[20:21], s[0:1], 0x528
	s_mov_b32 s13, s19
	s_delay_alu instid0(SALU_CYCLE_1)
	s_lshl_b64 s[22:23], s[12:13], 2
	s_cmp_lt_u32 s17, 4
	s_cbranch_scc1 .LBB131_16
; %bb.5:
	s_mov_b32 s27, 0
	s_mov_b64 s[8:9], 0
	s_mov_b32 s30, 0
.LBB131_6:                              ; =>This Inner Loop Header: Depth=1
	s_add_nc_u64 s[24:25], s[10:11], s[22:23]
	s_cmp_ge_u32 s30, s29
	s_load_b128 s[12:15], s[24:25], 0x0
	s_wait_kmcnt 0x0
	s_add_nc_u64 s[24:25], s[20:21], s[22:23]
	s_cbranch_scc0 .LBB131_13
; %bb.7:                                ;   in Loop: Header=BB131_6 Depth=1
	s_add_co_i32 s31, s30, 1
	s_delay_alu instid0(SALU_CYCLE_1)
	s_cmp_ge_u32 s31, s29
	s_cbranch_scc0 .LBB131_14
.LBB131_8:                              ;   in Loop: Header=BB131_6 Depth=1
	s_add_co_i32 s31, s31, 1
	s_delay_alu instid0(SALU_CYCLE_1)
	s_cmp_ge_u32 s31, s29
	s_cbranch_scc0 .LBB131_15
.LBB131_9:                              ;   in Loop: Header=BB131_6 Depth=1
	s_add_co_i32 s31, s31, 1
	s_delay_alu instid0(SALU_CYCLE_1)
	s_cmp_ge_u32 s31, s29
	s_cbranch_scc1 .LBB131_11
.LBB131_10:                             ;   in Loop: Header=BB131_6 Depth=1
	s_load_b32 s24, s[24:25], 0xc
	s_add_co_i32 s9, s15, s9
	s_wait_kmcnt 0x0
	s_add_co_i32 s8, s24, s8
.LBB131_11:                             ;   in Loop: Header=BB131_6 Depth=1
	s_add_co_i32 s12, s12, s27
	s_add_nc_u64 s[10:11], s[10:11], 16
	s_add_co_i32 s12, s12, s13
	s_add_co_i32 s13, s31, 4
	;; [unrolled: 1-line block ×3, first 2 shown]
	s_add_nc_u64 s[20:21], s[20:21], 16
	s_add_co_i32 s27, s12, s15
	s_add_co_i32 s12, s31, 1
	s_cmp_ge_u32 s13, s17
	s_cbranch_scc1 .LBB131_17
; %bb.12:                               ;   in Loop: Header=BB131_6 Depth=1
	s_mov_b32 s30, s12
	s_branch .LBB131_6
.LBB131_13:                             ;   in Loop: Header=BB131_6 Depth=1
	s_load_b32 s31, s[24:25], 0x0
	s_add_co_i32 s9, s12, s9
	s_wait_kmcnt 0x0
	s_add_co_i32 s8, s31, s8
	s_add_co_i32 s31, s30, 1
	s_delay_alu instid0(SALU_CYCLE_1)
	s_cmp_ge_u32 s31, s29
	s_cbranch_scc1 .LBB131_8
.LBB131_14:                             ;   in Loop: Header=BB131_6 Depth=1
	s_load_b32 s33, s[24:25], 0x4
	s_add_co_i32 s9, s13, s9
	s_wait_kmcnt 0x0
	s_add_co_i32 s8, s33, s8
	s_add_co_i32 s31, s31, 1
	s_delay_alu instid0(SALU_CYCLE_1)
	s_cmp_ge_u32 s31, s29
	s_cbranch_scc1 .LBB131_9
.LBB131_15:                             ;   in Loop: Header=BB131_6 Depth=1
	s_load_b32 s33, s[24:25], 0x8
	s_add_co_i32 s9, s14, s9
	s_wait_kmcnt 0x0
	s_add_co_i32 s8, s33, s8
	s_add_co_i32 s31, s31, 1
	s_delay_alu instid0(SALU_CYCLE_1)
	s_cmp_ge_u32 s31, s29
	s_cbranch_scc0 .LBB131_10
	s_branch .LBB131_11
.LBB131_16:
	s_mov_b64 s[8:9], 0
	s_add_nc_u64 s[10:11], s[10:11], s[22:23]
	s_wait_kmcnt 0x0
	s_add_nc_u64 s[12:13], s[20:21], s[22:23]
	s_mov_b32 s27, s19
	s_mov_b32 s14, s19
	s_delay_alu instid0(SALU_CYCLE_1)
	s_cmp_ge_u32 s14, s17
	s_cbranch_scc0 .LBB131_40
	s_branch .LBB131_18
.LBB131_17:
	s_add_co_i32 s14, s30, 4
	s_add_nc_u64 s[12:13], s[20:21], s[22:23]
	s_add_nc_u64 s[10:11], s[10:11], s[22:23]
	s_cmp_ge_u32 s14, s17
	s_cbranch_scc0 .LBB131_40
.LBB131_18:
	v_dual_mov_b32 v2, s8 :: v_dual_mov_b32 v3, s27
	v_dual_mov_b32 v4, s9 :: v_dual_mov_b32 v5, 0
	ds_store_b96 v5, v[2:4] offset:1056
.LBB131_19:
	s_or_b32 exec_lo, exec_lo, s26
	s_clause 0x5
	s_load_b64 s[20:21], s[0:1], 0x0
	s_load_b64 s[22:23], s[0:1], 0xd0
	s_load_b128 s[8:11], s[0:1], 0x1b8
	s_load_b64 s[24:25], s[0:1], 0x290
	s_load_b128 s[12:15], s[0:1], 0x360
	s_load_b64 s[26:27], s[0:1], 0x438
	s_cmp_eq_u32 s16, 0
	s_wait_loadcnt_dscnt 0x0
	s_barrier_signal -1
	s_barrier_wait -1
	s_cbranch_scc1 .LBB131_42
; %bb.20:
	v_dual_mov_b32 v7, 0 :: v_dual_lshrrev_b32 v10, 3, v0
	s_wait_kmcnt 0x0
	s_mul_u64 s[22:23], s[22:23], s[18:19]
	s_mul_u64 s[24:25], s[24:25], s[18:19]
	;; [unrolled: 1-line block ×3, first 2 shown]
	ds_load_b96 v[2:4], v7 offset:1056
	s_clause 0x1
	s_load_b32 s17, s[0:1], 0x1b0
	s_load_b64 s[18:19], s[0:1], 0x508
	v_dual_add_nc_u32 v11, -1, v0 :: v_dual_lshlrev_b32 v13, 5, v0
	v_mad_u32 v6, s29, s28, v0
	v_bfe_i32 v9, v1, 0, 8
	v_and_b32_e32 v12, 0xfc, v0
	s_delay_alu instid0(VALU_DEP_4)
	v_lshrrev_b32_e32 v14, 3, v11
	v_and_b32_e32 v5, 0xff, v1
	v_mbcnt_lo_u32_b32 v8, -1, 0
	v_and_b32_e32 v1, 28, v10
	s_wait_xcnt 0x0
	v_cmp_gt_u32_e64 s0, 32, v0
	v_and_b32_e32 v14, 0x1ffffffc, v14
	s_add_nc_u64 s[20:21], s[20:21], s[22:23]
	s_lshl_b64 s[22:23], s[26:27], 3
	v_add_nc_u32_e32 v9, 0x80, v9
	v_lshl_add_u32 v10, v0, 2, v1
	v_lshl_add_u32 v11, v11, 2, v14
	v_bfe_i32 v14, v8, 4, 1
	s_add_nc_u64 s[10:11], s[10:11], s[24:25]
	s_wait_dscnt 0x0
	v_dual_add_nc_u32 v0, v2, v3 :: v_dual_add_nc_u32 v12, v12, v13
	v_dual_add_nc_u32 v15, -1, v8 :: v_dual_bitop2_b32 v13, 15, v8 bitop3:0x40
	s_wait_kmcnt 0x0
	s_bitcmp1_b32 s17, 0
	s_add_nc_u64 s[14:15], s[14:15], s[22:23]
	s_cselect_b32 s1, -1, 0
                                        ; implicit-def: $vgpr16
	s_branch .LBB131_23
.LBB131_21:                             ;   in Loop: Header=BB131_23 Depth=1
	s_wait_xcnt 0x0
	s_or_b32 exec_lo, exec_lo, s17
	v_add_nc_u32_e32 v0, v1, v0
.LBB131_22:                             ;   in Loop: Header=BB131_23 Depth=1
	v_add_nc_u32_e32 v4, v17, v4
	v_add_nc_u32_e32 v6, 0x100, v6
	s_add_co_i32 s16, s16, -1
	s_delay_alu instid0(SALU_CYCLE_1)
	s_cmp_lg_u32 s16, 0
	s_cbranch_scc0 .LBB131_42
.LBB131_23:                             ; =>This Inner Loop Header: Depth=1
	v_dual_mov_b32 v1, v7 :: v_dual_mov_b32 v2, v7
	s_mov_b32 s17, exec_lo
	v_cmpx_gt_u64_e64 s[4:5], v[6:7]
	s_cbranch_execz .LBB131_25
; %bb.24:                               ;   in Loop: Header=BB131_23 Depth=1
	v_mad_nc_u64_u32 v[2:3], s8, v6, s[20:21]
	s_delay_alu instid0(VALU_DEP_1) | instskip(SKIP_3) | instid1(VALU_DEP_1)
	v_mad_u32 v3, s9, v6, v3
	global_load_u8 v16, v[2:3], off
	s_wait_loadcnt 0x0
	v_bfe_i32 v1, v16, 0, 8
	v_add_nc_u32_e32 v1, 0x80, v1
	s_delay_alu instid0(VALU_DEP_1)
	v_cmp_gt_u32_e32 vcc_lo, v1, v9
	s_wait_xcnt 0x0
	v_cndmask_b32_e64 v2, 0, 1, vcc_lo
	v_cmp_lt_u32_e32 vcc_lo, v1, v9
	v_cndmask_b32_e64 v1, 0, 1, vcc_lo
	v_cmp_eq_u16_e32 vcc_lo, v16, v5
	s_delay_alu instid0(VALU_DEP_2) | instskip(SKIP_1) | instid1(VALU_DEP_2)
	v_cndmask_b32_e64 v1, v1, v2, s1
	v_cndmask_b32_e64 v2, 0, 1, vcc_lo
	v_and_b32_e32 v1, 1, v1
.LBB131_25:                             ;   in Loop: Header=BB131_23 Depth=1
	s_or_b32 exec_lo, exec_lo, s17
	ds_store_b32 v10, v1
	s_wait_dscnt 0x0
	s_barrier_signal -1
	s_barrier_wait -1
	s_and_saveexec_b32 s17, s0
	s_cbranch_execz .LBB131_27
; %bb.26:                               ;   in Loop: Header=BB131_23 Depth=1
	ds_load_2addr_b32 v[18:19], v12 offset1:1
	ds_load_2addr_b32 v[20:21], v12 offset0:2 offset1:3
	ds_load_2addr_b32 v[22:23], v12 offset0:4 offset1:5
	;; [unrolled: 1-line block ×3, first 2 shown]
	v_cmp_ne_u32_e32 vcc_lo, 0, v13
	; wave barrier
	s_wait_dscnt 0x3
	v_add_nc_u32_e32 v3, v19, v18
	s_wait_dscnt 0x2
	s_delay_alu instid0(VALU_DEP_1) | instskip(SKIP_1) | instid1(VALU_DEP_1)
	v_add3_u32 v3, v3, v20, v21
	s_wait_dscnt 0x1
	v_add3_u32 v3, v3, v22, v23
	s_wait_dscnt 0x0
	s_delay_alu instid0(VALU_DEP_1) | instskip(NEXT) | instid1(VALU_DEP_1)
	v_add3_u32 v3, v3, v24, v25
	v_mov_b32_dpp v17, v3 row_shr:1 row_mask:0xf bank_mask:0xf
	s_delay_alu instid0(VALU_DEP_1) | instskip(SKIP_1) | instid1(VALU_DEP_2)
	v_cndmask_b32_e32 v17, 0, v17, vcc_lo
	v_cmp_lt_u32_e32 vcc_lo, 1, v13
	v_add_nc_u32_e32 v3, v17, v3
	s_delay_alu instid0(VALU_DEP_1) | instskip(NEXT) | instid1(VALU_DEP_1)
	v_mov_b32_dpp v17, v3 row_shr:2 row_mask:0xf bank_mask:0xf
	v_cndmask_b32_e32 v17, 0, v17, vcc_lo
	v_cmp_lt_u32_e32 vcc_lo, 3, v13
	s_delay_alu instid0(VALU_DEP_2) | instskip(NEXT) | instid1(VALU_DEP_1)
	v_add_nc_u32_e32 v3, v3, v17
	v_mov_b32_dpp v17, v3 row_shr:4 row_mask:0xf bank_mask:0xf
	s_delay_alu instid0(VALU_DEP_1) | instskip(SKIP_1) | instid1(VALU_DEP_2)
	v_cndmask_b32_e32 v17, 0, v17, vcc_lo
	v_cmp_lt_u32_e32 vcc_lo, 7, v13
	v_add_nc_u32_e32 v3, v3, v17
	s_delay_alu instid0(VALU_DEP_1) | instskip(NEXT) | instid1(VALU_DEP_1)
	v_mov_b32_dpp v17, v3 row_shr:8 row_mask:0xf bank_mask:0xf
	v_cndmask_b32_e32 v17, 0, v17, vcc_lo
	v_cmp_gt_i32_e32 vcc_lo, 0, v15
	s_delay_alu instid0(VALU_DEP_2) | instskip(SKIP_4) | instid1(VALU_DEP_1)
	v_add_nc_u32_e32 v3, v3, v17
	v_cndmask_b32_e32 v19, v15, v8, vcc_lo
	ds_swizzle_b32 v17, v3 offset:swizzle(BROADCAST,32,15)
	s_wait_dscnt 0x0
	v_dual_lshlrev_b32 v19, 2, v19 :: v_dual_bitop2_b32 v17, v14, v17 bitop3:0x40
	v_add_nc_u32_e32 v3, v3, v17
	ds_bpermute_b32 v3, v19, v3
	s_wait_dscnt 0x0
	v_add_nc_u32_e32 v3, v3, v18
	s_delay_alu instid0(VALU_DEP_1)
	v_cndmask_b32_e64 v3, v3, v1, s3
	ds_store_b32 v12, v3
	; wave barrier
	ds_load_2addr_b32 v[18:19], v12 offset0:1 offset1:2
	ds_load_2addr_b32 v[20:21], v12 offset0:3 offset1:4
	;; [unrolled: 1-line block ×3, first 2 shown]
	ds_load_b32 v17, v12 offset:28
	s_wait_dscnt 0x3
	v_add_nc_u32_e32 v3, v18, v3
	s_delay_alu instid0(VALU_DEP_1) | instskip(SKIP_1) | instid1(VALU_DEP_1)
	v_add_nc_u32_e32 v18, v19, v3
	s_wait_dscnt 0x2
	v_add_nc_u32_e32 v19, v20, v18
	s_delay_alu instid0(VALU_DEP_1) | instskip(SKIP_1) | instid1(VALU_DEP_1)
	v_add_nc_u32_e32 v20, v21, v19
	;; [unrolled: 4-line block ×3, first 2 shown]
	s_wait_dscnt 0x0
	v_add_nc_u32_e32 v17, v17, v22
	ds_store_2addr_b32 v12, v3, v18 offset0:1 offset1:2
	ds_store_2addr_b32 v12, v19, v20 offset0:3 offset1:4
	;; [unrolled: 1-line block ×3, first 2 shown]
	ds_store_b32 v12, v17 offset:28
.LBB131_27:                             ;   in Loop: Header=BB131_23 Depth=1
	s_or_b32 exec_lo, exec_lo, s17
	v_mov_b32_e32 v3, 0
	s_wait_dscnt 0x0
	s_barrier_signal -1
	s_barrier_wait -1
	s_and_saveexec_b32 s17, s2
; %bb.28:                               ;   in Loop: Header=BB131_23 Depth=1
	ds_load_b32 v3, v11
; %bb.29:                               ;   in Loop: Header=BB131_23 Depth=1
	s_or_b32 exec_lo, exec_lo, s17
	ds_load_b32 v17, v7 offset:1048
	s_mov_b32 s17, exec_lo
	s_wait_dscnt 0x0
	s_barrier_signal -1
	s_barrier_wait -1
	v_cmpx_ne_u32_e32 0, v1
	s_cbranch_execz .LBB131_31
; %bb.30:                               ;   in Loop: Header=BB131_23 Depth=1
	v_add_nc_u32_e32 v18, v3, v4
	v_mov_b32_e32 v19, v7
	s_delay_alu instid0(VALU_DEP_2) | instskip(NEXT) | instid1(VALU_DEP_2)
	v_mad_nc_u64_u32 v[22:23], s12, v18, s[10:11]
	v_mul_u64_e32 v[20:21], s[18:19], v[18:19]
	s_delay_alu instid0(VALU_DEP_2) | instskip(NEXT) | instid1(VALU_DEP_2)
	v_mad_u32 v23, s13, v18, v23
	v_lshl_add_u64 v[18:19], v[20:21], 3, s[14:15]
	global_store_b8 v[22:23], v16, off
	global_store_b64 v[18:19], v[6:7], off
.LBB131_31:                             ;   in Loop: Header=BB131_23 Depth=1
	s_wait_xcnt 0x0
	s_or_b32 exec_lo, exec_lo, s17
	v_mov_b32_e32 v1, v7
	s_delay_alu instid0(VALU_DEP_1)
	v_cmp_le_u64_e32 vcc_lo, s[6:7], v[0:1]
	s_cbranch_vccnz .LBB131_22
; %bb.32:                               ;   in Loop: Header=BB131_23 Depth=1
	ds_store_b32 v10, v2
	s_wait_storecnt_dscnt 0x0
	s_barrier_signal -1
	s_barrier_wait -1
	s_and_saveexec_b32 s17, s0
	s_cbranch_execz .LBB131_34
; %bb.33:                               ;   in Loop: Header=BB131_23 Depth=1
	ds_load_2addr_b32 v[18:19], v12 offset1:1
	ds_load_2addr_b32 v[20:21], v12 offset0:2 offset1:3
	ds_load_2addr_b32 v[22:23], v12 offset0:4 offset1:5
	ds_load_2addr_b32 v[24:25], v12 offset0:6 offset1:7
	v_cmp_ne_u32_e32 vcc_lo, 0, v13
	; wave barrier
	s_wait_dscnt 0x3
	v_add_nc_u32_e32 v1, v19, v18
	s_wait_dscnt 0x2
	s_delay_alu instid0(VALU_DEP_1) | instskip(SKIP_1) | instid1(VALU_DEP_1)
	v_add3_u32 v1, v1, v20, v21
	s_wait_dscnt 0x1
	v_add3_u32 v1, v1, v22, v23
	s_wait_dscnt 0x0
	s_delay_alu instid0(VALU_DEP_1) | instskip(NEXT) | instid1(VALU_DEP_1)
	v_add3_u32 v1, v1, v24, v25
	v_mov_b32_dpp v3, v1 row_shr:1 row_mask:0xf bank_mask:0xf
	s_delay_alu instid0(VALU_DEP_1) | instskip(SKIP_1) | instid1(VALU_DEP_2)
	v_cndmask_b32_e32 v3, 0, v3, vcc_lo
	v_cmp_lt_u32_e32 vcc_lo, 1, v13
	v_add_nc_u32_e32 v1, v3, v1
	s_delay_alu instid0(VALU_DEP_1) | instskip(NEXT) | instid1(VALU_DEP_1)
	v_mov_b32_dpp v3, v1 row_shr:2 row_mask:0xf bank_mask:0xf
	v_cndmask_b32_e32 v3, 0, v3, vcc_lo
	v_cmp_lt_u32_e32 vcc_lo, 3, v13
	s_delay_alu instid0(VALU_DEP_2) | instskip(NEXT) | instid1(VALU_DEP_1)
	v_add_nc_u32_e32 v1, v1, v3
	v_mov_b32_dpp v3, v1 row_shr:4 row_mask:0xf bank_mask:0xf
	s_delay_alu instid0(VALU_DEP_1) | instskip(SKIP_1) | instid1(VALU_DEP_2)
	v_cndmask_b32_e32 v3, 0, v3, vcc_lo
	v_cmp_lt_u32_e32 vcc_lo, 7, v13
	v_add_nc_u32_e32 v1, v1, v3
	s_delay_alu instid0(VALU_DEP_1) | instskip(NEXT) | instid1(VALU_DEP_1)
	v_mov_b32_dpp v3, v1 row_shr:8 row_mask:0xf bank_mask:0xf
	v_cndmask_b32_e32 v3, 0, v3, vcc_lo
	v_cmp_gt_i32_e32 vcc_lo, 0, v15
	s_delay_alu instid0(VALU_DEP_2) | instskip(SKIP_4) | instid1(VALU_DEP_1)
	v_dual_add_nc_u32 v1, v1, v3 :: v_dual_cndmask_b32 v19, v15, v8, vcc_lo
	ds_swizzle_b32 v3, v1 offset:swizzle(BROADCAST,32,15)
	v_lshlrev_b32_e32 v19, 2, v19
	s_wait_dscnt 0x0
	v_and_b32_e32 v3, v14, v3
	v_add_nc_u32_e32 v1, v1, v3
	ds_bpermute_b32 v1, v19, v1
	s_wait_dscnt 0x0
	v_add_nc_u32_e32 v1, v1, v18
	s_delay_alu instid0(VALU_DEP_1)
	v_cndmask_b32_e64 v1, v1, v2, s3
	ds_store_b32 v12, v1
	; wave barrier
	ds_load_2addr_b32 v[18:19], v12 offset0:1 offset1:2
	ds_load_2addr_b32 v[20:21], v12 offset0:3 offset1:4
	;; [unrolled: 1-line block ×3, first 2 shown]
	ds_load_b32 v3, v12 offset:28
	s_wait_dscnt 0x3
	v_add_nc_u32_e32 v1, v18, v1
	s_delay_alu instid0(VALU_DEP_1) | instskip(SKIP_1) | instid1(VALU_DEP_1)
	v_add_nc_u32_e32 v18, v19, v1
	s_wait_dscnt 0x2
	v_add_nc_u32_e32 v19, v20, v18
	s_delay_alu instid0(VALU_DEP_1) | instskip(SKIP_1) | instid1(VALU_DEP_1)
	v_add_nc_u32_e32 v20, v21, v19
	;; [unrolled: 4-line block ×3, first 2 shown]
	s_wait_dscnt 0x0
	v_add_nc_u32_e32 v3, v3, v22
	ds_store_2addr_b32 v12, v1, v18 offset0:1 offset1:2
	ds_store_2addr_b32 v12, v19, v20 offset0:3 offset1:4
	ds_store_2addr_b32 v12, v21, v22 offset0:5 offset1:6
	ds_store_b32 v12, v3 offset:28
.LBB131_34:                             ;   in Loop: Header=BB131_23 Depth=1
	s_or_b32 exec_lo, exec_lo, s17
	v_mov_b32_e32 v3, 0
	s_wait_dscnt 0x0
	s_barrier_signal -1
	s_barrier_wait -1
	s_and_saveexec_b32 s17, s2
; %bb.35:                               ;   in Loop: Header=BB131_23 Depth=1
	ds_load_b32 v3, v11
; %bb.36:                               ;   in Loop: Header=BB131_23 Depth=1
	s_or_b32 exec_lo, exec_lo, s17
	ds_load_b32 v1, v7 offset:1048
	s_mov_b32 s17, exec_lo
	s_wait_dscnt 0x0
	s_barrier_signal -1
	s_barrier_wait -1
	v_cmpx_ne_u32_e32 0, v2
	s_cbranch_execz .LBB131_21
; %bb.37:                               ;   in Loop: Header=BB131_23 Depth=1
	v_add_nc_u32_e32 v2, v3, v0
	v_mov_b32_e32 v3, v7
	s_delay_alu instid0(VALU_DEP_1)
	v_cmp_gt_u64_e32 vcc_lo, s[6:7], v[2:3]
	s_and_b32 exec_lo, exec_lo, vcc_lo
	s_cbranch_execz .LBB131_21
; %bb.38:                               ;   in Loop: Header=BB131_23 Depth=1
	v_mul_u64_e32 v[18:19], s[18:19], v[2:3]
	v_mad_nc_u64_u32 v[20:21], s12, v2, s[10:11]
	s_delay_alu instid0(VALU_DEP_1) | instskip(NEXT) | instid1(VALU_DEP_3)
	v_mad_u32 v21, s13, v2, v21
	v_lshl_add_u64 v[2:3], v[18:19], 3, s[14:15]
	global_store_b8 v[20:21], v16, off
	global_store_b64 v[2:3], v[6:7], off
	s_branch .LBB131_21
.LBB131_39:                             ;   in Loop: Header=BB131_40 Depth=1
	s_add_co_i32 s14, s14, 1
	s_wait_kmcnt 0x0
	s_add_co_i32 s27, s15, s27
	s_add_nc_u64 s[10:11], s[10:11], 4
	s_cmp_lt_u32 s14, s17
	s_add_nc_u64 s[12:13], s[12:13], 4
	s_cbranch_scc0 .LBB131_18
.LBB131_40:                             ; =>This Inner Loop Header: Depth=1
	s_load_b32 s15, s[10:11], 0x0
	s_cmp_ge_u32 s14, s29
	s_cbranch_scc1 .LBB131_39
; %bb.41:                               ;   in Loop: Header=BB131_40 Depth=1
	s_load_b32 s20, s[12:13], 0x0
	s_wait_kmcnt 0x0
	s_add_co_i32 s9, s15, s9
	s_add_co_i32 s8, s20, s8
	s_branch .LBB131_39
.LBB131_42:
	s_endpgm
	.section	.rodata,"a",@progbits
	.p2align	6, 0x0
	.amdhsa_kernel _ZN2at6native6mbtopk10gatherTopKIamLi1EEEvNS_4cuda6detail10TensorInfoIKT_T0_EES8_S8_bjS8_NS5_IS6_S8_EES8_NS5_IlS8_EES8_jjPS6_PjSD_j
		.amdhsa_group_segment_fixed_size 1068
		.amdhsa_private_segment_fixed_size 0
		.amdhsa_kernarg_size 1592
		.amdhsa_user_sgpr_count 2
		.amdhsa_user_sgpr_dispatch_ptr 0
		.amdhsa_user_sgpr_queue_ptr 0
		.amdhsa_user_sgpr_kernarg_segment_ptr 1
		.amdhsa_user_sgpr_dispatch_id 0
		.amdhsa_user_sgpr_kernarg_preload_length 0
		.amdhsa_user_sgpr_kernarg_preload_offset 0
		.amdhsa_user_sgpr_private_segment_size 0
		.amdhsa_wavefront_size32 1
		.amdhsa_uses_dynamic_stack 0
		.amdhsa_enable_private_segment 0
		.amdhsa_system_sgpr_workgroup_id_x 1
		.amdhsa_system_sgpr_workgroup_id_y 1
		.amdhsa_system_sgpr_workgroup_id_z 1
		.amdhsa_system_sgpr_workgroup_info 0
		.amdhsa_system_vgpr_workitem_id 0
		.amdhsa_next_free_vgpr 26
		.amdhsa_next_free_sgpr 34
		.amdhsa_named_barrier_count 0
		.amdhsa_reserve_vcc 1
		.amdhsa_float_round_mode_32 0
		.amdhsa_float_round_mode_16_64 0
		.amdhsa_float_denorm_mode_32 3
		.amdhsa_float_denorm_mode_16_64 3
		.amdhsa_fp16_overflow 0
		.amdhsa_memory_ordered 1
		.amdhsa_forward_progress 1
		.amdhsa_inst_pref_size 20
		.amdhsa_round_robin_scheduling 0
		.amdhsa_exception_fp_ieee_invalid_op 0
		.amdhsa_exception_fp_denorm_src 0
		.amdhsa_exception_fp_ieee_div_zero 0
		.amdhsa_exception_fp_ieee_overflow 0
		.amdhsa_exception_fp_ieee_underflow 0
		.amdhsa_exception_fp_ieee_inexact 0
		.amdhsa_exception_int_div_zero 0
	.end_amdhsa_kernel
	.section	.text._ZN2at6native6mbtopk10gatherTopKIamLi1EEEvNS_4cuda6detail10TensorInfoIKT_T0_EES8_S8_bjS8_NS5_IS6_S8_EES8_NS5_IlS8_EES8_jjPS6_PjSD_j,"axG",@progbits,_ZN2at6native6mbtopk10gatherTopKIamLi1EEEvNS_4cuda6detail10TensorInfoIKT_T0_EES8_S8_bjS8_NS5_IS6_S8_EES8_NS5_IlS8_EES8_jjPS6_PjSD_j,comdat
.Lfunc_end131:
	.size	_ZN2at6native6mbtopk10gatherTopKIamLi1EEEvNS_4cuda6detail10TensorInfoIKT_T0_EES8_S8_bjS8_NS5_IS6_S8_EES8_NS5_IlS8_EES8_jjPS6_PjSD_j, .Lfunc_end131-_ZN2at6native6mbtopk10gatherTopKIamLi1EEEvNS_4cuda6detail10TensorInfoIKT_T0_EES8_S8_bjS8_NS5_IS6_S8_EES8_NS5_IlS8_EES8_jjPS6_PjSD_j
                                        ; -- End function
	.set _ZN2at6native6mbtopk10gatherTopKIamLi1EEEvNS_4cuda6detail10TensorInfoIKT_T0_EES8_S8_bjS8_NS5_IS6_S8_EES8_NS5_IlS8_EES8_jjPS6_PjSD_j.num_vgpr, 26
	.set _ZN2at6native6mbtopk10gatherTopKIamLi1EEEvNS_4cuda6detail10TensorInfoIKT_T0_EES8_S8_bjS8_NS5_IS6_S8_EES8_NS5_IlS8_EES8_jjPS6_PjSD_j.num_agpr, 0
	.set _ZN2at6native6mbtopk10gatherTopKIamLi1EEEvNS_4cuda6detail10TensorInfoIKT_T0_EES8_S8_bjS8_NS5_IS6_S8_EES8_NS5_IlS8_EES8_jjPS6_PjSD_j.numbered_sgpr, 34
	.set _ZN2at6native6mbtopk10gatherTopKIamLi1EEEvNS_4cuda6detail10TensorInfoIKT_T0_EES8_S8_bjS8_NS5_IS6_S8_EES8_NS5_IlS8_EES8_jjPS6_PjSD_j.num_named_barrier, 0
	.set _ZN2at6native6mbtopk10gatherTopKIamLi1EEEvNS_4cuda6detail10TensorInfoIKT_T0_EES8_S8_bjS8_NS5_IS6_S8_EES8_NS5_IlS8_EES8_jjPS6_PjSD_j.private_seg_size, 0
	.set _ZN2at6native6mbtopk10gatherTopKIamLi1EEEvNS_4cuda6detail10TensorInfoIKT_T0_EES8_S8_bjS8_NS5_IS6_S8_EES8_NS5_IlS8_EES8_jjPS6_PjSD_j.uses_vcc, 1
	.set _ZN2at6native6mbtopk10gatherTopKIamLi1EEEvNS_4cuda6detail10TensorInfoIKT_T0_EES8_S8_bjS8_NS5_IS6_S8_EES8_NS5_IlS8_EES8_jjPS6_PjSD_j.uses_flat_scratch, 0
	.set _ZN2at6native6mbtopk10gatherTopKIamLi1EEEvNS_4cuda6detail10TensorInfoIKT_T0_EES8_S8_bjS8_NS5_IS6_S8_EES8_NS5_IlS8_EES8_jjPS6_PjSD_j.has_dyn_sized_stack, 0
	.set _ZN2at6native6mbtopk10gatherTopKIamLi1EEEvNS_4cuda6detail10TensorInfoIKT_T0_EES8_S8_bjS8_NS5_IS6_S8_EES8_NS5_IlS8_EES8_jjPS6_PjSD_j.has_recursion, 0
	.set _ZN2at6native6mbtopk10gatherTopKIamLi1EEEvNS_4cuda6detail10TensorInfoIKT_T0_EES8_S8_bjS8_NS5_IS6_S8_EES8_NS5_IlS8_EES8_jjPS6_PjSD_j.has_indirect_call, 0
	.section	.AMDGPU.csdata,"",@progbits
; Kernel info:
; codeLenInByte = 2504
; TotalNumSgprs: 36
; NumVgprs: 26
; ScratchSize: 0
; MemoryBound: 0
; FloatMode: 240
; IeeeMode: 1
; LDSByteSize: 1068 bytes/workgroup (compile time only)
; SGPRBlocks: 0
; VGPRBlocks: 1
; NumSGPRsForWavesPerEU: 36
; NumVGPRsForWavesPerEU: 26
; NamedBarCnt: 0
; Occupancy: 16
; WaveLimiterHint : 1
; COMPUTE_PGM_RSRC2:SCRATCH_EN: 0
; COMPUTE_PGM_RSRC2:USER_SGPR: 2
; COMPUTE_PGM_RSRC2:TRAP_HANDLER: 0
; COMPUTE_PGM_RSRC2:TGID_X_EN: 1
; COMPUTE_PGM_RSRC2:TGID_Y_EN: 1
; COMPUTE_PGM_RSRC2:TGID_Z_EN: 1
; COMPUTE_PGM_RSRC2:TIDIG_COMP_CNT: 0
	.section	.text._ZN2at6native6sbtopk10gatherTopKIamLi1ELb0EEEvNS_4cuda6detail10TensorInfoIKT_T0_EES8_S8_bS8_S8_NS5_IS6_S8_EES8_NS5_IlS8_EES8_PS6_,"axG",@progbits,_ZN2at6native6sbtopk10gatherTopKIamLi1ELb0EEEvNS_4cuda6detail10TensorInfoIKT_T0_EES8_S8_bS8_S8_NS5_IS6_S8_EES8_NS5_IlS8_EES8_PS6_,comdat
	.protected	_ZN2at6native6sbtopk10gatherTopKIamLi1ELb0EEEvNS_4cuda6detail10TensorInfoIKT_T0_EES8_S8_bS8_S8_NS5_IS6_S8_EES8_NS5_IlS8_EES8_PS6_ ; -- Begin function _ZN2at6native6sbtopk10gatherTopKIamLi1ELb0EEEvNS_4cuda6detail10TensorInfoIKT_T0_EES8_S8_bS8_S8_NS5_IS6_S8_EES8_NS5_IlS8_EES8_PS6_
	.globl	_ZN2at6native6sbtopk10gatherTopKIamLi1ELb0EEEvNS_4cuda6detail10TensorInfoIKT_T0_EES8_S8_bS8_S8_NS5_IS6_S8_EES8_NS5_IlS8_EES8_PS6_
	.p2align	8
	.type	_ZN2at6native6sbtopk10gatherTopKIamLi1ELb0EEEvNS_4cuda6detail10TensorInfoIKT_T0_EES8_S8_bS8_S8_NS5_IS6_S8_EES8_NS5_IlS8_EES8_PS6_,@function
_ZN2at6native6sbtopk10gatherTopKIamLi1ELb0EEEvNS_4cuda6detail10TensorInfoIKT_T0_EES8_S8_bS8_S8_NS5_IS6_S8_EES8_NS5_IlS8_EES8_PS6_: ; @_ZN2at6native6sbtopk10gatherTopKIamLi1ELb0EEEvNS_4cuda6detail10TensorInfoIKT_T0_EES8_S8_bS8_S8_NS5_IS6_S8_EES8_NS5_IlS8_EES8_PS6_
; %bb.0:
	s_clause 0x1
	s_load_b128 s[28:31], s[0:1], 0x1b8
	s_load_b64 s[8:9], s[0:1], 0x520
	s_bfe_u32 s2, ttmp6, 0x40010
	s_and_b32 s3, ttmp7, 0xffff
	s_add_co_i32 s2, s2, 1
	s_bfe_u32 s5, ttmp6, 0x4000c
	s_mul_i32 s2, s3, s2
	s_bfe_u32 s4, ttmp6, 0x40004
	s_add_co_i32 s5, s5, 1
	s_bfe_u32 s6, ttmp6, 0x40014
	s_add_co_i32 s4, s4, s2
	s_and_b32 s2, ttmp6, 15
	s_mul_i32 s5, ttmp9, s5
	s_lshr_b32 s7, ttmp7, 16
	s_add_co_i32 s6, s6, 1
	s_add_co_i32 s2, s2, s5
	s_mul_i32 s5, s7, s6
	s_bfe_u32 s6, ttmp6, 0x40008
	s_getreg_b32 s10, hwreg(HW_REG_IB_STS2, 6, 4)
	s_add_co_i32 s6, s6, s5
	s_cmp_eq_u32 s10, 0
	s_mov_b32 s45, 0
	s_cselect_b32 s5, s7, s6
	s_cselect_b32 s3, s3, s4
	s_wait_kmcnt 0x0
	s_mul_i32 s5, s9, s5
	s_cselect_b32 s9, ttmp9, s2
	s_add_co_i32 s2, s5, s3
	s_delay_alu instid0(SALU_CYCLE_1) | instskip(NEXT) | instid1(SALU_CYCLE_1)
	s_mul_i32 s2, s2, s8
	s_add_co_i32 s44, s2, s9
	s_delay_alu instid0(SALU_CYCLE_1)
	v_cmp_le_u64_e64 s2, s[28:29], s[44:45]
	s_and_b32 vcc_lo, exec_lo, s2
	s_cbranch_vccnz .LBB132_472
; %bb.1:
	s_clause 0x2
	s_load_b128 s[36:39], s[0:1], 0x1a0
	s_load_b64 s[6:7], s[0:1], 0xd0
	s_load_b64 s[2:3], s[0:1], 0x0
	v_cmp_eq_u32_e64 s5, 0, v0
	s_add_nc_u64 s[10:11], s[0:1], 0x520
	s_and_saveexec_b32 s4, s5
	s_cbranch_execz .LBB132_3
; %bb.2:
	s_wait_kmcnt 0x0
	v_dual_mov_b32 v2, 0 :: v_dual_mov_b32 v4, s36
	s_delay_alu instid0(VALU_DEP_1)
	v_dual_mov_b32 v5, s37 :: v_dual_mov_b32 v3, v2
	ds_store_b32 v2, v2 offset:5144
	ds_store_b128 v2, v[2:5] offset:5120
.LBB132_3:
	s_or_b32 exec_lo, exec_lo, s4
	s_load_b64 s[12:13], s[0:1], 0x440
                                        ; implicit-def: $vgpr52 : SGPR spill to VGPR lane
	v_dual_mov_b32 v3, 0 :: v_dual_add_nc_u32 v2, 2, v0
	v_mov_b32_e32 v9, -1
	v_not_b32_e32 v8, v0
	s_delay_alu instid0(VALU_DEP_3)
	v_dual_mov_b32 v1, v3 :: v_dual_lshlrev_b32 v16, 2, v0
	s_wait_kmcnt 0x0
	v_max_u64 v[4:5], s[36:37], v[2:3]
	v_mov_b32_e32 v17, v3
	s_wait_dscnt 0x0
	s_barrier_signal -1
	v_mul_u64_e32 v[6:7], s[30:31], v[0:1]
	s_barrier_wait -1
	s_load_b32 s14, s[10:11], 0xc
	v_mbcnt_lo_u32_b32 v13, -1, 0
	v_mad_nc_u64_u32 v[26:27], s30, v16, s[30:31]
	v_cmp_gt_u32_e32 vcc_lo, 32, v0
	s_mov_b32 s29, 0
	v_cmp_lt_u64_e64 s33, 0xc00, s[36:37]
	v_writelane_b32 v52, s12, 0
	v_lshlrev_b64_e64 v[10:11], v13, -1
	v_mov_b64_e32 v[30:31], s[38:39]
	s_mov_b32 s35, s29
	v_lshl_or_b32 v40, v13, 3, 0xc00
	v_writelane_b32 v52, s13, 1
	s_mul_u64 s[12:13], s[6:7], s[44:45]
	s_load_b64 s[6:7], s[0:1], 0x370
	s_add_nc_u64 s[42:43], s[2:3], s[12:13]
	v_mad_u32 v27, s31, v16, v27
	v_cmp_gt_u64_e64 s3, s[36:37], v[0:1]
	v_cmp_eq_u32_e64 s2, 0, v13
	v_not_b32_e32 v12, v10
	v_mov_b32_e32 v41, 0
	s_mov_b32 s81, s30
	s_mov_b32 s82, s31
	;; [unrolled: 1-line block ×5, first 2 shown]
	v_add_nc_u64_e32 v[4:5], v[4:5], v[8:9]
	v_or_b32_e32 v2, 3, v16
	s_mov_b32 s86, s31
	s_mov_b32 s91, 6
	v_add_nc_u64_e32 v[14:15], s[42:43], v[6:7]
	v_mov_b32_e32 v39, 0
	v_lshlrev_b64_e32 v[28:29], 2, v[6:7]
	v_mov_b32_e32 v19, v5
	s_wait_kmcnt 0x0
	v_writelane_b32 v52, s6, 2
	v_mul_u64_e32 v[20:21], s[30:31], v[2:3]
	v_or_b32_e32 v2, 2, v16
	v_dual_mov_b32 v42, 0 :: v_dual_bitop2_b32 v18, -4, v4 bitop3:0x40
	v_writelane_b32 v52, s7, 3
	s_load_b64 s[6:7], s[0:1], 0x298
	s_delay_alu instid0(VALU_DEP_3) | instskip(NEXT) | instid1(VALU_DEP_3)
	v_mul_u64_e32 v[24:25], s[30:31], v[2:3]
	v_add_nc_u64_e32 v[22:23], v[18:19], v[0:1]
	s_mov_b32 s92, 0x4f800000
	s_mov_b32 s93, 0
	;; [unrolled: 1-line block ×3, first 2 shown]
                                        ; implicit-def: $sgpr94
                                        ; implicit-def: $sgpr98
                                        ; implicit-def: $sgpr97
                                        ; implicit-def: $sgpr99
                                        ; implicit-def: $sgpr96
                                        ; implicit-def: $sgpr103
                                        ; implicit-def: $sgpr104
                                        ; implicit-def: $sgpr100
                                        ; implicit-def: $sgpr102
                                        ; implicit-def: $sgpr101
	s_load_b32 s4, s[0:1], 0x1b0
	s_wait_kmcnt 0x0
	v_writelane_b32 v52, s6, 4
	v_writelane_b32 v52, s7, 5
	s_load_b64 s[6:7], s[0:1], 0x1c8
	s_bitcmp1_b32 s4, 0
	s_cselect_b32 s4, -1, 0
	s_and_b32 s34, s14, 0xffff
	s_bfe_u32 s12, s14, 0xb0005
	s_xor_b32 s79, s4, -1
	s_add_nc_u64 s[54:55], s[34:35], -1
	s_mul_u64 s[40:41], s[30:31], s[34:35]
	s_add_nc_u64 s[56:57], s[54:55], s[36:37]
	s_wait_kmcnt 0x0
	v_writelane_b32 v52, s6, 6
	v_writelane_b32 v52, s7, 7
	v_cmp_gt_i32_e64 s7, 4, v13
	v_cmp_gt_u32_e64 s6, 2, v0
	s_and_b32 s78, vcc_lo, s7
	s_cmp_gt_u32 s34, 31
	s_movk_i32 s7, 0x3e0
	s_cselect_b32 s80, -1, 0
	s_cmp_lt_u32 s9, s8
	v_and_or_b32 v38, v0, s7, 0xc00
	s_cselect_b32 s28, 12, 18
	s_add_co_i32 s8, s12, -1
	s_bfe_u32 s87, s34, 0x30005
	s_and_b32 s8, s8, 0xffff
	v_cmp_lt_u64_e64 s7, 3, v[4:5]
	s_cmp_gt_u32 s8, 6
	v_cmp_ne_u64_e64 s8, v[4:5], v[18:19]
	s_cselect_b32 s88, -1, 0
	s_and_b32 s89, s12, 0x7f8
	s_cmp_lg_u32 s87, 0
	s_add_nc_u64 s[62:63], s[10:11], s[28:29]
	s_cselect_b32 s90, -1, 0
	s_lshl_b64 s[58:59], s[30:31], 2
	s_and_b64 s[60:61], s[36:37], 0xffffffff00000000
	v_writelane_b32 v52, s8, 8
	s_branch .LBB132_6
.LBB132_4:                              ;   in Loop: Header=BB132_6 Depth=1
	s_or_b32 exec_lo, exec_lo, s12
	v_mov_b64_e32 v[30:31], v[4:5]
	s_and_not1_b32 s8, s101, exec_lo
	s_and_b32 s11, s11, exec_lo
	s_and_not1_b32 s102, s102, exec_lo
	s_or_b32 s101, s8, s11
	s_and_not1_b32 s100, s100, exec_lo
	s_and_not1_b32 s104, s104, exec_lo
	;; [unrolled: 1-line block ×3, first 2 shown]
	s_or_not1_b32 s10, s10, exec_lo
.LBB132_5:                              ;   in Loop: Header=BB132_6 Depth=1
	s_or_b32 exec_lo, exec_lo, s9
	s_delay_alu instid0(SALU_CYCLE_1) | instskip(NEXT) | instid1(SALU_CYCLE_1)
	s_and_b32 s9, exec_lo, s10
	s_or_b32 s93, s9, s93
	s_and_not1_b32 s9, s96, exec_lo
	s_and_b32 s10, s101, exec_lo
	s_and_not1_b32 s11, s99, exec_lo
	s_or_b32 s96, s9, s10
	s_and_b32 s9, s102, exec_lo
	s_and_not1_b32 s10, s97, exec_lo
	s_and_b32 s12, s100, exec_lo
	s_or_b32 s99, s11, s9
	s_or_b32 s97, s10, s12
	s_and_not1_b32 s9, s98, exec_lo
	s_and_b32 s10, s104, exec_lo
	s_and_not1_b32 s11, s94, exec_lo
	s_and_b32 s12, s103, exec_lo
	s_or_b32 s98, s9, s10
	s_or_b32 s94, s11, s12
	s_and_not1_b32 exec_lo, exec_lo, s93
	s_cbranch_execz .LBB132_468
.LBB132_6:                              ; =>This Loop Header: Depth=1
                                        ;     Child Loop BB132_11 Depth 2
                                        ;     Child Loop BB132_25 Depth 2
	;; [unrolled: 1-line block ×25, first 2 shown]
	ds_load_b128 v[4:7], v3 offset:5120
	s_wait_dscnt 0x0
	v_readfirstlane_b32 s65, v5
	v_readfirstlane_b32 s64, v4
	s_cmp_lg_u64 s[64:65], 0
	s_cbranch_scc1 .LBB132_38
; %bb.7:                                ;   in Loop: Header=BB132_6 Depth=1
	s_and_b32 vcc_lo, exec_lo, s33
	s_cbranch_vccz .LBB132_19
; %bb.8:                                ;   in Loop: Header=BB132_6 Depth=1
	v_cmp_gt_u64_e32 vcc_lo, 0xc01, v[6:7]
	s_mov_b32 s11, 0
	s_mov_b32 s9, 0
	s_cbranch_vccz .LBB132_20
; %bb.9:                                ;   in Loop: Header=BB132_6 Depth=1
	global_load_u16 v2, v3, s[62:63]
	global_load_u8 v10, v[14:15], off
	s_mov_b32 s12, 0
	s_wait_loadcnt 0x1
	v_and_b32_e32 v2, 0xffff, v2
	s_delay_alu instid0(VALU_DEP_1) | instskip(SKIP_1) | instid1(VALU_DEP_1)
	v_mul_u64_e32 v[4:5], s[30:31], v[2:3]
	v_add_nc_u32_e32 v8, v0, v2
	v_mad_nc_u64_u32 v[6:7], s30, v8, s[42:43]
	s_delay_alu instid0(VALU_DEP_1)
	v_mad_u32 v7, s31, v8, v7
	v_mov_b64_e32 v[8:9], v[0:1]
	s_branch .LBB132_11
.LBB132_10:                             ;   in Loop: Header=BB132_11 Depth=2
	s_or_b32 exec_lo, exec_lo, s10
	v_add_nc_u64_e32 v[6:7], v[6:7], v[4:5]
	v_mov_b32_e32 v10, v11
	s_and_not1_b32 exec_lo, exec_lo, s12
	s_cbranch_execz .LBB132_92
.LBB132_11:                             ;   Parent Loop BB132_6 Depth=1
                                        ; =>  This Inner Loop Header: Depth=2
	s_delay_alu instid0(VALU_DEP_1) | instskip(SKIP_3) | instid1(VALU_DEP_2)
	v_add_nc_u64_e32 v[8:9], v[8:9], v[2:3]
	s_wait_dscnt 0x0
	v_dual_mov_b32 v32, 0 :: v_dual_mov_b32 v11, 0
	s_mov_b32 s10, exec_lo
	v_cmp_le_u64_e32 vcc_lo, s[36:37], v[8:9]
	s_wait_xcnt 0x0
	v_cmpx_gt_u64_e64 s[36:37], v[8:9]
	s_cbranch_execz .LBB132_13
; %bb.12:                               ;   in Loop: Header=BB132_11 Depth=2
	global_load_u8 v11, v[6:7], off
.LBB132_13:                             ;   in Loop: Header=BB132_11 Depth=2
	s_wait_xcnt 0x0
	s_or_b32 exec_lo, exec_lo, s10
	s_wait_loadcnt 0x0
	v_bfe_i32 v33, v10, 0, 8
	s_delay_alu instid0(VALU_DEP_1) | instskip(NEXT) | instid1(VALU_DEP_1)
	v_add_nc_u32_e32 v33, 0x80, v33
	v_and_b32_e32 v33, v33, v41
	s_delay_alu instid0(VALU_DEP_1) | instskip(SKIP_2) | instid1(SALU_CYCLE_1)
	v_cmp_eq_u32_e64 s9, v33, v39
	s_cmp_lg_u32 s9, 0
	s_cselect_b32 s10, -1, 0
	s_and_b32 s10, s2, s10
	s_delay_alu instid0(SALU_CYCLE_1)
	s_and_saveexec_b32 s13, s10
	s_cbranch_execz .LBB132_17
; %bb.14:                               ;   in Loop: Header=BB132_11 Depth=2
	s_mov_b32 s16, exec_lo
	s_bcnt1_i32_b32 s14, s9
	v_mbcnt_lo_u32_b32 v32, s16, 0
	s_mov_b32 s15, exec_lo
                                        ; implicit-def: $vgpr33
	s_delay_alu instid0(VALU_DEP_1)
	v_cmpx_eq_u32_e32 0, v32
; %bb.15:                               ;   in Loop: Header=BB132_11 Depth=2
	s_bcnt1_i32_b32 s10, s16
	s_delay_alu instid0(SALU_CYCLE_1) | instskip(NEXT) | instid1(SALU_CYCLE_1)
	s_mul_i32 s10, s14, s10
	v_mov_b32_e32 v33, s10
	ds_add_rtn_u32 v33, v3, v33 offset:5144
; %bb.16:                               ;   in Loop: Header=BB132_11 Depth=2
	s_or_b32 exec_lo, exec_lo, s15
	s_wait_dscnt 0x0
	v_readfirstlane_b32 s10, v33
	s_delay_alu instid0(VALU_DEP_1)
	v_mad_u32_u24 v32, s14, v32, s10
.LBB132_17:                             ;   in Loop: Header=BB132_11 Depth=2
	s_or_b32 exec_lo, exec_lo, s13
	ds_bpermute_b32 v32, v3, v32
	s_and_b32 s10, exec_lo, vcc_lo
	s_delay_alu instid0(SALU_CYCLE_1)
	s_or_b32 s12, s10, s12
	s_and_saveexec_b32 s10, s9
	s_cbranch_execz .LBB132_10
; %bb.18:                               ;   in Loop: Header=BB132_11 Depth=2
	v_and_b32_e32 v33, s9, v12
	s_wait_dscnt 0x0
	s_delay_alu instid0(VALU_DEP_1)
	v_bcnt_u32_b32 v32, v33, v32
	ds_store_b8 v32, v10
	s_branch .LBB132_10
.LBB132_19:                             ;   in Loop: Header=BB132_6 Depth=1
	s_mov_b32 s11, -1
	s_mov_b32 s9, 0
.LBB132_20:                             ;   in Loop: Header=BB132_6 Depth=1
	s_and_b32 vcc_lo, exec_lo, s11
	s_cbranch_vccz .LBB132_36
.LBB132_21:                             ;   in Loop: Header=BB132_6 Depth=1
	s_and_saveexec_b32 s9, s3
	s_cbranch_execz .LBB132_33
; %bb.22:                               ;   in Loop: Header=BB132_6 Depth=1
	global_load_u16 v4, v3, s[62:63]
	global_load_u8 v34, v[14:15], off
	s_mov_b32 s14, exec_lo
	v_mov_b32_e32 v8, v0
	s_wait_loadcnt 0x1
	v_and_b32_e32 v2, 0xffff, v4
	v_readfirstlane_b32 s10, v4
	s_delay_alu instid0(VALU_DEP_2) | instskip(SKIP_1) | instid1(VALU_DEP_1)
	v_add_nc_u32_e32 v2, v2, v0
	s_wait_xcnt 0x0
	v_cmpx_gt_u64_e64 s[36:37], v[2:3]
	s_cbranch_execz .LBB132_32
; %bb.23:                               ;   in Loop: Header=BB132_6 Depth=1
	s_and_b32 s28, s10, 0xffff
	v_mov_b64_e32 v[6:7], v[0:1]
	v_mov_b64_e32 v[4:5], v[2:3]
	s_cmp_eq_u32 s28, 1
	s_mov_b32 s11, -1
	s_cselect_b32 s10, -1, 0
                                        ; implicit-def: $vgpr8_vgpr9
	s_delay_alu instid0(SALU_CYCLE_1) | instskip(NEXT) | instid1(SALU_CYCLE_1)
	s_and_b32 s12, s7, s10
	s_and_saveexec_b32 s10, s12
	s_cbranch_execz .LBB132_27
; %bb.24:                               ;   in Loop: Header=BB132_6 Depth=1
	v_add_nc_u64_e32 v[8:9], 3, v[2:3]
	v_add_nc_u64_e32 v[6:7], 2, v[2:3]
	;; [unrolled: 1-line block ×3, first 2 shown]
	v_mov_b64_e32 v[32:33], v[18:19]
	s_wait_loadcnt 0x0
	v_dual_mov_b32 v35, v0 :: v_dual_lshlrev_b32 v36, 24, v34
	s_mov_b32 s11, 0
	v_mov_b64_e32 v[10:11], v[8:9]
	v_mov_b64_e32 v[8:9], v[6:7]
	v_mov_b64_e32 v[6:7], v[4:5]
	v_mov_b64_e32 v[4:5], v[2:3]
.LBB132_25:                             ;   Parent Loop BB132_6 Depth=1
                                        ; =>  This Inner Loop Header: Depth=2
	s_delay_alu instid0(VALU_DEP_2) | instskip(NEXT) | instid1(VALU_DEP_2)
	v_mad_nc_u64_u32 v[44:45], v6, s30, s[42:43]
	v_mad_nc_u64_u32 v[46:47], v4, s81, s[42:43]
	;; [unrolled: 1-line block ×4, first 2 shown]
	v_add_nc_u64_e32 v[32:33], -4, v[32:33]
	s_delay_alu instid0(VALU_DEP_1)
	v_cmp_eq_u64_e32 vcc_lo, 0, v[32:33]
	v_mad_u32 v34, v7, s30, v45
	v_mad_u32 v37, v5, s81, v47
	v_mad_u32 v43, v9, s83, v49
	v_mad_u32 v51, v11, s85, v51
	s_or_b32 s11, vcc_lo, s11
	s_delay_alu instid0(VALU_DEP_4) | instskip(NEXT) | instid1(VALU_DEP_4)
	v_mad_u32 v45, v6, s31, v34
	v_mad_u32 v47, v4, s82, v37
	s_delay_alu instid0(VALU_DEP_4) | instskip(NEXT) | instid1(VALU_DEP_4)
	v_mad_u32 v49, v8, s84, v43
	v_mad_u32 v51, v10, s86, v51
	v_add_nc_u64_e32 v[10:11], 4, v[10:11]
	v_add_nc_u64_e32 v[8:9], 4, v[8:9]
	;; [unrolled: 1-line block ×4, first 2 shown]
	s_clause 0x3
	global_load_u8 v37, v[44:45], off
	global_load_u8 v43, v[46:47], off
	;; [unrolled: 1-line block ×4, first 2 shown]
	s_wait_loadcnt 0x2
	v_perm_b32 v36, v36, v43, 0xc0c0007
	s_wait_loadcnt 0x1
	v_perm_b32 v45, v37, v44, 0xc0c0004
	v_perm_b32 v37, v43, v37, 0xc0c0004
	s_wait_loadcnt 0x0
	v_perm_b32 v43, v44, v34, 0xc0c0004
	s_delay_alu instid0(VALU_DEP_3) | instskip(NEXT) | instid1(VALU_DEP_2)
	v_lshl_or_b32 v36, v45, 16, v36
	v_lshl_or_b32 v37, v43, 16, v37
	ds_store_b32 v35, v36
	v_dual_mov_b32 v36, v37 :: v_dual_add_nc_u32 v35, 4, v35
	s_wait_xcnt 0x0
	s_and_not1_b32 exec_lo, exec_lo, s11
	s_cbranch_execnz .LBB132_25
; %bb.26:                               ;   in Loop: Header=BB132_6 Depth=1
	s_or_b32 exec_lo, exec_lo, s11
	v_add_nc_u64_e32 v[4:5], v[2:3], v[18:19]
	v_mov_b64_e32 v[6:7], v[22:23]
	v_readlane_b32 s8, v52, 8
	s_or_not1_b32 s11, s8, exec_lo
	v_add_nc_u64_e32 v[8:9], -1, v[4:5]
.LBB132_27:                             ;   in Loop: Header=BB132_6 Depth=1
	s_or_b32 exec_lo, exec_lo, s10
	s_and_saveexec_b32 s15, s11
	s_cbranch_execz .LBB132_31
; %bb.28:                               ;   in Loop: Header=BB132_6 Depth=1
	v_mad_nc_u64_u32 v[8:9], s30, v4, s[42:43]
	s_sub_nc_u64 s[10:11], 0, s[28:29]
	s_mul_u64 s[12:13], s[30:31], s[28:29]
	s_mov_b32 s16, 0
	s_delay_alu instid0(VALU_DEP_1) | instskip(NEXT) | instid1(VALU_DEP_1)
	v_mad_u32 v2, s31, v4, v9
	v_mad_u32 v9, s30, v5, v2
.LBB132_29:                             ;   Parent Loop BB132_6 Depth=1
                                        ; =>  This Inner Loop Header: Depth=2
	global_load_u8 v2, v[8:9], off
	v_mov_b64_e32 v[10:11], v[4:5]
	s_wait_loadcnt 0x1
	ds_store_b8 v6, v34
	s_wait_xcnt 0x0
	v_add_nc_u64_e32 v[8:9], s[12:13], v[8:9]
	v_add_nc_u64_e32 v[4:5], s[28:29], v[10:11]
	v_mov_b64_e32 v[6:7], v[10:11]
	s_delay_alu instid0(VALU_DEP_2)
	v_cmp_le_u64_e32 vcc_lo, s[36:37], v[4:5]
	s_or_b32 s16, vcc_lo, s16
	s_wait_loadcnt 0x0
	v_mov_b32_e32 v34, v2
	s_and_not1_b32 exec_lo, exec_lo, s16
	s_cbranch_execnz .LBB132_29
; %bb.30:                               ;   in Loop: Header=BB132_6 Depth=1
	s_or_b32 exec_lo, exec_lo, s16
	v_add_nc_u64_e32 v[8:9], s[10:11], v[4:5]
	v_mov_b32_e32 v34, v2
.LBB132_31:                             ;   in Loop: Header=BB132_6 Depth=1
	s_or_b32 exec_lo, exec_lo, s15
.LBB132_32:                             ;   in Loop: Header=BB132_6 Depth=1
	s_delay_alu instid0(SALU_CYCLE_1)
	s_or_b32 exec_lo, exec_lo, s14
	s_wait_loadcnt 0x0
	ds_store_b8 v8, v34
.LBB132_33:                             ;   in Loop: Header=BB132_6 Depth=1
	s_or_b32 exec_lo, exec_lo, s9
	s_wait_dscnt 0x0
	s_barrier_signal -1
	s_barrier_wait -1
	s_and_saveexec_b32 s9, s5
; %bb.34:                               ;   in Loop: Header=BB132_6 Depth=1
	v_mov_b64_e32 v[4:5], s[36:37]
	ds_store_b64 v3, v[4:5] offset:5120
; %bb.35:                               ;   in Loop: Header=BB132_6 Depth=1
	s_or_b32 exec_lo, exec_lo, s9
	s_mov_b32 s9, -1
	s_wait_dscnt 0x0
	s_barrier_signal -1
	s_barrier_wait -1
.LBB132_36:                             ;   in Loop: Header=BB132_6 Depth=1
	s_and_b32 vcc_lo, exec_lo, s9
	s_mov_b64 s[64:65], 0
	s_cbranch_vccz .LBB132_38
; %bb.37:                               ;   in Loop: Header=BB132_6 Depth=1
	ds_load_b64 v[4:5], v3 offset:5120
	s_wait_dscnt 0x0
	v_readfirstlane_b32 s64, v4
	v_readfirstlane_b32 s65, v5
.LBB132_38:                             ;   in Loop: Header=BB132_6 Depth=1
	s_delay_alu instid0(VALU_DEP_2)
	s_cmp_lt_i32 s64, 1
	s_mov_b32 s9, -1
                                        ; implicit-def: $vgpr10_vgpr11
                                        ; implicit-def: $vgpr6_vgpr7
	s_cbranch_scc1 .LBB132_48
; %bb.39:                               ;   in Loop: Header=BB132_6 Depth=1
	s_and_b32 vcc_lo, exec_lo, s9
	s_cbranch_vccnz .LBB132_62
.LBB132_40:                             ;   in Loop: Header=BB132_6 Depth=1
	s_lshl_b32 s9, s95, 7
	s_and_saveexec_b32 s10, s2
	s_cbranch_execz .LBB132_42
.LBB132_41:                             ;   in Loop: Header=BB132_6 Depth=1
	v_lshl_add_u32 v2, s9, 3, v38
	ds_store_b128 v2, v[4:7]
	ds_store_b128 v2, v[8:11] offset:16
.LBB132_42:                             ;   in Loop: Header=BB132_6 Depth=1
	s_or_b32 exec_lo, exec_lo, s10
	s_wait_dscnt 0x0
	s_barrier_signal -1
	s_barrier_wait -1
	s_and_saveexec_b32 s10, s78
	s_cbranch_execz .LBB132_76
; %bb.43:                               ;   in Loop: Header=BB132_6 Depth=1
	v_mov_b64_e32 v[4:5], 0
	s_and_not1_b32 vcc_lo, exec_lo, s80
	s_cbranch_vccnz .LBB132_75
; %bb.44:                               ;   in Loop: Header=BB132_6 Depth=1
	v_mov_b64_e32 v[4:5], 0
	s_and_not1_b32 vcc_lo, exec_lo, s88
	s_cbranch_vccnz .LBB132_72
; %bb.45:                               ;   in Loop: Header=BB132_6 Depth=1
	v_lshl_add_u32 v2, s95, 10, v40
	s_mov_b32 s11, 0
.LBB132_46:                             ;   Parent Loop BB132_6 Depth=1
                                        ; =>  This Inner Loop Header: Depth=2
	ds_load_2addr_b64 v[6:9], v2 offset1:4
	ds_load_2addr_b64 v[32:35], v2 offset0:8 offset1:12
	s_add_co_i32 s11, s11, 8
	s_delay_alu instid0(SALU_CYCLE_1) | instskip(SKIP_2) | instid1(VALU_DEP_1)
	s_cmp_eq_u32 s89, s11
	s_wait_dscnt 0x1
	v_add_nc_u64_e32 v[4:5], v[6:7], v[4:5]
	v_add_nc_u64_e32 v[8:9], v[8:9], v[4:5]
	ds_load_2addr_b64 v[4:7], v2 offset0:16 offset1:20
	s_wait_dscnt 0x1
	v_add_nc_u64_e32 v[8:9], v[32:33], v[8:9]
	s_delay_alu instid0(VALU_DEP_1) | instskip(SKIP_4) | instid1(VALU_DEP_1)
	v_add_nc_u64_e32 v[32:33], v[34:35], v[8:9]
	ds_load_2addr_b64 v[8:11], v2 offset0:24 offset1:28
	v_add_nc_u32_e32 v2, 0x100, v2
	s_wait_dscnt 0x1
	v_add_nc_u64_e32 v[4:5], v[4:5], v[32:33]
	v_add_nc_u64_e32 v[4:5], v[6:7], v[4:5]
	s_wait_dscnt 0x0
	s_delay_alu instid0(VALU_DEP_1) | instskip(NEXT) | instid1(VALU_DEP_1)
	v_add_nc_u64_e32 v[4:5], v[8:9], v[4:5]
	v_add_nc_u64_e32 v[4:5], v[10:11], v[4:5]
	s_cbranch_scc0 .LBB132_46
; %bb.47:                               ;   in Loop: Header=BB132_6 Depth=1
	s_mov_b32 s11, s89
	s_and_not1_b32 vcc_lo, exec_lo, s90
	s_cbranch_vccz .LBB132_73
	s_branch .LBB132_75
.LBB132_48:                             ;   in Loop: Header=BB132_6 Depth=1
	global_load_u16 v2, v3, s[62:63]
	s_mov_b32 s67, s29
	s_wait_loadcnt 0x0
	v_readfirstlane_b32 s9, v2
	s_and_b32 s9, 0xffff, s9
	s_delay_alu instid0(SALU_CYCLE_1)
	s_lshl_b32 s66, s9, 2
	s_cmp_lg_u64 s[60:61], 0
	s_cbranch_scc0 .LBB132_71
; %bb.49:                               ;   in Loop: Header=BB132_6 Depth=1
	s_cvt_f32_u32 s9, s66
	s_sub_nc_u64 s[12:13], 0, s[66:67]
	s_delay_alu instid0(SALU_CYCLE_2) | instskip(NEXT) | instid1(SALU_CYCLE_3)
	s_fmamk_f32 s9, s92, 0x0, s9
	v_s_rcp_f32 s9, s9
	s_delay_alu instid0(TRANS32_DEP_1) | instskip(NEXT) | instid1(SALU_CYCLE_3)
	s_mul_f32 s9, s9, 0x5f7ffffc
	s_mul_f32 s10, s9, 0x2f800000
	s_delay_alu instid0(SALU_CYCLE_3) | instskip(NEXT) | instid1(SALU_CYCLE_3)
	s_trunc_f32 s10, s10
	s_fmamk_f32 s9, s10, 0xcf800000, s9
	s_cvt_u32_f32 s11, s10
	s_delay_alu instid0(SALU_CYCLE_2) | instskip(NEXT) | instid1(SALU_CYCLE_3)
	s_cvt_u32_f32 s10, s9
	s_mul_u64 s[14:15], s[12:13], s[10:11]
	s_delay_alu instid0(SALU_CYCLE_1)
	s_mul_hi_u32 s17, s10, s15
	s_mul_i32 s16, s10, s15
	s_mul_hi_u32 s28, s10, s14
	s_mul_i32 s18, s11, s14
	s_add_nc_u64 s[16:17], s[28:29], s[16:17]
	s_mul_hi_u32 s9, s11, s14
	s_mul_hi_u32 s19, s11, s15
	s_mul_i32 s14, s11, s15
	s_add_co_u32 s15, s16, s18
	s_add_co_ci_u32 s28, s17, s9
	s_add_co_ci_u32 s15, s19, 0
	s_delay_alu instid0(SALU_CYCLE_1) | instskip(NEXT) | instid1(SALU_CYCLE_1)
	s_add_nc_u64 s[14:15], s[28:29], s[14:15]
	s_add_co_u32 s10, s10, s14
	s_cselect_b32 s9, -1, 0
	s_delay_alu instid0(SALU_CYCLE_1) | instskip(SKIP_1) | instid1(SALU_CYCLE_1)
	s_cmp_lg_u32 s9, 0
	s_add_co_ci_u32 s11, s11, s15
	s_mul_u64 s[12:13], s[12:13], s[10:11]
	s_delay_alu instid0(SALU_CYCLE_1)
	s_mul_hi_u32 s15, s10, s13
	s_mul_i32 s14, s10, s13
	s_mul_hi_u32 s28, s10, s12
	s_mul_i32 s16, s11, s12
	s_add_nc_u64 s[14:15], s[28:29], s[14:15]
	s_mul_hi_u32 s9, s11, s12
	s_mul_hi_u32 s17, s11, s13
	s_mul_i32 s12, s11, s13
	s_add_co_u32 s13, s14, s16
	s_add_co_ci_u32 s28, s15, s9
	s_add_co_ci_u32 s13, s17, 0
	s_delay_alu instid0(SALU_CYCLE_1) | instskip(NEXT) | instid1(SALU_CYCLE_1)
	s_add_nc_u64 s[12:13], s[28:29], s[12:13]
	s_add_co_u32 s9, s10, s12
	s_cselect_b32 s10, -1, 0
	s_mul_hi_u32 s28, s36, s9
	s_cmp_lg_u32 s10, 0
	s_mul_hi_u32 s14, s37, s9
	s_add_co_ci_u32 s12, s11, s13
	s_mul_i32 s9, s37, s9
	s_mul_hi_u32 s11, s36, s12
	s_mul_i32 s10, s36, s12
	s_mul_hi_u32 s13, s37, s12
	s_add_nc_u64 s[10:11], s[28:29], s[10:11]
	s_mul_i32 s12, s37, s12
	s_add_co_u32 s9, s10, s9
	s_add_co_ci_u32 s28, s11, s14
	s_add_co_ci_u32 s13, s13, 0
	s_delay_alu instid0(SALU_CYCLE_1) | instskip(NEXT) | instid1(SALU_CYCLE_1)
	s_add_nc_u64 s[10:11], s[28:29], s[12:13]
	s_and_b64 s[12:13], s[10:11], 0xffffffff00000000
	s_delay_alu instid0(SALU_CYCLE_1) | instskip(NEXT) | instid1(SALU_CYCLE_1)
	s_or_b32 s12, s12, s10
	s_mul_u64 s[10:11], s[66:67], s[12:13]
	s_delay_alu instid0(SALU_CYCLE_1) | instskip(SKIP_1) | instid1(SALU_CYCLE_1)
	s_sub_co_u32 s9, s36, s10
	s_cselect_b32 s10, -1, 0
	s_cmp_lg_u32 s10, 0
	s_sub_co_ci_u32 s10, s37, s11
	s_sub_co_u32 s11, s9, s66
	s_cselect_b32 s12, -1, 0
	s_delay_alu instid0(SALU_CYCLE_1) | instskip(SKIP_3) | instid1(SALU_CYCLE_1)
	s_cmp_lg_u32 s12, 0
	s_sub_co_ci_u32 s12, s10, 0
	s_sub_co_u32 s13, s11, s66
	s_cselect_b32 s14, -1, 0
	s_cmp_lg_u32 s14, 0
	s_sub_co_ci_u32 s14, s12, 0
	s_cmp_ge_u32 s11, s66
	s_cselect_b32 s15, -1, 0
	s_cmp_eq_u32 s12, 0
	s_cselect_b32 s15, s15, -1
	s_delay_alu instid0(SALU_CYCLE_1)
	s_cmp_lg_u32 s15, 0
	s_cselect_b32 s12, s14, s12
	s_cselect_b32 s13, s13, s11
	s_cmp_ge_u32 s9, s66
	s_cselect_b32 s11, -1, 0
	s_cmp_eq_u32 s10, 0
	s_cselect_b32 s11, s11, -1
	s_delay_alu instid0(SALU_CYCLE_1)
	s_cmp_lg_u32 s11, 0
	s_cselect_b32 s11, s12, s10
	s_cselect_b32 s10, s13, s9
	s_cbranch_execnz .LBB132_51
.LBB132_50:                             ;   in Loop: Header=BB132_6 Depth=1
	v_cvt_f32_u32_e32 v4, s66
	s_sub_co_i32 s10, 0, s66
	s_delay_alu instid0(VALU_DEP_1) | instskip(SKIP_1) | instid1(TRANS32_DEP_1)
	v_rcp_iflag_f32_e32 v4, v4
	v_nop
	v_mul_f32_e32 v4, 0x4f7ffffe, v4
	s_delay_alu instid0(VALU_DEP_1) | instskip(NEXT) | instid1(VALU_DEP_1)
	v_cvt_u32_f32_e32 v4, v4
	v_readfirstlane_b32 s9, v4
	s_mul_i32 s10, s10, s9
	s_delay_alu instid0(SALU_CYCLE_1) | instskip(NEXT) | instid1(SALU_CYCLE_1)
	s_mul_hi_u32 s10, s9, s10
	s_add_co_i32 s9, s9, s10
	s_delay_alu instid0(SALU_CYCLE_1) | instskip(NEXT) | instid1(SALU_CYCLE_1)
	s_mul_hi_u32 s9, s36, s9
	s_mul_i32 s9, s9, s66
	s_delay_alu instid0(SALU_CYCLE_1) | instskip(NEXT) | instid1(SALU_CYCLE_1)
	s_sub_co_i32 s9, s36, s9
	s_sub_co_i32 s10, s9, s66
	s_cmp_ge_u32 s9, s66
	s_cselect_b32 s9, s10, s9
	s_delay_alu instid0(SALU_CYCLE_1) | instskip(SKIP_2) | instid1(SALU_CYCLE_1)
	s_sub_co_i32 s10, s9, s66
	s_cmp_ge_u32 s9, s66
	s_cselect_b32 s28, s10, s9
	s_mov_b64 s[10:11], s[28:29]
.LBB132_51:                             ;   in Loop: Header=BB132_6 Depth=1
	v_mov_b64_e32 v[4:5], 0
	v_mov_b64_e32 v[6:7], 0
	;; [unrolled: 1-line block ×4, first 2 shown]
	v_and_b32_e32 v2, 0xffff, v2
	s_sub_nc_u64 s[68:69], s[36:37], s[10:11]
	s_mov_b32 s46, exec_lo
	v_cmpx_gt_u64_e64 s[68:69], v[16:17]
	s_cbranch_execz .LBB132_55
; %bb.52:                               ;   in Loop: Header=BB132_6 Depth=1
	v_mul_u64_e32 v[32:33], s[58:59], v[2:3]
	v_mov_b64_e32 v[34:35], s[42:43]
	v_mov_b64_e32 v[36:37], v[16:17]
	s_mov_b64 s[70:71], 0
	s_mov_b32 s47, 0
	s_mov_b64 s[72:73], 0
	s_mov_b64 s[74:75], 0
	;; [unrolled: 1-line block ×3, first 2 shown]
.LBB132_53:                             ;   Parent Loop BB132_6 Depth=1
                                        ; =>  This Inner Loop Header: Depth=2
	v_add_nc_u64_e32 v[4:5], v[34:35], v[28:29]
	v_add_nc_u64_e32 v[6:7], v[34:35], v[26:27]
	;; [unrolled: 1-line block ×6, first 2 shown]
	s_clause 0x3
	global_load_i8 v4, v[4:5], off
	global_load_i8 v5, v[6:7], off
	;; [unrolled: 1-line block ×4, first 2 shown]
	v_cmp_le_u64_e32 vcc_lo, s[68:69], v[36:37]
	s_wait_loadcnt 0x3
	v_add_nc_u32_e32 v4, 0x80, v4
	s_wait_loadcnt 0x2
	v_add_nc_u32_e32 v5, 0x80, v5
	;; [unrolled: 2-line block ×4, first 2 shown]
	v_and_b32_e32 v8, v4, v41
	v_and_b32_e32 v9, v5, v41
	v_bfe_u32 v4, v4, s91, 2
	v_bfe_u32 v5, v5, s91, 2
	v_and_b32_e32 v10, v6, v41
	v_bfe_u32 v6, v6, s91, 2
	v_and_b32_e32 v11, v7, v41
	v_bfe_u32 v7, v7, s91, 2
	v_cmp_eq_u32_e64 s9, v8, v39
	v_cmp_eq_u32_e64 s10, v9, v39
	;; [unrolled: 1-line block ×15, first 2 shown]
	s_and_b32 s13, s9, s13
	s_and_b32 s14, s10, s14
	v_cmp_eq_u32_e64 s20, 1, v7
	v_cmp_eq_u32_e64 s23, 2, v6
	;; [unrolled: 1-line block ×3, first 2 shown]
	s_and_b32 s15, s11, s15
	s_and_b32 s17, s9, s17
	;; [unrolled: 1-line block ×3, first 2 shown]
	v_cndmask_b32_e64 v4, 0, 1, s13
	v_cndmask_b32_e64 v5, 0, 1, s14
	v_cmp_eq_u32_e64 s24, 2, v7
	v_cmp_eq_u32_e64 s28, 3, v7
	s_and_b32 s16, s12, s16
	s_and_b32 s19, s11, s19
	;; [unrolled: 1-line block ×4, first 2 shown]
	v_cndmask_b32_e64 v6, 0, 1, s15
	v_cndmask_b32_e64 v8, 0, 1, s17
	;; [unrolled: 1-line block ×3, first 2 shown]
	s_and_b32 s9, s9, s25
	s_and_b32 s10, s10, s26
	;; [unrolled: 1-line block ×4, first 2 shown]
	v_cndmask_b32_e64 v7, 0, 1, s16
	v_cndmask_b32_e64 v10, 0, 1, s19
	;; [unrolled: 1-line block ×4, first 2 shown]
	s_and_b32 s11, s11, s27
	v_cndmask_b32_e64 v47, 0, 1, s9
	v_cndmask_b32_e64 v48, 0, 1, s10
	v_cmp_ne_u32_e64 s9, 0, v4
	v_cmp_ne_u32_e64 s10, 0, v5
	s_and_b32 s24, s12, s24
	v_cndmask_b32_e64 v11, 0, 1, s20
	v_cndmask_b32_e64 v45, 0, 1, s23
	s_and_b32 s12, s12, s28
	v_cndmask_b32_e64 v49, 0, 1, s11
	v_cmp_ne_u32_e64 s11, 0, v6
	v_cmp_ne_u32_e64 s13, 0, v8
	;; [unrolled: 1-line block ×3, first 2 shown]
	v_cndmask_b32_e64 v46, 0, 1, s24
	v_cndmask_b32_e64 v50, 0, 1, s12
	v_cmp_ne_u32_e64 s12, 0, v7
	v_cmp_ne_u32_e64 s15, 0, v10
	;; [unrolled: 1-line block ×4, first 2 shown]
	s_bcnt1_i32_b32 s9, s9
	s_bcnt1_i32_b32 s10, s10
	v_cmp_ne_u32_e64 s16, 0, v11
	v_cmp_ne_u32_e64 s19, 0, v45
	;; [unrolled: 1-line block ×4, first 2 shown]
	s_bcnt1_i32_b32 s11, s11
	s_bcnt1_i32_b32 s13, s13
	s_bcnt1_i32_b32 s14, s14
	s_add_co_i32 s9, s10, s9
	v_cmp_ne_u32_e64 s20, 0, v46
	v_cmp_ne_u32_e64 s23, 0, v49
	s_bcnt1_i32_b32 s12, s12
	s_bcnt1_i32_b32 s15, s15
	;; [unrolled: 1-line block ×4, first 2 shown]
	s_add_co_i32 s10, s14, s13
	s_add_co_i32 s9, s9, s11
	v_cmp_ne_u32_e64 s24, 0, v50
	s_bcnt1_i32_b32 s16, s16
	s_bcnt1_i32_b32 s19, s19
	;; [unrolled: 1-line block ×4, first 2 shown]
	s_add_co_i32 s13, s18, s17
	s_add_co_i32 s10, s10, s15
	;; [unrolled: 1-line block ×3, first 2 shown]
	s_bcnt1_i32_b32 s20, s20
	s_bcnt1_i32_b32 s23, s23
	s_add_co_i32 s14, s22, s21
	s_add_co_i32 s11, s13, s19
	s_add_nc_u64 s[76:77], s[76:77], s[28:29]
	s_add_co_i32 s28, s10, s16
	s_bcnt1_i32_b32 s24, s24
	s_add_co_i32 s13, s14, s23
	s_add_nc_u64 s[74:75], s[74:75], s[28:29]
	s_add_co_i32 s28, s11, s20
	v_mov_b64_e32 v[4:5], s[76:77]
	s_add_nc_u64 s[72:73], s[72:73], s[28:29]
	s_add_co_i32 s28, s13, s24
	v_mov_b64_e32 v[6:7], s[74:75]
	s_add_nc_u64 s[70:71], s[70:71], s[28:29]
	v_mov_b64_e32 v[8:9], s[72:73]
	v_mov_b64_e32 v[10:11], s[70:71]
	s_or_b32 s47, vcc_lo, s47
	s_delay_alu instid0(SALU_CYCLE_1)
	s_and_not1_b32 exec_lo, exec_lo, s47
	s_cbranch_execnz .LBB132_53
; %bb.54:                               ;   in Loop: Header=BB132_6 Depth=1
	s_or_b32 exec_lo, exec_lo, s47
.LBB132_55:                             ;   in Loop: Header=BB132_6 Depth=1
	s_delay_alu instid0(SALU_CYCLE_1) | instskip(SKIP_2) | instid1(VALU_DEP_1)
	s_or_b32 exec_lo, exec_lo, s46
	v_add_nc_u64_e32 v[32:33], s[68:69], v[0:1]
	s_mov_b32 s12, exec_lo
	v_cmpx_gt_u64_e64 s[36:37], v[32:33]
	s_cbranch_execz .LBB132_61
; %bb.56:                               ;   in Loop: Header=BB132_6 Depth=1
	v_mad_nc_u64_u32 v[34:35], v32, s30, s[42:43]
	s_mov_b32 s13, 0
	s_delay_alu instid0(VALU_DEP_1) | instskip(NEXT) | instid1(VALU_DEP_1)
	v_mad_u32 v35, v33, s30, v35
	v_mad_u32 v35, v32, s31, v35
	global_load_u8 v35, v[34:35], off
	s_branch .LBB132_58
.LBB132_57:                             ;   in Loop: Header=BB132_58 Depth=2
	s_wait_xcnt 0x0
	s_or_b32 exec_lo, exec_lo, s10
	s_wait_loadcnt 0x0
	v_bfe_i32 v35, v35, 0, 8
	s_and_b32 s11, exec_lo, vcc_lo
	s_delay_alu instid0(SALU_CYCLE_1) | instskip(NEXT) | instid1(VALU_DEP_1)
	s_or_b32 s13, s11, s13
	v_add_nc_u32_e32 v35, 0x80, v35
	s_delay_alu instid0(VALU_DEP_1) | instskip(SKIP_1) | instid1(VALU_DEP_2)
	v_and_b32_e32 v36, v35, v41
	v_bfe_u32 v35, v35, s91, 2
	v_cmp_eq_u32_e64 s9, v36, v39
	s_delay_alu instid0(VALU_DEP_2)
	v_cmp_eq_u32_e64 s10, 0, v35
	v_cmp_eq_u32_e32 vcc_lo, 1, v35
	s_and_b32 s10, s9, s10
	s_and_b32 s11, s9, vcc_lo
	v_cndmask_b32_e64 v36, 0, 1, s10
	v_cmp_eq_u32_e64 s10, 2, v35
	v_cmp_eq_u32_e32 vcc_lo, 3, v35
	v_cndmask_b32_e64 v37, 0, 1, s11
	s_delay_alu instid0(VALU_DEP_4)
	v_cmp_ne_u32_e64 s11, 0, v36
	s_and_b32 s10, s9, s10
	s_and_b32 s9, s9, vcc_lo
	v_cndmask_b32_e64 v35, 0, 1, s10
	v_cndmask_b32_e64 v36, 0, 1, s9
	v_cmp_ne_u32_e64 s10, 0, v37
	s_bcnt1_i32_b32 s28, s11
	v_cmp_ne_u32_e32 vcc_lo, 0, v35
	v_cmp_ne_u32_e64 s9, 0, v36
	v_add_nc_u64_e32 v[4:5], s[28:29], v[4:5]
	s_bcnt1_i32_b32 s28, s10
	v_mov_b32_e32 v35, v34
	v_add_nc_u64_e32 v[6:7], s[28:29], v[6:7]
	s_bcnt1_i32_b32 s28, vcc_lo
	s_delay_alu instid0(SALU_CYCLE_1) | instskip(SKIP_1) | instid1(SALU_CYCLE_1)
	v_add_nc_u64_e32 v[8:9], s[28:29], v[8:9]
	s_bcnt1_i32_b32 s28, s9
	v_add_nc_u64_e32 v[10:11], s[28:29], v[10:11]
	s_and_not1_b32 exec_lo, exec_lo, s13
	s_cbranch_execz .LBB132_60
.LBB132_58:                             ;   Parent Loop BB132_6 Depth=1
                                        ; =>  This Inner Loop Header: Depth=2
	v_add_nc_u64_e32 v[32:33], v[32:33], v[2:3]
	s_wait_xcnt 0x0
	v_mov_b32_e32 v34, 0
	s_mov_b32 s10, exec_lo
	s_delay_alu instid0(VALU_DEP_2)
	v_cmp_le_u64_e32 vcc_lo, s[36:37], v[32:33]
	v_cmpx_gt_u64_e64 s[36:37], v[32:33]
	s_cbranch_execz .LBB132_57
; %bb.59:                               ;   in Loop: Header=BB132_58 Depth=2
	v_mad_nc_u64_u32 v[36:37], v32, s30, s[42:43]
	s_delay_alu instid0(VALU_DEP_1) | instskip(NEXT) | instid1(VALU_DEP_1)
	v_mad_u32 v34, v33, s30, v37
	v_mad_u32 v37, v32, s31, v34
	global_load_u8 v34, v[36:37], off
	s_branch .LBB132_57
.LBB132_60:                             ;   in Loop: Header=BB132_6 Depth=1
	s_or_b32 exec_lo, exec_lo, s13
.LBB132_61:                             ;   in Loop: Header=BB132_6 Depth=1
	s_delay_alu instid0(SALU_CYCLE_1)
	s_or_b32 exec_lo, exec_lo, s12
	s_branch .LBB132_40
.LBB132_62:                             ;   in Loop: Header=BB132_6 Depth=1
	global_load_u16 v2, v3, s[62:63]
	s_mov_b32 s67, s29
	v_mov_b64_e32 v[6:7], 0
	v_mov_b64_e32 v[8:9], 0
	;; [unrolled: 1-line block ×3, first 2 shown]
	s_mov_b32 s47, exec_lo
	s_wait_loadcnt 0x0
	v_readfirstlane_b32 s9, v2
	v_and_b32_e32 v2, 0xffff, v2
	s_and_b32 s46, 0xffff, s9
	s_delay_alu instid0(SALU_CYCLE_1) | instskip(NEXT) | instid1(SALU_CYCLE_1)
	s_lshl_b32 s68, s46, 2
	s_cvt_f32_u32 s9, s68
	s_sub_co_i32 s10, 0, s68
	s_delay_alu instid0(SALU_CYCLE_2) | instskip(SKIP_1) | instid1(TRANS32_DEP_1)
	v_rcp_iflag_f32_e32 v4, s9
	v_nop
	v_readfirstlane_b32 s9, v4
	s_mul_f32 s9, s9, 0x4f7ffffe
	s_delay_alu instid0(SALU_CYCLE_3) | instskip(NEXT) | instid1(SALU_CYCLE_3)
	s_cvt_u32_f32 s9, s9
	s_mul_i32 s10, s10, s9
	s_delay_alu instid0(SALU_CYCLE_1) | instskip(NEXT) | instid1(SALU_CYCLE_1)
	s_mul_hi_u32 s10, s9, s10
	s_add_co_i32 s9, s9, s10
	s_delay_alu instid0(SALU_CYCLE_1) | instskip(NEXT) | instid1(SALU_CYCLE_1)
	s_mul_hi_u32 s9, s64, s9
	s_mul_i32 s10, s9, s68
	s_add_co_i32 s11, s9, 1
	s_sub_co_i32 s10, s64, s10
	s_delay_alu instid0(SALU_CYCLE_1)
	s_sub_co_i32 s12, s10, s68
	s_cmp_ge_u32 s10, s68
	s_cselect_b32 s9, s11, s9
	s_cselect_b32 s10, s12, s10
	s_add_co_i32 s11, s9, 1
	s_cmp_ge_u32 s10, s68
	s_cselect_b32 s66, s11, s9
	s_delay_alu instid0(SALU_CYCLE_1) | instskip(NEXT) | instid1(VALU_DEP_1)
	v_mul_u64_e32 v[4:5], s[66:67], v[2:3]
	v_lshlrev_b64_e32 v[32:33], 2, v[4:5]
	v_mov_b64_e32 v[4:5], 0
	s_delay_alu instid0(VALU_DEP_2)
	v_cmpx_gt_u64_e64 v[32:33], v[16:17]
	s_cbranch_execz .LBB132_66
; %bb.63:                               ;   in Loop: Header=BB132_6 Depth=1
	v_mov_b64_e32 v[34:35], v[16:17]
	v_mov_b32_e32 v36, v16
	s_mov_b32 s69, s29
	s_mov_b64 s[70:71], 0
	s_mov_b32 s67, 0
	s_mov_b64 s[72:73], 0
	s_mov_b64 s[74:75], 0
	;; [unrolled: 1-line block ×3, first 2 shown]
.LBB132_64:                             ;   Parent Loop BB132_6 Depth=1
                                        ; =>  This Inner Loop Header: Depth=2
	ds_load_b32 v4, v36
	v_add_nc_u64_e32 v[34:35], s[68:69], v[34:35]
	s_delay_alu instid0(VALU_DEP_1) | instskip(SKIP_4) | instid1(VALU_DEP_3)
	v_cmp_ge_u64_e32 vcc_lo, v[34:35], v[32:33]
	s_wait_dscnt 0x0
	v_bfe_i32 v6, v4, 8, 8
	v_bfe_i32 v5, v4, 0, 8
	;; [unrolled: 1-line block ×3, first 2 shown]
	v_add_nc_u32_e32 v6, 0x80, v6
	v_ashrrev_i32_e32 v4, 24, v4
	s_delay_alu instid0(VALU_DEP_4) | instskip(NEXT) | instid1(VALU_DEP_4)
	v_add_nc_u32_e32 v5, 0x80, v5
	v_add_nc_u32_e32 v7, 0x80, v7
	s_delay_alu instid0(VALU_DEP_4) | instskip(NEXT) | instid1(VALU_DEP_4)
	v_dual_add_nc_u32 v36, s68, v36 :: v_dual_bitop2_b32 v9, v6, v41 bitop3:0x40
	v_add_nc_u32_e32 v4, 0x80, v4
	s_delay_alu instid0(VALU_DEP_4)
	v_and_b32_e32 v8, v5, v41
	v_bfe_u32 v5, v5, s91, 2
	v_bfe_u32 v6, v6, s91, 2
	v_and_b32_e32 v10, v7, v41
	v_bfe_u32 v7, v7, s91, 2
	v_and_b32_e32 v11, v4, v41
	v_bfe_u32 v4, v4, s91, 2
	v_cmp_eq_u32_e64 s9, v8, v39
	v_cmp_eq_u32_e64 s10, v9, v39
	;; [unrolled: 1-line block ×15, first 2 shown]
	s_and_b32 s13, s9, s13
	s_and_b32 s14, s10, s14
	v_cmp_eq_u32_e64 s20, 1, v4
	v_cmp_eq_u32_e64 s23, 2, v7
	;; [unrolled: 1-line block ×5, first 2 shown]
	s_and_b32 s15, s11, s15
	s_and_b32 s17, s9, s17
	;; [unrolled: 1-line block ×3, first 2 shown]
	v_cndmask_b32_e64 v4, 0, 1, s13
	v_cndmask_b32_e64 v5, 0, 1, s14
	s_and_b32 s16, s12, s16
	s_and_b32 s19, s11, s19
	;; [unrolled: 1-line block ×4, first 2 shown]
	v_cndmask_b32_e64 v6, 0, 1, s15
	v_cndmask_b32_e64 v8, 0, 1, s17
	;; [unrolled: 1-line block ×3, first 2 shown]
	s_and_b32 s9, s9, s25
	s_and_b32 s10, s10, s26
	;; [unrolled: 1-line block ×4, first 2 shown]
	v_cndmask_b32_e64 v7, 0, 1, s16
	v_cndmask_b32_e64 v10, 0, 1, s19
	;; [unrolled: 1-line block ×4, first 2 shown]
	s_and_b32 s11, s11, s27
	v_cndmask_b32_e64 v46, 0, 1, s9
	v_cndmask_b32_e64 v47, 0, 1, s10
	v_cmp_ne_u32_e64 s9, 0, v4
	v_cmp_ne_u32_e64 s10, 0, v5
	s_and_b32 s24, s12, s24
	v_cndmask_b32_e64 v11, 0, 1, s20
	v_cndmask_b32_e64 v44, 0, 1, s23
	s_and_b32 s12, s12, s28
	v_cndmask_b32_e64 v48, 0, 1, s11
	v_cmp_ne_u32_e64 s11, 0, v6
	v_cmp_ne_u32_e64 s13, 0, v8
	v_cmp_ne_u32_e64 s14, 0, v9
	v_cndmask_b32_e64 v45, 0, 1, s24
	v_cndmask_b32_e64 v49, 0, 1, s12
	v_cmp_ne_u32_e64 s12, 0, v7
	v_cmp_ne_u32_e64 s15, 0, v10
	;; [unrolled: 1-line block ×4, first 2 shown]
	s_bcnt1_i32_b32 s9, s9
	s_bcnt1_i32_b32 s10, s10
	v_cmp_ne_u32_e64 s16, 0, v11
	v_cmp_ne_u32_e64 s19, 0, v44
	;; [unrolled: 1-line block ×4, first 2 shown]
	s_bcnt1_i32_b32 s11, s11
	s_bcnt1_i32_b32 s13, s13
	;; [unrolled: 1-line block ×3, first 2 shown]
	s_add_co_i32 s9, s10, s9
	v_cmp_ne_u32_e64 s20, 0, v45
	v_cmp_ne_u32_e64 s23, 0, v48
	s_bcnt1_i32_b32 s12, s12
	s_bcnt1_i32_b32 s15, s15
	;; [unrolled: 1-line block ×4, first 2 shown]
	s_add_co_i32 s10, s14, s13
	s_add_co_i32 s9, s9, s11
	v_cmp_ne_u32_e64 s24, 0, v49
	s_bcnt1_i32_b32 s16, s16
	s_bcnt1_i32_b32 s19, s19
	;; [unrolled: 1-line block ×4, first 2 shown]
	s_add_co_i32 s13, s18, s17
	s_add_co_i32 s10, s10, s15
	;; [unrolled: 1-line block ×3, first 2 shown]
	s_bcnt1_i32_b32 s20, s20
	s_bcnt1_i32_b32 s23, s23
	s_add_co_i32 s14, s22, s21
	s_add_co_i32 s11, s13, s19
	s_add_nc_u64 s[76:77], s[76:77], s[28:29]
	s_add_co_i32 s28, s10, s16
	s_bcnt1_i32_b32 s24, s24
	s_add_co_i32 s13, s14, s23
	s_add_nc_u64 s[74:75], s[74:75], s[28:29]
	s_add_co_i32 s28, s11, s20
	v_mov_b64_e32 v[4:5], s[76:77]
	s_add_nc_u64 s[72:73], s[72:73], s[28:29]
	s_add_co_i32 s28, s13, s24
	v_mov_b64_e32 v[6:7], s[74:75]
	s_add_nc_u64 s[70:71], s[70:71], s[28:29]
	v_mov_b64_e32 v[8:9], s[72:73]
	v_mov_b64_e32 v[10:11], s[70:71]
	s_or_b32 s67, vcc_lo, s67
	s_delay_alu instid0(SALU_CYCLE_1)
	s_and_not1_b32 exec_lo, exec_lo, s67
	s_cbranch_execnz .LBB132_64
; %bb.65:                               ;   in Loop: Header=BB132_6 Depth=1
	s_or_b32 exec_lo, exec_lo, s67
.LBB132_66:                             ;   in Loop: Header=BB132_6 Depth=1
	s_delay_alu instid0(SALU_CYCLE_1) | instskip(SKIP_3) | instid1(VALU_DEP_1)
	s_or_b32 exec_lo, exec_lo, s47
	v_add_nc_u64_e32 v[32:33], v[32:33], v[0:1]
	s_and_b64 s[14:15], s[64:65], 0x7fffffff
	s_mov_b32 s16, exec_lo
	v_cmpx_gt_u64_e64 s[14:15], v[32:33]
	s_cbranch_execz .LBB132_70
; %bb.67:                               ;   in Loop: Header=BB132_6 Depth=1
	s_mul_i32 s9, s66, s46
	s_mov_b32 s17, 0
	v_lshl_add_u32 v34, s9, 2, v0
.LBB132_68:                             ;   Parent Loop BB132_6 Depth=1
                                        ; =>  This Inner Loop Header: Depth=2
	ds_load_i8 v35, v34
	v_add_nc_u64_e32 v[32:33], v[32:33], v[2:3]
	v_add_nc_u32_e32 v34, s46, v34
	s_delay_alu instid0(VALU_DEP_2) | instskip(SKIP_2) | instid1(VALU_DEP_1)
	v_cmp_le_u64_e32 vcc_lo, s[14:15], v[32:33]
	s_wait_dscnt 0x0
	v_add_nc_u32_e32 v35, 0x80, v35
	v_and_b32_e32 v36, v35, v41
	v_bfe_u32 v35, v35, s91, 2
	s_delay_alu instid0(VALU_DEP_2) | instskip(NEXT) | instid1(VALU_DEP_2)
	v_cmp_eq_u32_e64 s9, v36, v39
	v_cmp_eq_u32_e64 s10, 0, v35
	;; [unrolled: 1-line block ×5, first 2 shown]
	s_and_b32 s10, s9, s10
	s_delay_alu instid0(SALU_CYCLE_1) | instskip(SKIP_1) | instid1(SALU_CYCLE_1)
	v_cndmask_b32_e64 v35, 0, 1, s10
	s_and_b32 s10, s9, s11
	v_cndmask_b32_e64 v36, 0, 1, s10
	s_and_b32 s10, s9, s12
	s_and_b32 s9, s9, s13
	v_cndmask_b32_e64 v37, 0, 1, s10
	v_cndmask_b32_e64 v43, 0, 1, s9
	v_cmp_ne_u32_e64 s9, 0, v35
	v_cmp_ne_u32_e64 s10, 0, v36
	s_delay_alu instid0(VALU_DEP_4) | instskip(NEXT) | instid1(VALU_DEP_4)
	v_cmp_ne_u32_e64 s11, 0, v37
	v_cmp_ne_u32_e64 s12, 0, v43
	s_bcnt1_i32_b32 s28, s9
	s_delay_alu instid0(SALU_CYCLE_1) | instskip(SKIP_1) | instid1(SALU_CYCLE_1)
	v_add_nc_u64_e32 v[4:5], s[28:29], v[4:5]
	s_bcnt1_i32_b32 s28, s10
	v_add_nc_u64_e32 v[6:7], s[28:29], v[6:7]
	s_bcnt1_i32_b32 s28, s11
	s_delay_alu instid0(SALU_CYCLE_1)
	v_add_nc_u64_e32 v[8:9], s[28:29], v[8:9]
	s_bcnt1_i32_b32 s28, s12
	s_or_b32 s17, vcc_lo, s17
	v_add_nc_u64_e32 v[10:11], s[28:29], v[10:11]
	s_and_not1_b32 exec_lo, exec_lo, s17
	s_cbranch_execnz .LBB132_68
; %bb.69:                               ;   in Loop: Header=BB132_6 Depth=1
	s_or_b32 exec_lo, exec_lo, s17
.LBB132_70:                             ;   in Loop: Header=BB132_6 Depth=1
	s_delay_alu instid0(SALU_CYCLE_1)
	s_or_b32 exec_lo, exec_lo, s16
	s_lshl_b32 s9, s95, 7
	s_and_saveexec_b32 s10, s2
	s_cbranch_execnz .LBB132_41
	s_branch .LBB132_42
.LBB132_71:                             ;   in Loop: Header=BB132_6 Depth=1
                                        ; implicit-def: $sgpr10_sgpr11
	s_branch .LBB132_50
.LBB132_72:                             ;   in Loop: Header=BB132_6 Depth=1
	s_mov_b32 s11, 0
	s_and_not1_b32 vcc_lo, exec_lo, s90
	s_cbranch_vccnz .LBB132_75
.LBB132_73:                             ;   in Loop: Header=BB132_6 Depth=1
	s_lshl_b32 s12, s95, 10
	s_lshl_b32 s11, s11, 5
	s_delay_alu instid0(SALU_CYCLE_1)
	v_add3_u32 v2, s12, s11, v40
	s_mov_b32 s11, s87
.LBB132_74:                             ;   Parent Loop BB132_6 Depth=1
                                        ; =>  This Inner Loop Header: Depth=2
	ds_load_b64 v[6:7], v2
	v_add_nc_u32_e32 v2, 32, v2
	s_add_co_i32 s11, s11, -1
	s_delay_alu instid0(SALU_CYCLE_1)
	s_cmp_lg_u32 s11, 0
	s_wait_dscnt 0x0
	v_add_nc_u64_e32 v[4:5], v[6:7], v[4:5]
	s_cbranch_scc1 .LBB132_74
.LBB132_75:                             ;   in Loop: Header=BB132_6 Depth=1
	v_add_lshl_u32 v2, s9, v13, 3
	ds_store_b64 v2, v[4:5] offset:3072
.LBB132_76:                             ;   in Loop: Header=BB132_6 Depth=1
	s_or_b32 exec_lo, exec_lo, s10
	s_lshl_b32 s9, s9, 3
	s_wait_dscnt 0x0
	v_mov_b32_e32 v2, s9
	s_barrier_signal -1
	s_barrier_wait -1
	v_cmp_eq_u64_e64 s9, 1, v[30:31]
	ds_load_b128 v[4:7], v2 offset:3072
	ds_load_b128 v[8:11], v2 offset:3088
	s_lshl_b32 s24, 3, s91
	s_mov_b32 s67, -1
	s_not_b32 s25, s24
	s_mov_b32 s26, 0
	s_and_not1_b32 vcc_lo, exec_lo, s79
	s_mov_b32 s64, 0
	s_mov_b32 s27, 0
                                        ; implicit-def: $sgpr65
                                        ; implicit-def: $sgpr66
                                        ; implicit-def: $vgpr2
	s_wait_dscnt 0x1
	v_readfirstlane_b32 s13, v5
	v_readfirstlane_b32 s12, v4
	v_readfirstlane_b32 s15, v7
	v_readfirstlane_b32 s14, v6
	s_wait_dscnt 0x0
	v_readfirstlane_b32 s17, v9
	v_readfirstlane_b32 s16, v8
	;; [unrolled: 1-line block ×4, first 2 shown]
                                        ; implicit-def: $vgpr4_vgpr5
                                        ; implicit-def: $vgpr10
                                        ; implicit-def: $vgpr11
                                        ; implicit-def: $vgpr8
	s_cbranch_vccnz .LBB132_271
; %bb.77:                               ;   in Loop: Header=BB132_6 Depth=1
	s_cmp_eq_u64 s[12:13], 1
	v_dual_mov_b32 v10, v39 :: v_dual_mov_b32 v11, v41
	v_mov_b32_e32 v8, v42
	s_cselect_b32 s10, -1, 0
                                        ; implicit-def: $sgpr66
                                        ; implicit-def: $sgpr65
	s_delay_alu instid0(SALU_CYCLE_1)
	s_and_b32 s69, s10, s9
	s_mov_b32 s10, -1
	s_and_saveexec_b32 s27, s69
	s_cbranch_execz .LBB132_112
; %bb.78:                               ;   in Loop: Header=BB132_6 Depth=1
	ds_load_b64 v[4:5], v3 offset:5120
	s_wait_dscnt 0x0
	s_barrier_signal -1
	s_barrier_wait -1
	v_readfirstlane_b32 s10, v4
	v_readfirstlane_b32 s11, v5
	s_and_saveexec_b32 s20, s6
; %bb.79:                               ;   in Loop: Header=BB132_6 Depth=1
	ds_store_b8 v0, v3 offset:3072
; %bb.80:                               ;   in Loop: Header=BB132_6 Depth=1
	s_or_b32 exec_lo, exec_lo, s20
	v_and_b32_e32 v10, s25, v39
	v_or_b32_e32 v11, s24, v41
	s_mov_b32 s65, -1
	s_mov_b32 s66, 0
	s_cmp_eq_u64 s[10:11], 0
	s_mov_b32 s22, 0
	s_mov_b32 s23, -1
	s_wait_dscnt 0x0
	s_barrier_signal -1
	s_barrier_wait -1
                                        ; implicit-def: $vgpr8
	s_cbranch_scc1 .LBB132_97
; %bb.81:                               ;   in Loop: Header=BB132_6 Depth=1
	s_add_nc_u64 s[20:21], s[10:11], s[54:55]
	s_delay_alu instid0(SALU_CYCLE_1) | instskip(NEXT) | instid1(SALU_CYCLE_1)
	s_and_b64 s[22:23], s[20:21], 0xffffffff00000000
	s_cmp_lg_u64 s[22:23], 0
	s_cbranch_scc0 .LBB132_138
; %bb.82:                               ;   in Loop: Header=BB132_6 Depth=1
	s_cvt_f32_u32 s8, s34
	s_sub_nc_u64 s[46:47], 0, s[34:35]
	s_delay_alu instid0(SALU_CYCLE_2) | instskip(NEXT) | instid1(SALU_CYCLE_3)
	s_fmamk_f32 s8, s92, 0x0, s8
	v_s_rcp_f32 s8, s8
	s_delay_alu instid0(TRANS32_DEP_1) | instskip(NEXT) | instid1(SALU_CYCLE_3)
	s_mul_f32 s8, s8, 0x5f7ffffc
	s_mul_f32 s22, s8, 0x2f800000
	s_delay_alu instid0(SALU_CYCLE_3) | instskip(NEXT) | instid1(SALU_CYCLE_3)
	s_trunc_f32 s22, s22
	s_fmamk_f32 s8, s22, 0xcf800000, s8
	s_cvt_u32_f32 s23, s22
	s_delay_alu instid0(SALU_CYCLE_2) | instskip(NEXT) | instid1(SALU_CYCLE_3)
	s_cvt_u32_f32 s22, s8
	s_mul_u64 s[48:49], s[46:47], s[22:23]
	s_delay_alu instid0(SALU_CYCLE_1)
	s_mul_hi_u32 s51, s22, s49
	s_mul_i32 s50, s22, s49
	s_mul_hi_u32 s28, s22, s48
	s_mul_i32 s52, s23, s48
	s_add_nc_u64 s[50:51], s[28:29], s[50:51]
	s_mul_hi_u32 s8, s23, s48
	s_mul_hi_u32 s53, s23, s49
	s_add_co_u32 s28, s50, s52
	s_add_co_ci_u32 s28, s51, s8
	s_mul_i32 s48, s23, s49
	s_add_co_ci_u32 s49, s53, 0
	s_delay_alu instid0(SALU_CYCLE_1) | instskip(NEXT) | instid1(SALU_CYCLE_1)
	s_add_nc_u64 s[48:49], s[28:29], s[48:49]
	s_add_co_u32 s22, s22, s48
	s_cselect_b32 s8, -1, 0
	s_delay_alu instid0(SALU_CYCLE_1) | instskip(SKIP_1) | instid1(SALU_CYCLE_1)
	s_cmp_lg_u32 s8, 0
	s_add_co_ci_u32 s23, s23, s49
	s_mul_u64 s[46:47], s[46:47], s[22:23]
	s_delay_alu instid0(SALU_CYCLE_1)
	s_mul_hi_u32 s49, s22, s47
	s_mul_i32 s48, s22, s47
	s_mul_hi_u32 s28, s22, s46
	s_mul_i32 s50, s23, s46
	s_add_nc_u64 s[48:49], s[28:29], s[48:49]
	s_mul_hi_u32 s8, s23, s46
	s_mul_hi_u32 s51, s23, s47
	s_add_co_u32 s28, s48, s50
	s_add_co_ci_u32 s28, s49, s8
	s_mul_i32 s46, s23, s47
	s_add_co_ci_u32 s47, s51, 0
	s_delay_alu instid0(SALU_CYCLE_1) | instskip(NEXT) | instid1(SALU_CYCLE_1)
	s_add_nc_u64 s[46:47], s[28:29], s[46:47]
	s_add_co_u32 s8, s22, s46
	s_cselect_b32 s22, -1, 0
	s_mul_hi_u32 s28, s20, s8
	s_cmp_lg_u32 s22, 0
	s_mul_hi_u32 s48, s21, s8
	s_add_co_ci_u32 s46, s23, s47
	s_mul_i32 s8, s21, s8
	s_mul_hi_u32 s23, s20, s46
	s_mul_i32 s22, s20, s46
	s_mul_hi_u32 s47, s21, s46
	s_add_nc_u64 s[22:23], s[28:29], s[22:23]
	s_mul_i32 s46, s21, s46
	s_add_co_u32 s8, s22, s8
	s_add_co_ci_u32 s28, s23, s48
	s_add_co_ci_u32 s47, s47, 0
	s_delay_alu instid0(SALU_CYCLE_1) | instskip(NEXT) | instid1(SALU_CYCLE_1)
	s_add_nc_u64 s[22:23], s[28:29], s[46:47]
	s_and_b64 s[46:47], s[22:23], 0xffffffff00000000
	s_delay_alu instid0(SALU_CYCLE_1) | instskip(NEXT) | instid1(SALU_CYCLE_1)
	s_or_b32 s46, s46, s22
	s_mul_u64 s[22:23], s[34:35], s[46:47]
	s_delay_alu instid0(SALU_CYCLE_1) | instskip(SKIP_1) | instid1(SALU_CYCLE_1)
	s_sub_co_u32 s8, s20, s22
	s_cselect_b32 s22, -1, 0
	s_cmp_lg_u32 s22, 0
	s_sub_co_ci_u32 s22, s21, s23
	s_sub_co_u32 s23, s8, s34
	s_cselect_b32 s28, -1, 0
	s_delay_alu instid0(SALU_CYCLE_1) | instskip(SKIP_3) | instid1(SALU_CYCLE_1)
	s_cmp_lg_u32 s28, 0
	s_sub_co_ci_u32 s28, s22, 0
	s_sub_co_u32 s46, s23, s34
	s_cselect_b32 s47, -1, 0
	s_cmp_lg_u32 s47, 0
	s_sub_co_ci_u32 s47, s28, 0
	s_cmp_ge_u32 s23, s34
	s_cselect_b32 s48, -1, 0
	s_cmp_eq_u32 s28, 0
	s_cselect_b32 s48, s48, -1
	s_delay_alu instid0(SALU_CYCLE_1)
	s_cmp_lg_u32 s48, 0
	s_cselect_b32 s28, s47, s28
	s_cselect_b32 s46, s46, s23
	s_cmp_ge_u32 s8, s34
	s_cselect_b32 s23, -1, 0
	s_cmp_eq_u32 s22, 0
	s_cselect_b32 s23, s23, -1
	s_delay_alu instid0(SALU_CYCLE_1)
	s_cmp_lg_u32 s23, 0
	s_cselect_b32 s23, s28, s22
	s_cselect_b32 s22, s46, s8
	s_cbranch_execnz .LBB132_84
.LBB132_83:                             ;   in Loop: Header=BB132_6 Depth=1
	v_cvt_f32_u32_e32 v2, s34
	s_sub_co_i32 s22, 0, s34
	s_delay_alu instid0(VALU_DEP_1) | instskip(SKIP_1) | instid1(TRANS32_DEP_1)
	v_rcp_iflag_f32_e32 v2, v2
	v_nop
	v_mul_f32_e32 v2, 0x4f7ffffe, v2
	s_delay_alu instid0(VALU_DEP_1) | instskip(NEXT) | instid1(VALU_DEP_1)
	v_cvt_u32_f32_e32 v2, v2
	v_readfirstlane_b32 s8, v2
	s_mul_i32 s22, s22, s8
	s_delay_alu instid0(SALU_CYCLE_1) | instskip(NEXT) | instid1(SALU_CYCLE_1)
	s_mul_hi_u32 s22, s8, s22
	s_add_co_i32 s8, s8, s22
	s_delay_alu instid0(SALU_CYCLE_1) | instskip(NEXT) | instid1(SALU_CYCLE_1)
	s_mul_hi_u32 s8, s20, s8
	s_mul_i32 s8, s8, s34
	s_delay_alu instid0(SALU_CYCLE_1) | instskip(NEXT) | instid1(SALU_CYCLE_1)
	s_sub_co_i32 s8, s20, s8
	s_sub_co_i32 s22, s8, s34
	s_cmp_ge_u32 s8, s34
	s_cselect_b32 s8, s22, s8
	s_delay_alu instid0(SALU_CYCLE_1) | instskip(SKIP_2) | instid1(SALU_CYCLE_1)
	s_sub_co_i32 s22, s8, s34
	s_cmp_ge_u32 s8, s34
	s_cselect_b32 s28, s22, s8
	s_mov_b64 s[22:23], s[28:29]
.LBB132_84:                             ;   in Loop: Header=BB132_6 Depth=1
	s_delay_alu instid0(SALU_CYCLE_1)
	s_sub_nc_u64 s[20:21], s[20:21], s[22:23]
	s_mov_b32 s23, 0
	s_mov_b32 s22, 0
	s_mov_b32 s28, exec_lo
                                        ; implicit-def: $vgpr8
	v_cmpx_gt_u64_e64 s[20:21], v[0:1]
	s_cbranch_execz .LBB132_96
; %bb.85:                               ;   in Loop: Header=BB132_6 Depth=1
	v_mov_b64_e32 v[4:5], v[0:1]
	v_mov_b32_e32 v2, v0
                                        ; implicit-def: $sgpr46
	s_branch .LBB132_88
.LBB132_86:                             ;   in Loop: Header=BB132_88 Depth=2
	s_or_b32 exec_lo, exec_lo, s47
	s_wait_dscnt 0x0
	s_barrier_signal -1
	s_barrier_wait -1
	ds_load_u16 v6, v3 offset:3072
	s_mov_b32 s47, -1
	s_mov_b32 s48, -1
	s_wait_dscnt 0x0
	s_barrier_signal -1
	s_barrier_wait -1
	v_and_b32_e32 v7, 0xff, v6
	s_delay_alu instid0(VALU_DEP_1)
	v_cmp_ne_u32_e32 vcc_lo, 0, v7
	s_cbranch_vccz .LBB132_91
.LBB132_87:                             ;   in Loop: Header=BB132_88 Depth=2
	s_and_b32 s8, exec_lo, s47
	s_delay_alu instid0(SALU_CYCLE_1) | instskip(SKIP_2) | instid1(SALU_CYCLE_1)
	s_or_b32 s22, s8, s22
	s_and_not1_b32 s8, s46, exec_lo
	s_and_b32 s46, s48, exec_lo
	s_or_b32 s46, s8, s46
	s_and_not1_b32 exec_lo, exec_lo, s22
	s_cbranch_execz .LBB132_95
.LBB132_88:                             ;   Parent Loop BB132_6 Depth=1
                                        ; =>  This Inner Loop Header: Depth=2
	s_mov_b32 s47, exec_lo
	s_delay_alu instid0(VALU_DEP_2)
	v_cmpx_gt_u64_e64 s[10:11], v[4:5]
	s_cbranch_execz .LBB132_86
; %bb.89:                               ;   in Loop: Header=BB132_88 Depth=2
	ds_load_u8 v6, v2
	s_wait_dscnt 0x0
	v_bfe_i32 v7, v6, 0, 8
	s_delay_alu instid0(VALU_DEP_1) | instskip(NEXT) | instid1(VALU_DEP_1)
	v_add_nc_u32_e32 v7, 0x80, v7
	v_and_b32_e32 v7, v7, v11
	s_delay_alu instid0(VALU_DEP_1)
	v_cmp_eq_u32_e32 vcc_lo, v7, v10
	s_and_b32 exec_lo, exec_lo, vcc_lo
	s_cbranch_execz .LBB132_86
; %bb.90:                               ;   in Loop: Header=BB132_88 Depth=2
	v_lshlrev_b16 v6, 8, v6
	s_delay_alu instid0(VALU_DEP_1)
	v_or_b32_e32 v6, 1, v6
	ds_store_b16 v3, v6 offset:3072
	s_branch .LBB132_86
.LBB132_91:                             ;   in Loop: Header=BB132_88 Depth=2
	v_add_nc_u64_e32 v[4:5], s[34:35], v[4:5]
	v_add_nc_u32_e32 v2, s34, v2
	s_mov_b32 s48, 0
	s_delay_alu instid0(VALU_DEP_2)
	v_cmp_le_u64_e32 vcc_lo, s[20:21], v[4:5]
	s_or_not1_b32 s47, vcc_lo, exec_lo
	s_branch .LBB132_87
.LBB132_92:                             ;   in Loop: Header=BB132_6 Depth=1
	s_or_b32 exec_lo, exec_lo, s12
	s_wait_dscnt 0x0
	s_barrier_signal -1
	s_barrier_wait -1
	s_and_saveexec_b32 s9, s5
	s_cbranch_execz .LBB132_94
; %bb.93:                               ;   in Loop: Header=BB132_6 Depth=1
	ds_load_b32 v4, v3 offset:5144
	s_wait_dscnt 0x0
	v_ashrrev_i32_e32 v5, 31, v4
	ds_store_b64 v3, v[4:5] offset:5120
.LBB132_94:                             ;   in Loop: Header=BB132_6 Depth=1
	s_or_b32 exec_lo, exec_lo, s9
	s_wait_dscnt 0x0
	s_barrier_signal -1
	s_mov_b32 s9, -1
	s_barrier_wait -1
	s_and_b32 vcc_lo, exec_lo, s11
	s_cbranch_vccnz .LBB132_21
	s_branch .LBB132_36
.LBB132_95:                             ;   in Loop: Header=BB132_6 Depth=1
	s_or_b32 exec_lo, exec_lo, s22
	v_and_b32_e32 v2, 0xffff, v6
	s_and_b32 s22, s46, exec_lo
	s_delay_alu instid0(VALU_DEP_1)
	v_lshrrev_b32_e32 v8, 8, v2
.LBB132_96:                             ;   in Loop: Header=BB132_6 Depth=1
	s_or_b32 exec_lo, exec_lo, s28
.LBB132_97:                             ;   in Loop: Header=BB132_6 Depth=1
	s_delay_alu instid0(SALU_CYCLE_1)
	s_and_b32 vcc_lo, exec_lo, s23
	s_cbranch_vccz .LBB132_111
; %bb.98:                               ;   in Loop: Header=BB132_6 Depth=1
	s_and_b64 s[10:11], s[56:57], 0xffffffff00000000
	s_delay_alu instid0(SALU_CYCLE_1)
	s_cmp_lg_u64 s[10:11], 0
	s_cbranch_scc0 .LBB132_139
; %bb.99:                               ;   in Loop: Header=BB132_6 Depth=1
	s_cvt_f32_u32 s8, s34
	s_sub_nc_u64 s[20:21], 0, s[34:35]
	s_delay_alu instid0(SALU_CYCLE_2) | instskip(NEXT) | instid1(SALU_CYCLE_3)
	s_fmamk_f32 s8, s92, 0x0, s8
	v_s_rcp_f32 s8, s8
	s_delay_alu instid0(TRANS32_DEP_1) | instskip(NEXT) | instid1(SALU_CYCLE_3)
	s_mul_f32 s8, s8, 0x5f7ffffc
	s_mul_f32 s10, s8, 0x2f800000
	s_delay_alu instid0(SALU_CYCLE_3) | instskip(NEXT) | instid1(SALU_CYCLE_3)
	s_trunc_f32 s10, s10
	s_fmamk_f32 s8, s10, 0xcf800000, s8
	s_cvt_u32_f32 s11, s10
	s_delay_alu instid0(SALU_CYCLE_2) | instskip(NEXT) | instid1(SALU_CYCLE_3)
	s_cvt_u32_f32 s10, s8
	s_mul_u64 s[46:47], s[20:21], s[10:11]
	s_delay_alu instid0(SALU_CYCLE_1)
	s_mul_hi_u32 s49, s10, s47
	s_mul_i32 s48, s10, s47
	s_mul_hi_u32 s28, s10, s46
	s_mul_i32 s23, s11, s46
	s_add_nc_u64 s[48:49], s[28:29], s[48:49]
	s_mul_hi_u32 s8, s11, s46
	s_mul_hi_u32 s50, s11, s47
	s_add_co_u32 s23, s48, s23
	s_add_co_ci_u32 s28, s49, s8
	s_mul_i32 s46, s11, s47
	s_add_co_ci_u32 s47, s50, 0
	s_delay_alu instid0(SALU_CYCLE_1) | instskip(NEXT) | instid1(SALU_CYCLE_1)
	s_add_nc_u64 s[46:47], s[28:29], s[46:47]
	s_add_co_u32 s10, s10, s46
	s_cselect_b32 s8, -1, 0
	s_delay_alu instid0(SALU_CYCLE_1) | instskip(SKIP_1) | instid1(SALU_CYCLE_1)
	s_cmp_lg_u32 s8, 0
	s_add_co_ci_u32 s11, s11, s47
	s_mul_u64 s[20:21], s[20:21], s[10:11]
	s_delay_alu instid0(SALU_CYCLE_1)
	s_mul_hi_u32 s47, s10, s21
	s_mul_i32 s46, s10, s21
	s_mul_hi_u32 s28, s10, s20
	s_mul_i32 s23, s11, s20
	s_add_nc_u64 s[46:47], s[28:29], s[46:47]
	s_mul_hi_u32 s8, s11, s20
	s_mul_hi_u32 s48, s11, s21
	s_mul_i32 s20, s11, s21
	s_add_co_u32 s21, s46, s23
	s_add_co_ci_u32 s28, s47, s8
	s_add_co_ci_u32 s21, s48, 0
	s_delay_alu instid0(SALU_CYCLE_1) | instskip(NEXT) | instid1(SALU_CYCLE_1)
	s_add_nc_u64 s[20:21], s[28:29], s[20:21]
	s_add_co_u32 s8, s10, s20
	s_cselect_b32 s10, -1, 0
	s_mul_hi_u32 s28, s56, s8
	s_cmp_lg_u32 s10, 0
	s_mul_hi_u32 s23, s57, s8
	s_add_co_ci_u32 s20, s11, s21
	s_mul_i32 s8, s57, s8
	s_mul_hi_u32 s11, s56, s20
	s_mul_i32 s10, s56, s20
	s_mul_hi_u32 s21, s57, s20
	s_add_nc_u64 s[10:11], s[28:29], s[10:11]
	s_mul_i32 s20, s57, s20
	s_add_co_u32 s8, s10, s8
	s_add_co_ci_u32 s28, s11, s23
	s_add_co_ci_u32 s21, s21, 0
	s_delay_alu instid0(SALU_CYCLE_1) | instskip(NEXT) | instid1(SALU_CYCLE_1)
	s_add_nc_u64 s[10:11], s[28:29], s[20:21]
	s_and_b64 s[20:21], s[10:11], 0xffffffff00000000
	s_delay_alu instid0(SALU_CYCLE_1) | instskip(NEXT) | instid1(SALU_CYCLE_1)
	s_or_b32 s20, s20, s10
	s_mul_u64 s[10:11], s[34:35], s[20:21]
	s_delay_alu instid0(SALU_CYCLE_1) | instskip(SKIP_1) | instid1(SALU_CYCLE_1)
	s_sub_co_u32 s8, s56, s10
	s_cselect_b32 s10, -1, 0
	s_cmp_lg_u32 s10, 0
	s_sub_co_ci_u32 s10, s57, s11
	s_sub_co_u32 s11, s8, s34
	s_cselect_b32 s20, -1, 0
	s_delay_alu instid0(SALU_CYCLE_1) | instskip(SKIP_3) | instid1(SALU_CYCLE_1)
	s_cmp_lg_u32 s20, 0
	s_sub_co_ci_u32 s20, s10, 0
	s_sub_co_u32 s21, s11, s34
	s_cselect_b32 s23, -1, 0
	s_cmp_lg_u32 s23, 0
	s_sub_co_ci_u32 s23, s20, 0
	s_cmp_ge_u32 s11, s34
	s_cselect_b32 s28, -1, 0
	s_cmp_eq_u32 s20, 0
	s_cselect_b32 s28, s28, -1
	s_delay_alu instid0(SALU_CYCLE_1)
	s_cmp_lg_u32 s28, 0
	s_cselect_b32 s20, s23, s20
	s_cselect_b32 s21, s21, s11
	s_cmp_ge_u32 s8, s34
	s_cselect_b32 s11, -1, 0
	s_cmp_eq_u32 s10, 0
	s_cselect_b32 s11, s11, -1
	s_delay_alu instid0(SALU_CYCLE_1)
	s_cmp_lg_u32 s11, 0
	s_cselect_b32 s11, s20, s10
	s_cselect_b32 s10, s21, s8
	s_cbranch_execnz .LBB132_101
.LBB132_100:                            ;   in Loop: Header=BB132_6 Depth=1
	v_cvt_f32_u32_e32 v2, s34
	s_sub_co_i32 s10, 0, s34
	s_delay_alu instid0(VALU_DEP_1) | instskip(SKIP_1) | instid1(TRANS32_DEP_1)
	v_rcp_iflag_f32_e32 v2, v2
	v_nop
	v_mul_f32_e32 v2, 0x4f7ffffe, v2
	s_delay_alu instid0(VALU_DEP_1) | instskip(NEXT) | instid1(VALU_DEP_1)
	v_cvt_u32_f32_e32 v2, v2
	v_readfirstlane_b32 s8, v2
	s_mul_i32 s10, s10, s8
	s_delay_alu instid0(SALU_CYCLE_1) | instskip(NEXT) | instid1(SALU_CYCLE_1)
	s_mul_hi_u32 s10, s8, s10
	s_add_co_i32 s8, s8, s10
	s_delay_alu instid0(SALU_CYCLE_1) | instskip(NEXT) | instid1(SALU_CYCLE_1)
	s_mul_hi_u32 s8, s56, s8
	s_mul_i32 s8, s8, s34
	s_delay_alu instid0(SALU_CYCLE_1) | instskip(NEXT) | instid1(SALU_CYCLE_1)
	s_sub_co_i32 s8, s56, s8
	s_sub_co_i32 s10, s8, s34
	s_cmp_ge_u32 s8, s34
	s_cselect_b32 s8, s10, s8
	s_delay_alu instid0(SALU_CYCLE_1) | instskip(SKIP_2) | instid1(SALU_CYCLE_1)
	s_sub_co_i32 s10, s8, s34
	s_cmp_ge_u32 s8, s34
	s_cselect_b32 s28, s10, s8
	s_mov_b64 s[10:11], s[28:29]
.LBB132_101:                            ;   in Loop: Header=BB132_6 Depth=1
	s_delay_alu instid0(SALU_CYCLE_1)
	s_sub_nc_u64 s[10:11], s[56:57], s[10:11]
	s_mov_b32 s20, exec_lo
                                        ; implicit-def: $vgpr8
	v_cmpx_gt_u64_e64 s[10:11], v[0:1]
	s_cbranch_execz .LBB132_110
; %bb.102:                              ;   in Loop: Header=BB132_6 Depth=1
	v_mov_b64_e32 v[4:5], v[14:15]
	v_mov_b64_e32 v[6:7], v[0:1]
	s_mov_b32 s23, 0
                                        ; implicit-def: $sgpr21
	s_branch .LBB132_105
.LBB132_103:                            ;   in Loop: Header=BB132_105 Depth=2
	s_or_b32 exec_lo, exec_lo, s28
	s_wait_dscnt 0x0
	s_barrier_signal -1
	s_barrier_wait -1
	ds_load_u16 v2, v3 offset:3072
	s_mov_b32 s28, -1
	s_mov_b32 s46, -1
	s_wait_dscnt 0x0
	s_barrier_signal -1
	s_barrier_wait -1
	v_and_b32_e32 v8, 0xff, v2
	s_delay_alu instid0(VALU_DEP_1)
	v_cmp_ne_u32_e32 vcc_lo, 0, v8
	s_cbranch_vccz .LBB132_108
.LBB132_104:                            ;   in Loop: Header=BB132_105 Depth=2
	s_and_b32 s8, exec_lo, s28
	s_delay_alu instid0(SALU_CYCLE_1) | instskip(SKIP_2) | instid1(SALU_CYCLE_1)
	s_or_b32 s23, s8, s23
	s_and_not1_b32 s8, s21, exec_lo
	s_and_b32 s21, s46, exec_lo
	s_or_b32 s21, s8, s21
	s_and_not1_b32 exec_lo, exec_lo, s23
	s_cbranch_execz .LBB132_109
.LBB132_105:                            ;   Parent Loop BB132_6 Depth=1
                                        ; =>  This Inner Loop Header: Depth=2
	s_mov_b32 s28, exec_lo
	s_delay_alu instid0(VALU_DEP_1)
	v_cmpx_gt_u64_e64 s[36:37], v[6:7]
	s_cbranch_execz .LBB132_103
; %bb.106:                              ;   in Loop: Header=BB132_105 Depth=2
	global_load_u8 v2, v[4:5], off
	s_wait_loadcnt 0x0
	v_bfe_i32 v8, v2, 0, 8
	s_delay_alu instid0(VALU_DEP_1) | instskip(NEXT) | instid1(VALU_DEP_1)
	v_add_nc_u32_e32 v8, 0x80, v8
	v_and_b32_e32 v8, v8, v11
	s_delay_alu instid0(VALU_DEP_1)
	v_cmp_eq_u32_e32 vcc_lo, v8, v10
	s_and_b32 exec_lo, exec_lo, vcc_lo
	s_cbranch_execz .LBB132_103
; %bb.107:                              ;   in Loop: Header=BB132_105 Depth=2
	v_lshlrev_b16 v2, 8, v2
	s_delay_alu instid0(VALU_DEP_1)
	v_or_b32_e32 v2, 1, v2
	ds_store_b16 v3, v2 offset:3072
	s_branch .LBB132_103
.LBB132_108:                            ;   in Loop: Header=BB132_105 Depth=2
	v_add_nc_u64_e32 v[6:7], s[34:35], v[6:7]
	v_add_nc_u64_e32 v[4:5], s[40:41], v[4:5]
	s_mov_b32 s46, 0
	s_delay_alu instid0(VALU_DEP_2)
	v_cmp_le_u64_e32 vcc_lo, s[10:11], v[6:7]
	s_or_not1_b32 s28, vcc_lo, exec_lo
	s_branch .LBB132_104
.LBB132_109:                            ;   in Loop: Header=BB132_6 Depth=1
	s_or_b32 exec_lo, exec_lo, s23
	v_and_b32_e32 v2, 0xffff, v2
	s_and_not1_b32 s8, s22, exec_lo
	s_and_b32 s10, s21, exec_lo
	s_delay_alu instid0(SALU_CYCLE_1) | instskip(NEXT) | instid1(VALU_DEP_1)
	s_or_b32 s22, s8, s10
	v_lshrrev_b32_e32 v8, 8, v2
.LBB132_110:                            ;   in Loop: Header=BB132_6 Depth=1
	s_or_b32 exec_lo, exec_lo, s20
	s_mov_b32 s65, 0
	s_mov_b32 s66, -1
.LBB132_111:                            ;   in Loop: Header=BB132_6 Depth=1
	s_or_not1_b32 s10, s22, exec_lo
.LBB132_112:                            ;   in Loop: Header=BB132_6 Depth=1
	s_or_b32 exec_lo, exec_lo, s27
	s_mov_b32 s67, 0
	s_mov_b32 s64, 0
	;; [unrolled: 1-line block ×3, first 2 shown]
                                        ; implicit-def: $vgpr4_vgpr5
                                        ; implicit-def: $vgpr2
	s_and_saveexec_b32 s68, s10
	s_cbranch_execz .LBB132_270
; %bb.113:                              ;   in Loop: Header=BB132_6 Depth=1
	v_mov_b64_e32 v[4:5], 1
	v_mov_b32_e32 v2, 1
	s_xor_b32 s8, s69, -1
	s_mov_b32 s11, 0
	s_and_saveexec_b32 s10, s8
	s_cbranch_execz .LBB132_122
; %bb.114:                              ;   in Loop: Header=BB132_6 Depth=1
	s_mov_b32 s8, exec_lo
	v_cmpx_ge_u64_e64 s[12:13], v[30:31]
	s_xor_b32 s11, exec_lo, s8
	s_cbranch_execz .LBB132_119
; %bb.115:                              ;   in Loop: Header=BB132_6 Depth=1
	ds_load_b64 v[4:5], v3 offset:5120
	v_and_b32_e32 v10, s25, v10
	v_or_b32_e32 v11, s24, v11
	s_wait_dscnt 0x0
	v_cmp_ne_u64_e32 vcc_lo, 0, v[4:5]
	s_cbranch_vccnz .LBB132_119
; %bb.116:                              ;   in Loop: Header=BB132_6 Depth=1
	s_and_saveexec_b32 s20, s5
; %bb.117:                              ;   in Loop: Header=BB132_6 Depth=1
	v_mov_b64_e32 v[4:5], s[12:13]
	ds_store_b64 v3, v[4:5] offset:5128
; %bb.118:                              ;   in Loop: Header=BB132_6 Depth=1
	s_or_b32 exec_lo, exec_lo, s20
	s_wait_dscnt 0x0
	s_barrier_signal -1
	s_barrier_wait -1
.LBB132_119:                            ;   in Loop: Header=BB132_6 Depth=1
	s_or_saveexec_b32 s11, s11
	v_mov_b64_e32 v[4:5], v[30:31]
	v_mov_b32_e32 v2, 8
	s_mov_b32 s20, 0
	s_xor_b32 exec_lo, exec_lo, s11
; %bb.120:                              ;   in Loop: Header=BB132_6 Depth=1
	v_sub_nc_u64_e64 v[4:5], v[30:31], s[12:13]
	v_mov_b32_e32 v2, 0
	s_mov_b32 s20, exec_lo
; %bb.121:                              ;   in Loop: Header=BB132_6 Depth=1
	s_or_b32 exec_lo, exec_lo, s11
	s_delay_alu instid0(SALU_CYCLE_1)
	s_and_b32 s11, s20, exec_lo
.LBB132_122:                            ;   in Loop: Header=BB132_6 Depth=1
	s_or_b32 exec_lo, exec_lo, s10
	s_mov_b32 s10, -1
                                        ; implicit-def: $sgpr64
                                        ; implicit-def: $sgpr69
	s_and_saveexec_b32 s8, s11
	s_delay_alu instid0(SALU_CYCLE_1)
	s_xor_b32 s27, exec_lo, s8
	s_cbranch_execz .LBB132_267
; %bb.123:                              ;   in Loop: Header=BB132_6 Depth=1
	v_cmp_eq_u64_e32 vcc_lo, 1, v[4:5]
	s_cmp_eq_u64 s[14:15], 1
                                        ; implicit-def: $sgpr69
                                        ; implicit-def: $sgpr64
	s_cselect_b32 s10, -1, 0
	s_delay_alu instid0(SALU_CYCLE_1)
	s_and_b32 s71, s10, vcc_lo
	s_mov_b32 s10, -1
	s_and_saveexec_b32 s70, s71
	s_cbranch_execz .LBB132_157
; %bb.124:                              ;   in Loop: Header=BB132_6 Depth=1
	ds_load_b64 v[6:7], v3 offset:5120
	s_wait_dscnt 0x0
	s_barrier_signal -1
	s_barrier_wait -1
	v_readfirstlane_b32 s10, v6
	v_readfirstlane_b32 s11, v7
	s_and_saveexec_b32 s20, s6
; %bb.125:                              ;   in Loop: Header=BB132_6 Depth=1
	ds_store_b8 v0, v3 offset:3072
; %bb.126:                              ;   in Loop: Header=BB132_6 Depth=1
	s_or_b32 exec_lo, exec_lo, s20
	s_lshl_b32 s20, 1, s91
	v_or_b32_e32 v11, s24, v11
	v_and_or_b32 v10, v10, s25, s20
	s_mov_b32 s64, -1
	s_mov_b32 s69, 0
	s_cmp_eq_u64 s[10:11], 0
	s_mov_b32 s22, 0
	s_mov_b32 s23, -1
	s_wait_dscnt 0x0
	s_barrier_signal -1
	s_barrier_wait -1
                                        ; implicit-def: $vgpr8
	s_cbranch_scc1 .LBB132_142
; %bb.127:                              ;   in Loop: Header=BB132_6 Depth=1
	s_add_nc_u64 s[20:21], s[10:11], s[54:55]
	s_delay_alu instid0(SALU_CYCLE_1) | instskip(NEXT) | instid1(SALU_CYCLE_1)
	s_and_b64 s[22:23], s[20:21], 0xffffffff00000000
	s_cmp_lg_u64 s[22:23], 0
	s_cbranch_scc0 .LBB132_183
; %bb.128:                              ;   in Loop: Header=BB132_6 Depth=1
	s_cvt_f32_u32 s22, s34
	s_sub_nc_u64 s[46:47], 0, s[34:35]
	s_delay_alu instid0(SALU_CYCLE_2) | instskip(NEXT) | instid1(SALU_CYCLE_3)
	s_fmamk_f32 s22, s92, 0x0, s22
	v_s_rcp_f32 s22, s22
	s_delay_alu instid0(TRANS32_DEP_1) | instskip(NEXT) | instid1(SALU_CYCLE_3)
	s_mul_f32 s22, s22, 0x5f7ffffc
	s_mul_f32 s23, s22, 0x2f800000
	s_delay_alu instid0(SALU_CYCLE_3) | instskip(NEXT) | instid1(SALU_CYCLE_3)
	s_trunc_f32 s23, s23
	s_fmamk_f32 s22, s23, 0xcf800000, s22
	s_cvt_u32_f32 s23, s23
	s_delay_alu instid0(SALU_CYCLE_2) | instskip(NEXT) | instid1(SALU_CYCLE_3)
	s_cvt_u32_f32 s22, s22
	s_mul_u64 s[48:49], s[46:47], s[22:23]
	s_delay_alu instid0(SALU_CYCLE_1)
	s_mul_hi_u32 s73, s22, s49
	s_mul_i32 s72, s22, s49
	s_mul_hi_u32 s28, s22, s48
	s_mul_i32 s51, s23, s48
	s_add_nc_u64 s[72:73], s[28:29], s[72:73]
	s_mul_hi_u32 s50, s23, s48
	s_mul_hi_u32 s52, s23, s49
	s_add_co_u32 s28, s72, s51
	s_add_co_ci_u32 s28, s73, s50
	s_mul_i32 s48, s23, s49
	s_add_co_ci_u32 s49, s52, 0
	s_delay_alu instid0(SALU_CYCLE_1) | instskip(NEXT) | instid1(SALU_CYCLE_1)
	s_add_nc_u64 s[48:49], s[28:29], s[48:49]
	s_add_co_u32 s22, s22, s48
	s_cselect_b32 s28, -1, 0
	s_delay_alu instid0(SALU_CYCLE_1) | instskip(SKIP_1) | instid1(SALU_CYCLE_1)
	s_cmp_lg_u32 s28, 0
	s_add_co_ci_u32 s23, s23, s49
	s_mul_u64 s[46:47], s[46:47], s[22:23]
	s_delay_alu instid0(SALU_CYCLE_1)
	s_mul_hi_u32 s49, s22, s47
	s_mul_i32 s48, s22, s47
	s_mul_hi_u32 s28, s22, s46
	s_mul_i32 s51, s23, s46
	s_add_nc_u64 s[48:49], s[28:29], s[48:49]
	s_mul_hi_u32 s50, s23, s46
	s_mul_hi_u32 s52, s23, s47
	s_add_co_u32 s28, s48, s51
	s_add_co_ci_u32 s28, s49, s50
	s_mul_i32 s46, s23, s47
	s_add_co_ci_u32 s47, s52, 0
	s_delay_alu instid0(SALU_CYCLE_1) | instskip(NEXT) | instid1(SALU_CYCLE_1)
	s_add_nc_u64 s[46:47], s[28:29], s[46:47]
	s_add_co_u32 s22, s22, s46
	s_cselect_b32 s46, -1, 0
	s_mul_hi_u32 s28, s20, s22
	s_cmp_lg_u32 s46, 0
	s_mul_hi_u32 s48, s21, s22
	s_add_co_ci_u32 s46, s23, s47
	s_mul_i32 s47, s21, s22
	s_mul_hi_u32 s23, s20, s46
	s_mul_i32 s22, s20, s46
	s_mul_hi_u32 s49, s21, s46
	s_add_nc_u64 s[22:23], s[28:29], s[22:23]
	s_mul_i32 s46, s21, s46
	s_add_co_u32 s22, s22, s47
	s_add_co_ci_u32 s28, s23, s48
	s_add_co_ci_u32 s47, s49, 0
	s_delay_alu instid0(SALU_CYCLE_1) | instskip(NEXT) | instid1(SALU_CYCLE_1)
	s_add_nc_u64 s[22:23], s[28:29], s[46:47]
	s_and_b64 s[46:47], s[22:23], 0xffffffff00000000
	s_delay_alu instid0(SALU_CYCLE_1) | instskip(NEXT) | instid1(SALU_CYCLE_1)
	s_or_b32 s46, s46, s22
	s_mul_u64 s[22:23], s[34:35], s[46:47]
	s_delay_alu instid0(SALU_CYCLE_1) | instskip(SKIP_1) | instid1(SALU_CYCLE_1)
	s_sub_co_u32 s22, s20, s22
	s_cselect_b32 s28, -1, 0
	s_cmp_lg_u32 s28, 0
	s_sub_co_ci_u32 s23, s21, s23
	s_sub_co_u32 s28, s22, s34
	s_cselect_b32 s46, -1, 0
	s_delay_alu instid0(SALU_CYCLE_1) | instskip(SKIP_3) | instid1(SALU_CYCLE_1)
	s_cmp_lg_u32 s46, 0
	s_sub_co_ci_u32 s46, s23, 0
	s_sub_co_u32 s47, s28, s34
	s_cselect_b32 s48, -1, 0
	s_cmp_lg_u32 s48, 0
	s_sub_co_ci_u32 s48, s46, 0
	s_cmp_ge_u32 s28, s34
	s_cselect_b32 s49, -1, 0
	s_cmp_eq_u32 s46, 0
	s_cselect_b32 s49, s49, -1
	s_delay_alu instid0(SALU_CYCLE_1)
	s_cmp_lg_u32 s49, 0
	s_cselect_b32 s46, s48, s46
	s_cselect_b32 s28, s47, s28
	s_cmp_ge_u32 s22, s34
	s_cselect_b32 s47, -1, 0
	s_cmp_eq_u32 s23, 0
	s_cselect_b32 s47, s47, -1
	s_delay_alu instid0(SALU_CYCLE_1)
	s_cmp_lg_u32 s47, 0
	s_cselect_b32 s23, s46, s23
	s_cselect_b32 s22, s28, s22
	s_cbranch_execnz .LBB132_130
.LBB132_129:                            ;   in Loop: Header=BB132_6 Depth=1
	v_cvt_f32_u32_e32 v6, s34
	s_sub_co_i32 s23, 0, s34
	s_delay_alu instid0(VALU_DEP_1) | instskip(SKIP_1) | instid1(TRANS32_DEP_1)
	v_rcp_iflag_f32_e32 v6, v6
	v_nop
	v_mul_f32_e32 v6, 0x4f7ffffe, v6
	s_delay_alu instid0(VALU_DEP_1) | instskip(NEXT) | instid1(VALU_DEP_1)
	v_cvt_u32_f32_e32 v6, v6
	v_readfirstlane_b32 s22, v6
	s_mul_i32 s23, s23, s22
	s_delay_alu instid0(SALU_CYCLE_1) | instskip(NEXT) | instid1(SALU_CYCLE_1)
	s_mul_hi_u32 s23, s22, s23
	s_add_co_i32 s22, s22, s23
	s_delay_alu instid0(SALU_CYCLE_1) | instskip(NEXT) | instid1(SALU_CYCLE_1)
	s_mul_hi_u32 s22, s20, s22
	s_mul_i32 s22, s22, s34
	s_delay_alu instid0(SALU_CYCLE_1) | instskip(NEXT) | instid1(SALU_CYCLE_1)
	s_sub_co_i32 s22, s20, s22
	s_sub_co_i32 s23, s22, s34
	s_cmp_ge_u32 s22, s34
	s_cselect_b32 s22, s23, s22
	s_delay_alu instid0(SALU_CYCLE_1) | instskip(SKIP_2) | instid1(SALU_CYCLE_1)
	s_sub_co_i32 s23, s22, s34
	s_cmp_ge_u32 s22, s34
	s_cselect_b32 s28, s23, s22
	s_mov_b64 s[22:23], s[28:29]
.LBB132_130:                            ;   in Loop: Header=BB132_6 Depth=1
	s_delay_alu instid0(SALU_CYCLE_1)
	s_sub_nc_u64 s[20:21], s[20:21], s[22:23]
	s_mov_b32 s23, 0
	s_mov_b32 s22, 0
	s_mov_b32 s28, exec_lo
                                        ; implicit-def: $vgpr8
	v_cmpx_gt_u64_e64 s[20:21], v[0:1]
	s_cbranch_execz .LBB132_141
; %bb.131:                              ;   in Loop: Header=BB132_6 Depth=1
	v_mov_b64_e32 v[6:7], v[0:1]
	v_mov_b32_e32 v8, v0
                                        ; implicit-def: $sgpr46
	s_branch .LBB132_134
.LBB132_132:                            ;   in Loop: Header=BB132_134 Depth=2
	s_or_b32 exec_lo, exec_lo, s47
	s_wait_dscnt 0x0
	s_barrier_signal -1
	s_barrier_wait -1
	ds_load_u16 v9, v3 offset:3072
	s_mov_b32 s47, -1
	s_mov_b32 s48, -1
	s_wait_dscnt 0x0
	s_barrier_signal -1
	s_barrier_wait -1
	v_and_b32_e32 v32, 0xff, v9
	s_delay_alu instid0(VALU_DEP_1)
	v_cmp_ne_u32_e32 vcc_lo, 0, v32
	s_cbranch_vccz .LBB132_137
.LBB132_133:                            ;   in Loop: Header=BB132_134 Depth=2
	s_and_b32 s8, exec_lo, s47
	s_delay_alu instid0(SALU_CYCLE_1) | instskip(SKIP_2) | instid1(SALU_CYCLE_1)
	s_or_b32 s22, s8, s22
	s_and_not1_b32 s8, s46, exec_lo
	s_and_b32 s46, s48, exec_lo
	s_or_b32 s46, s8, s46
	s_and_not1_b32 exec_lo, exec_lo, s22
	s_cbranch_execz .LBB132_140
.LBB132_134:                            ;   Parent Loop BB132_6 Depth=1
                                        ; =>  This Inner Loop Header: Depth=2
	s_mov_b32 s47, exec_lo
	s_delay_alu instid0(VALU_DEP_2)
	v_cmpx_gt_u64_e64 s[10:11], v[6:7]
	s_cbranch_execz .LBB132_132
; %bb.135:                              ;   in Loop: Header=BB132_134 Depth=2
	ds_load_u8 v9, v8
	s_wait_dscnt 0x0
	v_bfe_i32 v32, v9, 0, 8
	s_delay_alu instid0(VALU_DEP_1) | instskip(NEXT) | instid1(VALU_DEP_1)
	v_add_nc_u32_e32 v32, 0x80, v32
	v_and_b32_e32 v32, v32, v11
	s_delay_alu instid0(VALU_DEP_1)
	v_cmp_eq_u32_e32 vcc_lo, v32, v10
	s_and_b32 exec_lo, exec_lo, vcc_lo
	s_cbranch_execz .LBB132_132
; %bb.136:                              ;   in Loop: Header=BB132_134 Depth=2
	v_lshlrev_b16 v9, 8, v9
	s_delay_alu instid0(VALU_DEP_1)
	v_or_b32_e32 v9, 1, v9
	ds_store_b16 v3, v9 offset:3072
	s_branch .LBB132_132
.LBB132_137:                            ;   in Loop: Header=BB132_134 Depth=2
	v_add_nc_u64_e32 v[6:7], s[34:35], v[6:7]
	v_add_nc_u32_e32 v8, s34, v8
	s_mov_b32 s48, 0
	s_delay_alu instid0(VALU_DEP_2)
	v_cmp_le_u64_e32 vcc_lo, s[20:21], v[6:7]
	s_or_not1_b32 s47, vcc_lo, exec_lo
	s_branch .LBB132_133
.LBB132_138:                            ;   in Loop: Header=BB132_6 Depth=1
                                        ; implicit-def: $sgpr22_sgpr23
	s_branch .LBB132_83
.LBB132_139:                            ;   in Loop: Header=BB132_6 Depth=1
                                        ; implicit-def: $sgpr10_sgpr11
	s_branch .LBB132_100
.LBB132_140:                            ;   in Loop: Header=BB132_6 Depth=1
	s_or_b32 exec_lo, exec_lo, s22
	v_and_b32_e32 v6, 0xffff, v9
	s_and_b32 s22, s46, exec_lo
	s_delay_alu instid0(VALU_DEP_1)
	v_lshrrev_b32_e32 v8, 8, v6
.LBB132_141:                            ;   in Loop: Header=BB132_6 Depth=1
	s_or_b32 exec_lo, exec_lo, s28
.LBB132_142:                            ;   in Loop: Header=BB132_6 Depth=1
	s_delay_alu instid0(SALU_CYCLE_1)
	s_and_b32 vcc_lo, exec_lo, s23
	s_cbranch_vccz .LBB132_156
; %bb.143:                              ;   in Loop: Header=BB132_6 Depth=1
	s_and_b64 s[10:11], s[56:57], 0xffffffff00000000
	s_delay_alu instid0(SALU_CYCLE_1)
	s_cmp_lg_u64 s[10:11], 0
	s_cbranch_scc0 .LBB132_184
; %bb.144:                              ;   in Loop: Header=BB132_6 Depth=1
	s_cvt_f32_u32 s10, s34
	s_sub_nc_u64 s[20:21], 0, s[34:35]
	s_delay_alu instid0(SALU_CYCLE_2) | instskip(NEXT) | instid1(SALU_CYCLE_3)
	s_fmamk_f32 s10, s92, 0x0, s10
	v_s_rcp_f32 s10, s10
	s_delay_alu instid0(TRANS32_DEP_1) | instskip(NEXT) | instid1(SALU_CYCLE_3)
	s_mul_f32 s10, s10, 0x5f7ffffc
	s_mul_f32 s11, s10, 0x2f800000
	s_delay_alu instid0(SALU_CYCLE_3) | instskip(NEXT) | instid1(SALU_CYCLE_3)
	s_trunc_f32 s11, s11
	s_fmamk_f32 s10, s11, 0xcf800000, s10
	s_cvt_u32_f32 s11, s11
	s_delay_alu instid0(SALU_CYCLE_2) | instskip(NEXT) | instid1(SALU_CYCLE_3)
	s_cvt_u32_f32 s10, s10
	s_mul_u64 s[46:47], s[20:21], s[10:11]
	s_delay_alu instid0(SALU_CYCLE_1)
	s_mul_hi_u32 s49, s10, s47
	s_mul_i32 s48, s10, s47
	s_mul_hi_u32 s28, s10, s46
	s_mul_i32 s50, s11, s46
	s_add_nc_u64 s[48:49], s[28:29], s[48:49]
	s_mul_hi_u32 s23, s11, s46
	s_mul_hi_u32 s51, s11, s47
	s_add_co_u32 s28, s48, s50
	s_add_co_ci_u32 s28, s49, s23
	s_mul_i32 s46, s11, s47
	s_add_co_ci_u32 s47, s51, 0
	s_delay_alu instid0(SALU_CYCLE_1) | instskip(NEXT) | instid1(SALU_CYCLE_1)
	s_add_nc_u64 s[46:47], s[28:29], s[46:47]
	s_add_co_u32 s10, s10, s46
	s_cselect_b32 s23, -1, 0
	s_delay_alu instid0(SALU_CYCLE_1) | instskip(SKIP_1) | instid1(SALU_CYCLE_1)
	s_cmp_lg_u32 s23, 0
	s_add_co_ci_u32 s11, s11, s47
	s_mul_u64 s[20:21], s[20:21], s[10:11]
	s_delay_alu instid0(SALU_CYCLE_1)
	s_mul_hi_u32 s47, s10, s21
	s_mul_i32 s46, s10, s21
	s_mul_hi_u32 s28, s10, s20
	s_mul_i32 s48, s11, s20
	s_add_nc_u64 s[46:47], s[28:29], s[46:47]
	s_mul_hi_u32 s23, s11, s20
	s_mul_hi_u32 s49, s11, s21
	s_mul_i32 s20, s11, s21
	s_add_co_u32 s21, s46, s48
	s_add_co_ci_u32 s28, s47, s23
	s_add_co_ci_u32 s21, s49, 0
	s_delay_alu instid0(SALU_CYCLE_1) | instskip(NEXT) | instid1(SALU_CYCLE_1)
	s_add_nc_u64 s[20:21], s[28:29], s[20:21]
	s_add_co_u32 s10, s10, s20
	s_cselect_b32 s20, -1, 0
	s_mul_hi_u32 s28, s56, s10
	s_cmp_lg_u32 s20, 0
	s_mul_hi_u32 s23, s57, s10
	s_add_co_ci_u32 s20, s11, s21
	s_mul_i32 s21, s57, s10
	s_mul_hi_u32 s11, s56, s20
	s_mul_i32 s10, s56, s20
	s_mul_hi_u32 s46, s57, s20
	s_add_nc_u64 s[10:11], s[28:29], s[10:11]
	s_mul_i32 s20, s57, s20
	s_add_co_u32 s10, s10, s21
	s_add_co_ci_u32 s28, s11, s23
	s_add_co_ci_u32 s21, s46, 0
	s_delay_alu instid0(SALU_CYCLE_1) | instskip(NEXT) | instid1(SALU_CYCLE_1)
	s_add_nc_u64 s[10:11], s[28:29], s[20:21]
	s_and_b64 s[20:21], s[10:11], 0xffffffff00000000
	s_delay_alu instid0(SALU_CYCLE_1) | instskip(NEXT) | instid1(SALU_CYCLE_1)
	s_or_b32 s20, s20, s10
	s_mul_u64 s[10:11], s[34:35], s[20:21]
	s_delay_alu instid0(SALU_CYCLE_1) | instskip(SKIP_1) | instid1(SALU_CYCLE_1)
	s_sub_co_u32 s10, s56, s10
	s_cselect_b32 s20, -1, 0
	s_cmp_lg_u32 s20, 0
	s_sub_co_ci_u32 s11, s57, s11
	s_sub_co_u32 s20, s10, s34
	s_cselect_b32 s21, -1, 0
	s_delay_alu instid0(SALU_CYCLE_1) | instskip(SKIP_3) | instid1(SALU_CYCLE_1)
	s_cmp_lg_u32 s21, 0
	s_sub_co_ci_u32 s21, s11, 0
	s_sub_co_u32 s23, s20, s34
	s_cselect_b32 s28, -1, 0
	s_cmp_lg_u32 s28, 0
	s_sub_co_ci_u32 s28, s21, 0
	s_cmp_ge_u32 s20, s34
	s_cselect_b32 s46, -1, 0
	s_cmp_eq_u32 s21, 0
	s_cselect_b32 s46, s46, -1
	s_delay_alu instid0(SALU_CYCLE_1)
	s_cmp_lg_u32 s46, 0
	s_cselect_b32 s21, s28, s21
	s_cselect_b32 s20, s23, s20
	s_cmp_ge_u32 s10, s34
	s_cselect_b32 s23, -1, 0
	s_cmp_eq_u32 s11, 0
	s_cselect_b32 s23, s23, -1
	s_delay_alu instid0(SALU_CYCLE_1)
	s_cmp_lg_u32 s23, 0
	s_cselect_b32 s11, s21, s11
	s_cselect_b32 s10, s20, s10
	s_cbranch_execnz .LBB132_146
.LBB132_145:                            ;   in Loop: Header=BB132_6 Depth=1
	v_cvt_f32_u32_e32 v6, s34
	s_sub_co_i32 s11, 0, s34
	s_delay_alu instid0(VALU_DEP_1) | instskip(SKIP_1) | instid1(TRANS32_DEP_1)
	v_rcp_iflag_f32_e32 v6, v6
	v_nop
	v_mul_f32_e32 v6, 0x4f7ffffe, v6
	s_delay_alu instid0(VALU_DEP_1) | instskip(NEXT) | instid1(VALU_DEP_1)
	v_cvt_u32_f32_e32 v6, v6
	v_readfirstlane_b32 s10, v6
	s_mul_i32 s11, s11, s10
	s_delay_alu instid0(SALU_CYCLE_1) | instskip(NEXT) | instid1(SALU_CYCLE_1)
	s_mul_hi_u32 s11, s10, s11
	s_add_co_i32 s10, s10, s11
	s_delay_alu instid0(SALU_CYCLE_1) | instskip(NEXT) | instid1(SALU_CYCLE_1)
	s_mul_hi_u32 s10, s56, s10
	s_mul_i32 s10, s10, s34
	s_delay_alu instid0(SALU_CYCLE_1) | instskip(NEXT) | instid1(SALU_CYCLE_1)
	s_sub_co_i32 s10, s56, s10
	s_sub_co_i32 s11, s10, s34
	s_cmp_ge_u32 s10, s34
	s_cselect_b32 s10, s11, s10
	s_delay_alu instid0(SALU_CYCLE_1) | instskip(SKIP_2) | instid1(SALU_CYCLE_1)
	s_sub_co_i32 s11, s10, s34
	s_cmp_ge_u32 s10, s34
	s_cselect_b32 s28, s11, s10
	s_mov_b64 s[10:11], s[28:29]
.LBB132_146:                            ;   in Loop: Header=BB132_6 Depth=1
	s_delay_alu instid0(SALU_CYCLE_1)
	s_sub_nc_u64 s[10:11], s[56:57], s[10:11]
	s_mov_b32 s20, exec_lo
                                        ; implicit-def: $vgpr8
	v_nop
	v_cmpx_gt_u64_e64 s[10:11], v[0:1]
	s_cbranch_execz .LBB132_155
; %bb.147:                              ;   in Loop: Header=BB132_6 Depth=1
	v_mov_b64_e32 v[6:7], v[14:15]
	v_mov_b64_e32 v[8:9], v[0:1]
	s_mov_b32 s21, 0
                                        ; implicit-def: $sgpr23
	s_branch .LBB132_150
.LBB132_148:                            ;   in Loop: Header=BB132_150 Depth=2
	s_or_b32 exec_lo, exec_lo, s28
	s_wait_dscnt 0x0
	s_barrier_signal -1
	s_barrier_wait -1
	ds_load_u16 v32, v3 offset:3072
	s_mov_b32 s28, -1
	s_mov_b32 s46, -1
	s_wait_dscnt 0x0
	s_barrier_signal -1
	s_barrier_wait -1
	v_and_b32_e32 v33, 0xff, v32
	s_delay_alu instid0(VALU_DEP_1)
	v_cmp_eq_u32_e32 vcc_lo, 0, v33
	s_cbranch_vccnz .LBB132_153
.LBB132_149:                            ;   in Loop: Header=BB132_150 Depth=2
	s_and_b32 s8, exec_lo, s28
	s_delay_alu instid0(SALU_CYCLE_1) | instskip(SKIP_2) | instid1(SALU_CYCLE_1)
	s_or_b32 s21, s8, s21
	s_and_not1_b32 s8, s23, exec_lo
	s_and_b32 s23, s46, exec_lo
	s_or_b32 s23, s8, s23
	s_and_not1_b32 exec_lo, exec_lo, s21
	s_cbranch_execz .LBB132_154
.LBB132_150:                            ;   Parent Loop BB132_6 Depth=1
                                        ; =>  This Inner Loop Header: Depth=2
	s_mov_b32 s28, exec_lo
	s_delay_alu instid0(VALU_DEP_1)
	v_cmpx_gt_u64_e64 s[36:37], v[8:9]
	s_cbranch_execz .LBB132_148
; %bb.151:                              ;   in Loop: Header=BB132_150 Depth=2
	global_load_u8 v32, v[6:7], off
	s_wait_loadcnt 0x0
	v_bfe_i32 v33, v32, 0, 8
	s_delay_alu instid0(VALU_DEP_1) | instskip(NEXT) | instid1(VALU_DEP_1)
	v_add_nc_u32_e32 v33, 0x80, v33
	v_and_b32_e32 v33, v33, v11
	s_delay_alu instid0(VALU_DEP_1)
	v_cmp_eq_u32_e32 vcc_lo, v33, v10
	s_and_b32 exec_lo, exec_lo, vcc_lo
	s_cbranch_execz .LBB132_148
; %bb.152:                              ;   in Loop: Header=BB132_150 Depth=2
	v_lshlrev_b16 v32, 8, v32
	s_delay_alu instid0(VALU_DEP_1)
	v_or_b32_e32 v32, 1, v32
	ds_store_b16 v3, v32 offset:3072
	s_branch .LBB132_148
.LBB132_153:                            ;   in Loop: Header=BB132_150 Depth=2
	v_add_nc_u64_e32 v[8:9], s[34:35], v[8:9]
	v_add_nc_u64_e32 v[6:7], s[40:41], v[6:7]
	s_mov_b32 s46, 0
	s_delay_alu instid0(VALU_DEP_2)
	v_cmp_le_u64_e32 vcc_lo, s[10:11], v[8:9]
	s_or_not1_b32 s28, vcc_lo, exec_lo
	s_branch .LBB132_149
.LBB132_154:                            ;   in Loop: Header=BB132_6 Depth=1
	s_or_b32 exec_lo, exec_lo, s21
	v_and_b32_e32 v6, 0xffff, v32
	s_and_not1_b32 s8, s22, exec_lo
	s_and_b32 s10, s23, exec_lo
	s_delay_alu instid0(SALU_CYCLE_1) | instskip(NEXT) | instid1(VALU_DEP_1)
	s_or_b32 s22, s8, s10
	v_lshrrev_b32_e32 v8, 8, v6
.LBB132_155:                            ;   in Loop: Header=BB132_6 Depth=1
	s_or_b32 exec_lo, exec_lo, s20
	s_mov_b32 s64, 0
	s_mov_b32 s69, -1
.LBB132_156:                            ;   in Loop: Header=BB132_6 Depth=1
	s_or_not1_b32 s10, s22, exec_lo
.LBB132_157:                            ;   in Loop: Header=BB132_6 Depth=1
	s_or_b32 exec_lo, exec_lo, s70
	s_mov_b32 s11, 0
	s_and_saveexec_b32 s70, s10
	s_cbranch_execz .LBB132_266
; %bb.158:                              ;   in Loop: Header=BB132_6 Depth=1
	v_mov_b64_e32 v[6:7], 1
	v_mov_b32_e32 v2, 1
	s_xor_b32 s20, s71, -1
	s_delay_alu instid0(SALU_CYCLE_1)
	s_and_saveexec_b32 s10, s20
	s_cbranch_execz .LBB132_167
; %bb.159:                              ;   in Loop: Header=BB132_6 Depth=1
	s_mov_b32 s11, exec_lo
	v_cmpx_ge_u64_e64 s[14:15], v[4:5]
	s_xor_b32 s11, exec_lo, s11
	s_cbranch_execz .LBB132_164
; %bb.160:                              ;   in Loop: Header=BB132_6 Depth=1
	ds_load_b64 v[6:7], v3 offset:5120
	s_lshl_b32 s20, 1, s91
	v_or_b32_e32 v11, s24, v11
	v_and_or_b32 v10, v10, s25, s20
	s_wait_dscnt 0x0
	v_cmp_ne_u64_e32 vcc_lo, 0, v[6:7]
	s_cbranch_vccnz .LBB132_164
; %bb.161:                              ;   in Loop: Header=BB132_6 Depth=1
	s_and_saveexec_b32 s20, s5
; %bb.162:                              ;   in Loop: Header=BB132_6 Depth=1
	v_mov_b64_e32 v[6:7], s[14:15]
	ds_store_b64 v3, v[6:7] offset:5128
; %bb.163:                              ;   in Loop: Header=BB132_6 Depth=1
	s_or_b32 exec_lo, exec_lo, s20
	s_wait_dscnt 0x0
	s_barrier_signal -1
	s_barrier_wait -1
.LBB132_164:                            ;   in Loop: Header=BB132_6 Depth=1
	s_or_saveexec_b32 s11, s11
	v_mov_b32_e32 v2, 8
	s_mov_b32 s20, 0
	s_xor_b32 exec_lo, exec_lo, s11
; %bb.165:                              ;   in Loop: Header=BB132_6 Depth=1
	v_sub_nc_u64_e64 v[4:5], v[4:5], s[14:15]
	v_mov_b32_e32 v2, 0
	s_mov_b32 s20, exec_lo
; %bb.166:                              ;   in Loop: Header=BB132_6 Depth=1
	s_or_b32 exec_lo, exec_lo, s11
	s_delay_alu instid0(VALU_DEP_2)
	v_mov_b64_e32 v[6:7], v[4:5]
	s_and_b32 s11, s20, exec_lo
.LBB132_167:                            ;   in Loop: Header=BB132_6 Depth=1
	s_or_b32 exec_lo, exec_lo, s10
	s_mov_b32 s10, -1
                                        ; implicit-def: $sgpr72
                                        ; implicit-def: $sgpr73
	s_and_saveexec_b32 s71, s11
	s_cbranch_execz .LBB132_265
; %bb.168:                              ;   in Loop: Header=BB132_6 Depth=1
	s_delay_alu instid0(VALU_DEP_1) | instskip(SKIP_2) | instid1(SALU_CYCLE_1)
	v_cmp_eq_u64_e32 vcc_lo, 1, v[6:7]
	s_cmp_eq_u64 s[16:17], 1
                                        ; implicit-def: $sgpr73
                                        ; implicit-def: $sgpr72
	s_cselect_b32 s10, -1, 0
	s_and_b32 s75, s10, vcc_lo
	s_mov_b32 s10, -1
	s_and_saveexec_b32 s74, s75
	s_cbranch_execz .LBB132_202
; %bb.169:                              ;   in Loop: Header=BB132_6 Depth=1
	ds_load_b64 v[4:5], v3 offset:5120
	s_wait_dscnt 0x0
	s_barrier_signal -1
	s_barrier_wait -1
	v_readfirstlane_b32 s10, v4
	v_readfirstlane_b32 s11, v5
	s_and_saveexec_b32 s20, s6
; %bb.170:                              ;   in Loop: Header=BB132_6 Depth=1
	ds_store_b8 v0, v3 offset:3072
; %bb.171:                              ;   in Loop: Header=BB132_6 Depth=1
	s_or_b32 exec_lo, exec_lo, s20
	s_lshl_b32 s20, 2, s91
	v_or_b32_e32 v11, s24, v11
	v_and_or_b32 v10, v10, s25, s20
	s_mov_b32 s72, -1
	s_mov_b32 s73, 0
	s_cmp_eq_u64 s[10:11], 0
	s_mov_b32 s22, 0
	s_mov_b32 s23, -1
	s_wait_dscnt 0x0
	s_barrier_signal -1
	s_barrier_wait -1
                                        ; implicit-def: $vgpr8
	s_cbranch_scc1 .LBB132_187
; %bb.172:                              ;   in Loop: Header=BB132_6 Depth=1
	s_add_nc_u64 s[20:21], s[10:11], s[54:55]
	s_delay_alu instid0(SALU_CYCLE_1) | instskip(NEXT) | instid1(SALU_CYCLE_1)
	s_and_b64 s[22:23], s[20:21], 0xffffffff00000000
	s_cmp_lg_u64 s[22:23], 0
	s_cbranch_scc0 .LBB132_219
; %bb.173:                              ;   in Loop: Header=BB132_6 Depth=1
	s_cvt_f32_u32 s22, s34
	s_sub_nc_u64 s[46:47], 0, s[34:35]
	s_delay_alu instid0(SALU_CYCLE_2) | instskip(NEXT) | instid1(SALU_CYCLE_3)
	s_fmamk_f32 s22, s92, 0x0, s22
	v_s_rcp_f32 s22, s22
	s_delay_alu instid0(TRANS32_DEP_1) | instskip(NEXT) | instid1(SALU_CYCLE_3)
	s_mul_f32 s22, s22, 0x5f7ffffc
	s_mul_f32 s23, s22, 0x2f800000
	s_delay_alu instid0(SALU_CYCLE_3) | instskip(NEXT) | instid1(SALU_CYCLE_3)
	s_trunc_f32 s23, s23
	s_fmamk_f32 s22, s23, 0xcf800000, s22
	s_cvt_u32_f32 s23, s23
	s_delay_alu instid0(SALU_CYCLE_2) | instskip(NEXT) | instid1(SALU_CYCLE_3)
	s_cvt_u32_f32 s22, s22
	s_mul_u64 s[48:49], s[46:47], s[22:23]
	s_delay_alu instid0(SALU_CYCLE_1)
	s_mul_hi_u32 s77, s22, s49
	s_mul_i32 s76, s22, s49
	s_mul_hi_u32 s28, s22, s48
	s_mul_i32 s51, s23, s48
	s_add_nc_u64 s[76:77], s[28:29], s[76:77]
	s_mul_hi_u32 s50, s23, s48
	s_mul_hi_u32 s52, s23, s49
	s_add_co_u32 s28, s76, s51
	s_add_co_ci_u32 s28, s77, s50
	s_mul_i32 s48, s23, s49
	s_add_co_ci_u32 s49, s52, 0
	s_delay_alu instid0(SALU_CYCLE_1) | instskip(NEXT) | instid1(SALU_CYCLE_1)
	s_add_nc_u64 s[48:49], s[28:29], s[48:49]
	s_add_co_u32 s22, s22, s48
	s_cselect_b32 s28, -1, 0
	s_delay_alu instid0(SALU_CYCLE_1) | instskip(SKIP_1) | instid1(SALU_CYCLE_1)
	s_cmp_lg_u32 s28, 0
	s_add_co_ci_u32 s23, s23, s49
	s_mul_u64 s[46:47], s[46:47], s[22:23]
	s_delay_alu instid0(SALU_CYCLE_1)
	s_mul_hi_u32 s49, s22, s47
	s_mul_i32 s48, s22, s47
	s_mul_hi_u32 s28, s22, s46
	s_mul_i32 s51, s23, s46
	s_add_nc_u64 s[48:49], s[28:29], s[48:49]
	s_mul_hi_u32 s50, s23, s46
	s_mul_hi_u32 s52, s23, s47
	s_add_co_u32 s28, s48, s51
	s_add_co_ci_u32 s28, s49, s50
	s_mul_i32 s46, s23, s47
	s_add_co_ci_u32 s47, s52, 0
	s_delay_alu instid0(SALU_CYCLE_1) | instskip(NEXT) | instid1(SALU_CYCLE_1)
	s_add_nc_u64 s[46:47], s[28:29], s[46:47]
	s_add_co_u32 s22, s22, s46
	s_cselect_b32 s46, -1, 0
	s_mul_hi_u32 s28, s20, s22
	s_cmp_lg_u32 s46, 0
	s_mul_hi_u32 s48, s21, s22
	s_add_co_ci_u32 s46, s23, s47
	s_mul_i32 s47, s21, s22
	s_mul_hi_u32 s23, s20, s46
	s_mul_i32 s22, s20, s46
	s_mul_hi_u32 s49, s21, s46
	s_add_nc_u64 s[22:23], s[28:29], s[22:23]
	s_mul_i32 s46, s21, s46
	s_add_co_u32 s22, s22, s47
	s_add_co_ci_u32 s28, s23, s48
	s_add_co_ci_u32 s47, s49, 0
	s_delay_alu instid0(SALU_CYCLE_1) | instskip(NEXT) | instid1(SALU_CYCLE_1)
	s_add_nc_u64 s[22:23], s[28:29], s[46:47]
	s_and_b64 s[46:47], s[22:23], 0xffffffff00000000
	s_delay_alu instid0(SALU_CYCLE_1) | instskip(NEXT) | instid1(SALU_CYCLE_1)
	s_or_b32 s46, s46, s22
	s_mul_u64 s[22:23], s[34:35], s[46:47]
	s_delay_alu instid0(SALU_CYCLE_1) | instskip(SKIP_1) | instid1(SALU_CYCLE_1)
	s_sub_co_u32 s22, s20, s22
	s_cselect_b32 s28, -1, 0
	s_cmp_lg_u32 s28, 0
	s_sub_co_ci_u32 s23, s21, s23
	s_sub_co_u32 s28, s22, s34
	s_cselect_b32 s46, -1, 0
	s_delay_alu instid0(SALU_CYCLE_1) | instskip(SKIP_3) | instid1(SALU_CYCLE_1)
	s_cmp_lg_u32 s46, 0
	s_sub_co_ci_u32 s46, s23, 0
	s_sub_co_u32 s47, s28, s34
	s_cselect_b32 s48, -1, 0
	s_cmp_lg_u32 s48, 0
	s_sub_co_ci_u32 s48, s46, 0
	s_cmp_ge_u32 s28, s34
	s_cselect_b32 s49, -1, 0
	s_cmp_eq_u32 s46, 0
	s_cselect_b32 s49, s49, -1
	s_delay_alu instid0(SALU_CYCLE_1)
	s_cmp_lg_u32 s49, 0
	s_cselect_b32 s46, s48, s46
	s_cselect_b32 s28, s47, s28
	s_cmp_ge_u32 s22, s34
	s_cselect_b32 s47, -1, 0
	s_cmp_eq_u32 s23, 0
	s_cselect_b32 s47, s47, -1
	s_delay_alu instid0(SALU_CYCLE_1)
	s_cmp_lg_u32 s47, 0
	s_cselect_b32 s23, s46, s23
	s_cselect_b32 s22, s28, s22
	s_cbranch_execnz .LBB132_175
.LBB132_174:                            ;   in Loop: Header=BB132_6 Depth=1
	v_cvt_f32_u32_e32 v4, s34
	s_sub_co_i32 s23, 0, s34
	s_delay_alu instid0(VALU_DEP_1) | instskip(SKIP_1) | instid1(TRANS32_DEP_1)
	v_rcp_iflag_f32_e32 v4, v4
	v_nop
	v_mul_f32_e32 v4, 0x4f7ffffe, v4
	s_delay_alu instid0(VALU_DEP_1) | instskip(NEXT) | instid1(VALU_DEP_1)
	v_cvt_u32_f32_e32 v4, v4
	v_readfirstlane_b32 s22, v4
	s_mul_i32 s23, s23, s22
	s_delay_alu instid0(SALU_CYCLE_1) | instskip(NEXT) | instid1(SALU_CYCLE_1)
	s_mul_hi_u32 s23, s22, s23
	s_add_co_i32 s22, s22, s23
	s_delay_alu instid0(SALU_CYCLE_1) | instskip(NEXT) | instid1(SALU_CYCLE_1)
	s_mul_hi_u32 s22, s20, s22
	s_mul_i32 s22, s22, s34
	s_delay_alu instid0(SALU_CYCLE_1) | instskip(NEXT) | instid1(SALU_CYCLE_1)
	s_sub_co_i32 s22, s20, s22
	s_sub_co_i32 s23, s22, s34
	s_cmp_ge_u32 s22, s34
	s_cselect_b32 s22, s23, s22
	s_delay_alu instid0(SALU_CYCLE_1) | instskip(SKIP_2) | instid1(SALU_CYCLE_1)
	s_sub_co_i32 s23, s22, s34
	s_cmp_ge_u32 s22, s34
	s_cselect_b32 s28, s23, s22
	s_mov_b64 s[22:23], s[28:29]
.LBB132_175:                            ;   in Loop: Header=BB132_6 Depth=1
	s_delay_alu instid0(SALU_CYCLE_1)
	s_sub_nc_u64 s[20:21], s[20:21], s[22:23]
	s_mov_b32 s23, 0
	s_mov_b32 s22, 0
	s_mov_b32 s28, exec_lo
                                        ; implicit-def: $vgpr8
	v_cmpx_gt_u64_e64 s[20:21], v[0:1]
	s_cbranch_execz .LBB132_186
; %bb.176:                              ;   in Loop: Header=BB132_6 Depth=1
	v_mov_b64_e32 v[4:5], v[0:1]
	v_mov_b32_e32 v8, v0
                                        ; implicit-def: $sgpr46
	s_branch .LBB132_179
.LBB132_177:                            ;   in Loop: Header=BB132_179 Depth=2
	s_or_b32 exec_lo, exec_lo, s47
	s_wait_dscnt 0x0
	s_barrier_signal -1
	s_barrier_wait -1
	ds_load_u16 v9, v3 offset:3072
	s_mov_b32 s47, -1
	s_mov_b32 s48, -1
	s_wait_dscnt 0x0
	s_barrier_signal -1
	s_barrier_wait -1
	v_and_b32_e32 v32, 0xff, v9
	s_delay_alu instid0(VALU_DEP_1)
	v_cmp_ne_u32_e32 vcc_lo, 0, v32
	s_cbranch_vccz .LBB132_182
.LBB132_178:                            ;   in Loop: Header=BB132_179 Depth=2
	s_and_b32 s8, exec_lo, s47
	s_delay_alu instid0(SALU_CYCLE_1) | instskip(SKIP_2) | instid1(SALU_CYCLE_1)
	s_or_b32 s22, s8, s22
	s_and_not1_b32 s8, s46, exec_lo
	s_and_b32 s46, s48, exec_lo
	s_or_b32 s46, s8, s46
	s_and_not1_b32 exec_lo, exec_lo, s22
	s_cbranch_execz .LBB132_185
.LBB132_179:                            ;   Parent Loop BB132_6 Depth=1
                                        ; =>  This Inner Loop Header: Depth=2
	s_mov_b32 s47, exec_lo
	s_delay_alu instid0(VALU_DEP_2)
	v_cmpx_gt_u64_e64 s[10:11], v[4:5]
	s_cbranch_execz .LBB132_177
; %bb.180:                              ;   in Loop: Header=BB132_179 Depth=2
	ds_load_u8 v9, v8
	s_wait_dscnt 0x0
	v_bfe_i32 v32, v9, 0, 8
	s_delay_alu instid0(VALU_DEP_1) | instskip(NEXT) | instid1(VALU_DEP_1)
	v_add_nc_u32_e32 v32, 0x80, v32
	v_and_b32_e32 v32, v32, v11
	s_delay_alu instid0(VALU_DEP_1)
	v_cmp_eq_u32_e32 vcc_lo, v32, v10
	s_and_b32 exec_lo, exec_lo, vcc_lo
	s_cbranch_execz .LBB132_177
; %bb.181:                              ;   in Loop: Header=BB132_179 Depth=2
	v_lshlrev_b16 v9, 8, v9
	s_delay_alu instid0(VALU_DEP_1)
	v_or_b32_e32 v9, 1, v9
	ds_store_b16 v3, v9 offset:3072
	s_branch .LBB132_177
.LBB132_182:                            ;   in Loop: Header=BB132_179 Depth=2
	v_add_nc_u64_e32 v[4:5], s[34:35], v[4:5]
	v_add_nc_u32_e32 v8, s34, v8
	s_mov_b32 s48, 0
	s_delay_alu instid0(VALU_DEP_2)
	v_cmp_le_u64_e32 vcc_lo, s[20:21], v[4:5]
	s_or_not1_b32 s47, vcc_lo, exec_lo
	s_branch .LBB132_178
.LBB132_183:                            ;   in Loop: Header=BB132_6 Depth=1
                                        ; implicit-def: $sgpr22_sgpr23
	s_branch .LBB132_129
.LBB132_184:                            ;   in Loop: Header=BB132_6 Depth=1
                                        ; implicit-def: $sgpr10_sgpr11
	s_branch .LBB132_145
.LBB132_185:                            ;   in Loop: Header=BB132_6 Depth=1
	s_or_b32 exec_lo, exec_lo, s22
	v_and_b32_e32 v4, 0xffff, v9
	s_and_b32 s22, s46, exec_lo
	s_delay_alu instid0(VALU_DEP_1)
	v_lshrrev_b32_e32 v8, 8, v4
.LBB132_186:                            ;   in Loop: Header=BB132_6 Depth=1
	s_or_b32 exec_lo, exec_lo, s28
.LBB132_187:                            ;   in Loop: Header=BB132_6 Depth=1
	s_delay_alu instid0(SALU_CYCLE_1)
	s_and_b32 vcc_lo, exec_lo, s23
	s_cbranch_vccz .LBB132_201
; %bb.188:                              ;   in Loop: Header=BB132_6 Depth=1
	s_and_b64 s[10:11], s[56:57], 0xffffffff00000000
	s_delay_alu instid0(SALU_CYCLE_1)
	s_cmp_lg_u64 s[10:11], 0
	s_cbranch_scc0 .LBB132_220
; %bb.189:                              ;   in Loop: Header=BB132_6 Depth=1
	s_cvt_f32_u32 s10, s34
	s_sub_nc_u64 s[20:21], 0, s[34:35]
	s_delay_alu instid0(SALU_CYCLE_2) | instskip(NEXT) | instid1(SALU_CYCLE_3)
	s_fmamk_f32 s10, s92, 0x0, s10
	v_s_rcp_f32 s10, s10
	s_delay_alu instid0(TRANS32_DEP_1) | instskip(NEXT) | instid1(SALU_CYCLE_3)
	s_mul_f32 s10, s10, 0x5f7ffffc
	s_mul_f32 s11, s10, 0x2f800000
	s_delay_alu instid0(SALU_CYCLE_3) | instskip(NEXT) | instid1(SALU_CYCLE_3)
	s_trunc_f32 s11, s11
	s_fmamk_f32 s10, s11, 0xcf800000, s10
	s_cvt_u32_f32 s11, s11
	s_delay_alu instid0(SALU_CYCLE_2) | instskip(NEXT) | instid1(SALU_CYCLE_3)
	s_cvt_u32_f32 s10, s10
	s_mul_u64 s[46:47], s[20:21], s[10:11]
	s_delay_alu instid0(SALU_CYCLE_1)
	s_mul_hi_u32 s49, s10, s47
	s_mul_i32 s48, s10, s47
	s_mul_hi_u32 s28, s10, s46
	s_mul_i32 s50, s11, s46
	s_add_nc_u64 s[48:49], s[28:29], s[48:49]
	s_mul_hi_u32 s23, s11, s46
	s_mul_hi_u32 s51, s11, s47
	s_add_co_u32 s28, s48, s50
	s_add_co_ci_u32 s28, s49, s23
	s_mul_i32 s46, s11, s47
	s_add_co_ci_u32 s47, s51, 0
	s_delay_alu instid0(SALU_CYCLE_1) | instskip(NEXT) | instid1(SALU_CYCLE_1)
	s_add_nc_u64 s[46:47], s[28:29], s[46:47]
	s_add_co_u32 s10, s10, s46
	s_cselect_b32 s23, -1, 0
	s_delay_alu instid0(SALU_CYCLE_1) | instskip(SKIP_1) | instid1(SALU_CYCLE_1)
	s_cmp_lg_u32 s23, 0
	s_add_co_ci_u32 s11, s11, s47
	s_mul_u64 s[20:21], s[20:21], s[10:11]
	s_delay_alu instid0(SALU_CYCLE_1)
	s_mul_hi_u32 s47, s10, s21
	s_mul_i32 s46, s10, s21
	s_mul_hi_u32 s28, s10, s20
	s_mul_i32 s48, s11, s20
	s_add_nc_u64 s[46:47], s[28:29], s[46:47]
	s_mul_hi_u32 s23, s11, s20
	s_mul_hi_u32 s49, s11, s21
	s_mul_i32 s20, s11, s21
	s_add_co_u32 s21, s46, s48
	s_add_co_ci_u32 s28, s47, s23
	s_add_co_ci_u32 s21, s49, 0
	s_delay_alu instid0(SALU_CYCLE_1) | instskip(NEXT) | instid1(SALU_CYCLE_1)
	s_add_nc_u64 s[20:21], s[28:29], s[20:21]
	s_add_co_u32 s10, s10, s20
	s_cselect_b32 s20, -1, 0
	s_mul_hi_u32 s28, s56, s10
	s_cmp_lg_u32 s20, 0
	s_mul_hi_u32 s23, s57, s10
	s_add_co_ci_u32 s20, s11, s21
	s_mul_i32 s21, s57, s10
	s_mul_hi_u32 s11, s56, s20
	s_mul_i32 s10, s56, s20
	s_mul_hi_u32 s46, s57, s20
	s_add_nc_u64 s[10:11], s[28:29], s[10:11]
	s_mul_i32 s20, s57, s20
	s_add_co_u32 s10, s10, s21
	s_add_co_ci_u32 s28, s11, s23
	s_add_co_ci_u32 s21, s46, 0
	s_delay_alu instid0(SALU_CYCLE_1) | instskip(NEXT) | instid1(SALU_CYCLE_1)
	s_add_nc_u64 s[10:11], s[28:29], s[20:21]
	s_and_b64 s[20:21], s[10:11], 0xffffffff00000000
	s_delay_alu instid0(SALU_CYCLE_1) | instskip(NEXT) | instid1(SALU_CYCLE_1)
	s_or_b32 s20, s20, s10
	s_mul_u64 s[10:11], s[34:35], s[20:21]
	s_delay_alu instid0(SALU_CYCLE_1) | instskip(SKIP_1) | instid1(SALU_CYCLE_1)
	s_sub_co_u32 s10, s56, s10
	s_cselect_b32 s20, -1, 0
	s_cmp_lg_u32 s20, 0
	s_sub_co_ci_u32 s11, s57, s11
	s_sub_co_u32 s20, s10, s34
	s_cselect_b32 s21, -1, 0
	s_delay_alu instid0(SALU_CYCLE_1) | instskip(SKIP_3) | instid1(SALU_CYCLE_1)
	s_cmp_lg_u32 s21, 0
	s_sub_co_ci_u32 s21, s11, 0
	s_sub_co_u32 s23, s20, s34
	s_cselect_b32 s28, -1, 0
	s_cmp_lg_u32 s28, 0
	s_sub_co_ci_u32 s28, s21, 0
	s_cmp_ge_u32 s20, s34
	s_cselect_b32 s46, -1, 0
	s_cmp_eq_u32 s21, 0
	s_cselect_b32 s46, s46, -1
	s_delay_alu instid0(SALU_CYCLE_1)
	s_cmp_lg_u32 s46, 0
	s_cselect_b32 s21, s28, s21
	s_cselect_b32 s20, s23, s20
	s_cmp_ge_u32 s10, s34
	s_cselect_b32 s23, -1, 0
	s_cmp_eq_u32 s11, 0
	s_cselect_b32 s23, s23, -1
	s_delay_alu instid0(SALU_CYCLE_1)
	s_cmp_lg_u32 s23, 0
	s_cselect_b32 s11, s21, s11
	s_cselect_b32 s10, s20, s10
	s_cbranch_execnz .LBB132_191
.LBB132_190:                            ;   in Loop: Header=BB132_6 Depth=1
	v_cvt_f32_u32_e32 v4, s34
	s_sub_co_i32 s11, 0, s34
	s_delay_alu instid0(VALU_DEP_1) | instskip(SKIP_1) | instid1(TRANS32_DEP_1)
	v_rcp_iflag_f32_e32 v4, v4
	v_nop
	v_mul_f32_e32 v4, 0x4f7ffffe, v4
	s_delay_alu instid0(VALU_DEP_1) | instskip(NEXT) | instid1(VALU_DEP_1)
	v_cvt_u32_f32_e32 v4, v4
	v_readfirstlane_b32 s10, v4
	s_mul_i32 s11, s11, s10
	s_delay_alu instid0(SALU_CYCLE_1) | instskip(NEXT) | instid1(SALU_CYCLE_1)
	s_mul_hi_u32 s11, s10, s11
	s_add_co_i32 s10, s10, s11
	s_delay_alu instid0(SALU_CYCLE_1) | instskip(NEXT) | instid1(SALU_CYCLE_1)
	s_mul_hi_u32 s10, s56, s10
	s_mul_i32 s10, s10, s34
	s_delay_alu instid0(SALU_CYCLE_1) | instskip(NEXT) | instid1(SALU_CYCLE_1)
	s_sub_co_i32 s10, s56, s10
	s_sub_co_i32 s11, s10, s34
	s_cmp_ge_u32 s10, s34
	s_cselect_b32 s10, s11, s10
	s_delay_alu instid0(SALU_CYCLE_1) | instskip(SKIP_2) | instid1(SALU_CYCLE_1)
	s_sub_co_i32 s11, s10, s34
	s_cmp_ge_u32 s10, s34
	s_cselect_b32 s28, s11, s10
	s_mov_b64 s[10:11], s[28:29]
.LBB132_191:                            ;   in Loop: Header=BB132_6 Depth=1
	s_delay_alu instid0(SALU_CYCLE_1)
	s_sub_nc_u64 s[10:11], s[56:57], s[10:11]
	s_mov_b32 s20, exec_lo
                                        ; implicit-def: $vgpr8
	v_nop
	v_cmpx_gt_u64_e64 s[10:11], v[0:1]
	s_cbranch_execz .LBB132_200
; %bb.192:                              ;   in Loop: Header=BB132_6 Depth=1
	v_mov_b64_e32 v[4:5], v[14:15]
	v_mov_b64_e32 v[8:9], v[0:1]
	s_mov_b32 s21, 0
                                        ; implicit-def: $sgpr23
	s_branch .LBB132_195
.LBB132_193:                            ;   in Loop: Header=BB132_195 Depth=2
	s_or_b32 exec_lo, exec_lo, s28
	s_wait_dscnt 0x0
	s_barrier_signal -1
	s_barrier_wait -1
	ds_load_u16 v32, v3 offset:3072
	s_mov_b32 s28, -1
	s_mov_b32 s46, -1
	s_wait_dscnt 0x0
	s_barrier_signal -1
	s_barrier_wait -1
	v_and_b32_e32 v33, 0xff, v32
	s_delay_alu instid0(VALU_DEP_1)
	v_cmp_eq_u32_e32 vcc_lo, 0, v33
	s_cbranch_vccnz .LBB132_198
.LBB132_194:                            ;   in Loop: Header=BB132_195 Depth=2
	s_and_b32 s8, exec_lo, s28
	s_delay_alu instid0(SALU_CYCLE_1) | instskip(SKIP_2) | instid1(SALU_CYCLE_1)
	s_or_b32 s21, s8, s21
	s_and_not1_b32 s8, s23, exec_lo
	s_and_b32 s23, s46, exec_lo
	s_or_b32 s23, s8, s23
	s_and_not1_b32 exec_lo, exec_lo, s21
	s_cbranch_execz .LBB132_199
.LBB132_195:                            ;   Parent Loop BB132_6 Depth=1
                                        ; =>  This Inner Loop Header: Depth=2
	s_mov_b32 s28, exec_lo
	s_delay_alu instid0(VALU_DEP_1)
	v_cmpx_gt_u64_e64 s[36:37], v[8:9]
	s_cbranch_execz .LBB132_193
; %bb.196:                              ;   in Loop: Header=BB132_195 Depth=2
	global_load_u8 v32, v[4:5], off
	s_wait_loadcnt 0x0
	v_bfe_i32 v33, v32, 0, 8
	s_delay_alu instid0(VALU_DEP_1) | instskip(NEXT) | instid1(VALU_DEP_1)
	v_add_nc_u32_e32 v33, 0x80, v33
	v_and_b32_e32 v33, v33, v11
	s_delay_alu instid0(VALU_DEP_1)
	v_cmp_eq_u32_e32 vcc_lo, v33, v10
	s_and_b32 exec_lo, exec_lo, vcc_lo
	s_cbranch_execz .LBB132_193
; %bb.197:                              ;   in Loop: Header=BB132_195 Depth=2
	v_lshlrev_b16 v32, 8, v32
	s_delay_alu instid0(VALU_DEP_1)
	v_or_b32_e32 v32, 1, v32
	ds_store_b16 v3, v32 offset:3072
	s_branch .LBB132_193
.LBB132_198:                            ;   in Loop: Header=BB132_195 Depth=2
	v_add_nc_u64_e32 v[8:9], s[34:35], v[8:9]
	v_add_nc_u64_e32 v[4:5], s[40:41], v[4:5]
	s_mov_b32 s46, 0
	s_delay_alu instid0(VALU_DEP_2)
	v_cmp_le_u64_e32 vcc_lo, s[10:11], v[8:9]
	s_or_not1_b32 s28, vcc_lo, exec_lo
	s_branch .LBB132_194
.LBB132_199:                            ;   in Loop: Header=BB132_6 Depth=1
	s_or_b32 exec_lo, exec_lo, s21
	v_and_b32_e32 v4, 0xffff, v32
	s_and_not1_b32 s8, s22, exec_lo
	s_and_b32 s10, s23, exec_lo
	s_delay_alu instid0(SALU_CYCLE_1) | instskip(NEXT) | instid1(VALU_DEP_1)
	s_or_b32 s22, s8, s10
	v_lshrrev_b32_e32 v8, 8, v4
.LBB132_200:                            ;   in Loop: Header=BB132_6 Depth=1
	s_or_b32 exec_lo, exec_lo, s20
	s_mov_b32 s72, 0
	s_mov_b32 s73, -1
.LBB132_201:                            ;   in Loop: Header=BB132_6 Depth=1
	s_or_not1_b32 s10, s22, exec_lo
.LBB132_202:                            ;   in Loop: Header=BB132_6 Depth=1
	s_or_b32 exec_lo, exec_lo, s74
	s_mov_b32 s11, 0
	s_and_saveexec_b32 s74, s10
	s_cbranch_execz .LBB132_264
; %bb.203:                              ;   in Loop: Header=BB132_6 Depth=1
	v_mov_b64_e32 v[4:5], 1
	v_mov_b32_e32 v2, 1
	s_xor_b32 s20, s75, -1
	s_delay_alu instid0(SALU_CYCLE_1)
	s_and_saveexec_b32 s10, s20
	s_cbranch_execz .LBB132_212
; %bb.204:                              ;   in Loop: Header=BB132_6 Depth=1
	s_mov_b32 s11, exec_lo
	v_cmpx_ge_u64_e64 s[16:17], v[6:7]
	s_xor_b32 s11, exec_lo, s11
	s_cbranch_execz .LBB132_209
; %bb.205:                              ;   in Loop: Header=BB132_6 Depth=1
	ds_load_b64 v[4:5], v3 offset:5120
	s_lshl_b32 s20, 2, s91
	v_or_b32_e32 v11, s24, v11
	v_and_or_b32 v10, v10, s25, s20
	s_wait_dscnt 0x0
	v_cmp_ne_u64_e32 vcc_lo, 0, v[4:5]
	s_cbranch_vccnz .LBB132_209
; %bb.206:                              ;   in Loop: Header=BB132_6 Depth=1
	s_and_saveexec_b32 s20, s5
; %bb.207:                              ;   in Loop: Header=BB132_6 Depth=1
	v_mov_b64_e32 v[4:5], s[16:17]
	ds_store_b64 v3, v[4:5] offset:5128
; %bb.208:                              ;   in Loop: Header=BB132_6 Depth=1
	s_or_b32 exec_lo, exec_lo, s20
	s_wait_dscnt 0x0
	s_barrier_signal -1
	s_barrier_wait -1
.LBB132_209:                            ;   in Loop: Header=BB132_6 Depth=1
	s_or_saveexec_b32 s11, s11
	v_mov_b32_e32 v2, 8
	s_mov_b32 s20, 0
	s_xor_b32 exec_lo, exec_lo, s11
; %bb.210:                              ;   in Loop: Header=BB132_6 Depth=1
	v_sub_nc_u64_e64 v[6:7], v[6:7], s[16:17]
	v_mov_b32_e32 v2, 0
	s_mov_b32 s20, exec_lo
; %bb.211:                              ;   in Loop: Header=BB132_6 Depth=1
	s_or_b32 exec_lo, exec_lo, s11
	s_delay_alu instid0(VALU_DEP_2)
	v_mov_b64_e32 v[4:5], v[6:7]
	s_and_b32 s11, s20, exec_lo
.LBB132_212:                            ;   in Loop: Header=BB132_6 Depth=1
	s_or_b32 exec_lo, exec_lo, s10
	s_mov_b32 s10, -1
                                        ; implicit-def: $sgpr46
                                        ; implicit-def: $vcc_hi
	s_and_saveexec_b32 s75, s11
	s_cbranch_execz .LBB132_263
; %bb.213:                              ;   in Loop: Header=BB132_6 Depth=1
	s_delay_alu instid0(VALU_DEP_1) | instskip(SKIP_3) | instid1(SALU_CYCLE_1)
	v_cmp_eq_u64_e32 vcc_lo, 1, v[4:5]
	s_cmp_eq_u64 s[18:19], 1
	s_mov_b32 s11, -1
	s_cselect_b32 s10, -1, 0
                                        ; implicit-def: $sgpr46
                                        ; implicit-def: $vcc_hi
	s_and_b32 s76, s10, vcc_lo
	s_delay_alu instid0(SALU_CYCLE_1)
	s_and_saveexec_b32 s77, s76
	s_cbranch_execz .LBB132_251
; %bb.214:                              ;   in Loop: Header=BB132_6 Depth=1
	ds_load_b64 v[6:7], v3 offset:5120
	s_wait_dscnt 0x0
	s_barrier_signal -1
	s_barrier_wait -1
	v_readfirstlane_b32 s10, v6
	v_readfirstlane_b32 s11, v7
	s_and_saveexec_b32 s20, s6
; %bb.215:                              ;   in Loop: Header=BB132_6 Depth=1
	ds_store_b8 v0, v3 offset:3072
; %bb.216:                              ;   in Loop: Header=BB132_6 Depth=1
	s_or_b32 exec_lo, exec_lo, s20
	v_or_b32_e32 v10, s24, v10
	v_or_b32_e32 v11, s24, v11
	s_mov_b32 vcc_hi, -1
	s_mov_b32 s46, 0
	s_cmp_eq_u64 s[10:11], 0
	s_mov_b32 s22, 0
	s_mov_b32 s23, -1
	s_wait_dscnt 0x0
	s_barrier_signal -1
	s_barrier_wait -1
                                        ; implicit-def: $vgpr8
	s_cbranch_scc1 .LBB132_234
; %bb.217:                              ;   in Loop: Header=BB132_6 Depth=1
	s_add_nc_u64 s[20:21], s[10:11], s[54:55]
	s_delay_alu instid0(SALU_CYCLE_1) | instskip(NEXT) | instid1(SALU_CYCLE_1)
	s_and_b64 s[22:23], s[20:21], 0xffffffff00000000
	s_cmp_lg_u64 s[22:23], 0
	s_cbranch_scc0 .LBB132_221
; %bb.218:                              ;   in Loop: Header=BB132_6 Depth=1
	s_cvt_f32_u32 s22, s34
	s_sub_nc_u64 s[48:49], 0, s[34:35]
	s_delay_alu instid0(SALU_CYCLE_2) | instskip(NEXT) | instid1(SALU_CYCLE_3)
	s_fmamk_f32 s22, s92, 0x0, s22
	v_s_rcp_f32 s22, s22
	s_delay_alu instid0(TRANS32_DEP_1) | instskip(NEXT) | instid1(SALU_CYCLE_3)
	s_mul_f32 s22, s22, 0x5f7ffffc
	s_mul_f32 s23, s22, 0x2f800000
	s_delay_alu instid0(SALU_CYCLE_3) | instskip(NEXT) | instid1(SALU_CYCLE_3)
	s_trunc_f32 s23, s23
	s_fmamk_f32 s22, s23, 0xcf800000, s22
	s_cvt_u32_f32 s23, s23
	s_delay_alu instid0(SALU_CYCLE_2) | instskip(NEXT) | instid1(SALU_CYCLE_3)
	s_cvt_u32_f32 s22, s22
	s_mul_u64 s[50:51], s[48:49], s[22:23]
	s_delay_alu instid0(SALU_CYCLE_1)
	s_mul_hi_u32 s53, s22, s51
	s_mul_i32 s52, s22, s51
	s_mul_hi_u32 s28, s22, s50
	s_mul_i32 vcc_lo, s23, s50
	s_add_nc_u64 s[52:53], s[28:29], s[52:53]
	s_mul_hi_u32 s47, s23, s50
	s_mul_hi_u32 s8, s23, s51
	s_add_co_u32 s28, s52, vcc_lo
	s_add_co_ci_u32 s28, s53, s47
	s_mul_i32 s50, s23, s51
	s_add_co_ci_u32 s51, s8, 0
	s_delay_alu instid0(SALU_CYCLE_1) | instskip(NEXT) | instid1(SALU_CYCLE_1)
	s_add_nc_u64 s[50:51], s[28:29], s[50:51]
	s_add_co_u32 s22, s22, s50
	s_cselect_b32 s8, -1, 0
	s_delay_alu instid0(SALU_CYCLE_1) | instskip(SKIP_1) | instid1(SALU_CYCLE_1)
	s_cmp_lg_u32 s8, 0
	s_add_co_ci_u32 s23, s23, s51
	s_mul_u64 s[48:49], s[48:49], s[22:23]
	s_delay_alu instid0(SALU_CYCLE_1)
	s_mul_hi_u32 s51, s22, s49
	s_mul_i32 s50, s22, s49
	s_mul_hi_u32 s28, s22, s48
	s_mul_i32 s47, s23, s48
	s_add_nc_u64 s[50:51], s[28:29], s[50:51]
	s_mul_hi_u32 s8, s23, s48
	s_mul_hi_u32 s52, s23, s49
	s_add_co_u32 s28, s50, s47
	s_add_co_ci_u32 s28, s51, s8
	s_mul_i32 s48, s23, s49
	s_add_co_ci_u32 s49, s52, 0
	s_delay_alu instid0(SALU_CYCLE_1) | instskip(NEXT) | instid1(SALU_CYCLE_1)
	s_add_nc_u64 s[48:49], s[28:29], s[48:49]
	s_add_co_u32 s8, s22, s48
	s_cselect_b32 s22, -1, 0
	s_mul_hi_u32 s28, s20, s8
	s_cmp_lg_u32 s22, 0
	s_mul_hi_u32 s47, s21, s8
	s_add_co_ci_u32 s48, s23, s49
	s_mul_i32 s8, s21, s8
	s_mul_hi_u32 s23, s20, s48
	s_mul_i32 s22, s20, s48
	s_mul_hi_u32 s49, s21, s48
	s_add_nc_u64 s[22:23], s[28:29], s[22:23]
	s_mul_i32 s48, s21, s48
	s_add_co_u32 s8, s22, s8
	s_add_co_ci_u32 s28, s23, s47
	s_add_co_ci_u32 s49, s49, 0
	s_delay_alu instid0(SALU_CYCLE_1) | instskip(NEXT) | instid1(SALU_CYCLE_1)
	s_add_nc_u64 s[22:23], s[28:29], s[48:49]
	s_and_b64 s[48:49], s[22:23], 0xffffffff00000000
	s_delay_alu instid0(SALU_CYCLE_1) | instskip(NEXT) | instid1(SALU_CYCLE_1)
	s_or_b32 s48, s48, s22
	s_mul_u64 s[22:23], s[34:35], s[48:49]
	s_delay_alu instid0(SALU_CYCLE_1) | instskip(SKIP_1) | instid1(SALU_CYCLE_1)
	s_sub_co_u32 s8, s20, s22
	s_cselect_b32 s22, -1, 0
	s_cmp_lg_u32 s22, 0
	s_sub_co_ci_u32 s22, s21, s23
	s_sub_co_u32 s23, s8, s34
	s_cselect_b32 s28, -1, 0
	s_delay_alu instid0(SALU_CYCLE_1) | instskip(SKIP_3) | instid1(SALU_CYCLE_1)
	s_cmp_lg_u32 s28, 0
	s_sub_co_ci_u32 s28, s22, 0
	s_sub_co_u32 s47, s23, s34
	s_cselect_b32 s48, -1, 0
	s_cmp_lg_u32 s48, 0
	s_sub_co_ci_u32 s48, s28, 0
	s_cmp_ge_u32 s23, s34
	s_cselect_b32 s49, -1, 0
	s_cmp_eq_u32 s28, 0
	s_cselect_b32 s49, s49, -1
	s_delay_alu instid0(SALU_CYCLE_1)
	s_cmp_lg_u32 s49, 0
	s_cselect_b32 s28, s48, s28
	s_cselect_b32 s47, s47, s23
	s_cmp_ge_u32 s8, s34
	s_cselect_b32 s23, -1, 0
	s_cmp_eq_u32 s22, 0
	s_cselect_b32 s23, s23, -1
	s_delay_alu instid0(SALU_CYCLE_1)
	s_cmp_lg_u32 s23, 0
	s_cselect_b32 s23, s28, s22
	s_cselect_b32 s22, s47, s8
	s_mov_b32 s28, 0
	s_branch .LBB132_222
.LBB132_219:                            ;   in Loop: Header=BB132_6 Depth=1
                                        ; implicit-def: $sgpr22_sgpr23
	s_branch .LBB132_174
.LBB132_220:                            ;   in Loop: Header=BB132_6 Depth=1
                                        ; implicit-def: $sgpr10_sgpr11
	s_branch .LBB132_190
.LBB132_221:                            ;   in Loop: Header=BB132_6 Depth=1
	s_mov_b32 s28, -1
                                        ; implicit-def: $sgpr22_sgpr23
.LBB132_222:                            ;   in Loop: Header=BB132_6 Depth=1
	s_delay_alu instid0(SALU_CYCLE_1)
	s_and_not1_b32 vcc_lo, exec_lo, s28
	s_cbranch_vccnz .LBB132_224
; %bb.223:                              ;   in Loop: Header=BB132_6 Depth=1
	v_cvt_f32_u32_e32 v6, s34
	s_sub_co_i32 s23, 0, s34
	s_delay_alu instid0(VALU_DEP_1) | instskip(SKIP_1) | instid1(TRANS32_DEP_1)
	v_rcp_iflag_f32_e32 v6, v6
	v_nop
	v_mul_f32_e32 v6, 0x4f7ffffe, v6
	s_delay_alu instid0(VALU_DEP_1) | instskip(NEXT) | instid1(VALU_DEP_1)
	v_cvt_u32_f32_e32 v6, v6
	v_readfirstlane_b32 s22, v6
	s_mul_i32 s23, s23, s22
	s_delay_alu instid0(SALU_CYCLE_1) | instskip(NEXT) | instid1(SALU_CYCLE_1)
	s_mul_hi_u32 s23, s22, s23
	s_add_co_i32 s22, s22, s23
	s_delay_alu instid0(SALU_CYCLE_1) | instskip(NEXT) | instid1(SALU_CYCLE_1)
	s_mul_hi_u32 s22, s20, s22
	s_mul_i32 s22, s22, s34
	s_delay_alu instid0(SALU_CYCLE_1) | instskip(NEXT) | instid1(SALU_CYCLE_1)
	s_sub_co_i32 s22, s20, s22
	s_sub_co_i32 s23, s22, s34
	s_cmp_ge_u32 s22, s34
	s_cselect_b32 s22, s23, s22
	s_delay_alu instid0(SALU_CYCLE_1) | instskip(SKIP_2) | instid1(SALU_CYCLE_1)
	s_sub_co_i32 s23, s22, s34
	s_cmp_ge_u32 s22, s34
	s_cselect_b32 s28, s23, s22
	s_mov_b64 s[22:23], s[28:29]
.LBB132_224:                            ;   in Loop: Header=BB132_6 Depth=1
	s_delay_alu instid0(SALU_CYCLE_1)
	s_sub_nc_u64 s[20:21], s[20:21], s[22:23]
	s_mov_b32 s23, 0
	s_mov_b32 s22, 0
	s_mov_b32 s28, exec_lo
                                        ; implicit-def: $vgpr8
	v_cmpx_gt_u64_e64 s[20:21], v[0:1]
	s_cbranch_execz .LBB132_233
; %bb.225:                              ;   in Loop: Header=BB132_6 Depth=1
	v_mov_b64_e32 v[6:7], v[0:1]
	v_mov_b32_e32 v8, v0
                                        ; implicit-def: $sgpr47
	s_branch .LBB132_228
.LBB132_226:                            ;   in Loop: Header=BB132_228 Depth=2
	s_or_b32 exec_lo, exec_lo, s48
	s_wait_dscnt 0x0
	s_barrier_signal -1
	s_barrier_wait -1
	ds_load_u16 v9, v3 offset:3072
	s_mov_b32 s48, -1
	s_mov_b32 s49, -1
	s_wait_dscnt 0x0
	s_barrier_signal -1
	s_barrier_wait -1
	v_and_b32_e32 v32, 0xff, v9
	s_delay_alu instid0(VALU_DEP_1)
	v_cmp_ne_u32_e32 vcc_lo, 0, v32
	s_cbranch_vccz .LBB132_231
.LBB132_227:                            ;   in Loop: Header=BB132_228 Depth=2
	s_and_b32 s8, exec_lo, s48
	s_delay_alu instid0(SALU_CYCLE_1) | instskip(SKIP_2) | instid1(SALU_CYCLE_1)
	s_or_b32 s22, s8, s22
	s_and_not1_b32 s8, s47, exec_lo
	s_and_b32 s47, s49, exec_lo
	s_or_b32 s47, s8, s47
	s_and_not1_b32 exec_lo, exec_lo, s22
	s_cbranch_execz .LBB132_232
.LBB132_228:                            ;   Parent Loop BB132_6 Depth=1
                                        ; =>  This Inner Loop Header: Depth=2
	s_mov_b32 s48, exec_lo
	s_delay_alu instid0(VALU_DEP_2)
	v_cmpx_gt_u64_e64 s[10:11], v[6:7]
	s_cbranch_execz .LBB132_226
; %bb.229:                              ;   in Loop: Header=BB132_228 Depth=2
	ds_load_u8 v9, v8
	s_wait_dscnt 0x0
	v_bfe_i32 v32, v9, 0, 8
	s_delay_alu instid0(VALU_DEP_1) | instskip(NEXT) | instid1(VALU_DEP_1)
	v_add_nc_u32_e32 v32, 0x80, v32
	v_and_b32_e32 v32, v32, v11
	s_delay_alu instid0(VALU_DEP_1)
	v_cmp_eq_u32_e32 vcc_lo, v32, v10
	s_and_b32 exec_lo, exec_lo, vcc_lo
	s_cbranch_execz .LBB132_226
; %bb.230:                              ;   in Loop: Header=BB132_228 Depth=2
	v_lshlrev_b16 v9, 8, v9
	s_delay_alu instid0(VALU_DEP_1)
	v_or_b32_e32 v9, 1, v9
	ds_store_b16 v3, v9 offset:3072
	s_branch .LBB132_226
.LBB132_231:                            ;   in Loop: Header=BB132_228 Depth=2
	v_add_nc_u64_e32 v[6:7], s[34:35], v[6:7]
	v_add_nc_u32_e32 v8, s34, v8
	s_mov_b32 s49, 0
	s_delay_alu instid0(VALU_DEP_2)
	v_cmp_le_u64_e32 vcc_lo, s[20:21], v[6:7]
	s_or_not1_b32 s48, vcc_lo, exec_lo
	s_branch .LBB132_227
.LBB132_232:                            ;   in Loop: Header=BB132_6 Depth=1
	s_or_b32 exec_lo, exec_lo, s22
	v_and_b32_e32 v6, 0xffff, v9
	s_and_b32 s22, s47, exec_lo
	s_delay_alu instid0(VALU_DEP_1)
	v_lshrrev_b32_e32 v8, 8, v6
.LBB132_233:                            ;   in Loop: Header=BB132_6 Depth=1
	s_or_b32 exec_lo, exec_lo, s28
.LBB132_234:                            ;   in Loop: Header=BB132_6 Depth=1
	s_delay_alu instid0(SALU_CYCLE_1)
	s_and_b32 vcc_lo, exec_lo, s23
	s_cbranch_vccz .LBB132_250
; %bb.235:                              ;   in Loop: Header=BB132_6 Depth=1
	s_and_b64 s[10:11], s[56:57], 0xffffffff00000000
	s_delay_alu instid0(SALU_CYCLE_1)
	s_cmp_lg_u64 s[10:11], 0
	s_cbranch_scc0 .LBB132_237
; %bb.236:                              ;   in Loop: Header=BB132_6 Depth=1
	s_cvt_f32_u32 s8, s34
	s_sub_nc_u64 s[20:21], 0, s[34:35]
	s_delay_alu instid0(SALU_CYCLE_2) | instskip(NEXT) | instid1(SALU_CYCLE_3)
	s_fmamk_f32 s8, s92, 0x0, s8
	v_s_rcp_f32 s8, s8
	s_delay_alu instid0(TRANS32_DEP_1) | instskip(NEXT) | instid1(SALU_CYCLE_3)
	s_mul_f32 s8, s8, 0x5f7ffffc
	s_mul_f32 s10, s8, 0x2f800000
	s_delay_alu instid0(SALU_CYCLE_3) | instskip(NEXT) | instid1(SALU_CYCLE_3)
	s_trunc_f32 s10, s10
	s_fmamk_f32 s8, s10, 0xcf800000, s8
	s_cvt_u32_f32 s11, s10
	s_delay_alu instid0(SALU_CYCLE_2) | instskip(NEXT) | instid1(SALU_CYCLE_3)
	s_cvt_u32_f32 s10, s8
	s_mul_u64 s[46:47], s[20:21], s[10:11]
	s_delay_alu instid0(SALU_CYCLE_1)
	s_mul_hi_u32 s49, s10, s47
	s_mul_i32 s48, s10, s47
	s_mul_hi_u32 s28, s10, s46
	s_mul_i32 s23, s11, s46
	s_add_nc_u64 s[48:49], s[28:29], s[48:49]
	s_mul_hi_u32 s8, s11, s46
	s_mul_hi_u32 s50, s11, s47
	s_add_co_u32 s23, s48, s23
	s_add_co_ci_u32 s28, s49, s8
	s_mul_i32 s46, s11, s47
	s_add_co_ci_u32 s47, s50, 0
	s_delay_alu instid0(SALU_CYCLE_1) | instskip(NEXT) | instid1(SALU_CYCLE_1)
	s_add_nc_u64 s[46:47], s[28:29], s[46:47]
	s_add_co_u32 s10, s10, s46
	s_cselect_b32 s8, -1, 0
	s_delay_alu instid0(SALU_CYCLE_1) | instskip(SKIP_1) | instid1(SALU_CYCLE_1)
	s_cmp_lg_u32 s8, 0
	s_add_co_ci_u32 s11, s11, s47
	s_mul_u64 s[20:21], s[20:21], s[10:11]
	s_delay_alu instid0(SALU_CYCLE_1)
	s_mul_hi_u32 s47, s10, s21
	s_mul_i32 s46, s10, s21
	s_mul_hi_u32 s28, s10, s20
	s_mul_i32 s23, s11, s20
	s_add_nc_u64 s[46:47], s[28:29], s[46:47]
	s_mul_hi_u32 s8, s11, s20
	s_mul_hi_u32 s48, s11, s21
	s_mul_i32 s20, s11, s21
	s_add_co_u32 s21, s46, s23
	s_add_co_ci_u32 s28, s47, s8
	s_add_co_ci_u32 s21, s48, 0
	s_delay_alu instid0(SALU_CYCLE_1) | instskip(NEXT) | instid1(SALU_CYCLE_1)
	s_add_nc_u64 s[20:21], s[28:29], s[20:21]
	s_add_co_u32 s8, s10, s20
	s_cselect_b32 s10, -1, 0
	s_mul_hi_u32 s28, s56, s8
	s_cmp_lg_u32 s10, 0
	s_mul_hi_u32 s23, s57, s8
	s_add_co_ci_u32 s20, s11, s21
	s_mul_i32 s8, s57, s8
	s_mul_hi_u32 s11, s56, s20
	s_mul_i32 s10, s56, s20
	s_mul_hi_u32 s21, s57, s20
	s_add_nc_u64 s[10:11], s[28:29], s[10:11]
	s_mul_i32 s20, s57, s20
	s_add_co_u32 s8, s10, s8
	s_add_co_ci_u32 s28, s11, s23
	s_add_co_ci_u32 s21, s21, 0
	s_delay_alu instid0(SALU_CYCLE_1) | instskip(NEXT) | instid1(SALU_CYCLE_1)
	s_add_nc_u64 s[10:11], s[28:29], s[20:21]
	s_and_b64 s[20:21], s[10:11], 0xffffffff00000000
	s_delay_alu instid0(SALU_CYCLE_1) | instskip(NEXT) | instid1(SALU_CYCLE_1)
	s_or_b32 s20, s20, s10
	s_mul_u64 s[10:11], s[34:35], s[20:21]
	s_delay_alu instid0(SALU_CYCLE_1) | instskip(SKIP_1) | instid1(SALU_CYCLE_1)
	s_sub_co_u32 s8, s56, s10
	s_cselect_b32 s10, -1, 0
	s_cmp_lg_u32 s10, 0
	s_sub_co_ci_u32 s10, s57, s11
	s_sub_co_u32 s11, s8, s34
	s_cselect_b32 s20, -1, 0
	s_delay_alu instid0(SALU_CYCLE_1) | instskip(SKIP_3) | instid1(SALU_CYCLE_1)
	s_cmp_lg_u32 s20, 0
	s_sub_co_ci_u32 s20, s10, 0
	s_sub_co_u32 s21, s11, s34
	s_cselect_b32 s23, -1, 0
	s_cmp_lg_u32 s23, 0
	s_sub_co_ci_u32 s23, s20, 0
	s_cmp_ge_u32 s11, s34
	s_cselect_b32 s28, -1, 0
	s_cmp_eq_u32 s20, 0
	s_cselect_b32 s28, s28, -1
	s_delay_alu instid0(SALU_CYCLE_1)
	s_cmp_lg_u32 s28, 0
	s_cselect_b32 s20, s23, s20
	s_cselect_b32 s21, s21, s11
	s_cmp_ge_u32 s8, s34
	s_cselect_b32 s11, -1, 0
	s_cmp_eq_u32 s10, 0
	s_cselect_b32 s11, s11, -1
	s_delay_alu instid0(SALU_CYCLE_1)
	s_cmp_lg_u32 s11, 0
	s_cselect_b32 s11, s20, s10
	s_cselect_b32 s10, s21, s8
	s_mov_b32 s20, 0
	s_branch .LBB132_238
.LBB132_237:                            ;   in Loop: Header=BB132_6 Depth=1
	s_mov_b32 s20, -1
                                        ; implicit-def: $sgpr10_sgpr11
.LBB132_238:                            ;   in Loop: Header=BB132_6 Depth=1
	s_delay_alu instid0(SALU_CYCLE_1)
	s_and_not1_b32 vcc_lo, exec_lo, s20
	s_cbranch_vccnz .LBB132_240
; %bb.239:                              ;   in Loop: Header=BB132_6 Depth=1
	v_cvt_f32_u32_e32 v6, s34
	s_sub_co_i32 s10, 0, s34
	s_delay_alu instid0(VALU_DEP_1) | instskip(SKIP_1) | instid1(TRANS32_DEP_1)
	v_rcp_iflag_f32_e32 v6, v6
	v_nop
	v_mul_f32_e32 v6, 0x4f7ffffe, v6
	s_delay_alu instid0(VALU_DEP_1) | instskip(NEXT) | instid1(VALU_DEP_1)
	v_cvt_u32_f32_e32 v6, v6
	v_readfirstlane_b32 s8, v6
	s_mul_i32 s10, s10, s8
	s_delay_alu instid0(SALU_CYCLE_1) | instskip(NEXT) | instid1(SALU_CYCLE_1)
	s_mul_hi_u32 s10, s8, s10
	s_add_co_i32 s8, s8, s10
	s_delay_alu instid0(SALU_CYCLE_1) | instskip(NEXT) | instid1(SALU_CYCLE_1)
	s_mul_hi_u32 s8, s56, s8
	s_mul_i32 s8, s8, s34
	s_delay_alu instid0(SALU_CYCLE_1) | instskip(NEXT) | instid1(SALU_CYCLE_1)
	s_sub_co_i32 s8, s56, s8
	s_sub_co_i32 s10, s8, s34
	s_cmp_ge_u32 s8, s34
	s_cselect_b32 s8, s10, s8
	s_delay_alu instid0(SALU_CYCLE_1) | instskip(SKIP_2) | instid1(SALU_CYCLE_1)
	s_sub_co_i32 s10, s8, s34
	s_cmp_ge_u32 s8, s34
	s_cselect_b32 s28, s10, s8
	s_mov_b64 s[10:11], s[28:29]
.LBB132_240:                            ;   in Loop: Header=BB132_6 Depth=1
	s_delay_alu instid0(SALU_CYCLE_1)
	s_sub_nc_u64 s[10:11], s[56:57], s[10:11]
	s_mov_b32 s20, exec_lo
                                        ; implicit-def: $vgpr8
	v_cmpx_gt_u64_e64 s[10:11], v[0:1]
	s_cbranch_execz .LBB132_249
; %bb.241:                              ;   in Loop: Header=BB132_6 Depth=1
	v_mov_b64_e32 v[6:7], v[14:15]
	v_mov_b64_e32 v[8:9], v[0:1]
	s_mov_b32 s21, 0
                                        ; implicit-def: $sgpr23
	s_branch .LBB132_244
.LBB132_242:                            ;   in Loop: Header=BB132_244 Depth=2
	s_or_b32 exec_lo, exec_lo, s28
	s_wait_dscnt 0x0
	s_barrier_signal -1
	s_barrier_wait -1
	ds_load_u16 v32, v3 offset:3072
	s_mov_b32 s28, -1
	s_mov_b32 s46, -1
	s_wait_dscnt 0x0
	s_barrier_signal -1
	s_barrier_wait -1
	v_and_b32_e32 v33, 0xff, v32
	s_delay_alu instid0(VALU_DEP_1)
	v_cmp_eq_u32_e32 vcc_lo, 0, v33
	s_cbranch_vccnz .LBB132_247
.LBB132_243:                            ;   in Loop: Header=BB132_244 Depth=2
	s_and_b32 s8, exec_lo, s28
	s_delay_alu instid0(SALU_CYCLE_1) | instskip(SKIP_2) | instid1(SALU_CYCLE_1)
	s_or_b32 s21, s8, s21
	s_and_not1_b32 s8, s23, exec_lo
	s_and_b32 s23, s46, exec_lo
	s_or_b32 s23, s8, s23
	s_and_not1_b32 exec_lo, exec_lo, s21
	s_cbranch_execz .LBB132_248
.LBB132_244:                            ;   Parent Loop BB132_6 Depth=1
                                        ; =>  This Inner Loop Header: Depth=2
	s_mov_b32 s28, exec_lo
	s_delay_alu instid0(VALU_DEP_1)
	v_cmpx_gt_u64_e64 s[36:37], v[8:9]
	s_cbranch_execz .LBB132_242
; %bb.245:                              ;   in Loop: Header=BB132_244 Depth=2
	global_load_u8 v32, v[6:7], off
	s_wait_loadcnt 0x0
	v_bfe_i32 v33, v32, 0, 8
	s_delay_alu instid0(VALU_DEP_1) | instskip(NEXT) | instid1(VALU_DEP_1)
	v_add_nc_u32_e32 v33, 0x80, v33
	v_and_b32_e32 v33, v33, v11
	s_delay_alu instid0(VALU_DEP_1)
	v_cmp_eq_u32_e32 vcc_lo, v33, v10
	s_and_b32 exec_lo, exec_lo, vcc_lo
	s_cbranch_execz .LBB132_242
; %bb.246:                              ;   in Loop: Header=BB132_244 Depth=2
	v_lshlrev_b16 v32, 8, v32
	s_delay_alu instid0(VALU_DEP_1)
	v_or_b32_e32 v32, 1, v32
	ds_store_b16 v3, v32 offset:3072
	s_branch .LBB132_242
.LBB132_247:                            ;   in Loop: Header=BB132_244 Depth=2
	v_add_nc_u64_e32 v[8:9], s[34:35], v[8:9]
	v_add_nc_u64_e32 v[6:7], s[40:41], v[6:7]
	s_mov_b32 s46, 0
	s_delay_alu instid0(VALU_DEP_2)
	v_cmp_le_u64_e32 vcc_lo, s[10:11], v[8:9]
	s_or_not1_b32 s28, vcc_lo, exec_lo
	s_branch .LBB132_243
.LBB132_248:                            ;   in Loop: Header=BB132_6 Depth=1
	s_or_b32 exec_lo, exec_lo, s21
	v_and_b32_e32 v6, 0xffff, v32
	s_and_not1_b32 s8, s22, exec_lo
	s_and_b32 s10, s23, exec_lo
	s_delay_alu instid0(SALU_CYCLE_1) | instskip(NEXT) | instid1(VALU_DEP_1)
	s_or_b32 s22, s8, s10
	v_lshrrev_b32_e32 v8, 8, v6
.LBB132_249:                            ;   in Loop: Header=BB132_6 Depth=1
	s_or_b32 exec_lo, exec_lo, s20
	s_mov_b32 vcc_hi, 0
	s_mov_b32 s46, -1
.LBB132_250:                            ;   in Loop: Header=BB132_6 Depth=1
	s_or_not1_b32 s11, s22, exec_lo
.LBB132_251:                            ;   in Loop: Header=BB132_6 Depth=1
	s_or_b32 exec_lo, exec_lo, s77
	s_mov_b32 s20, 0
	s_and_saveexec_b32 s10, s11
	s_cbranch_execz .LBB132_262
; %bb.252:                              ;   in Loop: Header=BB132_6 Depth=1
	v_mov_b64_e32 v[6:7], 1
	v_mov_b32_e32 v2, 1
	s_xor_b32 s8, s76, -1
	s_delay_alu instid0(SALU_CYCLE_1)
	s_and_saveexec_b32 s11, s8
	s_cbranch_execz .LBB132_261
; %bb.253:                              ;   in Loop: Header=BB132_6 Depth=1
	s_mov_b32 s8, exec_lo
	v_cmpx_ge_u64_e64 s[18:19], v[4:5]
	s_xor_b32 s20, exec_lo, s8
	s_cbranch_execz .LBB132_258
; %bb.254:                              ;   in Loop: Header=BB132_6 Depth=1
	ds_load_b64 v[6:7], v3 offset:5120
	v_or_b32_e32 v10, s24, v10
	v_or_b32_e32 v11, s24, v11
	s_wait_dscnt 0x0
	v_cmp_ne_u64_e32 vcc_lo, 0, v[6:7]
	s_cbranch_vccnz .LBB132_258
; %bb.255:                              ;   in Loop: Header=BB132_6 Depth=1
	s_and_saveexec_b32 s21, s5
; %bb.256:                              ;   in Loop: Header=BB132_6 Depth=1
	v_mov_b64_e32 v[6:7], s[18:19]
	ds_store_b64 v3, v[6:7] offset:5128
; %bb.257:                              ;   in Loop: Header=BB132_6 Depth=1
	s_or_b32 exec_lo, exec_lo, s21
	s_wait_dscnt 0x0
	s_barrier_signal -1
	s_barrier_wait -1
.LBB132_258:                            ;   in Loop: Header=BB132_6 Depth=1
	s_and_not1_saveexec_b32 s20, s20
; %bb.259:                              ;   in Loop: Header=BB132_6 Depth=1
	v_sub_nc_u64_e64 v[4:5], v[4:5], s[18:19]
; %bb.260:                              ;   in Loop: Header=BB132_6 Depth=1
	s_or_b32 exec_lo, exec_lo, s20
	s_delay_alu instid0(VALU_DEP_1)
	v_mov_b64_e32 v[6:7], v[4:5]
	v_mov_b32_e32 v2, 8
.LBB132_261:                            ;   in Loop: Header=BB132_6 Depth=1
	s_or_b32 exec_lo, exec_lo, s11
	s_delay_alu instid0(VALU_DEP_2)
	v_mov_b64_e32 v[4:5], v[6:7]
	s_mov_b32 s20, exec_lo
.LBB132_262:                            ;   in Loop: Header=BB132_6 Depth=1
	s_or_b32 exec_lo, exec_lo, s10
	s_delay_alu instid0(SALU_CYCLE_1)
	s_or_not1_b32 s10, s20, exec_lo
.LBB132_263:                            ;   in Loop: Header=BB132_6 Depth=1
	s_or_b32 exec_lo, exec_lo, s75
	s_delay_alu instid0(VALU_DEP_1)
	v_mov_b64_e32 v[6:7], v[4:5]
	s_and_not1_b32 s11, s73, exec_lo
	s_and_b32 s20, s46, exec_lo
	s_and_not1_b32 s21, s72, exec_lo
	s_and_b32 s22, vcc_hi, exec_lo
	s_or_b32 s73, s11, s20
	s_or_b32 s72, s21, s22
	s_and_b32 s11, s10, exec_lo
.LBB132_264:                            ;   in Loop: Header=BB132_6 Depth=1
	s_or_b32 exec_lo, exec_lo, s74
	s_delay_alu instid0(SALU_CYCLE_1)
	s_or_not1_b32 s10, s11, exec_lo
.LBB132_265:                            ;   in Loop: Header=BB132_6 Depth=1
	s_or_b32 exec_lo, exec_lo, s71
	v_mov_b64_e32 v[4:5], v[6:7]
	s_and_not1_b32 s11, s69, exec_lo
	s_and_b32 s20, s73, exec_lo
	s_and_not1_b32 s21, s64, exec_lo
	s_and_b32 s22, s72, exec_lo
	s_or_b32 s69, s11, s20
	s_or_b32 s64, s21, s22
	s_and_b32 s11, s10, exec_lo
.LBB132_266:                            ;   in Loop: Header=BB132_6 Depth=1
	s_or_b32 exec_lo, exec_lo, s70
	s_delay_alu instid0(SALU_CYCLE_1)
	s_or_not1_b32 s10, s11, exec_lo
.LBB132_267:                            ;   in Loop: Header=BB132_6 Depth=1
	s_or_b32 exec_lo, exec_lo, s27
	s_mov_b32 s11, 0
	s_mov_b32 s20, 0
	s_and_saveexec_b32 s21, s10
	s_delay_alu instid0(SALU_CYCLE_1)
	s_xor_b32 s21, exec_lo, s21
; %bb.268:                              ;   in Loop: Header=BB132_6 Depth=1
	v_cmp_ne_u32_e32 vcc_lo, 8, v2
	v_cmp_eq_u32_e64 s10, 8, v2
	s_and_b32 s20, vcc_lo, exec_lo
	s_and_b32 s11, s10, exec_lo
; %bb.269:                              ;   in Loop: Header=BB132_6 Depth=1
	s_or_b32 exec_lo, exec_lo, s21
	s_delay_alu instid0(SALU_CYCLE_1)
	s_and_not1_b32 s10, s66, exec_lo
	s_and_b32 s21, s69, exec_lo
	s_and_not1_b32 s22, s65, exec_lo
	s_and_b32 s23, s64, exec_lo
	s_or_b32 s66, s10, s21
	s_or_b32 s65, s22, s23
	s_and_b32 s27, s20, exec_lo
	s_and_b32 s64, s11, exec_lo
.LBB132_270:                            ;   in Loop: Header=BB132_6 Depth=1
	s_or_b32 exec_lo, exec_lo, s68
.LBB132_271:                            ;   in Loop: Header=BB132_6 Depth=1
	s_delay_alu instid0(SALU_CYCLE_1)
	s_and_b32 vcc_lo, exec_lo, s67
	s_cbranch_vccz .LBB132_287
; %bb.272:                              ;   in Loop: Header=BB132_6 Depth=1
	s_cmp_eq_u64 s[18:19], 1
                                        ; implicit-def: $sgpr67
                                        ; implicit-def: $sgpr26
	s_cselect_b32 s10, -1, 0
	s_delay_alu instid0(SALU_CYCLE_1)
	s_and_b32 s9, s10, s9
	s_mov_b32 s10, -1
	s_and_saveexec_b32 s65, s9
	s_cbranch_execz .LBB132_305
; %bb.273:                              ;   in Loop: Header=BB132_6 Depth=1
	ds_load_b64 v[4:5], v3 offset:5120
	s_wait_dscnt 0x0
	s_barrier_signal -1
	s_barrier_wait -1
	v_readfirstlane_b32 s10, v4
	v_readfirstlane_b32 s11, v5
	s_and_saveexec_b32 s20, s6
; %bb.274:                              ;   in Loop: Header=BB132_6 Depth=1
	ds_store_b8 v0, v3 offset:3072
; %bb.275:                              ;   in Loop: Header=BB132_6 Depth=1
	s_or_b32 exec_lo, exec_lo, s20
	v_or_b32_e32 v39, s24, v39
	v_or_b32_e32 v41, s24, v41
	s_mov_b32 s26, -1
	s_mov_b32 s67, 0
	s_cmp_eq_u64 s[10:11], 0
	s_mov_b32 s22, 0
	s_mov_b32 s23, -1
	s_wait_dscnt 0x0
	s_barrier_signal -1
	s_barrier_wait -1
                                        ; implicit-def: $vgpr42
	s_cbranch_scc1 .LBB132_290
; %bb.276:                              ;   in Loop: Header=BB132_6 Depth=1
	s_add_nc_u64 s[20:21], s[10:11], s[54:55]
	s_delay_alu instid0(SALU_CYCLE_1) | instskip(NEXT) | instid1(SALU_CYCLE_1)
	s_and_b64 s[22:23], s[20:21], 0xffffffff00000000
	s_cmp_lg_u64 s[22:23], 0
	s_cbranch_scc0 .LBB132_331
; %bb.277:                              ;   in Loop: Header=BB132_6 Depth=1
	s_cvt_f32_u32 s22, s34
	s_sub_nc_u64 s[46:47], 0, s[34:35]
	s_delay_alu instid0(SALU_CYCLE_2) | instskip(NEXT) | instid1(SALU_CYCLE_3)
	s_fmamk_f32 s22, s92, 0x0, s22
	v_s_rcp_f32 s22, s22
	s_delay_alu instid0(TRANS32_DEP_1) | instskip(NEXT) | instid1(SALU_CYCLE_3)
	s_mul_f32 s22, s22, 0x5f7ffffc
	s_mul_f32 s23, s22, 0x2f800000
	s_delay_alu instid0(SALU_CYCLE_3) | instskip(NEXT) | instid1(SALU_CYCLE_3)
	s_trunc_f32 s23, s23
	s_fmamk_f32 s22, s23, 0xcf800000, s22
	s_cvt_u32_f32 s23, s23
	s_delay_alu instid0(SALU_CYCLE_2) | instskip(NEXT) | instid1(SALU_CYCLE_3)
	s_cvt_u32_f32 s22, s22
	s_mul_u64 s[48:49], s[46:47], s[22:23]
	s_delay_alu instid0(SALU_CYCLE_1)
	s_mul_hi_u32 s69, s22, s49
	s_mul_i32 s68, s22, s49
	s_mul_hi_u32 s28, s22, s48
	s_mul_i32 s51, s23, s48
	s_add_nc_u64 s[68:69], s[28:29], s[68:69]
	s_mul_hi_u32 s50, s23, s48
	s_mul_hi_u32 s52, s23, s49
	s_add_co_u32 s28, s68, s51
	s_add_co_ci_u32 s28, s69, s50
	s_mul_i32 s48, s23, s49
	s_add_co_ci_u32 s49, s52, 0
	s_delay_alu instid0(SALU_CYCLE_1) | instskip(NEXT) | instid1(SALU_CYCLE_1)
	s_add_nc_u64 s[48:49], s[28:29], s[48:49]
	s_add_co_u32 s22, s22, s48
	s_cselect_b32 s28, -1, 0
	s_delay_alu instid0(SALU_CYCLE_1) | instskip(SKIP_1) | instid1(SALU_CYCLE_1)
	s_cmp_lg_u32 s28, 0
	s_add_co_ci_u32 s23, s23, s49
	s_mul_u64 s[46:47], s[46:47], s[22:23]
	s_delay_alu instid0(SALU_CYCLE_1)
	s_mul_hi_u32 s49, s22, s47
	s_mul_i32 s48, s22, s47
	s_mul_hi_u32 s28, s22, s46
	s_mul_i32 s51, s23, s46
	s_add_nc_u64 s[48:49], s[28:29], s[48:49]
	s_mul_hi_u32 s50, s23, s46
	s_mul_hi_u32 s52, s23, s47
	s_add_co_u32 s28, s48, s51
	s_add_co_ci_u32 s28, s49, s50
	s_mul_i32 s46, s23, s47
	s_add_co_ci_u32 s47, s52, 0
	s_delay_alu instid0(SALU_CYCLE_1) | instskip(NEXT) | instid1(SALU_CYCLE_1)
	s_add_nc_u64 s[46:47], s[28:29], s[46:47]
	s_add_co_u32 s22, s22, s46
	s_cselect_b32 s46, -1, 0
	s_mul_hi_u32 s28, s20, s22
	s_cmp_lg_u32 s46, 0
	s_mul_hi_u32 s48, s21, s22
	s_add_co_ci_u32 s46, s23, s47
	s_mul_i32 s47, s21, s22
	s_mul_hi_u32 s23, s20, s46
	s_mul_i32 s22, s20, s46
	s_mul_hi_u32 s49, s21, s46
	s_add_nc_u64 s[22:23], s[28:29], s[22:23]
	s_mul_i32 s46, s21, s46
	s_add_co_u32 s22, s22, s47
	s_add_co_ci_u32 s28, s23, s48
	s_add_co_ci_u32 s47, s49, 0
	s_delay_alu instid0(SALU_CYCLE_1) | instskip(NEXT) | instid1(SALU_CYCLE_1)
	s_add_nc_u64 s[22:23], s[28:29], s[46:47]
	s_and_b64 s[46:47], s[22:23], 0xffffffff00000000
	s_delay_alu instid0(SALU_CYCLE_1) | instskip(NEXT) | instid1(SALU_CYCLE_1)
	s_or_b32 s46, s46, s22
	s_mul_u64 s[22:23], s[34:35], s[46:47]
	s_delay_alu instid0(SALU_CYCLE_1) | instskip(SKIP_1) | instid1(SALU_CYCLE_1)
	s_sub_co_u32 s22, s20, s22
	s_cselect_b32 s28, -1, 0
	s_cmp_lg_u32 s28, 0
	s_sub_co_ci_u32 s23, s21, s23
	s_sub_co_u32 s28, s22, s34
	s_cselect_b32 s46, -1, 0
	s_delay_alu instid0(SALU_CYCLE_1) | instskip(SKIP_3) | instid1(SALU_CYCLE_1)
	s_cmp_lg_u32 s46, 0
	s_sub_co_ci_u32 s46, s23, 0
	s_sub_co_u32 s47, s28, s34
	s_cselect_b32 s48, -1, 0
	s_cmp_lg_u32 s48, 0
	s_sub_co_ci_u32 s48, s46, 0
	s_cmp_ge_u32 s28, s34
	s_cselect_b32 s49, -1, 0
	s_cmp_eq_u32 s46, 0
	s_cselect_b32 s49, s49, -1
	s_delay_alu instid0(SALU_CYCLE_1)
	s_cmp_lg_u32 s49, 0
	s_cselect_b32 s46, s48, s46
	s_cselect_b32 s28, s47, s28
	s_cmp_ge_u32 s22, s34
	s_cselect_b32 s47, -1, 0
	s_cmp_eq_u32 s23, 0
	s_cselect_b32 s47, s47, -1
	s_delay_alu instid0(SALU_CYCLE_1)
	s_cmp_lg_u32 s47, 0
	s_cselect_b32 s23, s46, s23
	s_cselect_b32 s22, s28, s22
	s_cbranch_execnz .LBB132_279
.LBB132_278:                            ;   in Loop: Header=BB132_6 Depth=1
	v_cvt_f32_u32_e32 v2, s34
	s_sub_co_i32 s23, 0, s34
	s_delay_alu instid0(VALU_DEP_1) | instskip(SKIP_1) | instid1(TRANS32_DEP_1)
	v_rcp_iflag_f32_e32 v2, v2
	v_nop
	v_mul_f32_e32 v2, 0x4f7ffffe, v2
	s_delay_alu instid0(VALU_DEP_1) | instskip(NEXT) | instid1(VALU_DEP_1)
	v_cvt_u32_f32_e32 v2, v2
	v_readfirstlane_b32 s22, v2
	s_mul_i32 s23, s23, s22
	s_delay_alu instid0(SALU_CYCLE_1) | instskip(NEXT) | instid1(SALU_CYCLE_1)
	s_mul_hi_u32 s23, s22, s23
	s_add_co_i32 s22, s22, s23
	s_delay_alu instid0(SALU_CYCLE_1) | instskip(NEXT) | instid1(SALU_CYCLE_1)
	s_mul_hi_u32 s22, s20, s22
	s_mul_i32 s22, s22, s34
	s_delay_alu instid0(SALU_CYCLE_1) | instskip(NEXT) | instid1(SALU_CYCLE_1)
	s_sub_co_i32 s22, s20, s22
	s_sub_co_i32 s23, s22, s34
	s_cmp_ge_u32 s22, s34
	s_cselect_b32 s22, s23, s22
	s_delay_alu instid0(SALU_CYCLE_1) | instskip(SKIP_2) | instid1(SALU_CYCLE_1)
	s_sub_co_i32 s23, s22, s34
	s_cmp_ge_u32 s22, s34
	s_cselect_b32 s28, s23, s22
	s_mov_b64 s[22:23], s[28:29]
.LBB132_279:                            ;   in Loop: Header=BB132_6 Depth=1
	s_delay_alu instid0(SALU_CYCLE_1)
	s_sub_nc_u64 s[20:21], s[20:21], s[22:23]
	s_mov_b32 s23, 0
	s_mov_b32 s22, 0
	s_mov_b32 s28, exec_lo
                                        ; implicit-def: $vgpr42
	v_cmpx_gt_u64_e64 s[20:21], v[0:1]
	s_cbranch_execz .LBB132_289
; %bb.280:                              ;   in Loop: Header=BB132_6 Depth=1
	v_mov_b64_e32 v[4:5], v[0:1]
	v_mov_b32_e32 v2, v0
                                        ; implicit-def: $sgpr46
	s_branch .LBB132_283
.LBB132_281:                            ;   in Loop: Header=BB132_283 Depth=2
	s_or_b32 exec_lo, exec_lo, s47
	s_wait_dscnt 0x0
	s_barrier_signal -1
	s_barrier_wait -1
	ds_load_u16 v6, v3 offset:3072
	s_mov_b32 s47, -1
	s_mov_b32 s48, -1
	s_wait_dscnt 0x0
	s_barrier_signal -1
	s_barrier_wait -1
	v_and_b32_e32 v7, 0xff, v6
	s_delay_alu instid0(VALU_DEP_1)
	v_cmp_ne_u32_e32 vcc_lo, 0, v7
	s_cbranch_vccz .LBB132_286
.LBB132_282:                            ;   in Loop: Header=BB132_283 Depth=2
	s_and_b32 s8, exec_lo, s47
	s_delay_alu instid0(SALU_CYCLE_1) | instskip(SKIP_2) | instid1(SALU_CYCLE_1)
	s_or_b32 s22, s8, s22
	s_and_not1_b32 s8, s46, exec_lo
	s_and_b32 s46, s48, exec_lo
	s_or_b32 s46, s8, s46
	s_and_not1_b32 exec_lo, exec_lo, s22
	s_cbranch_execz .LBB132_288
.LBB132_283:                            ;   Parent Loop BB132_6 Depth=1
                                        ; =>  This Inner Loop Header: Depth=2
	s_mov_b32 s47, exec_lo
	s_delay_alu instid0(VALU_DEP_2)
	v_cmpx_gt_u64_e64 s[10:11], v[4:5]
	s_cbranch_execz .LBB132_281
; %bb.284:                              ;   in Loop: Header=BB132_283 Depth=2
	ds_load_u8 v6, v2
	s_wait_dscnt 0x0
	v_bfe_i32 v7, v6, 0, 8
	s_delay_alu instid0(VALU_DEP_1) | instskip(NEXT) | instid1(VALU_DEP_1)
	v_add_nc_u32_e32 v7, 0x80, v7
	v_and_b32_e32 v7, v7, v41
	s_delay_alu instid0(VALU_DEP_1)
	v_cmp_eq_u32_e32 vcc_lo, v7, v39
	s_and_b32 exec_lo, exec_lo, vcc_lo
	s_cbranch_execz .LBB132_281
; %bb.285:                              ;   in Loop: Header=BB132_283 Depth=2
	v_lshlrev_b16 v6, 8, v6
	s_delay_alu instid0(VALU_DEP_1)
	v_or_b32_e32 v6, 1, v6
	ds_store_b16 v3, v6 offset:3072
	s_branch .LBB132_281
.LBB132_286:                            ;   in Loop: Header=BB132_283 Depth=2
	v_add_nc_u64_e32 v[4:5], s[34:35], v[4:5]
	v_add_nc_u32_e32 v2, s34, v2
	s_mov_b32 s48, 0
	s_delay_alu instid0(VALU_DEP_2)
	v_cmp_le_u64_e32 vcc_lo, s[20:21], v[4:5]
	s_or_not1_b32 s47, vcc_lo, exec_lo
	s_branch .LBB132_282
.LBB132_287:                            ;   in Loop: Header=BB132_6 Depth=1
	v_dual_mov_b32 v39, v10 :: v_dual_mov_b32 v41, v11
	v_mov_b32_e32 v42, v8
	s_mov_b32 s67, 0
	s_and_saveexec_b32 s9, s64
	s_cbranch_execnz .LBB132_464
	s_branch .LBB132_465
.LBB132_288:                            ;   in Loop: Header=BB132_6 Depth=1
	s_or_b32 exec_lo, exec_lo, s22
	v_and_b32_e32 v2, 0xffff, v6
	s_and_b32 s22, s46, exec_lo
	s_delay_alu instid0(VALU_DEP_1)
	v_lshrrev_b32_e32 v42, 8, v2
.LBB132_289:                            ;   in Loop: Header=BB132_6 Depth=1
	s_or_b32 exec_lo, exec_lo, s28
.LBB132_290:                            ;   in Loop: Header=BB132_6 Depth=1
	s_delay_alu instid0(SALU_CYCLE_1)
	s_and_b32 vcc_lo, exec_lo, s23
	s_cbranch_vccz .LBB132_304
; %bb.291:                              ;   in Loop: Header=BB132_6 Depth=1
	s_and_b64 s[10:11], s[56:57], 0xffffffff00000000
	s_delay_alu instid0(SALU_CYCLE_1)
	s_cmp_lg_u64 s[10:11], 0
	s_cbranch_scc0 .LBB132_332
; %bb.292:                              ;   in Loop: Header=BB132_6 Depth=1
	s_cvt_f32_u32 s10, s34
	s_sub_nc_u64 s[20:21], 0, s[34:35]
	s_delay_alu instid0(SALU_CYCLE_2) | instskip(NEXT) | instid1(SALU_CYCLE_3)
	s_fmamk_f32 s10, s92, 0x0, s10
	v_s_rcp_f32 s10, s10
	s_delay_alu instid0(TRANS32_DEP_1) | instskip(NEXT) | instid1(SALU_CYCLE_3)
	s_mul_f32 s10, s10, 0x5f7ffffc
	s_mul_f32 s11, s10, 0x2f800000
	s_delay_alu instid0(SALU_CYCLE_3) | instskip(NEXT) | instid1(SALU_CYCLE_3)
	s_trunc_f32 s11, s11
	s_fmamk_f32 s10, s11, 0xcf800000, s10
	s_cvt_u32_f32 s11, s11
	s_delay_alu instid0(SALU_CYCLE_2) | instskip(NEXT) | instid1(SALU_CYCLE_3)
	s_cvt_u32_f32 s10, s10
	s_mul_u64 s[46:47], s[20:21], s[10:11]
	s_delay_alu instid0(SALU_CYCLE_1)
	s_mul_hi_u32 s49, s10, s47
	s_mul_i32 s48, s10, s47
	s_mul_hi_u32 s28, s10, s46
	s_mul_i32 s26, s11, s46
	s_add_nc_u64 s[48:49], s[28:29], s[48:49]
	s_mul_hi_u32 s23, s11, s46
	s_mul_hi_u32 s50, s11, s47
	s_add_co_u32 s26, s48, s26
	s_add_co_ci_u32 s28, s49, s23
	s_mul_i32 s46, s11, s47
	s_add_co_ci_u32 s47, s50, 0
	s_delay_alu instid0(SALU_CYCLE_1) | instskip(NEXT) | instid1(SALU_CYCLE_1)
	s_add_nc_u64 s[46:47], s[28:29], s[46:47]
	s_add_co_u32 s10, s10, s46
	s_cselect_b32 s23, -1, 0
	s_delay_alu instid0(SALU_CYCLE_1) | instskip(SKIP_1) | instid1(SALU_CYCLE_1)
	s_cmp_lg_u32 s23, 0
	s_add_co_ci_u32 s11, s11, s47
	s_mul_u64 s[20:21], s[20:21], s[10:11]
	s_delay_alu instid0(SALU_CYCLE_1)
	s_mul_hi_u32 s47, s10, s21
	s_mul_i32 s46, s10, s21
	s_mul_hi_u32 s28, s10, s20
	s_mul_i32 s26, s11, s20
	s_add_nc_u64 s[46:47], s[28:29], s[46:47]
	s_mul_hi_u32 s23, s11, s20
	s_mul_hi_u32 s48, s11, s21
	s_mul_i32 s20, s11, s21
	s_add_co_u32 s21, s46, s26
	s_add_co_ci_u32 s28, s47, s23
	s_add_co_ci_u32 s21, s48, 0
	s_delay_alu instid0(SALU_CYCLE_1) | instskip(NEXT) | instid1(SALU_CYCLE_1)
	s_add_nc_u64 s[20:21], s[28:29], s[20:21]
	s_add_co_u32 s10, s10, s20
	s_cselect_b32 s20, -1, 0
	s_mul_hi_u32 s28, s56, s10
	s_cmp_lg_u32 s20, 0
	s_mul_hi_u32 s23, s57, s10
	s_add_co_ci_u32 s20, s11, s21
	s_mul_i32 s21, s57, s10
	s_mul_hi_u32 s11, s56, s20
	s_mul_i32 s10, s56, s20
	s_mul_hi_u32 s26, s57, s20
	s_add_nc_u64 s[10:11], s[28:29], s[10:11]
	s_mul_i32 s20, s57, s20
	s_add_co_u32 s10, s10, s21
	s_add_co_ci_u32 s28, s11, s23
	s_add_co_ci_u32 s21, s26, 0
	s_delay_alu instid0(SALU_CYCLE_1) | instskip(NEXT) | instid1(SALU_CYCLE_1)
	s_add_nc_u64 s[10:11], s[28:29], s[20:21]
	s_and_b64 s[20:21], s[10:11], 0xffffffff00000000
	s_delay_alu instid0(SALU_CYCLE_1) | instskip(NEXT) | instid1(SALU_CYCLE_1)
	s_or_b32 s20, s20, s10
	s_mul_u64 s[10:11], s[34:35], s[20:21]
	s_delay_alu instid0(SALU_CYCLE_1) | instskip(SKIP_1) | instid1(SALU_CYCLE_1)
	s_sub_co_u32 s10, s56, s10
	s_cselect_b32 s20, -1, 0
	s_cmp_lg_u32 s20, 0
	s_sub_co_ci_u32 s11, s57, s11
	s_sub_co_u32 s20, s10, s34
	s_cselect_b32 s21, -1, 0
	s_delay_alu instid0(SALU_CYCLE_1) | instskip(SKIP_3) | instid1(SALU_CYCLE_1)
	s_cmp_lg_u32 s21, 0
	s_sub_co_ci_u32 s21, s11, 0
	s_sub_co_u32 s23, s20, s34
	s_cselect_b32 s26, -1, 0
	s_cmp_lg_u32 s26, 0
	s_sub_co_ci_u32 s26, s21, 0
	s_cmp_ge_u32 s20, s34
	s_cselect_b32 s28, -1, 0
	s_cmp_eq_u32 s21, 0
	s_cselect_b32 s28, s28, -1
	s_delay_alu instid0(SALU_CYCLE_1)
	s_cmp_lg_u32 s28, 0
	s_cselect_b32 s21, s26, s21
	s_cselect_b32 s20, s23, s20
	s_cmp_ge_u32 s10, s34
	s_cselect_b32 s23, -1, 0
	s_cmp_eq_u32 s11, 0
	s_cselect_b32 s23, s23, -1
	s_delay_alu instid0(SALU_CYCLE_1)
	s_cmp_lg_u32 s23, 0
	s_cselect_b32 s11, s21, s11
	s_cselect_b32 s10, s20, s10
	s_cbranch_execnz .LBB132_294
.LBB132_293:                            ;   in Loop: Header=BB132_6 Depth=1
	v_cvt_f32_u32_e32 v2, s34
	s_sub_co_i32 s11, 0, s34
	s_delay_alu instid0(VALU_DEP_1) | instskip(SKIP_1) | instid1(TRANS32_DEP_1)
	v_rcp_iflag_f32_e32 v2, v2
	v_nop
	v_mul_f32_e32 v2, 0x4f7ffffe, v2
	s_delay_alu instid0(VALU_DEP_1) | instskip(NEXT) | instid1(VALU_DEP_1)
	v_cvt_u32_f32_e32 v2, v2
	v_readfirstlane_b32 s10, v2
	s_mul_i32 s11, s11, s10
	s_delay_alu instid0(SALU_CYCLE_1) | instskip(NEXT) | instid1(SALU_CYCLE_1)
	s_mul_hi_u32 s11, s10, s11
	s_add_co_i32 s10, s10, s11
	s_delay_alu instid0(SALU_CYCLE_1) | instskip(NEXT) | instid1(SALU_CYCLE_1)
	s_mul_hi_u32 s10, s56, s10
	s_mul_i32 s10, s10, s34
	s_delay_alu instid0(SALU_CYCLE_1) | instskip(NEXT) | instid1(SALU_CYCLE_1)
	s_sub_co_i32 s10, s56, s10
	s_sub_co_i32 s11, s10, s34
	s_cmp_ge_u32 s10, s34
	s_cselect_b32 s10, s11, s10
	s_delay_alu instid0(SALU_CYCLE_1) | instskip(SKIP_2) | instid1(SALU_CYCLE_1)
	s_sub_co_i32 s11, s10, s34
	s_cmp_ge_u32 s10, s34
	s_cselect_b32 s28, s11, s10
	s_mov_b64 s[10:11], s[28:29]
.LBB132_294:                            ;   in Loop: Header=BB132_6 Depth=1
	s_delay_alu instid0(SALU_CYCLE_1)
	s_sub_nc_u64 s[10:11], s[56:57], s[10:11]
	s_mov_b32 s20, exec_lo
                                        ; implicit-def: $vgpr42
	v_nop
	v_cmpx_gt_u64_e64 s[10:11], v[0:1]
	s_cbranch_execz .LBB132_303
; %bb.295:                              ;   in Loop: Header=BB132_6 Depth=1
	v_mov_b64_e32 v[4:5], v[14:15]
	v_mov_b64_e32 v[6:7], v[0:1]
	s_mov_b32 s23, 0
                                        ; implicit-def: $sgpr21
	s_branch .LBB132_298
.LBB132_296:                            ;   in Loop: Header=BB132_298 Depth=2
	s_or_b32 exec_lo, exec_lo, s26
	s_wait_dscnt 0x0
	s_barrier_signal -1
	s_barrier_wait -1
	ds_load_u16 v2, v3 offset:3072
	s_mov_b32 s26, -1
	s_mov_b32 s28, -1
	s_wait_dscnt 0x0
	s_barrier_signal -1
	s_barrier_wait -1
	v_and_b32_e32 v8, 0xff, v2
	s_delay_alu instid0(VALU_DEP_1)
	v_cmp_ne_u32_e32 vcc_lo, 0, v8
	s_cbranch_vccz .LBB132_301
.LBB132_297:                            ;   in Loop: Header=BB132_298 Depth=2
	s_and_b32 s8, exec_lo, s26
	s_delay_alu instid0(SALU_CYCLE_1) | instskip(SKIP_2) | instid1(SALU_CYCLE_1)
	s_or_b32 s23, s8, s23
	s_and_not1_b32 s8, s21, exec_lo
	s_and_b32 s21, s28, exec_lo
	s_or_b32 s21, s8, s21
	s_and_not1_b32 exec_lo, exec_lo, s23
	s_cbranch_execz .LBB132_302
.LBB132_298:                            ;   Parent Loop BB132_6 Depth=1
                                        ; =>  This Inner Loop Header: Depth=2
	s_mov_b32 s26, exec_lo
	s_delay_alu instid0(VALU_DEP_1)
	v_cmpx_gt_u64_e64 s[36:37], v[6:7]
	s_cbranch_execz .LBB132_296
; %bb.299:                              ;   in Loop: Header=BB132_298 Depth=2
	global_load_u8 v2, v[4:5], off
	s_wait_loadcnt 0x0
	v_bfe_i32 v8, v2, 0, 8
	s_delay_alu instid0(VALU_DEP_1) | instskip(NEXT) | instid1(VALU_DEP_1)
	v_add_nc_u32_e32 v8, 0x80, v8
	v_and_b32_e32 v8, v8, v41
	s_delay_alu instid0(VALU_DEP_1)
	v_cmp_eq_u32_e32 vcc_lo, v8, v39
	s_and_b32 exec_lo, exec_lo, vcc_lo
	s_cbranch_execz .LBB132_296
; %bb.300:                              ;   in Loop: Header=BB132_298 Depth=2
	v_lshlrev_b16 v2, 8, v2
	s_delay_alu instid0(VALU_DEP_1)
	v_or_b32_e32 v2, 1, v2
	ds_store_b16 v3, v2 offset:3072
	s_branch .LBB132_296
.LBB132_301:                            ;   in Loop: Header=BB132_298 Depth=2
	v_add_nc_u64_e32 v[6:7], s[34:35], v[6:7]
	v_add_nc_u64_e32 v[4:5], s[40:41], v[4:5]
	s_mov_b32 s28, 0
	s_delay_alu instid0(VALU_DEP_2)
	v_cmp_le_u64_e32 vcc_lo, s[10:11], v[6:7]
	s_or_not1_b32 s26, vcc_lo, exec_lo
	s_branch .LBB132_297
.LBB132_302:                            ;   in Loop: Header=BB132_6 Depth=1
	s_or_b32 exec_lo, exec_lo, s23
	v_and_b32_e32 v2, 0xffff, v2
	s_and_not1_b32 s8, s22, exec_lo
	s_and_b32 s10, s21, exec_lo
	s_delay_alu instid0(SALU_CYCLE_1) | instskip(NEXT) | instid1(VALU_DEP_1)
	s_or_b32 s22, s8, s10
	v_lshrrev_b32_e32 v42, 8, v2
.LBB132_303:                            ;   in Loop: Header=BB132_6 Depth=1
	s_or_b32 exec_lo, exec_lo, s20
	s_mov_b32 s26, 0
	s_mov_b32 s67, -1
.LBB132_304:                            ;   in Loop: Header=BB132_6 Depth=1
	s_or_not1_b32 s10, s22, exec_lo
.LBB132_305:                            ;   in Loop: Header=BB132_6 Depth=1
	s_or_b32 exec_lo, exec_lo, s65
                                        ; implicit-def: $vgpr4_vgpr5
                                        ; implicit-def: $vgpr2
	s_and_saveexec_b32 s22, s10
	s_cbranch_execz .LBB132_463
; %bb.306:                              ;   in Loop: Header=BB132_6 Depth=1
	v_mov_b64_e32 v[4:5], 1
	v_mov_b32_e32 v2, 1
	s_xor_b32 s10, s9, -1
	s_mov_b32 s11, 0
	s_and_saveexec_b32 s9, s10
	s_cbranch_execz .LBB132_315
; %bb.307:                              ;   in Loop: Header=BB132_6 Depth=1
	s_mov_b32 s10, exec_lo
	v_cmpx_ge_u64_e64 s[18:19], v[30:31]
	s_xor_b32 s10, exec_lo, s10
	s_cbranch_execz .LBB132_312
; %bb.308:                              ;   in Loop: Header=BB132_6 Depth=1
	ds_load_b64 v[4:5], v3 offset:5120
	v_or_b32_e32 v39, s24, v39
	v_or_b32_e32 v41, s24, v41
	s_wait_dscnt 0x0
	v_cmp_ne_u64_e32 vcc_lo, 0, v[4:5]
	s_cbranch_vccnz .LBB132_312
; %bb.309:                              ;   in Loop: Header=BB132_6 Depth=1
	s_and_saveexec_b32 s11, s5
; %bb.310:                              ;   in Loop: Header=BB132_6 Depth=1
	v_mov_b64_e32 v[4:5], s[18:19]
	ds_store_b64 v3, v[4:5] offset:5128
; %bb.311:                              ;   in Loop: Header=BB132_6 Depth=1
	s_or_b32 exec_lo, exec_lo, s11
	s_wait_dscnt 0x0
	s_barrier_signal -1
	s_barrier_wait -1
.LBB132_312:                            ;   in Loop: Header=BB132_6 Depth=1
	s_or_saveexec_b32 s10, s10
	v_mov_b32_e32 v2, 5
	s_mov_b32 s11, 0
	s_xor_b32 exec_lo, exec_lo, s10
; %bb.313:                              ;   in Loop: Header=BB132_6 Depth=1
	v_sub_nc_u64_e64 v[30:31], v[30:31], s[18:19]
	v_mov_b32_e32 v2, 0
	s_mov_b32 s11, exec_lo
; %bb.314:                              ;   in Loop: Header=BB132_6 Depth=1
	s_or_b32 exec_lo, exec_lo, s10
	s_delay_alu instid0(VALU_DEP_2)
	v_mov_b64_e32 v[4:5], v[30:31]
	s_and_b32 s11, s11, exec_lo
.LBB132_315:                            ;   in Loop: Header=BB132_6 Depth=1
	s_or_b32 exec_lo, exec_lo, s9
	s_mov_b32 s10, -1
                                        ; implicit-def: $sgpr23
                                        ; implicit-def: $sgpr65
	s_and_saveexec_b32 s9, s11
	s_delay_alu instid0(SALU_CYCLE_1)
	s_xor_b32 s9, exec_lo, s9
	s_cbranch_execz .LBB132_460
; %bb.316:                              ;   in Loop: Header=BB132_6 Depth=1
	v_cmp_eq_u64_e32 vcc_lo, 1, v[4:5]
	s_cmp_eq_u64 s[16:17], 1
                                        ; implicit-def: $sgpr65
                                        ; implicit-def: $sgpr23
	s_cselect_b32 s10, -1, 0
	s_delay_alu instid0(SALU_CYCLE_1)
	s_and_b32 s66, s10, vcc_lo
	s_mov_b32 s10, -1
	s_and_saveexec_b32 s68, s66
	s_cbranch_execz .LBB132_350
; %bb.317:                              ;   in Loop: Header=BB132_6 Depth=1
	ds_load_b64 v[6:7], v3 offset:5120
	s_wait_dscnt 0x0
	s_barrier_signal -1
	s_barrier_wait -1
	v_readfirstlane_b32 s10, v6
	v_readfirstlane_b32 s11, v7
	s_and_saveexec_b32 s18, s6
; %bb.318:                              ;   in Loop: Header=BB132_6 Depth=1
	ds_store_b8 v0, v3 offset:3072
; %bb.319:                              ;   in Loop: Header=BB132_6 Depth=1
	s_or_b32 exec_lo, exec_lo, s18
	s_lshl_b32 s18, 2, s91
	v_or_b32_e32 v41, s24, v41
	v_and_or_b32 v39, v39, s25, s18
	s_mov_b32 s23, -1
	s_mov_b32 s65, 0
	s_cmp_eq_u64 s[10:11], 0
	s_mov_b32 s20, 0
	s_mov_b32 s21, -1
	s_wait_dscnt 0x0
	s_barrier_signal -1
	s_barrier_wait -1
                                        ; implicit-def: $vgpr42
	s_cbranch_scc1 .LBB132_335
; %bb.320:                              ;   in Loop: Header=BB132_6 Depth=1
	s_add_nc_u64 s[18:19], s[10:11], s[54:55]
	s_delay_alu instid0(SALU_CYCLE_1) | instskip(NEXT) | instid1(SALU_CYCLE_1)
	s_and_b64 s[20:21], s[18:19], 0xffffffff00000000
	s_cmp_lg_u64 s[20:21], 0
	s_cbranch_scc0 .LBB132_376
; %bb.321:                              ;   in Loop: Header=BB132_6 Depth=1
	s_cvt_f32_u32 s20, s34
	s_sub_nc_u64 s[46:47], 0, s[34:35]
	s_delay_alu instid0(SALU_CYCLE_2) | instskip(NEXT) | instid1(SALU_CYCLE_3)
	s_fmamk_f32 s20, s92, 0x0, s20
	v_s_rcp_f32 s20, s20
	s_delay_alu instid0(TRANS32_DEP_1) | instskip(NEXT) | instid1(SALU_CYCLE_3)
	s_mul_f32 s20, s20, 0x5f7ffffc
	s_mul_f32 s21, s20, 0x2f800000
	s_delay_alu instid0(SALU_CYCLE_3) | instskip(NEXT) | instid1(SALU_CYCLE_3)
	s_trunc_f32 s21, s21
	s_fmamk_f32 s20, s21, 0xcf800000, s20
	s_cvt_u32_f32 s21, s21
	s_delay_alu instid0(SALU_CYCLE_2) | instskip(NEXT) | instid1(SALU_CYCLE_3)
	s_cvt_u32_f32 s20, s20
	s_mul_u64 s[48:49], s[46:47], s[20:21]
	s_delay_alu instid0(SALU_CYCLE_1)
	s_mul_hi_u32 s71, s20, s49
	s_mul_i32 s70, s20, s49
	s_mul_hi_u32 s28, s20, s48
	s_mul_i32 s51, s21, s48
	s_add_nc_u64 s[70:71], s[28:29], s[70:71]
	s_mul_hi_u32 s50, s21, s48
	s_mul_hi_u32 s52, s21, s49
	s_add_co_u32 s28, s70, s51
	s_add_co_ci_u32 s28, s71, s50
	s_mul_i32 s48, s21, s49
	s_add_co_ci_u32 s49, s52, 0
	s_delay_alu instid0(SALU_CYCLE_1) | instskip(NEXT) | instid1(SALU_CYCLE_1)
	s_add_nc_u64 s[48:49], s[28:29], s[48:49]
	s_add_co_u32 s20, s20, s48
	s_cselect_b32 s28, -1, 0
	s_delay_alu instid0(SALU_CYCLE_1) | instskip(SKIP_1) | instid1(SALU_CYCLE_1)
	s_cmp_lg_u32 s28, 0
	s_add_co_ci_u32 s21, s21, s49
	s_mul_u64 s[46:47], s[46:47], s[20:21]
	s_delay_alu instid0(SALU_CYCLE_1)
	s_mul_hi_u32 s49, s20, s47
	s_mul_i32 s48, s20, s47
	s_mul_hi_u32 s28, s20, s46
	s_mul_i32 s51, s21, s46
	s_add_nc_u64 s[48:49], s[28:29], s[48:49]
	s_mul_hi_u32 s50, s21, s46
	s_mul_hi_u32 s52, s21, s47
	s_add_co_u32 s28, s48, s51
	s_add_co_ci_u32 s28, s49, s50
	s_mul_i32 s46, s21, s47
	s_add_co_ci_u32 s47, s52, 0
	s_delay_alu instid0(SALU_CYCLE_1) | instskip(NEXT) | instid1(SALU_CYCLE_1)
	s_add_nc_u64 s[46:47], s[28:29], s[46:47]
	s_add_co_u32 s20, s20, s46
	s_cselect_b32 s46, -1, 0
	s_mul_hi_u32 s28, s18, s20
	s_cmp_lg_u32 s46, 0
	s_mul_hi_u32 s48, s19, s20
	s_add_co_ci_u32 s46, s21, s47
	s_mul_i32 s47, s19, s20
	s_mul_hi_u32 s21, s18, s46
	s_mul_i32 s20, s18, s46
	s_mul_hi_u32 s49, s19, s46
	s_add_nc_u64 s[20:21], s[28:29], s[20:21]
	s_mul_i32 s46, s19, s46
	s_add_co_u32 s20, s20, s47
	s_add_co_ci_u32 s28, s21, s48
	s_add_co_ci_u32 s47, s49, 0
	s_delay_alu instid0(SALU_CYCLE_1) | instskip(NEXT) | instid1(SALU_CYCLE_1)
	s_add_nc_u64 s[20:21], s[28:29], s[46:47]
	s_and_b64 s[46:47], s[20:21], 0xffffffff00000000
	s_delay_alu instid0(SALU_CYCLE_1) | instskip(NEXT) | instid1(SALU_CYCLE_1)
	s_or_b32 s46, s46, s20
	s_mul_u64 s[20:21], s[34:35], s[46:47]
	s_delay_alu instid0(SALU_CYCLE_1) | instskip(SKIP_1) | instid1(SALU_CYCLE_1)
	s_sub_co_u32 s20, s18, s20
	s_cselect_b32 s28, -1, 0
	s_cmp_lg_u32 s28, 0
	s_sub_co_ci_u32 s21, s19, s21
	s_sub_co_u32 s28, s20, s34
	s_cselect_b32 s46, -1, 0
	s_delay_alu instid0(SALU_CYCLE_1) | instskip(SKIP_3) | instid1(SALU_CYCLE_1)
	s_cmp_lg_u32 s46, 0
	s_sub_co_ci_u32 s46, s21, 0
	s_sub_co_u32 s47, s28, s34
	s_cselect_b32 s48, -1, 0
	s_cmp_lg_u32 s48, 0
	s_sub_co_ci_u32 s48, s46, 0
	s_cmp_ge_u32 s28, s34
	s_cselect_b32 s49, -1, 0
	s_cmp_eq_u32 s46, 0
	s_cselect_b32 s49, s49, -1
	s_delay_alu instid0(SALU_CYCLE_1)
	s_cmp_lg_u32 s49, 0
	s_cselect_b32 s46, s48, s46
	s_cselect_b32 s28, s47, s28
	s_cmp_ge_u32 s20, s34
	s_cselect_b32 s47, -1, 0
	s_cmp_eq_u32 s21, 0
	s_cselect_b32 s47, s47, -1
	s_delay_alu instid0(SALU_CYCLE_1)
	s_cmp_lg_u32 s47, 0
	s_cselect_b32 s21, s46, s21
	s_cselect_b32 s20, s28, s20
	s_cbranch_execnz .LBB132_323
.LBB132_322:                            ;   in Loop: Header=BB132_6 Depth=1
	v_cvt_f32_u32_e32 v6, s34
	s_sub_co_i32 s21, 0, s34
	s_delay_alu instid0(VALU_DEP_1) | instskip(SKIP_1) | instid1(TRANS32_DEP_1)
	v_rcp_iflag_f32_e32 v6, v6
	v_nop
	v_mul_f32_e32 v6, 0x4f7ffffe, v6
	s_delay_alu instid0(VALU_DEP_1) | instskip(NEXT) | instid1(VALU_DEP_1)
	v_cvt_u32_f32_e32 v6, v6
	v_readfirstlane_b32 s20, v6
	s_mul_i32 s21, s21, s20
	s_delay_alu instid0(SALU_CYCLE_1) | instskip(NEXT) | instid1(SALU_CYCLE_1)
	s_mul_hi_u32 s21, s20, s21
	s_add_co_i32 s20, s20, s21
	s_delay_alu instid0(SALU_CYCLE_1) | instskip(NEXT) | instid1(SALU_CYCLE_1)
	s_mul_hi_u32 s20, s18, s20
	s_mul_i32 s20, s20, s34
	s_delay_alu instid0(SALU_CYCLE_1) | instskip(NEXT) | instid1(SALU_CYCLE_1)
	s_sub_co_i32 s20, s18, s20
	s_sub_co_i32 s21, s20, s34
	s_cmp_ge_u32 s20, s34
	s_cselect_b32 s20, s21, s20
	s_delay_alu instid0(SALU_CYCLE_1) | instskip(SKIP_2) | instid1(SALU_CYCLE_1)
	s_sub_co_i32 s21, s20, s34
	s_cmp_ge_u32 s20, s34
	s_cselect_b32 s28, s21, s20
	s_mov_b64 s[20:21], s[28:29]
.LBB132_323:                            ;   in Loop: Header=BB132_6 Depth=1
	s_delay_alu instid0(SALU_CYCLE_1)
	s_sub_nc_u64 s[18:19], s[18:19], s[20:21]
	s_mov_b32 s21, 0
	s_mov_b32 s20, 0
	s_mov_b32 s28, exec_lo
                                        ; implicit-def: $vgpr42
	v_cmpx_gt_u64_e64 s[18:19], v[0:1]
	s_cbranch_execz .LBB132_334
; %bb.324:                              ;   in Loop: Header=BB132_6 Depth=1
	v_mov_b64_e32 v[6:7], v[0:1]
	v_mov_b32_e32 v8, v0
                                        ; implicit-def: $sgpr46
	s_branch .LBB132_327
.LBB132_325:                            ;   in Loop: Header=BB132_327 Depth=2
	s_or_b32 exec_lo, exec_lo, s47
	s_wait_dscnt 0x0
	s_barrier_signal -1
	s_barrier_wait -1
	ds_load_u16 v9, v3 offset:3072
	s_mov_b32 s47, -1
	s_mov_b32 s48, -1
	s_wait_dscnt 0x0
	s_barrier_signal -1
	s_barrier_wait -1
	v_and_b32_e32 v10, 0xff, v9
	s_delay_alu instid0(VALU_DEP_1)
	v_cmp_ne_u32_e32 vcc_lo, 0, v10
	s_cbranch_vccz .LBB132_330
.LBB132_326:                            ;   in Loop: Header=BB132_327 Depth=2
	s_and_b32 s8, exec_lo, s47
	s_delay_alu instid0(SALU_CYCLE_1) | instskip(SKIP_2) | instid1(SALU_CYCLE_1)
	s_or_b32 s20, s8, s20
	s_and_not1_b32 s8, s46, exec_lo
	s_and_b32 s46, s48, exec_lo
	s_or_b32 s46, s8, s46
	s_and_not1_b32 exec_lo, exec_lo, s20
	s_cbranch_execz .LBB132_333
.LBB132_327:                            ;   Parent Loop BB132_6 Depth=1
                                        ; =>  This Inner Loop Header: Depth=2
	s_mov_b32 s47, exec_lo
	s_delay_alu instid0(VALU_DEP_2)
	v_cmpx_gt_u64_e64 s[10:11], v[6:7]
	s_cbranch_execz .LBB132_325
; %bb.328:                              ;   in Loop: Header=BB132_327 Depth=2
	ds_load_u8 v9, v8
	s_wait_dscnt 0x0
	v_bfe_i32 v10, v9, 0, 8
	s_delay_alu instid0(VALU_DEP_1) | instskip(NEXT) | instid1(VALU_DEP_1)
	v_add_nc_u32_e32 v10, 0x80, v10
	v_and_b32_e32 v10, v10, v41
	s_delay_alu instid0(VALU_DEP_1)
	v_cmp_eq_u32_e32 vcc_lo, v10, v39
	s_and_b32 exec_lo, exec_lo, vcc_lo
	s_cbranch_execz .LBB132_325
; %bb.329:                              ;   in Loop: Header=BB132_327 Depth=2
	v_lshlrev_b16 v9, 8, v9
	s_delay_alu instid0(VALU_DEP_1)
	v_or_b32_e32 v9, 1, v9
	ds_store_b16 v3, v9 offset:3072
	s_branch .LBB132_325
.LBB132_330:                            ;   in Loop: Header=BB132_327 Depth=2
	v_add_nc_u64_e32 v[6:7], s[34:35], v[6:7]
	v_add_nc_u32_e32 v8, s34, v8
	s_mov_b32 s48, 0
	s_delay_alu instid0(VALU_DEP_2)
	v_cmp_le_u64_e32 vcc_lo, s[18:19], v[6:7]
	s_or_not1_b32 s47, vcc_lo, exec_lo
	s_branch .LBB132_326
.LBB132_331:                            ;   in Loop: Header=BB132_6 Depth=1
                                        ; implicit-def: $sgpr22_sgpr23
	s_branch .LBB132_278
.LBB132_332:                            ;   in Loop: Header=BB132_6 Depth=1
                                        ; implicit-def: $sgpr10_sgpr11
	s_branch .LBB132_293
.LBB132_333:                            ;   in Loop: Header=BB132_6 Depth=1
	s_or_b32 exec_lo, exec_lo, s20
	v_and_b32_e32 v6, 0xffff, v9
	s_and_b32 s20, s46, exec_lo
	s_delay_alu instid0(VALU_DEP_1)
	v_lshrrev_b32_e32 v42, 8, v6
.LBB132_334:                            ;   in Loop: Header=BB132_6 Depth=1
	s_or_b32 exec_lo, exec_lo, s28
.LBB132_335:                            ;   in Loop: Header=BB132_6 Depth=1
	s_delay_alu instid0(SALU_CYCLE_1)
	s_and_b32 vcc_lo, exec_lo, s21
	s_cbranch_vccz .LBB132_349
; %bb.336:                              ;   in Loop: Header=BB132_6 Depth=1
	s_and_b64 s[10:11], s[56:57], 0xffffffff00000000
	s_delay_alu instid0(SALU_CYCLE_1)
	s_cmp_lg_u64 s[10:11], 0
	s_cbranch_scc0 .LBB132_377
; %bb.337:                              ;   in Loop: Header=BB132_6 Depth=1
	s_cvt_f32_u32 s10, s34
	s_sub_nc_u64 s[18:19], 0, s[34:35]
	s_delay_alu instid0(SALU_CYCLE_2) | instskip(NEXT) | instid1(SALU_CYCLE_3)
	s_fmamk_f32 s10, s92, 0x0, s10
	v_s_rcp_f32 s10, s10
	s_delay_alu instid0(TRANS32_DEP_1) | instskip(NEXT) | instid1(SALU_CYCLE_3)
	s_mul_f32 s10, s10, 0x5f7ffffc
	s_mul_f32 s11, s10, 0x2f800000
	s_delay_alu instid0(SALU_CYCLE_3) | instskip(NEXT) | instid1(SALU_CYCLE_3)
	s_trunc_f32 s11, s11
	s_fmamk_f32 s10, s11, 0xcf800000, s10
	s_cvt_u32_f32 s11, s11
	s_delay_alu instid0(SALU_CYCLE_2) | instskip(NEXT) | instid1(SALU_CYCLE_3)
	s_cvt_u32_f32 s10, s10
	s_mul_u64 s[46:47], s[18:19], s[10:11]
	s_delay_alu instid0(SALU_CYCLE_1)
	s_mul_hi_u32 s49, s10, s47
	s_mul_i32 s48, s10, s47
	s_mul_hi_u32 s28, s10, s46
	s_mul_i32 s23, s11, s46
	s_add_nc_u64 s[48:49], s[28:29], s[48:49]
	s_mul_hi_u32 s21, s11, s46
	s_mul_hi_u32 s50, s11, s47
	s_add_co_u32 s23, s48, s23
	s_add_co_ci_u32 s28, s49, s21
	s_mul_i32 s46, s11, s47
	s_add_co_ci_u32 s47, s50, 0
	s_delay_alu instid0(SALU_CYCLE_1) | instskip(NEXT) | instid1(SALU_CYCLE_1)
	s_add_nc_u64 s[46:47], s[28:29], s[46:47]
	s_add_co_u32 s10, s10, s46
	s_cselect_b32 s21, -1, 0
	s_delay_alu instid0(SALU_CYCLE_1) | instskip(SKIP_1) | instid1(SALU_CYCLE_1)
	s_cmp_lg_u32 s21, 0
	s_add_co_ci_u32 s11, s11, s47
	s_mul_u64 s[18:19], s[18:19], s[10:11]
	s_delay_alu instid0(SALU_CYCLE_1)
	s_mul_hi_u32 s47, s10, s19
	s_mul_i32 s46, s10, s19
	s_mul_hi_u32 s28, s10, s18
	s_mul_i32 s23, s11, s18
	s_add_nc_u64 s[46:47], s[28:29], s[46:47]
	s_mul_hi_u32 s21, s11, s18
	s_mul_hi_u32 s48, s11, s19
	s_mul_i32 s18, s11, s19
	s_add_co_u32 s19, s46, s23
	s_add_co_ci_u32 s28, s47, s21
	s_add_co_ci_u32 s19, s48, 0
	s_delay_alu instid0(SALU_CYCLE_1) | instskip(NEXT) | instid1(SALU_CYCLE_1)
	s_add_nc_u64 s[18:19], s[28:29], s[18:19]
	s_add_co_u32 s10, s10, s18
	s_cselect_b32 s18, -1, 0
	s_mul_hi_u32 s28, s56, s10
	s_cmp_lg_u32 s18, 0
	s_mul_hi_u32 s21, s57, s10
	s_add_co_ci_u32 s18, s11, s19
	s_mul_i32 s19, s57, s10
	s_mul_hi_u32 s11, s56, s18
	s_mul_i32 s10, s56, s18
	s_mul_hi_u32 s23, s57, s18
	s_add_nc_u64 s[10:11], s[28:29], s[10:11]
	s_mul_i32 s18, s57, s18
	s_add_co_u32 s10, s10, s19
	s_add_co_ci_u32 s28, s11, s21
	s_add_co_ci_u32 s19, s23, 0
	s_delay_alu instid0(SALU_CYCLE_1) | instskip(NEXT) | instid1(SALU_CYCLE_1)
	s_add_nc_u64 s[10:11], s[28:29], s[18:19]
	s_and_b64 s[18:19], s[10:11], 0xffffffff00000000
	s_delay_alu instid0(SALU_CYCLE_1) | instskip(NEXT) | instid1(SALU_CYCLE_1)
	s_or_b32 s18, s18, s10
	s_mul_u64 s[10:11], s[34:35], s[18:19]
	s_delay_alu instid0(SALU_CYCLE_1) | instskip(SKIP_1) | instid1(SALU_CYCLE_1)
	s_sub_co_u32 s10, s56, s10
	s_cselect_b32 s18, -1, 0
	s_cmp_lg_u32 s18, 0
	s_sub_co_ci_u32 s11, s57, s11
	s_sub_co_u32 s18, s10, s34
	s_cselect_b32 s19, -1, 0
	s_delay_alu instid0(SALU_CYCLE_1) | instskip(SKIP_3) | instid1(SALU_CYCLE_1)
	s_cmp_lg_u32 s19, 0
	s_sub_co_ci_u32 s19, s11, 0
	s_sub_co_u32 s21, s18, s34
	s_cselect_b32 s23, -1, 0
	s_cmp_lg_u32 s23, 0
	s_sub_co_ci_u32 s23, s19, 0
	s_cmp_ge_u32 s18, s34
	s_cselect_b32 s28, -1, 0
	s_cmp_eq_u32 s19, 0
	s_cselect_b32 s28, s28, -1
	s_delay_alu instid0(SALU_CYCLE_1)
	s_cmp_lg_u32 s28, 0
	s_cselect_b32 s19, s23, s19
	s_cselect_b32 s18, s21, s18
	s_cmp_ge_u32 s10, s34
	s_cselect_b32 s21, -1, 0
	s_cmp_eq_u32 s11, 0
	s_cselect_b32 s21, s21, -1
	s_delay_alu instid0(SALU_CYCLE_1)
	s_cmp_lg_u32 s21, 0
	s_cselect_b32 s11, s19, s11
	s_cselect_b32 s10, s18, s10
	s_cbranch_execnz .LBB132_339
.LBB132_338:                            ;   in Loop: Header=BB132_6 Depth=1
	v_cvt_f32_u32_e32 v6, s34
	s_sub_co_i32 s11, 0, s34
	s_delay_alu instid0(VALU_DEP_1) | instskip(SKIP_1) | instid1(TRANS32_DEP_1)
	v_rcp_iflag_f32_e32 v6, v6
	v_nop
	v_mul_f32_e32 v6, 0x4f7ffffe, v6
	s_delay_alu instid0(VALU_DEP_1) | instskip(NEXT) | instid1(VALU_DEP_1)
	v_cvt_u32_f32_e32 v6, v6
	v_readfirstlane_b32 s10, v6
	s_mul_i32 s11, s11, s10
	s_delay_alu instid0(SALU_CYCLE_1) | instskip(NEXT) | instid1(SALU_CYCLE_1)
	s_mul_hi_u32 s11, s10, s11
	s_add_co_i32 s10, s10, s11
	s_delay_alu instid0(SALU_CYCLE_1) | instskip(NEXT) | instid1(SALU_CYCLE_1)
	s_mul_hi_u32 s10, s56, s10
	s_mul_i32 s10, s10, s34
	s_delay_alu instid0(SALU_CYCLE_1) | instskip(NEXT) | instid1(SALU_CYCLE_1)
	s_sub_co_i32 s10, s56, s10
	s_sub_co_i32 s11, s10, s34
	s_cmp_ge_u32 s10, s34
	s_cselect_b32 s10, s11, s10
	s_delay_alu instid0(SALU_CYCLE_1) | instskip(SKIP_2) | instid1(SALU_CYCLE_1)
	s_sub_co_i32 s11, s10, s34
	s_cmp_ge_u32 s10, s34
	s_cselect_b32 s28, s11, s10
	s_mov_b64 s[10:11], s[28:29]
.LBB132_339:                            ;   in Loop: Header=BB132_6 Depth=1
	s_delay_alu instid0(SALU_CYCLE_1)
	s_sub_nc_u64 s[10:11], s[56:57], s[10:11]
	s_mov_b32 s18, exec_lo
                                        ; implicit-def: $vgpr42
	v_nop
	v_cmpx_gt_u64_e64 s[10:11], v[0:1]
	s_cbranch_execz .LBB132_348
; %bb.340:                              ;   in Loop: Header=BB132_6 Depth=1
	v_mov_b64_e32 v[6:7], v[14:15]
	v_mov_b64_e32 v[8:9], v[0:1]
	s_mov_b32 s19, 0
                                        ; implicit-def: $sgpr21
	s_branch .LBB132_343
.LBB132_341:                            ;   in Loop: Header=BB132_343 Depth=2
	s_or_b32 exec_lo, exec_lo, s23
	s_wait_dscnt 0x0
	s_barrier_signal -1
	s_barrier_wait -1
	ds_load_u16 v10, v3 offset:3072
	s_mov_b32 s23, -1
	s_mov_b32 s28, -1
	s_wait_dscnt 0x0
	s_barrier_signal -1
	s_barrier_wait -1
	v_and_b32_e32 v11, 0xff, v10
	s_delay_alu instid0(VALU_DEP_1)
	v_cmp_eq_u32_e32 vcc_lo, 0, v11
	s_cbranch_vccnz .LBB132_346
.LBB132_342:                            ;   in Loop: Header=BB132_343 Depth=2
	s_and_b32 s8, exec_lo, s23
	s_delay_alu instid0(SALU_CYCLE_1) | instskip(SKIP_2) | instid1(SALU_CYCLE_1)
	s_or_b32 s19, s8, s19
	s_and_not1_b32 s8, s21, exec_lo
	s_and_b32 s21, s28, exec_lo
	s_or_b32 s21, s8, s21
	s_and_not1_b32 exec_lo, exec_lo, s19
	s_cbranch_execz .LBB132_347
.LBB132_343:                            ;   Parent Loop BB132_6 Depth=1
                                        ; =>  This Inner Loop Header: Depth=2
	s_mov_b32 s23, exec_lo
	s_delay_alu instid0(VALU_DEP_1)
	v_cmpx_gt_u64_e64 s[36:37], v[8:9]
	s_cbranch_execz .LBB132_341
; %bb.344:                              ;   in Loop: Header=BB132_343 Depth=2
	global_load_u8 v10, v[6:7], off
	s_wait_loadcnt 0x0
	v_bfe_i32 v11, v10, 0, 8
	s_delay_alu instid0(VALU_DEP_1) | instskip(NEXT) | instid1(VALU_DEP_1)
	v_add_nc_u32_e32 v11, 0x80, v11
	v_and_b32_e32 v11, v11, v41
	s_delay_alu instid0(VALU_DEP_1)
	v_cmp_eq_u32_e32 vcc_lo, v11, v39
	s_and_b32 exec_lo, exec_lo, vcc_lo
	s_cbranch_execz .LBB132_341
; %bb.345:                              ;   in Loop: Header=BB132_343 Depth=2
	v_lshlrev_b16 v10, 8, v10
	s_delay_alu instid0(VALU_DEP_1)
	v_or_b32_e32 v10, 1, v10
	ds_store_b16 v3, v10 offset:3072
	s_branch .LBB132_341
.LBB132_346:                            ;   in Loop: Header=BB132_343 Depth=2
	v_add_nc_u64_e32 v[8:9], s[34:35], v[8:9]
	v_add_nc_u64_e32 v[6:7], s[40:41], v[6:7]
	s_mov_b32 s28, 0
	s_delay_alu instid0(VALU_DEP_2)
	v_cmp_le_u64_e32 vcc_lo, s[10:11], v[8:9]
	s_or_not1_b32 s23, vcc_lo, exec_lo
	s_branch .LBB132_342
.LBB132_347:                            ;   in Loop: Header=BB132_6 Depth=1
	s_or_b32 exec_lo, exec_lo, s19
	v_and_b32_e32 v6, 0xffff, v10
	s_and_not1_b32 s8, s20, exec_lo
	s_and_b32 s10, s21, exec_lo
	s_delay_alu instid0(SALU_CYCLE_1) | instskip(NEXT) | instid1(VALU_DEP_1)
	s_or_b32 s20, s8, s10
	v_lshrrev_b32_e32 v42, 8, v6
.LBB132_348:                            ;   in Loop: Header=BB132_6 Depth=1
	s_or_b32 exec_lo, exec_lo, s18
	s_mov_b32 s23, 0
	s_mov_b32 s65, -1
.LBB132_349:                            ;   in Loop: Header=BB132_6 Depth=1
	s_or_not1_b32 s10, s20, exec_lo
.LBB132_350:                            ;   in Loop: Header=BB132_6 Depth=1
	s_or_b32 exec_lo, exec_lo, s68
	s_mov_b32 s11, 0
	s_and_saveexec_b32 s20, s10
	s_cbranch_execz .LBB132_459
; %bb.351:                              ;   in Loop: Header=BB132_6 Depth=1
	v_mov_b64_e32 v[6:7], 1
	v_mov_b32_e32 v2, 1
	s_xor_b32 s18, s66, -1
	s_delay_alu instid0(SALU_CYCLE_1)
	s_and_saveexec_b32 s10, s18
	s_cbranch_execz .LBB132_360
; %bb.352:                              ;   in Loop: Header=BB132_6 Depth=1
	s_mov_b32 s11, exec_lo
	v_cmpx_ge_u64_e64 s[16:17], v[4:5]
	s_xor_b32 s11, exec_lo, s11
	s_cbranch_execz .LBB132_357
; %bb.353:                              ;   in Loop: Header=BB132_6 Depth=1
	ds_load_b64 v[6:7], v3 offset:5120
	s_lshl_b32 s18, 2, s91
	v_or_b32_e32 v41, s24, v41
	v_and_or_b32 v39, v39, s25, s18
	s_wait_dscnt 0x0
	v_cmp_ne_u64_e32 vcc_lo, 0, v[6:7]
	s_cbranch_vccnz .LBB132_357
; %bb.354:                              ;   in Loop: Header=BB132_6 Depth=1
	s_and_saveexec_b32 s18, s5
; %bb.355:                              ;   in Loop: Header=BB132_6 Depth=1
	v_mov_b64_e32 v[6:7], s[16:17]
	ds_store_b64 v3, v[6:7] offset:5128
; %bb.356:                              ;   in Loop: Header=BB132_6 Depth=1
	s_or_b32 exec_lo, exec_lo, s18
	s_wait_dscnt 0x0
	s_barrier_signal -1
	s_barrier_wait -1
.LBB132_357:                            ;   in Loop: Header=BB132_6 Depth=1
	s_or_saveexec_b32 s11, s11
	v_mov_b32_e32 v2, 5
	s_mov_b32 s18, 0
	s_xor_b32 exec_lo, exec_lo, s11
; %bb.358:                              ;   in Loop: Header=BB132_6 Depth=1
	v_sub_nc_u64_e64 v[4:5], v[4:5], s[16:17]
	v_mov_b32_e32 v2, 0
	s_mov_b32 s18, exec_lo
; %bb.359:                              ;   in Loop: Header=BB132_6 Depth=1
	s_or_b32 exec_lo, exec_lo, s11
	s_delay_alu instid0(VALU_DEP_2)
	v_mov_b64_e32 v[6:7], v[4:5]
	s_and_b32 s11, s18, exec_lo
.LBB132_360:                            ;   in Loop: Header=BB132_6 Depth=1
	s_or_b32 exec_lo, exec_lo, s10
	s_mov_b32 s10, -1
                                        ; implicit-def: $sgpr66
                                        ; implicit-def: $sgpr68
	s_and_saveexec_b32 s21, s11
	s_cbranch_execz .LBB132_458
; %bb.361:                              ;   in Loop: Header=BB132_6 Depth=1
	s_delay_alu instid0(VALU_DEP_1) | instskip(SKIP_2) | instid1(SALU_CYCLE_1)
	v_cmp_eq_u64_e32 vcc_lo, 1, v[6:7]
	s_cmp_eq_u64 s[14:15], 1
                                        ; implicit-def: $sgpr68
                                        ; implicit-def: $sgpr66
	s_cselect_b32 s10, -1, 0
	s_and_b32 s69, s10, vcc_lo
	s_mov_b32 s10, -1
	s_and_saveexec_b32 s70, s69
	s_cbranch_execz .LBB132_395
; %bb.362:                              ;   in Loop: Header=BB132_6 Depth=1
	ds_load_b64 v[4:5], v3 offset:5120
	s_wait_dscnt 0x0
	s_barrier_signal -1
	s_barrier_wait -1
	v_readfirstlane_b32 s10, v4
	v_readfirstlane_b32 s11, v5
	s_and_saveexec_b32 s16, s6
; %bb.363:                              ;   in Loop: Header=BB132_6 Depth=1
	ds_store_b8 v0, v3 offset:3072
; %bb.364:                              ;   in Loop: Header=BB132_6 Depth=1
	s_or_b32 exec_lo, exec_lo, s16
	s_lshl_b32 s16, 1, s91
	v_or_b32_e32 v41, s24, v41
	v_and_or_b32 v39, v39, s25, s16
	s_mov_b32 s66, -1
	s_mov_b32 s68, 0
	s_cmp_eq_u64 s[10:11], 0
	s_mov_b32 s18, 0
	s_mov_b32 s19, -1
	s_wait_dscnt 0x0
	s_barrier_signal -1
	s_barrier_wait -1
                                        ; implicit-def: $vgpr42
	s_cbranch_scc1 .LBB132_380
; %bb.365:                              ;   in Loop: Header=BB132_6 Depth=1
	s_add_nc_u64 s[16:17], s[10:11], s[54:55]
	s_delay_alu instid0(SALU_CYCLE_1) | instskip(NEXT) | instid1(SALU_CYCLE_1)
	s_and_b64 s[18:19], s[16:17], 0xffffffff00000000
	s_cmp_lg_u64 s[18:19], 0
	s_cbranch_scc0 .LBB132_412
; %bb.366:                              ;   in Loop: Header=BB132_6 Depth=1
	s_cvt_f32_u32 s18, s34
	s_sub_nc_u64 s[46:47], 0, s[34:35]
	s_delay_alu instid0(SALU_CYCLE_2) | instskip(NEXT) | instid1(SALU_CYCLE_3)
	s_fmamk_f32 s18, s92, 0x0, s18
	v_s_rcp_f32 s18, s18
	s_delay_alu instid0(TRANS32_DEP_1) | instskip(NEXT) | instid1(SALU_CYCLE_3)
	s_mul_f32 s18, s18, 0x5f7ffffc
	s_mul_f32 s19, s18, 0x2f800000
	s_delay_alu instid0(SALU_CYCLE_3) | instskip(NEXT) | instid1(SALU_CYCLE_3)
	s_trunc_f32 s19, s19
	s_fmamk_f32 s18, s19, 0xcf800000, s18
	s_cvt_u32_f32 s19, s19
	s_delay_alu instid0(SALU_CYCLE_2) | instskip(NEXT) | instid1(SALU_CYCLE_3)
	s_cvt_u32_f32 s18, s18
	s_mul_u64 s[48:49], s[46:47], s[18:19]
	s_delay_alu instid0(SALU_CYCLE_1)
	s_mul_hi_u32 s73, s18, s49
	s_mul_i32 s72, s18, s49
	s_mul_hi_u32 s28, s18, s48
	s_mul_i32 s51, s19, s48
	s_add_nc_u64 s[72:73], s[28:29], s[72:73]
	s_mul_hi_u32 s50, s19, s48
	s_mul_hi_u32 s52, s19, s49
	s_add_co_u32 s28, s72, s51
	s_add_co_ci_u32 s28, s73, s50
	s_mul_i32 s48, s19, s49
	s_add_co_ci_u32 s49, s52, 0
	s_delay_alu instid0(SALU_CYCLE_1) | instskip(NEXT) | instid1(SALU_CYCLE_1)
	s_add_nc_u64 s[48:49], s[28:29], s[48:49]
	s_add_co_u32 s18, s18, s48
	s_cselect_b32 s28, -1, 0
	s_delay_alu instid0(SALU_CYCLE_1) | instskip(SKIP_1) | instid1(SALU_CYCLE_1)
	s_cmp_lg_u32 s28, 0
	s_add_co_ci_u32 s19, s19, s49
	s_mul_u64 s[46:47], s[46:47], s[18:19]
	s_delay_alu instid0(SALU_CYCLE_1)
	s_mul_hi_u32 s49, s18, s47
	s_mul_i32 s48, s18, s47
	s_mul_hi_u32 s28, s18, s46
	s_mul_i32 s51, s19, s46
	s_add_nc_u64 s[48:49], s[28:29], s[48:49]
	s_mul_hi_u32 s50, s19, s46
	s_mul_hi_u32 s52, s19, s47
	s_add_co_u32 s28, s48, s51
	s_add_co_ci_u32 s28, s49, s50
	s_mul_i32 s46, s19, s47
	s_add_co_ci_u32 s47, s52, 0
	s_delay_alu instid0(SALU_CYCLE_1) | instskip(NEXT) | instid1(SALU_CYCLE_1)
	s_add_nc_u64 s[46:47], s[28:29], s[46:47]
	s_add_co_u32 s18, s18, s46
	s_cselect_b32 s46, -1, 0
	s_mul_hi_u32 s28, s16, s18
	s_cmp_lg_u32 s46, 0
	s_mul_hi_u32 s48, s17, s18
	s_add_co_ci_u32 s46, s19, s47
	s_mul_i32 s47, s17, s18
	s_mul_hi_u32 s19, s16, s46
	s_mul_i32 s18, s16, s46
	s_mul_hi_u32 s49, s17, s46
	s_add_nc_u64 s[18:19], s[28:29], s[18:19]
	s_mul_i32 s46, s17, s46
	s_add_co_u32 s18, s18, s47
	s_add_co_ci_u32 s28, s19, s48
	s_add_co_ci_u32 s47, s49, 0
	s_delay_alu instid0(SALU_CYCLE_1) | instskip(NEXT) | instid1(SALU_CYCLE_1)
	s_add_nc_u64 s[18:19], s[28:29], s[46:47]
	s_and_b64 s[46:47], s[18:19], 0xffffffff00000000
	s_delay_alu instid0(SALU_CYCLE_1) | instskip(NEXT) | instid1(SALU_CYCLE_1)
	s_or_b32 s46, s46, s18
	s_mul_u64 s[18:19], s[34:35], s[46:47]
	s_delay_alu instid0(SALU_CYCLE_1) | instskip(SKIP_1) | instid1(SALU_CYCLE_1)
	s_sub_co_u32 s18, s16, s18
	s_cselect_b32 s28, -1, 0
	s_cmp_lg_u32 s28, 0
	s_sub_co_ci_u32 s19, s17, s19
	s_sub_co_u32 s28, s18, s34
	s_cselect_b32 s46, -1, 0
	s_delay_alu instid0(SALU_CYCLE_1) | instskip(SKIP_3) | instid1(SALU_CYCLE_1)
	s_cmp_lg_u32 s46, 0
	s_sub_co_ci_u32 s46, s19, 0
	s_sub_co_u32 s47, s28, s34
	s_cselect_b32 s48, -1, 0
	s_cmp_lg_u32 s48, 0
	s_sub_co_ci_u32 s48, s46, 0
	s_cmp_ge_u32 s28, s34
	s_cselect_b32 s49, -1, 0
	s_cmp_eq_u32 s46, 0
	s_cselect_b32 s49, s49, -1
	s_delay_alu instid0(SALU_CYCLE_1)
	s_cmp_lg_u32 s49, 0
	s_cselect_b32 s46, s48, s46
	s_cselect_b32 s28, s47, s28
	s_cmp_ge_u32 s18, s34
	s_cselect_b32 s47, -1, 0
	s_cmp_eq_u32 s19, 0
	s_cselect_b32 s47, s47, -1
	s_delay_alu instid0(SALU_CYCLE_1)
	s_cmp_lg_u32 s47, 0
	s_cselect_b32 s19, s46, s19
	s_cselect_b32 s18, s28, s18
	s_cbranch_execnz .LBB132_368
.LBB132_367:                            ;   in Loop: Header=BB132_6 Depth=1
	v_cvt_f32_u32_e32 v4, s34
	s_sub_co_i32 s19, 0, s34
	s_delay_alu instid0(VALU_DEP_1) | instskip(SKIP_1) | instid1(TRANS32_DEP_1)
	v_rcp_iflag_f32_e32 v4, v4
	v_nop
	v_mul_f32_e32 v4, 0x4f7ffffe, v4
	s_delay_alu instid0(VALU_DEP_1) | instskip(NEXT) | instid1(VALU_DEP_1)
	v_cvt_u32_f32_e32 v4, v4
	v_readfirstlane_b32 s18, v4
	s_mul_i32 s19, s19, s18
	s_delay_alu instid0(SALU_CYCLE_1) | instskip(NEXT) | instid1(SALU_CYCLE_1)
	s_mul_hi_u32 s19, s18, s19
	s_add_co_i32 s18, s18, s19
	s_delay_alu instid0(SALU_CYCLE_1) | instskip(NEXT) | instid1(SALU_CYCLE_1)
	s_mul_hi_u32 s18, s16, s18
	s_mul_i32 s18, s18, s34
	s_delay_alu instid0(SALU_CYCLE_1) | instskip(NEXT) | instid1(SALU_CYCLE_1)
	s_sub_co_i32 s18, s16, s18
	s_sub_co_i32 s19, s18, s34
	s_cmp_ge_u32 s18, s34
	s_cselect_b32 s18, s19, s18
	s_delay_alu instid0(SALU_CYCLE_1) | instskip(SKIP_2) | instid1(SALU_CYCLE_1)
	s_sub_co_i32 s19, s18, s34
	s_cmp_ge_u32 s18, s34
	s_cselect_b32 s28, s19, s18
	s_mov_b64 s[18:19], s[28:29]
.LBB132_368:                            ;   in Loop: Header=BB132_6 Depth=1
	s_delay_alu instid0(SALU_CYCLE_1)
	s_sub_nc_u64 s[16:17], s[16:17], s[18:19]
	s_mov_b32 s19, 0
	s_mov_b32 s18, 0
	s_mov_b32 s28, exec_lo
                                        ; implicit-def: $vgpr42
	v_cmpx_gt_u64_e64 s[16:17], v[0:1]
	s_cbranch_execz .LBB132_379
; %bb.369:                              ;   in Loop: Header=BB132_6 Depth=1
	v_mov_b64_e32 v[4:5], v[0:1]
	v_mov_b32_e32 v8, v0
                                        ; implicit-def: $sgpr46
	s_branch .LBB132_372
.LBB132_370:                            ;   in Loop: Header=BB132_372 Depth=2
	s_or_b32 exec_lo, exec_lo, s47
	s_wait_dscnt 0x0
	s_barrier_signal -1
	s_barrier_wait -1
	ds_load_u16 v9, v3 offset:3072
	s_mov_b32 s47, -1
	s_mov_b32 s48, -1
	s_wait_dscnt 0x0
	s_barrier_signal -1
	s_barrier_wait -1
	v_and_b32_e32 v10, 0xff, v9
	s_delay_alu instid0(VALU_DEP_1)
	v_cmp_ne_u32_e32 vcc_lo, 0, v10
	s_cbranch_vccz .LBB132_375
.LBB132_371:                            ;   in Loop: Header=BB132_372 Depth=2
	s_and_b32 s8, exec_lo, s47
	s_delay_alu instid0(SALU_CYCLE_1) | instskip(SKIP_2) | instid1(SALU_CYCLE_1)
	s_or_b32 s18, s8, s18
	s_and_not1_b32 s8, s46, exec_lo
	s_and_b32 s46, s48, exec_lo
	s_or_b32 s46, s8, s46
	s_and_not1_b32 exec_lo, exec_lo, s18
	s_cbranch_execz .LBB132_378
.LBB132_372:                            ;   Parent Loop BB132_6 Depth=1
                                        ; =>  This Inner Loop Header: Depth=2
	s_mov_b32 s47, exec_lo
	s_delay_alu instid0(VALU_DEP_2)
	v_cmpx_gt_u64_e64 s[10:11], v[4:5]
	s_cbranch_execz .LBB132_370
; %bb.373:                              ;   in Loop: Header=BB132_372 Depth=2
	ds_load_u8 v9, v8
	s_wait_dscnt 0x0
	v_bfe_i32 v10, v9, 0, 8
	s_delay_alu instid0(VALU_DEP_1) | instskip(NEXT) | instid1(VALU_DEP_1)
	v_add_nc_u32_e32 v10, 0x80, v10
	v_and_b32_e32 v10, v10, v41
	s_delay_alu instid0(VALU_DEP_1)
	v_cmp_eq_u32_e32 vcc_lo, v10, v39
	s_and_b32 exec_lo, exec_lo, vcc_lo
	s_cbranch_execz .LBB132_370
; %bb.374:                              ;   in Loop: Header=BB132_372 Depth=2
	v_lshlrev_b16 v9, 8, v9
	s_delay_alu instid0(VALU_DEP_1)
	v_or_b32_e32 v9, 1, v9
	ds_store_b16 v3, v9 offset:3072
	s_branch .LBB132_370
.LBB132_375:                            ;   in Loop: Header=BB132_372 Depth=2
	v_add_nc_u64_e32 v[4:5], s[34:35], v[4:5]
	v_add_nc_u32_e32 v8, s34, v8
	s_mov_b32 s48, 0
	s_delay_alu instid0(VALU_DEP_2)
	v_cmp_le_u64_e32 vcc_lo, s[16:17], v[4:5]
	s_or_not1_b32 s47, vcc_lo, exec_lo
	s_branch .LBB132_371
.LBB132_376:                            ;   in Loop: Header=BB132_6 Depth=1
                                        ; implicit-def: $sgpr20_sgpr21
	s_branch .LBB132_322
.LBB132_377:                            ;   in Loop: Header=BB132_6 Depth=1
                                        ; implicit-def: $sgpr10_sgpr11
	s_branch .LBB132_338
.LBB132_378:                            ;   in Loop: Header=BB132_6 Depth=1
	s_or_b32 exec_lo, exec_lo, s18
	v_and_b32_e32 v4, 0xffff, v9
	s_and_b32 s18, s46, exec_lo
	s_delay_alu instid0(VALU_DEP_1)
	v_lshrrev_b32_e32 v42, 8, v4
.LBB132_379:                            ;   in Loop: Header=BB132_6 Depth=1
	s_or_b32 exec_lo, exec_lo, s28
.LBB132_380:                            ;   in Loop: Header=BB132_6 Depth=1
	s_delay_alu instid0(SALU_CYCLE_1)
	s_and_b32 vcc_lo, exec_lo, s19
	s_cbranch_vccz .LBB132_394
; %bb.381:                              ;   in Loop: Header=BB132_6 Depth=1
	s_and_b64 s[10:11], s[56:57], 0xffffffff00000000
	s_delay_alu instid0(SALU_CYCLE_1)
	s_cmp_lg_u64 s[10:11], 0
	s_cbranch_scc0 .LBB132_413
; %bb.382:                              ;   in Loop: Header=BB132_6 Depth=1
	s_cvt_f32_u32 s10, s34
	s_sub_nc_u64 s[16:17], 0, s[34:35]
	s_delay_alu instid0(SALU_CYCLE_2) | instskip(NEXT) | instid1(SALU_CYCLE_3)
	s_fmamk_f32 s10, s92, 0x0, s10
	v_s_rcp_f32 s10, s10
	s_delay_alu instid0(TRANS32_DEP_1) | instskip(NEXT) | instid1(SALU_CYCLE_3)
	s_mul_f32 s10, s10, 0x5f7ffffc
	s_mul_f32 s11, s10, 0x2f800000
	s_delay_alu instid0(SALU_CYCLE_3) | instskip(NEXT) | instid1(SALU_CYCLE_3)
	s_trunc_f32 s11, s11
	s_fmamk_f32 s10, s11, 0xcf800000, s10
	s_cvt_u32_f32 s11, s11
	s_delay_alu instid0(SALU_CYCLE_2) | instskip(NEXT) | instid1(SALU_CYCLE_3)
	s_cvt_u32_f32 s10, s10
	s_mul_u64 s[46:47], s[16:17], s[10:11]
	s_delay_alu instid0(SALU_CYCLE_1)
	s_mul_hi_u32 s49, s10, s47
	s_mul_i32 s48, s10, s47
	s_mul_hi_u32 s28, s10, s46
	s_mul_i32 s50, s11, s46
	s_add_nc_u64 s[48:49], s[28:29], s[48:49]
	s_mul_hi_u32 s19, s11, s46
	s_mul_hi_u32 s51, s11, s47
	s_add_co_u32 s28, s48, s50
	s_add_co_ci_u32 s28, s49, s19
	s_mul_i32 s46, s11, s47
	s_add_co_ci_u32 s47, s51, 0
	s_delay_alu instid0(SALU_CYCLE_1) | instskip(NEXT) | instid1(SALU_CYCLE_1)
	s_add_nc_u64 s[46:47], s[28:29], s[46:47]
	s_add_co_u32 s10, s10, s46
	s_cselect_b32 s19, -1, 0
	s_delay_alu instid0(SALU_CYCLE_1) | instskip(SKIP_1) | instid1(SALU_CYCLE_1)
	s_cmp_lg_u32 s19, 0
	s_add_co_ci_u32 s11, s11, s47
	s_mul_u64 s[16:17], s[16:17], s[10:11]
	s_delay_alu instid0(SALU_CYCLE_1)
	s_mul_hi_u32 s47, s10, s17
	s_mul_i32 s46, s10, s17
	s_mul_hi_u32 s28, s10, s16
	s_mul_i32 s48, s11, s16
	s_add_nc_u64 s[46:47], s[28:29], s[46:47]
	s_mul_hi_u32 s19, s11, s16
	s_mul_hi_u32 s49, s11, s17
	s_mul_i32 s16, s11, s17
	s_add_co_u32 s17, s46, s48
	s_add_co_ci_u32 s28, s47, s19
	s_add_co_ci_u32 s17, s49, 0
	s_delay_alu instid0(SALU_CYCLE_1) | instskip(NEXT) | instid1(SALU_CYCLE_1)
	s_add_nc_u64 s[16:17], s[28:29], s[16:17]
	s_add_co_u32 s10, s10, s16
	s_cselect_b32 s16, -1, 0
	s_mul_hi_u32 s28, s56, s10
	s_cmp_lg_u32 s16, 0
	s_mul_hi_u32 s19, s57, s10
	s_add_co_ci_u32 s16, s11, s17
	s_mul_i32 s17, s57, s10
	s_mul_hi_u32 s11, s56, s16
	s_mul_i32 s10, s56, s16
	s_mul_hi_u32 s46, s57, s16
	s_add_nc_u64 s[10:11], s[28:29], s[10:11]
	s_mul_i32 s16, s57, s16
	s_add_co_u32 s10, s10, s17
	s_add_co_ci_u32 s28, s11, s19
	s_add_co_ci_u32 s17, s46, 0
	s_delay_alu instid0(SALU_CYCLE_1) | instskip(NEXT) | instid1(SALU_CYCLE_1)
	s_add_nc_u64 s[10:11], s[28:29], s[16:17]
	s_and_b64 s[16:17], s[10:11], 0xffffffff00000000
	s_delay_alu instid0(SALU_CYCLE_1) | instskip(NEXT) | instid1(SALU_CYCLE_1)
	s_or_b32 s16, s16, s10
	s_mul_u64 s[10:11], s[34:35], s[16:17]
	s_delay_alu instid0(SALU_CYCLE_1) | instskip(SKIP_1) | instid1(SALU_CYCLE_1)
	s_sub_co_u32 s10, s56, s10
	s_cselect_b32 s16, -1, 0
	s_cmp_lg_u32 s16, 0
	s_sub_co_ci_u32 s11, s57, s11
	s_sub_co_u32 s16, s10, s34
	s_cselect_b32 s17, -1, 0
	s_delay_alu instid0(SALU_CYCLE_1) | instskip(SKIP_3) | instid1(SALU_CYCLE_1)
	s_cmp_lg_u32 s17, 0
	s_sub_co_ci_u32 s17, s11, 0
	s_sub_co_u32 s19, s16, s34
	s_cselect_b32 s28, -1, 0
	s_cmp_lg_u32 s28, 0
	s_sub_co_ci_u32 s28, s17, 0
	s_cmp_ge_u32 s16, s34
	s_cselect_b32 s46, -1, 0
	s_cmp_eq_u32 s17, 0
	s_cselect_b32 s46, s46, -1
	s_delay_alu instid0(SALU_CYCLE_1)
	s_cmp_lg_u32 s46, 0
	s_cselect_b32 s17, s28, s17
	s_cselect_b32 s16, s19, s16
	s_cmp_ge_u32 s10, s34
	s_cselect_b32 s19, -1, 0
	s_cmp_eq_u32 s11, 0
	s_cselect_b32 s19, s19, -1
	s_delay_alu instid0(SALU_CYCLE_1)
	s_cmp_lg_u32 s19, 0
	s_cselect_b32 s11, s17, s11
	s_cselect_b32 s10, s16, s10
	s_cbranch_execnz .LBB132_384
.LBB132_383:                            ;   in Loop: Header=BB132_6 Depth=1
	v_cvt_f32_u32_e32 v4, s34
	s_sub_co_i32 s11, 0, s34
	s_delay_alu instid0(VALU_DEP_1) | instskip(SKIP_1) | instid1(TRANS32_DEP_1)
	v_rcp_iflag_f32_e32 v4, v4
	v_nop
	v_mul_f32_e32 v4, 0x4f7ffffe, v4
	s_delay_alu instid0(VALU_DEP_1) | instskip(NEXT) | instid1(VALU_DEP_1)
	v_cvt_u32_f32_e32 v4, v4
	v_readfirstlane_b32 s10, v4
	s_mul_i32 s11, s11, s10
	s_delay_alu instid0(SALU_CYCLE_1) | instskip(NEXT) | instid1(SALU_CYCLE_1)
	s_mul_hi_u32 s11, s10, s11
	s_add_co_i32 s10, s10, s11
	s_delay_alu instid0(SALU_CYCLE_1) | instskip(NEXT) | instid1(SALU_CYCLE_1)
	s_mul_hi_u32 s10, s56, s10
	s_mul_i32 s10, s10, s34
	s_delay_alu instid0(SALU_CYCLE_1) | instskip(NEXT) | instid1(SALU_CYCLE_1)
	s_sub_co_i32 s10, s56, s10
	s_sub_co_i32 s11, s10, s34
	s_cmp_ge_u32 s10, s34
	s_cselect_b32 s10, s11, s10
	s_delay_alu instid0(SALU_CYCLE_1) | instskip(SKIP_2) | instid1(SALU_CYCLE_1)
	s_sub_co_i32 s11, s10, s34
	s_cmp_ge_u32 s10, s34
	s_cselect_b32 s28, s11, s10
	s_mov_b64 s[10:11], s[28:29]
.LBB132_384:                            ;   in Loop: Header=BB132_6 Depth=1
	s_delay_alu instid0(SALU_CYCLE_1)
	s_sub_nc_u64 s[10:11], s[56:57], s[10:11]
	s_mov_b32 s16, exec_lo
                                        ; implicit-def: $vgpr42
	v_nop
	v_cmpx_gt_u64_e64 s[10:11], v[0:1]
	s_cbranch_execz .LBB132_393
; %bb.385:                              ;   in Loop: Header=BB132_6 Depth=1
	v_mov_b64_e32 v[4:5], v[14:15]
	v_mov_b64_e32 v[8:9], v[0:1]
	s_mov_b32 s17, 0
                                        ; implicit-def: $sgpr19
	s_branch .LBB132_388
.LBB132_386:                            ;   in Loop: Header=BB132_388 Depth=2
	s_or_b32 exec_lo, exec_lo, s28
	s_wait_dscnt 0x0
	s_barrier_signal -1
	s_barrier_wait -1
	ds_load_u16 v10, v3 offset:3072
	s_mov_b32 s28, -1
	s_mov_b32 s46, -1
	s_wait_dscnt 0x0
	s_barrier_signal -1
	s_barrier_wait -1
	v_and_b32_e32 v11, 0xff, v10
	s_delay_alu instid0(VALU_DEP_1)
	v_cmp_eq_u32_e32 vcc_lo, 0, v11
	s_cbranch_vccnz .LBB132_391
.LBB132_387:                            ;   in Loop: Header=BB132_388 Depth=2
	s_and_b32 s8, exec_lo, s28
	s_delay_alu instid0(SALU_CYCLE_1) | instskip(SKIP_2) | instid1(SALU_CYCLE_1)
	s_or_b32 s17, s8, s17
	s_and_not1_b32 s8, s19, exec_lo
	s_and_b32 s19, s46, exec_lo
	s_or_b32 s19, s8, s19
	s_and_not1_b32 exec_lo, exec_lo, s17
	s_cbranch_execz .LBB132_392
.LBB132_388:                            ;   Parent Loop BB132_6 Depth=1
                                        ; =>  This Inner Loop Header: Depth=2
	s_mov_b32 s28, exec_lo
	s_delay_alu instid0(VALU_DEP_1)
	v_cmpx_gt_u64_e64 s[36:37], v[8:9]
	s_cbranch_execz .LBB132_386
; %bb.389:                              ;   in Loop: Header=BB132_388 Depth=2
	global_load_u8 v10, v[4:5], off
	s_wait_loadcnt 0x0
	v_bfe_i32 v11, v10, 0, 8
	s_delay_alu instid0(VALU_DEP_1) | instskip(NEXT) | instid1(VALU_DEP_1)
	v_add_nc_u32_e32 v11, 0x80, v11
	v_and_b32_e32 v11, v11, v41
	s_delay_alu instid0(VALU_DEP_1)
	v_cmp_eq_u32_e32 vcc_lo, v11, v39
	s_and_b32 exec_lo, exec_lo, vcc_lo
	s_cbranch_execz .LBB132_386
; %bb.390:                              ;   in Loop: Header=BB132_388 Depth=2
	v_lshlrev_b16 v10, 8, v10
	s_delay_alu instid0(VALU_DEP_1)
	v_or_b32_e32 v10, 1, v10
	ds_store_b16 v3, v10 offset:3072
	s_branch .LBB132_386
.LBB132_391:                            ;   in Loop: Header=BB132_388 Depth=2
	v_add_nc_u64_e32 v[8:9], s[34:35], v[8:9]
	v_add_nc_u64_e32 v[4:5], s[40:41], v[4:5]
	s_mov_b32 s46, 0
	s_delay_alu instid0(VALU_DEP_2)
	v_cmp_le_u64_e32 vcc_lo, s[10:11], v[8:9]
	s_or_not1_b32 s28, vcc_lo, exec_lo
	s_branch .LBB132_387
.LBB132_392:                            ;   in Loop: Header=BB132_6 Depth=1
	s_or_b32 exec_lo, exec_lo, s17
	v_and_b32_e32 v4, 0xffff, v10
	s_and_not1_b32 s8, s18, exec_lo
	s_and_b32 s10, s19, exec_lo
	s_delay_alu instid0(SALU_CYCLE_1) | instskip(NEXT) | instid1(VALU_DEP_1)
	s_or_b32 s18, s8, s10
	v_lshrrev_b32_e32 v42, 8, v4
.LBB132_393:                            ;   in Loop: Header=BB132_6 Depth=1
	s_or_b32 exec_lo, exec_lo, s16
	s_mov_b32 s66, 0
	s_mov_b32 s68, -1
.LBB132_394:                            ;   in Loop: Header=BB132_6 Depth=1
	s_or_not1_b32 s10, s18, exec_lo
.LBB132_395:                            ;   in Loop: Header=BB132_6 Depth=1
	s_or_b32 exec_lo, exec_lo, s70
	s_mov_b32 s11, 0
	s_and_saveexec_b32 s18, s10
	s_cbranch_execz .LBB132_457
; %bb.396:                              ;   in Loop: Header=BB132_6 Depth=1
	v_mov_b64_e32 v[4:5], 1
	v_mov_b32_e32 v2, 1
	s_xor_b32 s16, s69, -1
	s_delay_alu instid0(SALU_CYCLE_1)
	s_and_saveexec_b32 s10, s16
	s_cbranch_execz .LBB132_405
; %bb.397:                              ;   in Loop: Header=BB132_6 Depth=1
	s_mov_b32 s11, exec_lo
	v_cmpx_ge_u64_e64 s[14:15], v[6:7]
	s_xor_b32 s11, exec_lo, s11
	s_cbranch_execz .LBB132_402
; %bb.398:                              ;   in Loop: Header=BB132_6 Depth=1
	ds_load_b64 v[4:5], v3 offset:5120
	s_lshl_b32 s16, 1, s91
	v_or_b32_e32 v41, s24, v41
	v_and_or_b32 v39, v39, s25, s16
	s_wait_dscnt 0x0
	v_cmp_ne_u64_e32 vcc_lo, 0, v[4:5]
	s_cbranch_vccnz .LBB132_402
; %bb.399:                              ;   in Loop: Header=BB132_6 Depth=1
	s_and_saveexec_b32 s16, s5
; %bb.400:                              ;   in Loop: Header=BB132_6 Depth=1
	v_mov_b64_e32 v[4:5], s[14:15]
	ds_store_b64 v3, v[4:5] offset:5128
; %bb.401:                              ;   in Loop: Header=BB132_6 Depth=1
	s_or_b32 exec_lo, exec_lo, s16
	s_wait_dscnt 0x0
	s_barrier_signal -1
	s_barrier_wait -1
.LBB132_402:                            ;   in Loop: Header=BB132_6 Depth=1
	s_or_saveexec_b32 s11, s11
	v_mov_b32_e32 v2, 5
	s_mov_b32 s16, 0
	s_xor_b32 exec_lo, exec_lo, s11
; %bb.403:                              ;   in Loop: Header=BB132_6 Depth=1
	v_sub_nc_u64_e64 v[6:7], v[6:7], s[14:15]
	v_mov_b32_e32 v2, 0
	s_mov_b32 s16, exec_lo
; %bb.404:                              ;   in Loop: Header=BB132_6 Depth=1
	s_or_b32 exec_lo, exec_lo, s11
	s_delay_alu instid0(VALU_DEP_2)
	v_mov_b64_e32 v[4:5], v[6:7]
	s_and_b32 s11, s16, exec_lo
.LBB132_405:                            ;   in Loop: Header=BB132_6 Depth=1
	s_or_b32 exec_lo, exec_lo, s10
	s_mov_b32 s10, -1
                                        ; implicit-def: $sgpr72
                                        ; implicit-def: $sgpr71
	s_and_saveexec_b32 s19, s11
	s_cbranch_execz .LBB132_456
; %bb.406:                              ;   in Loop: Header=BB132_6 Depth=1
	s_delay_alu instid0(VALU_DEP_1) | instskip(SKIP_3) | instid1(SALU_CYCLE_1)
	v_cmp_eq_u64_e32 vcc_lo, 1, v[4:5]
	s_cmp_eq_u64 s[12:13], 1
	s_mov_b32 s11, -1
	s_cselect_b32 s10, -1, 0
                                        ; implicit-def: $sgpr72
                                        ; implicit-def: $sgpr71
	s_and_b32 s69, s10, vcc_lo
	s_delay_alu instid0(SALU_CYCLE_1)
	s_and_saveexec_b32 s70, s69
	s_cbranch_execz .LBB132_444
; %bb.407:                              ;   in Loop: Header=BB132_6 Depth=1
	ds_load_b64 v[6:7], v3 offset:5120
	s_wait_dscnt 0x0
	s_barrier_signal -1
	s_barrier_wait -1
	v_readfirstlane_b32 s10, v6
	v_readfirstlane_b32 s11, v7
	s_and_saveexec_b32 s14, s6
; %bb.408:                              ;   in Loop: Header=BB132_6 Depth=1
	ds_store_b8 v0, v3 offset:3072
; %bb.409:                              ;   in Loop: Header=BB132_6 Depth=1
	s_or_b32 exec_lo, exec_lo, s14
	v_and_b32_e32 v39, s25, v39
	v_or_b32_e32 v41, s24, v41
	s_mov_b32 s71, -1
	s_mov_b32 s72, 0
	s_cmp_eq_u64 s[10:11], 0
	s_mov_b32 s16, 0
	s_mov_b32 s17, -1
	s_wait_dscnt 0x0
	s_barrier_signal -1
	s_barrier_wait -1
                                        ; implicit-def: $vgpr42
	s_cbranch_scc1 .LBB132_427
; %bb.410:                              ;   in Loop: Header=BB132_6 Depth=1
	s_add_nc_u64 s[14:15], s[10:11], s[54:55]
	s_delay_alu instid0(SALU_CYCLE_1) | instskip(NEXT) | instid1(SALU_CYCLE_1)
	s_and_b64 s[16:17], s[14:15], 0xffffffff00000000
	s_cmp_lg_u64 s[16:17], 0
	s_cbranch_scc0 .LBB132_414
; %bb.411:                              ;   in Loop: Header=BB132_6 Depth=1
	s_cvt_f32_u32 s16, s34
	s_sub_nc_u64 s[46:47], 0, s[34:35]
	s_delay_alu instid0(SALU_CYCLE_2) | instskip(NEXT) | instid1(SALU_CYCLE_3)
	s_fmamk_f32 s16, s92, 0x0, s16
	v_s_rcp_f32 s16, s16
	s_delay_alu instid0(TRANS32_DEP_1) | instskip(NEXT) | instid1(SALU_CYCLE_3)
	s_mul_f32 s16, s16, 0x5f7ffffc
	s_mul_f32 s17, s16, 0x2f800000
	s_delay_alu instid0(SALU_CYCLE_3) | instskip(NEXT) | instid1(SALU_CYCLE_3)
	s_trunc_f32 s17, s17
	s_fmamk_f32 s16, s17, 0xcf800000, s16
	s_cvt_u32_f32 s17, s17
	s_delay_alu instid0(SALU_CYCLE_2) | instskip(NEXT) | instid1(SALU_CYCLE_3)
	s_cvt_u32_f32 s16, s16
	s_mul_u64 s[48:49], s[46:47], s[16:17]
	s_delay_alu instid0(SALU_CYCLE_1)
	s_mul_hi_u32 s75, s16, s49
	s_mul_i32 s74, s16, s49
	s_mul_hi_u32 s28, s16, s48
	s_mul_i32 s51, s17, s48
	s_add_nc_u64 s[74:75], s[28:29], s[74:75]
	s_mul_hi_u32 s50, s17, s48
	s_mul_hi_u32 s52, s17, s49
	s_add_co_u32 s28, s74, s51
	s_add_co_ci_u32 s28, s75, s50
	s_mul_i32 s48, s17, s49
	s_add_co_ci_u32 s49, s52, 0
	s_delay_alu instid0(SALU_CYCLE_1) | instskip(NEXT) | instid1(SALU_CYCLE_1)
	s_add_nc_u64 s[48:49], s[28:29], s[48:49]
	s_add_co_u32 s16, s16, s48
	s_cselect_b32 s28, -1, 0
	s_delay_alu instid0(SALU_CYCLE_1) | instskip(SKIP_1) | instid1(SALU_CYCLE_1)
	s_cmp_lg_u32 s28, 0
	s_add_co_ci_u32 s17, s17, s49
	s_mul_u64 s[46:47], s[46:47], s[16:17]
	s_delay_alu instid0(SALU_CYCLE_1)
	s_mul_hi_u32 s49, s16, s47
	s_mul_i32 s48, s16, s47
	s_mul_hi_u32 s28, s16, s46
	s_mul_i32 s51, s17, s46
	s_add_nc_u64 s[48:49], s[28:29], s[48:49]
	s_mul_hi_u32 s50, s17, s46
	s_mul_hi_u32 s52, s17, s47
	s_add_co_u32 s28, s48, s51
	s_add_co_ci_u32 s28, s49, s50
	s_mul_i32 s46, s17, s47
	s_add_co_ci_u32 s47, s52, 0
	s_delay_alu instid0(SALU_CYCLE_1) | instskip(NEXT) | instid1(SALU_CYCLE_1)
	s_add_nc_u64 s[46:47], s[28:29], s[46:47]
	s_add_co_u32 s16, s16, s46
	s_cselect_b32 s46, -1, 0
	s_mul_hi_u32 s28, s14, s16
	s_cmp_lg_u32 s46, 0
	s_mul_hi_u32 s48, s15, s16
	s_add_co_ci_u32 s46, s17, s47
	s_mul_i32 s47, s15, s16
	s_mul_hi_u32 s17, s14, s46
	s_mul_i32 s16, s14, s46
	s_mul_hi_u32 s49, s15, s46
	s_add_nc_u64 s[16:17], s[28:29], s[16:17]
	s_mul_i32 s46, s15, s46
	s_add_co_u32 s16, s16, s47
	s_add_co_ci_u32 s28, s17, s48
	s_add_co_ci_u32 s47, s49, 0
	s_delay_alu instid0(SALU_CYCLE_1) | instskip(NEXT) | instid1(SALU_CYCLE_1)
	s_add_nc_u64 s[16:17], s[28:29], s[46:47]
	s_and_b64 s[46:47], s[16:17], 0xffffffff00000000
	s_delay_alu instid0(SALU_CYCLE_1) | instskip(NEXT) | instid1(SALU_CYCLE_1)
	s_or_b32 s46, s46, s16
	s_mul_u64 s[16:17], s[34:35], s[46:47]
	s_delay_alu instid0(SALU_CYCLE_1) | instskip(SKIP_1) | instid1(SALU_CYCLE_1)
	s_sub_co_u32 s16, s14, s16
	s_cselect_b32 s28, -1, 0
	s_cmp_lg_u32 s28, 0
	s_sub_co_ci_u32 s17, s15, s17
	s_sub_co_u32 s28, s16, s34
	s_cselect_b32 s46, -1, 0
	s_delay_alu instid0(SALU_CYCLE_1) | instskip(SKIP_3) | instid1(SALU_CYCLE_1)
	s_cmp_lg_u32 s46, 0
	s_sub_co_ci_u32 s46, s17, 0
	s_sub_co_u32 s47, s28, s34
	s_cselect_b32 s48, -1, 0
	s_cmp_lg_u32 s48, 0
	s_sub_co_ci_u32 s48, s46, 0
	s_cmp_ge_u32 s28, s34
	s_cselect_b32 s49, -1, 0
	s_cmp_eq_u32 s46, 0
	s_cselect_b32 s49, s49, -1
	s_delay_alu instid0(SALU_CYCLE_1)
	s_cmp_lg_u32 s49, 0
	s_cselect_b32 s46, s48, s46
	s_cselect_b32 s28, s47, s28
	s_cmp_ge_u32 s16, s34
	s_cselect_b32 s47, -1, 0
	s_cmp_eq_u32 s17, 0
	s_cselect_b32 s47, s47, -1
	s_delay_alu instid0(SALU_CYCLE_1)
	s_cmp_lg_u32 s47, 0
	s_cselect_b32 s17, s46, s17
	s_cselect_b32 s16, s28, s16
	s_mov_b32 s28, 0
	s_branch .LBB132_415
.LBB132_412:                            ;   in Loop: Header=BB132_6 Depth=1
                                        ; implicit-def: $sgpr18_sgpr19
	s_branch .LBB132_367
.LBB132_413:                            ;   in Loop: Header=BB132_6 Depth=1
                                        ; implicit-def: $sgpr10_sgpr11
	s_branch .LBB132_383
.LBB132_414:                            ;   in Loop: Header=BB132_6 Depth=1
	s_mov_b32 s28, -1
                                        ; implicit-def: $sgpr16_sgpr17
.LBB132_415:                            ;   in Loop: Header=BB132_6 Depth=1
	s_delay_alu instid0(SALU_CYCLE_1)
	s_and_not1_b32 vcc_lo, exec_lo, s28
	s_cbranch_vccnz .LBB132_417
; %bb.416:                              ;   in Loop: Header=BB132_6 Depth=1
	v_cvt_f32_u32_e32 v6, s34
	s_sub_co_i32 s17, 0, s34
	s_delay_alu instid0(VALU_DEP_1) | instskip(SKIP_1) | instid1(TRANS32_DEP_1)
	v_rcp_iflag_f32_e32 v6, v6
	v_nop
	v_mul_f32_e32 v6, 0x4f7ffffe, v6
	s_delay_alu instid0(VALU_DEP_1) | instskip(NEXT) | instid1(VALU_DEP_1)
	v_cvt_u32_f32_e32 v6, v6
	v_readfirstlane_b32 s16, v6
	s_mul_i32 s17, s17, s16
	s_delay_alu instid0(SALU_CYCLE_1) | instskip(NEXT) | instid1(SALU_CYCLE_1)
	s_mul_hi_u32 s17, s16, s17
	s_add_co_i32 s16, s16, s17
	s_delay_alu instid0(SALU_CYCLE_1) | instskip(NEXT) | instid1(SALU_CYCLE_1)
	s_mul_hi_u32 s16, s14, s16
	s_mul_i32 s16, s16, s34
	s_delay_alu instid0(SALU_CYCLE_1) | instskip(NEXT) | instid1(SALU_CYCLE_1)
	s_sub_co_i32 s16, s14, s16
	s_sub_co_i32 s17, s16, s34
	s_cmp_ge_u32 s16, s34
	s_cselect_b32 s16, s17, s16
	s_delay_alu instid0(SALU_CYCLE_1) | instskip(SKIP_2) | instid1(SALU_CYCLE_1)
	s_sub_co_i32 s17, s16, s34
	s_cmp_ge_u32 s16, s34
	s_cselect_b32 s28, s17, s16
	s_mov_b64 s[16:17], s[28:29]
.LBB132_417:                            ;   in Loop: Header=BB132_6 Depth=1
	s_delay_alu instid0(SALU_CYCLE_1)
	s_sub_nc_u64 s[14:15], s[14:15], s[16:17]
	s_mov_b32 s17, 0
	s_mov_b32 s16, 0
	s_mov_b32 s28, exec_lo
                                        ; implicit-def: $vgpr42
	v_cmpx_gt_u64_e64 s[14:15], v[0:1]
	s_cbranch_execz .LBB132_426
; %bb.418:                              ;   in Loop: Header=BB132_6 Depth=1
	v_mov_b64_e32 v[6:7], v[0:1]
	v_mov_b32_e32 v8, v0
                                        ; implicit-def: $sgpr46
	s_branch .LBB132_421
.LBB132_419:                            ;   in Loop: Header=BB132_421 Depth=2
	s_or_b32 exec_lo, exec_lo, s47
	s_wait_dscnt 0x0
	s_barrier_signal -1
	s_barrier_wait -1
	ds_load_u16 v9, v3 offset:3072
	s_mov_b32 s47, -1
	s_mov_b32 s48, -1
	s_wait_dscnt 0x0
	s_barrier_signal -1
	s_barrier_wait -1
	v_and_b32_e32 v10, 0xff, v9
	s_delay_alu instid0(VALU_DEP_1)
	v_cmp_ne_u32_e32 vcc_lo, 0, v10
	s_cbranch_vccz .LBB132_424
.LBB132_420:                            ;   in Loop: Header=BB132_421 Depth=2
	s_and_b32 s8, exec_lo, s47
	s_delay_alu instid0(SALU_CYCLE_1) | instskip(SKIP_2) | instid1(SALU_CYCLE_1)
	s_or_b32 s16, s8, s16
	s_and_not1_b32 s8, s46, exec_lo
	s_and_b32 s46, s48, exec_lo
	s_or_b32 s46, s8, s46
	s_and_not1_b32 exec_lo, exec_lo, s16
	s_cbranch_execz .LBB132_425
.LBB132_421:                            ;   Parent Loop BB132_6 Depth=1
                                        ; =>  This Inner Loop Header: Depth=2
	s_mov_b32 s47, exec_lo
	s_delay_alu instid0(VALU_DEP_2)
	v_cmpx_gt_u64_e64 s[10:11], v[6:7]
	s_cbranch_execz .LBB132_419
; %bb.422:                              ;   in Loop: Header=BB132_421 Depth=2
	ds_load_u8 v9, v8
	s_wait_dscnt 0x0
	v_bfe_i32 v10, v9, 0, 8
	s_delay_alu instid0(VALU_DEP_1) | instskip(NEXT) | instid1(VALU_DEP_1)
	v_add_nc_u32_e32 v10, 0x80, v10
	v_and_b32_e32 v10, v10, v41
	s_delay_alu instid0(VALU_DEP_1)
	v_cmp_eq_u32_e32 vcc_lo, v10, v39
	s_and_b32 exec_lo, exec_lo, vcc_lo
	s_cbranch_execz .LBB132_419
; %bb.423:                              ;   in Loop: Header=BB132_421 Depth=2
	v_lshlrev_b16 v9, 8, v9
	s_delay_alu instid0(VALU_DEP_1)
	v_or_b32_e32 v9, 1, v9
	ds_store_b16 v3, v9 offset:3072
	s_branch .LBB132_419
.LBB132_424:                            ;   in Loop: Header=BB132_421 Depth=2
	v_add_nc_u64_e32 v[6:7], s[34:35], v[6:7]
	v_add_nc_u32_e32 v8, s34, v8
	s_mov_b32 s48, 0
	s_delay_alu instid0(VALU_DEP_2)
	v_cmp_le_u64_e32 vcc_lo, s[14:15], v[6:7]
	s_or_not1_b32 s47, vcc_lo, exec_lo
	s_branch .LBB132_420
.LBB132_425:                            ;   in Loop: Header=BB132_6 Depth=1
	s_or_b32 exec_lo, exec_lo, s16
	v_and_b32_e32 v6, 0xffff, v9
	s_and_b32 s16, s46, exec_lo
	s_delay_alu instid0(VALU_DEP_1)
	v_lshrrev_b32_e32 v42, 8, v6
.LBB132_426:                            ;   in Loop: Header=BB132_6 Depth=1
	s_or_b32 exec_lo, exec_lo, s28
.LBB132_427:                            ;   in Loop: Header=BB132_6 Depth=1
	s_delay_alu instid0(SALU_CYCLE_1)
	s_and_b32 vcc_lo, exec_lo, s17
	s_cbranch_vccz .LBB132_443
; %bb.428:                              ;   in Loop: Header=BB132_6 Depth=1
	s_and_b64 s[10:11], s[56:57], 0xffffffff00000000
	s_delay_alu instid0(SALU_CYCLE_1)
	s_cmp_lg_u64 s[10:11], 0
	s_cbranch_scc0 .LBB132_430
; %bb.429:                              ;   in Loop: Header=BB132_6 Depth=1
	s_cvt_f32_u32 s10, s34
	s_sub_nc_u64 s[14:15], 0, s[34:35]
	s_delay_alu instid0(SALU_CYCLE_2) | instskip(NEXT) | instid1(SALU_CYCLE_3)
	s_fmamk_f32 s10, s92, 0x0, s10
	v_s_rcp_f32 s10, s10
	s_delay_alu instid0(TRANS32_DEP_1) | instskip(NEXT) | instid1(SALU_CYCLE_3)
	s_mul_f32 s10, s10, 0x5f7ffffc
	s_mul_f32 s11, s10, 0x2f800000
	s_delay_alu instid0(SALU_CYCLE_3) | instskip(NEXT) | instid1(SALU_CYCLE_3)
	s_trunc_f32 s11, s11
	s_fmamk_f32 s10, s11, 0xcf800000, s10
	s_cvt_u32_f32 s11, s11
	s_delay_alu instid0(SALU_CYCLE_2) | instskip(NEXT) | instid1(SALU_CYCLE_3)
	s_cvt_u32_f32 s10, s10
	s_mul_u64 s[46:47], s[14:15], s[10:11]
	s_delay_alu instid0(SALU_CYCLE_1)
	s_mul_hi_u32 s49, s10, s47
	s_mul_i32 s48, s10, s47
	s_mul_hi_u32 s28, s10, s46
	s_mul_i32 s50, s11, s46
	s_add_nc_u64 s[48:49], s[28:29], s[48:49]
	s_mul_hi_u32 s17, s11, s46
	s_mul_hi_u32 s51, s11, s47
	s_add_co_u32 s28, s48, s50
	s_add_co_ci_u32 s28, s49, s17
	s_mul_i32 s46, s11, s47
	s_add_co_ci_u32 s47, s51, 0
	s_delay_alu instid0(SALU_CYCLE_1) | instskip(NEXT) | instid1(SALU_CYCLE_1)
	s_add_nc_u64 s[46:47], s[28:29], s[46:47]
	s_add_co_u32 s10, s10, s46
	s_cselect_b32 s17, -1, 0
	s_delay_alu instid0(SALU_CYCLE_1) | instskip(SKIP_1) | instid1(SALU_CYCLE_1)
	s_cmp_lg_u32 s17, 0
	s_add_co_ci_u32 s11, s11, s47
	s_mul_u64 s[14:15], s[14:15], s[10:11]
	s_delay_alu instid0(SALU_CYCLE_1)
	s_mul_hi_u32 s47, s10, s15
	s_mul_i32 s46, s10, s15
	s_mul_hi_u32 s28, s10, s14
	s_mul_i32 s48, s11, s14
	s_add_nc_u64 s[46:47], s[28:29], s[46:47]
	s_mul_hi_u32 s17, s11, s14
	s_mul_hi_u32 s49, s11, s15
	s_mul_i32 s14, s11, s15
	s_add_co_u32 s15, s46, s48
	s_add_co_ci_u32 s28, s47, s17
	s_add_co_ci_u32 s15, s49, 0
	s_delay_alu instid0(SALU_CYCLE_1) | instskip(NEXT) | instid1(SALU_CYCLE_1)
	s_add_nc_u64 s[14:15], s[28:29], s[14:15]
	s_add_co_u32 s10, s10, s14
	s_cselect_b32 s14, -1, 0
	s_mul_hi_u32 s28, s56, s10
	s_cmp_lg_u32 s14, 0
	s_mul_hi_u32 s17, s57, s10
	s_add_co_ci_u32 s14, s11, s15
	s_mul_i32 s15, s57, s10
	s_mul_hi_u32 s11, s56, s14
	s_mul_i32 s10, s56, s14
	s_mul_hi_u32 s46, s57, s14
	s_add_nc_u64 s[10:11], s[28:29], s[10:11]
	s_mul_i32 s14, s57, s14
	s_add_co_u32 s10, s10, s15
	s_add_co_ci_u32 s28, s11, s17
	s_add_co_ci_u32 s15, s46, 0
	s_delay_alu instid0(SALU_CYCLE_1) | instskip(NEXT) | instid1(SALU_CYCLE_1)
	s_add_nc_u64 s[10:11], s[28:29], s[14:15]
	s_and_b64 s[14:15], s[10:11], 0xffffffff00000000
	s_delay_alu instid0(SALU_CYCLE_1) | instskip(NEXT) | instid1(SALU_CYCLE_1)
	s_or_b32 s14, s14, s10
	s_mul_u64 s[10:11], s[34:35], s[14:15]
	s_delay_alu instid0(SALU_CYCLE_1) | instskip(SKIP_1) | instid1(SALU_CYCLE_1)
	s_sub_co_u32 s10, s56, s10
	s_cselect_b32 s14, -1, 0
	s_cmp_lg_u32 s14, 0
	s_sub_co_ci_u32 s11, s57, s11
	s_sub_co_u32 s14, s10, s34
	s_cselect_b32 s15, -1, 0
	s_delay_alu instid0(SALU_CYCLE_1) | instskip(SKIP_3) | instid1(SALU_CYCLE_1)
	s_cmp_lg_u32 s15, 0
	s_sub_co_ci_u32 s15, s11, 0
	s_sub_co_u32 s17, s14, s34
	s_cselect_b32 s28, -1, 0
	s_cmp_lg_u32 s28, 0
	s_sub_co_ci_u32 s28, s15, 0
	s_cmp_ge_u32 s14, s34
	s_cselect_b32 s46, -1, 0
	s_cmp_eq_u32 s15, 0
	s_cselect_b32 s46, s46, -1
	s_delay_alu instid0(SALU_CYCLE_1)
	s_cmp_lg_u32 s46, 0
	s_cselect_b32 s15, s28, s15
	s_cselect_b32 s14, s17, s14
	s_cmp_ge_u32 s10, s34
	s_cselect_b32 s17, -1, 0
	s_cmp_eq_u32 s11, 0
	s_cselect_b32 s17, s17, -1
	s_delay_alu instid0(SALU_CYCLE_1)
	s_cmp_lg_u32 s17, 0
	s_cselect_b32 s11, s15, s11
	s_cselect_b32 s10, s14, s10
	s_mov_b32 s14, 0
	s_branch .LBB132_431
.LBB132_430:                            ;   in Loop: Header=BB132_6 Depth=1
	s_mov_b32 s14, -1
                                        ; implicit-def: $sgpr10_sgpr11
.LBB132_431:                            ;   in Loop: Header=BB132_6 Depth=1
	s_delay_alu instid0(SALU_CYCLE_1)
	s_and_not1_b32 vcc_lo, exec_lo, s14
	s_cbranch_vccnz .LBB132_433
; %bb.432:                              ;   in Loop: Header=BB132_6 Depth=1
	v_cvt_f32_u32_e32 v6, s34
	s_sub_co_i32 s11, 0, s34
	s_delay_alu instid0(VALU_DEP_1) | instskip(SKIP_1) | instid1(TRANS32_DEP_1)
	v_rcp_iflag_f32_e32 v6, v6
	v_nop
	v_mul_f32_e32 v6, 0x4f7ffffe, v6
	s_delay_alu instid0(VALU_DEP_1) | instskip(NEXT) | instid1(VALU_DEP_1)
	v_cvt_u32_f32_e32 v6, v6
	v_readfirstlane_b32 s10, v6
	s_mul_i32 s11, s11, s10
	s_delay_alu instid0(SALU_CYCLE_1) | instskip(NEXT) | instid1(SALU_CYCLE_1)
	s_mul_hi_u32 s11, s10, s11
	s_add_co_i32 s10, s10, s11
	s_delay_alu instid0(SALU_CYCLE_1) | instskip(NEXT) | instid1(SALU_CYCLE_1)
	s_mul_hi_u32 s10, s56, s10
	s_mul_i32 s10, s10, s34
	s_delay_alu instid0(SALU_CYCLE_1) | instskip(NEXT) | instid1(SALU_CYCLE_1)
	s_sub_co_i32 s10, s56, s10
	s_sub_co_i32 s11, s10, s34
	s_cmp_ge_u32 s10, s34
	s_cselect_b32 s10, s11, s10
	s_delay_alu instid0(SALU_CYCLE_1) | instskip(SKIP_2) | instid1(SALU_CYCLE_1)
	s_sub_co_i32 s11, s10, s34
	s_cmp_ge_u32 s10, s34
	s_cselect_b32 s28, s11, s10
	s_mov_b64 s[10:11], s[28:29]
.LBB132_433:                            ;   in Loop: Header=BB132_6 Depth=1
	s_delay_alu instid0(SALU_CYCLE_1)
	s_sub_nc_u64 s[10:11], s[56:57], s[10:11]
	s_mov_b32 s14, exec_lo
                                        ; implicit-def: $vgpr42
	v_nop
	v_cmpx_gt_u64_e64 s[10:11], v[0:1]
	s_cbranch_execz .LBB132_442
; %bb.434:                              ;   in Loop: Header=BB132_6 Depth=1
	v_mov_b64_e32 v[6:7], v[14:15]
	v_mov_b64_e32 v[8:9], v[0:1]
	s_mov_b32 s15, 0
                                        ; implicit-def: $sgpr17
	s_branch .LBB132_437
.LBB132_435:                            ;   in Loop: Header=BB132_437 Depth=2
	s_or_b32 exec_lo, exec_lo, s28
	s_wait_dscnt 0x0
	s_barrier_signal -1
	s_barrier_wait -1
	ds_load_u16 v10, v3 offset:3072
	s_mov_b32 s28, -1
	s_mov_b32 s46, -1
	s_wait_dscnt 0x0
	s_barrier_signal -1
	s_barrier_wait -1
	v_and_b32_e32 v11, 0xff, v10
	s_delay_alu instid0(VALU_DEP_1)
	v_cmp_eq_u32_e32 vcc_lo, 0, v11
	s_cbranch_vccnz .LBB132_440
.LBB132_436:                            ;   in Loop: Header=BB132_437 Depth=2
	s_and_b32 s8, exec_lo, s28
	s_delay_alu instid0(SALU_CYCLE_1) | instskip(SKIP_2) | instid1(SALU_CYCLE_1)
	s_or_b32 s15, s8, s15
	s_and_not1_b32 s8, s17, exec_lo
	s_and_b32 s17, s46, exec_lo
	s_or_b32 s17, s8, s17
	s_and_not1_b32 exec_lo, exec_lo, s15
	s_cbranch_execz .LBB132_441
.LBB132_437:                            ;   Parent Loop BB132_6 Depth=1
                                        ; =>  This Inner Loop Header: Depth=2
	s_mov_b32 s28, exec_lo
	s_delay_alu instid0(VALU_DEP_1)
	v_cmpx_gt_u64_e64 s[36:37], v[8:9]
	s_cbranch_execz .LBB132_435
; %bb.438:                              ;   in Loop: Header=BB132_437 Depth=2
	global_load_u8 v10, v[6:7], off
	s_wait_loadcnt 0x0
	v_bfe_i32 v11, v10, 0, 8
	s_delay_alu instid0(VALU_DEP_1) | instskip(NEXT) | instid1(VALU_DEP_1)
	v_add_nc_u32_e32 v11, 0x80, v11
	v_and_b32_e32 v11, v11, v41
	s_delay_alu instid0(VALU_DEP_1)
	v_cmp_eq_u32_e32 vcc_lo, v11, v39
	s_and_b32 exec_lo, exec_lo, vcc_lo
	s_cbranch_execz .LBB132_435
; %bb.439:                              ;   in Loop: Header=BB132_437 Depth=2
	v_lshlrev_b16 v10, 8, v10
	s_delay_alu instid0(VALU_DEP_1)
	v_or_b32_e32 v10, 1, v10
	ds_store_b16 v3, v10 offset:3072
	s_branch .LBB132_435
.LBB132_440:                            ;   in Loop: Header=BB132_437 Depth=2
	v_add_nc_u64_e32 v[8:9], s[34:35], v[8:9]
	v_add_nc_u64_e32 v[6:7], s[40:41], v[6:7]
	s_mov_b32 s46, 0
	s_delay_alu instid0(VALU_DEP_2)
	v_cmp_le_u64_e32 vcc_lo, s[10:11], v[8:9]
	s_or_not1_b32 s28, vcc_lo, exec_lo
	s_branch .LBB132_436
.LBB132_441:                            ;   in Loop: Header=BB132_6 Depth=1
	s_or_b32 exec_lo, exec_lo, s15
	v_and_b32_e32 v6, 0xffff, v10
	s_and_not1_b32 s8, s16, exec_lo
	s_and_b32 s10, s17, exec_lo
	s_delay_alu instid0(SALU_CYCLE_1) | instskip(NEXT) | instid1(VALU_DEP_1)
	s_or_b32 s16, s8, s10
	v_lshrrev_b32_e32 v42, 8, v6
.LBB132_442:                            ;   in Loop: Header=BB132_6 Depth=1
	s_or_b32 exec_lo, exec_lo, s14
	s_mov_b32 s71, 0
	s_mov_b32 s72, -1
.LBB132_443:                            ;   in Loop: Header=BB132_6 Depth=1
	s_or_not1_b32 s11, s16, exec_lo
.LBB132_444:                            ;   in Loop: Header=BB132_6 Depth=1
	s_or_b32 exec_lo, exec_lo, s70
	s_mov_b32 s14, 0
	s_and_saveexec_b32 s10, s11
	s_cbranch_execz .LBB132_455
; %bb.445:                              ;   in Loop: Header=BB132_6 Depth=1
	v_mov_b64_e32 v[6:7], 1
	v_mov_b32_e32 v2, 1
	s_xor_b32 s14, s69, -1
	s_delay_alu instid0(SALU_CYCLE_1)
	s_and_saveexec_b32 s11, s14
	s_cbranch_execz .LBB132_454
; %bb.446:                              ;   in Loop: Header=BB132_6 Depth=1
	s_mov_b32 s14, exec_lo
	v_cmpx_ge_u64_e64 s[12:13], v[4:5]
	s_xor_b32 s14, exec_lo, s14
	s_cbranch_execz .LBB132_451
; %bb.447:                              ;   in Loop: Header=BB132_6 Depth=1
	ds_load_b64 v[6:7], v3 offset:5120
	v_and_b32_e32 v39, s25, v39
	v_or_b32_e32 v41, s24, v41
	s_wait_dscnt 0x0
	v_cmp_ne_u64_e32 vcc_lo, 0, v[6:7]
	s_cbranch_vccnz .LBB132_451
; %bb.448:                              ;   in Loop: Header=BB132_6 Depth=1
	s_and_saveexec_b32 s15, s5
; %bb.449:                              ;   in Loop: Header=BB132_6 Depth=1
	v_mov_b64_e32 v[6:7], s[12:13]
	ds_store_b64 v3, v[6:7] offset:5128
; %bb.450:                              ;   in Loop: Header=BB132_6 Depth=1
	s_or_b32 exec_lo, exec_lo, s15
	s_wait_dscnt 0x0
	s_barrier_signal -1
	s_barrier_wait -1
.LBB132_451:                            ;   in Loop: Header=BB132_6 Depth=1
	s_and_not1_saveexec_b32 s14, s14
; %bb.452:                              ;   in Loop: Header=BB132_6 Depth=1
	v_sub_nc_u64_e64 v[4:5], v[4:5], s[12:13]
; %bb.453:                              ;   in Loop: Header=BB132_6 Depth=1
	s_or_b32 exec_lo, exec_lo, s14
	s_delay_alu instid0(VALU_DEP_1)
	v_mov_b64_e32 v[6:7], v[4:5]
	v_mov_b32_e32 v2, 5
.LBB132_454:                            ;   in Loop: Header=BB132_6 Depth=1
	s_or_b32 exec_lo, exec_lo, s11
	s_delay_alu instid0(VALU_DEP_2)
	v_mov_b64_e32 v[4:5], v[6:7]
	s_mov_b32 s14, exec_lo
.LBB132_455:                            ;   in Loop: Header=BB132_6 Depth=1
	s_or_b32 exec_lo, exec_lo, s10
	s_delay_alu instid0(SALU_CYCLE_1)
	s_or_not1_b32 s10, s14, exec_lo
.LBB132_456:                            ;   in Loop: Header=BB132_6 Depth=1
	s_or_b32 exec_lo, exec_lo, s19
	s_delay_alu instid0(VALU_DEP_1)
	v_mov_b64_e32 v[6:7], v[4:5]
	s_and_not1_b32 s11, s68, exec_lo
	s_and_b32 s12, s72, exec_lo
	s_and_not1_b32 s13, s66, exec_lo
	s_and_b32 s14, s71, exec_lo
	s_or_b32 s68, s11, s12
	s_or_b32 s66, s13, s14
	s_and_b32 s11, s10, exec_lo
.LBB132_457:                            ;   in Loop: Header=BB132_6 Depth=1
	s_or_b32 exec_lo, exec_lo, s18
	s_delay_alu instid0(SALU_CYCLE_1)
	s_or_not1_b32 s10, s11, exec_lo
.LBB132_458:                            ;   in Loop: Header=BB132_6 Depth=1
	s_or_b32 exec_lo, exec_lo, s21
	v_mov_b64_e32 v[4:5], v[6:7]
	s_and_not1_b32 s11, s65, exec_lo
	s_and_b32 s12, s68, exec_lo
	s_and_not1_b32 s13, s23, exec_lo
	s_and_b32 s14, s66, exec_lo
	s_or_b32 s65, s11, s12
	s_or_b32 s23, s13, s14
	s_and_b32 s11, s10, exec_lo
.LBB132_459:                            ;   in Loop: Header=BB132_6 Depth=1
	s_or_b32 exec_lo, exec_lo, s20
	s_delay_alu instid0(SALU_CYCLE_1)
	s_or_not1_b32 s10, s11, exec_lo
.LBB132_460:                            ;   in Loop: Header=BB132_6 Depth=1
	s_or_b32 exec_lo, exec_lo, s9
	s_mov_b32 s9, s64
	s_mov_b32 s11, s27
	s_and_saveexec_b32 s12, s10
; %bb.461:                              ;   in Loop: Header=BB132_6 Depth=1
	v_cmp_ne_u32_e32 vcc_lo, 5, v2
	v_cmp_eq_u32_e64 s9, 5, v2
	s_and_not1_b32 s10, s27, exec_lo
	s_and_not1_b32 s13, s64, exec_lo
	s_and_b32 s11, vcc_lo, exec_lo
	s_and_b32 s9, s9, exec_lo
	s_or_b32 s11, s10, s11
	s_or_b32 s9, s13, s9
; %bb.462:                              ;   in Loop: Header=BB132_6 Depth=1
	s_or_b32 exec_lo, exec_lo, s12
	s_delay_alu instid0(SALU_CYCLE_1)
	s_and_not1_b32 s8, s67, exec_lo
	s_and_b32 s10, s65, exec_lo
	s_and_not1_b32 s12, s26, exec_lo
	s_and_b32 s13, s23, exec_lo
	s_or_b32 s67, s8, s10
	s_and_not1_b32 s8, s27, exec_lo
	s_and_b32 s10, s11, exec_lo
	s_and_not1_b32 s11, s64, exec_lo
	s_and_b32 s9, s9, exec_lo
	s_or_b32 s26, s12, s13
	s_or_b32 s27, s8, s10
	s_or_b32 s64, s11, s9
.LBB132_463:                            ;   in Loop: Header=BB132_6 Depth=1
	s_or_b32 exec_lo, exec_lo, s22
	s_mov_b32 s65, 0
	s_mov_b32 s66, 0
	s_and_saveexec_b32 s9, s64
.LBB132_464:                            ;   in Loop: Header=BB132_6 Depth=1
	v_mov_b32_e32 v2, 0
	s_or_b32 s27, s27, exec_lo
.LBB132_465:                            ;   in Loop: Header=BB132_6 Depth=1
	s_or_b32 exec_lo, exec_lo, s9
	v_mov_b64_e32 v[30:31], v[4:5]
	s_and_not1_b32 s8, s102, exec_lo
	s_and_b32 s9, s67, exec_lo
	s_and_not1_b32 s11, s100, exec_lo
	s_and_b32 s12, s26, exec_lo
	s_or_b32 s102, s8, s9
	s_or_b32 s100, s11, s12
	s_and_not1_b32 s8, s104, exec_lo
	s_and_b32 s9, s66, exec_lo
	s_and_not1_b32 s11, s103, exec_lo
	s_and_b32 s12, s65, exec_lo
	s_mov_b32 s10, -1
	s_and_not1_b32 s101, s101, exec_lo
	s_or_b32 s104, s8, s9
	s_or_b32 s103, s11, s12
	s_and_saveexec_b32 s8, s27
	s_delay_alu instid0(SALU_CYCLE_1)
	s_xor_b32 s9, exec_lo, s8
	s_cbranch_execz .LBB132_5
; %bb.466:                              ;   in Loop: Header=BB132_6 Depth=1
	s_mov_b32 s11, -1
	s_mov_b32 s12, exec_lo
	v_cmpx_eq_u32_e32 0, v2
	s_cbranch_execz .LBB132_4
; %bb.467:                              ;   in Loop: Header=BB132_6 Depth=1
	s_xor_b32 s95, s95, 1
	s_add_co_i32 s13, s91, -2
	s_cmp_eq_u32 s91, 0
	s_mov_b32 s91, s13
	s_cselect_b32 s10, -1, 0
	s_xor_b32 s11, exec_lo, -1
	s_or_not1_b32 s10, s10, exec_lo
	s_branch .LBB132_4
.LBB132_468:
	s_or_b32 exec_lo, exec_lo, s93
	s_xor_b32 s7, s99, -1
	s_xor_b32 s9, s97, -1
	;; [unrolled: 1-line block ×5, first 2 shown]
	s_mov_b32 s8, 0
	s_and_saveexec_b32 s12, s11
	s_delay_alu instid0(SALU_CYCLE_1)
	s_xor_b32 s16, exec_lo, s12
	s_cbranch_execnz .LBB132_473
; %bb.469:
	s_and_not1_saveexec_b32 s0, s16
	s_cbranch_execnz .LBB132_492
.LBB132_470:
	s_or_b32 exec_lo, exec_lo, s0
	s_and_saveexec_b32 s0, s8
.LBB132_471:
	; divergent unreachable
.LBB132_472:
	s_endpgm
.LBB132_473:
	s_and_saveexec_b32 s11, s10
	s_delay_alu instid0(SALU_CYCLE_1)
	s_xor_b32 s17, exec_lo, s11
	s_cbranch_execz .LBB132_490
; %bb.474:
	s_and_saveexec_b32 s10, s9
	s_delay_alu instid0(SALU_CYCLE_1)
	s_xor_b32 s18, exec_lo, s10
	s_cbranch_execz .LBB132_488
; %bb.475:
	;; [unrolled: 5-line block ×3, first 2 shown]
	s_and_saveexec_b32 s7, s6
	s_delay_alu instid0(SALU_CYCLE_1)
	s_xor_b32 s6, exec_lo, s7
; %bb.477:
	v_xor_b32_e32 v42, 0xffffff80, v39
; %bb.478:
	s_or_b32 exec_lo, exec_lo, s6
	s_and_saveexec_b32 s6, s5
; %bb.479:
	v_mov_b64_e32 v[2:3], 0
	v_mov_b32_e32 v4, 0
	ds_store_b64 v4, v[2:3] offset:5136
; %bb.480:
	s_or_b32 exec_lo, exec_lo, s6
	v_mov_b32_e32 v13, 0
	s_wait_dscnt 0x0
	s_barrier_signal -1
	s_barrier_wait -1
	s_and_saveexec_b32 s5, s3
	s_cbranch_execz .LBB132_482
; %bb.481:
	global_load_u8 v13, v[14:15], off
.LBB132_482:
	s_wait_xcnt 0x0
	s_or_b32 exec_lo, exec_lo, s5
	s_clause 0x1
	s_load_b64 s[6:7], s[0:1], 0x368
	s_load_b64 s[8:9], s[0:1], 0x510
	v_readlane_b32 s12, v52, 4
	v_readlane_b32 s13, v52, 5
	s_wait_xcnt 0x0
	s_add_nc_u64 s[0:1], s[36:37], 31
	s_mov_b64 s[10:11], 0xffffffffffffffe0
	v_readlane_b32 s14, v52, 6
	v_readlane_b32 s15, v52, 7
	s_and_b64 s[10:11], s[0:1], s[10:11]
	v_readlane_b32 s0, v52, 0
	v_readlane_b32 s1, v52, 1
	s_mul_u64 s[12:13], s[12:13], s[44:45]
	v_cmp_gt_u64_e32 vcc_lo, s[10:11], v[0:1]
	s_add_nc_u64 s[12:13], s[14:15], s[12:13]
	v_readlane_b32 s14, v52, 2
	v_readlane_b32 s15, v52, 3
	s_mul_u64 s[0:1], s[0:1], s[44:45]
	s_mov_b32 s5, 0
	s_lshl_b64 s[0:1], s[0:1], 3
	s_delay_alu instid0(SALU_CYCLE_1)
	s_add_nc_u64 s[14:15], s[14:15], s[0:1]
	s_mov_b32 s0, -1
	s_mov_b32 s1, 0
	s_and_saveexec_b32 s20, vcc_lo
	s_cbranch_execnz .LBB132_493
; %bb.483:
	s_or_b32 exec_lo, exec_lo, s20
	s_and_saveexec_b32 s4, s0
	s_cbranch_execnz .LBB132_508
.LBB132_484:
	s_or_b32 exec_lo, exec_lo, s4
	s_and_saveexec_b32 s0, s1
	s_delay_alu instid0(SALU_CYCLE_1)
	s_xor_b32 s0, exec_lo, s0
	s_cbranch_execnz .LBB132_531
.LBB132_485:
	s_or_b32 exec_lo, exec_lo, s0
	s_wait_kmcnt 0x0
	s_and_b32 s8, s5, exec_lo
.LBB132_486:
	s_and_not1_saveexec_b32 s0, s19
	s_cbranch_execnz .LBB132_533
.LBB132_487:
	s_or_b32 exec_lo, exec_lo, s0
	s_delay_alu instid0(SALU_CYCLE_1)
	s_and_b32 s8, s8, exec_lo
.LBB132_488:
	s_and_not1_saveexec_b32 s0, s18
	s_cbranch_execnz .LBB132_532
.LBB132_489:
	s_or_b32 exec_lo, exec_lo, s0
	s_delay_alu instid0(SALU_CYCLE_1)
	s_and_b32 s8, s8, exec_lo
.LBB132_490:
	s_and_not1_saveexec_b32 s0, s17
	s_cbranch_execnz .LBB132_527
.LBB132_491:
	s_or_b32 exec_lo, exec_lo, s0
	s_delay_alu instid0(SALU_CYCLE_1)
	s_and_b32 s8, s8, exec_lo
	s_and_not1_saveexec_b32 s0, s16
	s_cbranch_execz .LBB132_470
.LBB132_492:
	s_or_b32 s8, s8, exec_lo
	s_trap 2
	s_or_b32 exec_lo, exec_lo, s0
	s_and_saveexec_b32 s0, s8
	s_cbranch_execnz .LBB132_471
	s_branch .LBB132_472
.LBB132_493:
	v_add_nc_u32_e32 v4, s34, v0
	v_bfe_i32 v5, v42, 0, 8
	v_mov_b64_e32 v[10:11], v[0:1]
	s_mov_b32 s21, 0
                                        ; implicit-def: $sgpr22
                                        ; implicit-def: $vgpr8_vgpr9
	s_delay_alu instid0(VALU_DEP_2) | instskip(SKIP_1) | instid1(VALU_DEP_1)
	v_dual_mov_b32 v5, 0 :: v_dual_add_nc_u32 v18, 0x80, v5
	v_mad_nc_u64_u32 v[2:3], s30, v4, s[42:43]
	v_mad_u32 v3, s31, v4, v3
	s_branch .LBB132_495
.LBB132_494:                            ;   in Loop: Header=BB132_495 Depth=1
	s_or_b32 exec_lo, exec_lo, s24
	s_xor_b32 s0, s23, -1
	s_and_b32 s1, exec_lo, s1
	v_mov_b64_e32 v[10:11], v[6:7]
	v_mov_b32_e32 v13, v19
	s_or_b32 s21, s1, s21
	s_and_not1_b32 s1, s22, exec_lo
	s_and_b32 s0, s0, exec_lo
	s_delay_alu instid0(SALU_CYCLE_1)
	s_or_b32 s22, s1, s0
	s_and_not1_b32 exec_lo, exec_lo, s21
	s_cbranch_execz .LBB132_507
.LBB132_495:                            ; =>This Inner Loop Header: Depth=1
	s_delay_alu instid0(VALU_DEP_4) | instskip(SKIP_2) | instid1(VALU_DEP_2)
	v_add_nc_u64_e32 v[6:7], s[34:35], v[10:11]
	v_mov_b32_e32 v19, 0
	s_mov_b32 s1, exec_lo
	v_cmpx_gt_u64_e64 s[36:37], v[6:7]
	s_cbranch_execz .LBB132_497
; %bb.496:                              ;   in Loop: Header=BB132_495 Depth=1
	global_load_u8 v19, v[2:3], off
.LBB132_497:                            ;   in Loop: Header=BB132_495 Depth=1
	s_wait_xcnt 0x0
	s_or_b32 exec_lo, exec_lo, s1
	s_wait_loadcnt 0x0
	v_bfe_i32 v4, v13, 0, 8
	s_delay_alu instid0(VALU_DEP_1) | instskip(NEXT) | instid1(VALU_DEP_1)
	v_add_nc_u32_e32 v4, 0x80, v4
	v_cmp_gt_u32_e64 s0, v4, v18
	s_delay_alu instid0(VALU_DEP_1) | instskip(SKIP_1) | instid1(VALU_DEP_1)
	v_cndmask_b32_e64 v16, 0, 1, s0
	v_cmp_lt_u32_e64 s0, v4, v18
	v_cndmask_b32_e64 v4, 0, 1, s0
	v_cmp_gt_u64_e64 s0, s[36:37], v[10:11]
	s_delay_alu instid0(VALU_DEP_2) | instskip(NEXT) | instid1(VALU_DEP_1)
	v_cndmask_b32_e64 v4, v4, v16, s4
	v_and_b32_e32 v4, 1, v4
	s_delay_alu instid0(VALU_DEP_1) | instskip(SKIP_1) | instid1(SALU_CYCLE_1)
	v_cmp_eq_u32_e64 s1, 1, v4
	s_and_b32 s23, s0, s1
	v_cndmask_b32_e64 v4, 0, 1, s23
	s_delay_alu instid0(VALU_DEP_1) | instskip(SKIP_2) | instid1(SALU_CYCLE_1)
	v_cmp_ne_u32_e64 s0, 0, v4
	s_cmp_lg_u32 s0, 0
	s_cselect_b32 s1, -1, 0
	s_and_b32 s1, s2, s1
	s_delay_alu instid0(SALU_CYCLE_1)
	s_and_saveexec_b32 s24, s1
	s_cbranch_execz .LBB132_501
; %bb.498:                              ;   in Loop: Header=BB132_495 Depth=1
	s_mov_b32 s27, exec_lo
	s_bcnt1_i32_b32 s25, s0
	v_mbcnt_lo_u32_b32 v16, s27, 0
	s_mov_b32 s26, exec_lo
                                        ; implicit-def: $vgpr8_vgpr9
	s_delay_alu instid0(VALU_DEP_1)
	v_cmpx_eq_u32_e32 0, v16
	s_cbranch_execz .LBB132_500
; %bb.499:                              ;   in Loop: Header=BB132_495 Depth=1
	s_bcnt1_i32_b32 s1, s27
	s_delay_alu instid0(SALU_CYCLE_1) | instskip(NEXT) | instid1(SALU_CYCLE_1)
	s_mul_i32 s1, s25, s1
	v_mov_b32_e32 v4, s1
	s_wait_dscnt 0x0
	ds_add_rtn_u64 v[8:9], v5, v[4:5] offset:5136
.LBB132_500:                            ;   in Loop: Header=BB132_495 Depth=1
	s_or_b32 exec_lo, exec_lo, s26
	s_wait_dscnt 0x0
	v_readfirstlane_b32 s27, v9
	v_readfirstlane_b32 s26, v8
	s_delay_alu instid0(VALU_DEP_1)
	v_mad_nc_u64_u32 v[8:9], s25, v16, s[26:27]
.LBB132_501:                            ;   in Loop: Header=BB132_495 Depth=1
	s_or_b32 exec_lo, exec_lo, s24
	s_wait_dscnt 0x1
	ds_bpermute_b32 v8, v5, v8
	s_wait_dscnt 0x1
	ds_bpermute_b32 v9, v5, v9
	s_mov_b32 s1, -1
	s_mov_b32 s25, -1
	s_and_saveexec_b32 s24, s23
	s_cbranch_execz .LBB132_505
; %bb.502:                              ;   in Loop: Header=BB132_495 Depth=1
	v_and_b32_e32 v4, s0, v12
	s_mov_b32 s23, 0
	s_mov_b32 s25, exec_lo
	s_delay_alu instid0(VALU_DEP_1) | instskip(SKIP_1) | instid1(VALU_DEP_1)
	v_bcnt_u32_b32 v4, v4, 0
	s_wait_dscnt 0x0
	v_add_nc_u64_e32 v[16:17], v[8:9], v[4:5]
	s_delay_alu instid0(VALU_DEP_1)
	v_cmpx_gt_u64_e64 s[38:39], v[16:17]
	s_cbranch_execz .LBB132_504
; %bb.503:                              ;   in Loop: Header=BB132_495 Depth=1
	s_wait_kmcnt 0x0
	v_mul_u64_e32 v[20:21], s[8:9], v[16:17]
	v_mad_nc_u64_u32 v[22:23], v16, s6, s[12:13]
	s_mov_b32 s23, exec_lo
	s_delay_alu instid0(VALU_DEP_1) | instskip(NEXT) | instid1(VALU_DEP_1)
	v_mad_u32 v4, v17, s6, v23
	v_mad_u32 v23, v16, s7, v4
	s_delay_alu instid0(VALU_DEP_4)
	v_lshl_add_u64 v[16:17], v[20:21], 3, s[14:15]
	global_store_b8 v[22:23], v13, off
	global_store_b64 v[16:17], v[10:11], off
.LBB132_504:                            ;   in Loop: Header=BB132_495 Depth=1
	s_wait_xcnt 0x0
	s_or_b32 exec_lo, exec_lo, s25
	s_delay_alu instid0(SALU_CYCLE_1)
	s_or_not1_b32 s25, s23, exec_lo
.LBB132_505:                            ;   in Loop: Header=BB132_495 Depth=1
	s_or_b32 exec_lo, exec_lo, s24
	s_mov_b32 s23, -1
	s_and_saveexec_b32 s24, s25
	s_cbranch_execz .LBB132_494
; %bb.506:                              ;   in Loop: Header=BB132_495 Depth=1
	v_cmp_le_u64_e64 s0, s[10:11], v[6:7]
	v_add_nc_u64_e32 v[2:3], s[40:41], v[2:3]
	s_xor_b32 s23, exec_lo, -1
	s_or_not1_b32 s1, s0, exec_lo
	s_branch .LBB132_494
.LBB132_507:
	s_or_b32 exec_lo, exec_lo, s21
	s_delay_alu instid0(SALU_CYCLE_1)
	s_mov_b32 s1, exec_lo
	s_or_not1_b32 s0, s22, exec_lo
	s_or_b32 exec_lo, exec_lo, s20
	s_and_saveexec_b32 s4, s0
	s_cbranch_execz .LBB132_484
.LBB132_508:
	v_mov_b32_e32 v4, 0
	s_wait_storecnt 0x0
	s_wait_loadcnt_dscnt 0x0
	s_barrier_signal -1
	s_barrier_wait -1
	s_and_saveexec_b32 s0, s3
	s_cbranch_execz .LBB132_510
; %bb.509:
	global_load_u8 v4, v[14:15], off
.LBB132_510:
	s_wait_xcnt 0x0
	s_or_b32 exec_lo, exec_lo, s0
	s_mov_b32 s0, 0
	s_and_saveexec_b32 s3, vcc_lo
	s_cbranch_execz .LBB132_530
; %bb.511:
	v_add_nc_u32_e32 v5, s34, v0
	v_and_b32_e32 v13, 0xff, v42
	s_mov_b32 s5, 0
                                        ; implicit-def: $sgpr20
                                        ; implicit-def: $vgpr8_vgpr9
	s_delay_alu instid0(VALU_DEP_2) | instskip(NEXT) | instid1(VALU_DEP_1)
	v_mad_nc_u64_u32 v[2:3], s30, v5, s[42:43]
	v_mad_u32 v3, s31, v5, v3
	v_mov_b32_e32 v5, 0
	s_branch .LBB132_514
.LBB132_512:                            ;   in Loop: Header=BB132_514 Depth=1
	s_or_b32 exec_lo, exec_lo, s21
	s_delay_alu instid0(SALU_CYCLE_1)
	s_or_not1_b32 s23, s23, exec_lo
	s_or_not1_b32 s22, s22, exec_lo
.LBB132_513:                            ;   in Loop: Header=BB132_514 Depth=1
	s_or_b32 exec_lo, exec_lo, s0
	s_xor_b32 s0, s23, -1
	s_and_b32 s21, exec_lo, s22
	v_mov_b64_e32 v[0:1], v[6:7]
	s_or_b32 s5, s21, s5
	v_mov_b32_e32 v4, v14
	s_and_not1_b32 s20, s20, exec_lo
	s_and_b32 s0, s0, exec_lo
	s_delay_alu instid0(SALU_CYCLE_1)
	s_or_b32 s20, s20, s0
	s_and_not1_b32 exec_lo, exec_lo, s5
	s_cbranch_execz .LBB132_528
.LBB132_514:                            ; =>This Inner Loop Header: Depth=1
	v_add_nc_u64_e32 v[6:7], s[34:35], v[0:1]
	v_mov_b32_e32 v14, 0
	s_mov_b32 s0, exec_lo
	s_delay_alu instid0(VALU_DEP_2)
	v_cmpx_gt_u64_e64 s[36:37], v[6:7]
	s_cbranch_execz .LBB132_516
; %bb.515:                              ;   in Loop: Header=BB132_514 Depth=1
	global_load_u8 v14, v[2:3], off
.LBB132_516:                            ;   in Loop: Header=BB132_514 Depth=1
	s_wait_xcnt 0x0
	s_or_b32 exec_lo, exec_lo, s0
	s_wait_loadcnt 0x0
	v_and_b32_e32 v4, 0xff, v4
	v_cmp_gt_u64_e32 vcc_lo, s[36:37], v[0:1]
	s_delay_alu instid0(VALU_DEP_2) | instskip(SKIP_1) | instid1(SALU_CYCLE_1)
	v_cmp_eq_u16_e64 s0, v4, v13
	s_and_b32 s21, vcc_lo, s0
	v_cndmask_b32_e64 v4, 0, 1, s21
	s_delay_alu instid0(VALU_DEP_1) | instskip(SKIP_2) | instid1(SALU_CYCLE_1)
	v_cmp_ne_u32_e32 vcc_lo, 0, v4
	s_cmp_lg_u32 vcc_lo, 0
	s_cselect_b32 s0, -1, 0
	s_and_b32 s0, s2, s0
	s_delay_alu instid0(SALU_CYCLE_1)
	s_and_saveexec_b32 s22, s0
	s_cbranch_execz .LBB132_520
; %bb.517:                              ;   in Loop: Header=BB132_514 Depth=1
	s_mov_b32 s25, exec_lo
	s_bcnt1_i32_b32 s23, vcc_lo
	v_mbcnt_lo_u32_b32 v10, s25, 0
	s_mov_b32 s24, exec_lo
                                        ; implicit-def: $vgpr8_vgpr9
	s_delay_alu instid0(VALU_DEP_1)
	v_cmpx_eq_u32_e32 0, v10
; %bb.518:                              ;   in Loop: Header=BB132_514 Depth=1
	s_bcnt1_i32_b32 s0, s25
	s_delay_alu instid0(SALU_CYCLE_1) | instskip(NEXT) | instid1(SALU_CYCLE_1)
	s_mul_i32 s0, s23, s0
	v_mov_b32_e32 v4, s0
	ds_add_rtn_u64 v[8:9], v5, v[4:5] offset:5136
; %bb.519:                              ;   in Loop: Header=BB132_514 Depth=1
	s_or_b32 exec_lo, exec_lo, s24
	s_wait_dscnt 0x0
	v_readfirstlane_b32 s25, v9
	v_readfirstlane_b32 s24, v8
	s_delay_alu instid0(VALU_DEP_1)
	v_mad_nc_u64_u32 v[8:9], s23, v10, s[24:25]
.LBB132_520:                            ;   in Loop: Header=BB132_514 Depth=1
	s_or_b32 exec_lo, exec_lo, s22
	ds_bpermute_b32 v8, v5, v8
	ds_bpermute_b32 v9, v5, v9
	s_cmp_eq_u32 vcc_lo, 0
	s_mov_b32 s22, -1
	s_cselect_b32 s23, -1, 0
	s_wait_dscnt 0x0
	v_cmp_gt_u64_e64 s0, s[38:39], v[8:9]
	s_or_b32 s24, s23, s0
	s_mov_b32 s23, -1
	s_and_saveexec_b32 s0, s24
	s_cbranch_execz .LBB132_513
; %bb.521:                              ;   in Loop: Header=BB132_514 Depth=1
	v_and_b32_e32 v4, vcc_lo, v12
	v_sub_nc_u64_e32 v[10:11], s[38:39], v[8:9]
	s_mov_b32 s24, -1
	s_delay_alu instid0(VALU_DEP_2) | instskip(NEXT) | instid1(VALU_DEP_1)
	v_bcnt_u32_b32 v4, v4, 0
	v_bcnt_u32_b32 v4, 0, v4
	s_delay_alu instid0(VALU_DEP_1) | instskip(SKIP_1) | instid1(SALU_CYCLE_1)
	v_cmp_gt_u64_e32 vcc_lo, v[10:11], v[4:5]
	s_and_b32 s25, s21, vcc_lo
	s_and_saveexec_b32 s21, s25
	s_cbranch_execz .LBB132_525
; %bb.522:                              ;   in Loop: Header=BB132_514 Depth=1
	v_add_nc_u64_e32 v[10:11], v[8:9], v[4:5]
	s_mov_b32 s24, 0
	s_mov_b32 s23, exec_lo
	s_delay_alu instid0(VALU_DEP_1)
	v_cmpx_gt_u64_e64 s[38:39], v[10:11]
	s_cbranch_execz .LBB132_524
; %bb.523:                              ;   in Loop: Header=BB132_514 Depth=1
	s_wait_kmcnt 0x0
	v_mul_u64_e32 v[16:17], s[8:9], v[10:11]
	v_mad_nc_u64_u32 v[18:19], v10, s6, s[12:13]
	s_mov_b32 s24, exec_lo
	s_delay_alu instid0(VALU_DEP_1) | instskip(NEXT) | instid1(VALU_DEP_1)
	v_mad_u32 v4, v11, s6, v19
	v_mad_u32 v19, v10, s7, v4
	s_delay_alu instid0(VALU_DEP_4)
	v_lshl_add_u64 v[10:11], v[16:17], 3, s[14:15]
	global_store_b8 v[18:19], v42, off
	global_store_b64 v[10:11], v[0:1], off
.LBB132_524:                            ;   in Loop: Header=BB132_514 Depth=1
	s_wait_xcnt 0x0
	s_or_b32 exec_lo, exec_lo, s23
	s_delay_alu instid0(SALU_CYCLE_1)
	s_xor_b32 s23, exec_lo, -1
	s_or_not1_b32 s24, s24, exec_lo
.LBB132_525:                            ;   in Loop: Header=BB132_514 Depth=1
	s_or_b32 exec_lo, exec_lo, s21
	s_and_saveexec_b32 s21, s24
	s_cbranch_execz .LBB132_512
; %bb.526:                              ;   in Loop: Header=BB132_514 Depth=1
	v_cmp_le_u64_e32 vcc_lo, s[10:11], v[6:7]
	v_add_nc_u64_e32 v[2:3], s[40:41], v[2:3]
	s_or_b32 s23, s23, exec_lo
	s_or_not1_b32 s22, vcc_lo, exec_lo
	s_branch .LBB132_512
.LBB132_527:
	s_or_b32 s8, s8, exec_lo
	s_trap 2
	s_branch .LBB132_491
.LBB132_528:
	s_or_b32 exec_lo, exec_lo, s5
	s_mov_b32 s0, 0
	s_and_saveexec_b32 s2, s20
	s_delay_alu instid0(SALU_CYCLE_1)
	s_xor_b32 s2, exec_lo, s2
	s_cbranch_execnz .LBB132_534
.LBB132_529:
	s_or_b32 exec_lo, exec_lo, s2
	s_delay_alu instid0(SALU_CYCLE_1)
	s_and_b32 s0, s0, exec_lo
.LBB132_530:
	s_or_b32 exec_lo, exec_lo, s3
	s_delay_alu instid0(SALU_CYCLE_1) | instskip(SKIP_3) | instid1(SALU_CYCLE_1)
	s_and_b32 s5, s0, exec_lo
	s_and_not1_b32 s1, s1, exec_lo
	s_or_b32 exec_lo, exec_lo, s4
	s_and_saveexec_b32 s0, s1
	s_xor_b32 s0, exec_lo, s0
	s_cbranch_execz .LBB132_485
.LBB132_531:
	s_or_b32 s5, s5, exec_lo
	s_trap 2
	s_branch .LBB132_485
.LBB132_532:
	s_or_b32 s8, s8, exec_lo
	s_trap 2
	s_branch .LBB132_489
.LBB132_533:
	s_or_b32 s8, s8, exec_lo
	s_trap 2
	s_branch .LBB132_487
.LBB132_534:
	s_mov_b32 s0, exec_lo
	s_trap 2
	s_branch .LBB132_529
	.section	.rodata,"a",@progbits
	.p2align	6, 0x0
	.amdhsa_kernel _ZN2at6native6sbtopk10gatherTopKIamLi1ELb0EEEvNS_4cuda6detail10TensorInfoIKT_T0_EES8_S8_bS8_S8_NS5_IS6_S8_EES8_NS5_IlS8_EES8_PS6_
		.amdhsa_group_segment_fixed_size 5152
		.amdhsa_private_segment_fixed_size 0
		.amdhsa_kernarg_size 1568
		.amdhsa_user_sgpr_count 2
		.amdhsa_user_sgpr_dispatch_ptr 0
		.amdhsa_user_sgpr_queue_ptr 0
		.amdhsa_user_sgpr_kernarg_segment_ptr 1
		.amdhsa_user_sgpr_dispatch_id 0
		.amdhsa_user_sgpr_kernarg_preload_length 0
		.amdhsa_user_sgpr_kernarg_preload_offset 0
		.amdhsa_user_sgpr_private_segment_size 0
		.amdhsa_wavefront_size32 1
		.amdhsa_uses_dynamic_stack 0
		.amdhsa_enable_private_segment 0
		.amdhsa_system_sgpr_workgroup_id_x 1
		.amdhsa_system_sgpr_workgroup_id_y 1
		.amdhsa_system_sgpr_workgroup_id_z 1
		.amdhsa_system_sgpr_workgroup_info 0
		.amdhsa_system_vgpr_workitem_id 0
		.amdhsa_next_free_vgpr 53
		.amdhsa_next_free_sgpr 105
		.amdhsa_named_barrier_count 0
		.amdhsa_reserve_vcc 1
		.amdhsa_float_round_mode_32 0
		.amdhsa_float_round_mode_16_64 0
		.amdhsa_float_denorm_mode_32 3
		.amdhsa_float_denorm_mode_16_64 3
		.amdhsa_fp16_overflow 0
		.amdhsa_memory_ordered 1
		.amdhsa_forward_progress 1
		.amdhsa_inst_pref_size 197
		.amdhsa_round_robin_scheduling 0
		.amdhsa_exception_fp_ieee_invalid_op 0
		.amdhsa_exception_fp_denorm_src 0
		.amdhsa_exception_fp_ieee_div_zero 0
		.amdhsa_exception_fp_ieee_overflow 0
		.amdhsa_exception_fp_ieee_underflow 0
		.amdhsa_exception_fp_ieee_inexact 0
		.amdhsa_exception_int_div_zero 0
	.end_amdhsa_kernel
	.section	.text._ZN2at6native6sbtopk10gatherTopKIamLi1ELb0EEEvNS_4cuda6detail10TensorInfoIKT_T0_EES8_S8_bS8_S8_NS5_IS6_S8_EES8_NS5_IlS8_EES8_PS6_,"axG",@progbits,_ZN2at6native6sbtopk10gatherTopKIamLi1ELb0EEEvNS_4cuda6detail10TensorInfoIKT_T0_EES8_S8_bS8_S8_NS5_IS6_S8_EES8_NS5_IlS8_EES8_PS6_,comdat
.Lfunc_end132:
	.size	_ZN2at6native6sbtopk10gatherTopKIamLi1ELb0EEEvNS_4cuda6detail10TensorInfoIKT_T0_EES8_S8_bS8_S8_NS5_IS6_S8_EES8_NS5_IlS8_EES8_PS6_, .Lfunc_end132-_ZN2at6native6sbtopk10gatherTopKIamLi1ELb0EEEvNS_4cuda6detail10TensorInfoIKT_T0_EES8_S8_bS8_S8_NS5_IS6_S8_EES8_NS5_IlS8_EES8_PS6_
                                        ; -- End function
	.set _ZN2at6native6sbtopk10gatherTopKIamLi1ELb0EEEvNS_4cuda6detail10TensorInfoIKT_T0_EES8_S8_bS8_S8_NS5_IS6_S8_EES8_NS5_IlS8_EES8_PS6_.num_vgpr, 53
	.set _ZN2at6native6sbtopk10gatherTopKIamLi1ELb0EEEvNS_4cuda6detail10TensorInfoIKT_T0_EES8_S8_bS8_S8_NS5_IS6_S8_EES8_NS5_IlS8_EES8_PS6_.num_agpr, 0
	.set _ZN2at6native6sbtopk10gatherTopKIamLi1ELb0EEEvNS_4cuda6detail10TensorInfoIKT_T0_EES8_S8_bS8_S8_NS5_IS6_S8_EES8_NS5_IlS8_EES8_PS6_.numbered_sgpr, 105
	.set _ZN2at6native6sbtopk10gatherTopKIamLi1ELb0EEEvNS_4cuda6detail10TensorInfoIKT_T0_EES8_S8_bS8_S8_NS5_IS6_S8_EES8_NS5_IlS8_EES8_PS6_.num_named_barrier, 0
	.set _ZN2at6native6sbtopk10gatherTopKIamLi1ELb0EEEvNS_4cuda6detail10TensorInfoIKT_T0_EES8_S8_bS8_S8_NS5_IS6_S8_EES8_NS5_IlS8_EES8_PS6_.private_seg_size, 0
	.set _ZN2at6native6sbtopk10gatherTopKIamLi1ELb0EEEvNS_4cuda6detail10TensorInfoIKT_T0_EES8_S8_bS8_S8_NS5_IS6_S8_EES8_NS5_IlS8_EES8_PS6_.uses_vcc, 1
	.set _ZN2at6native6sbtopk10gatherTopKIamLi1ELb0EEEvNS_4cuda6detail10TensorInfoIKT_T0_EES8_S8_bS8_S8_NS5_IS6_S8_EES8_NS5_IlS8_EES8_PS6_.uses_flat_scratch, 0
	.set _ZN2at6native6sbtopk10gatherTopKIamLi1ELb0EEEvNS_4cuda6detail10TensorInfoIKT_T0_EES8_S8_bS8_S8_NS5_IS6_S8_EES8_NS5_IlS8_EES8_PS6_.has_dyn_sized_stack, 0
	.set _ZN2at6native6sbtopk10gatherTopKIamLi1ELb0EEEvNS_4cuda6detail10TensorInfoIKT_T0_EES8_S8_bS8_S8_NS5_IS6_S8_EES8_NS5_IlS8_EES8_PS6_.has_recursion, 0
	.set _ZN2at6native6sbtopk10gatherTopKIamLi1ELb0EEEvNS_4cuda6detail10TensorInfoIKT_T0_EES8_S8_bS8_S8_NS5_IS6_S8_EES8_NS5_IlS8_EES8_PS6_.has_indirect_call, 0
	.section	.AMDGPU.csdata,"",@progbits
; Kernel info:
; codeLenInByte = 25120
; TotalNumSgprs: 107
; NumVgprs: 53
; ScratchSize: 0
; MemoryBound: 0
; FloatMode: 240
; IeeeMode: 1
; LDSByteSize: 5152 bytes/workgroup (compile time only)
; SGPRBlocks: 0
; VGPRBlocks: 3
; NumSGPRsForWavesPerEU: 107
; NumVGPRsForWavesPerEU: 53
; NamedBarCnt: 0
; Occupancy: 16
; WaveLimiterHint : 1
; COMPUTE_PGM_RSRC2:SCRATCH_EN: 0
; COMPUTE_PGM_RSRC2:USER_SGPR: 2
; COMPUTE_PGM_RSRC2:TRAP_HANDLER: 0
; COMPUTE_PGM_RSRC2:TGID_X_EN: 1
; COMPUTE_PGM_RSRC2:TGID_Y_EN: 1
; COMPUTE_PGM_RSRC2:TGID_Z_EN: 1
; COMPUTE_PGM_RSRC2:TIDIG_COMP_CNT: 0
	.section	.text._ZN2at6native6mbtopk23computeBlockDigitCountsIamjLi2EEEvNS_4cuda6detail10TensorInfoIKT_T0_EEjPjjS8_iijT1_PSB_Ps,"axG",@progbits,_ZN2at6native6mbtopk23computeBlockDigitCountsIamjLi2EEEvNS_4cuda6detail10TensorInfoIKT_T0_EEjPjjS8_iijT1_PSB_Ps,comdat
	.protected	_ZN2at6native6mbtopk23computeBlockDigitCountsIamjLi2EEEvNS_4cuda6detail10TensorInfoIKT_T0_EEjPjjS8_iijT1_PSB_Ps ; -- Begin function _ZN2at6native6mbtopk23computeBlockDigitCountsIamjLi2EEEvNS_4cuda6detail10TensorInfoIKT_T0_EEjPjjS8_iijT1_PSB_Ps
	.globl	_ZN2at6native6mbtopk23computeBlockDigitCountsIamjLi2EEEvNS_4cuda6detail10TensorInfoIKT_T0_EEjPjjS8_iijT1_PSB_Ps
	.p2align	8
	.type	_ZN2at6native6mbtopk23computeBlockDigitCountsIamjLi2EEEvNS_4cuda6detail10TensorInfoIKT_T0_EEjPjjS8_iijT1_PSB_Ps,@function
_ZN2at6native6mbtopk23computeBlockDigitCountsIamjLi2EEEvNS_4cuda6detail10TensorInfoIKT_T0_EEjPjjS8_iijT1_PSB_Ps: ; @_ZN2at6native6mbtopk23computeBlockDigitCountsIamjLi2EEEvNS_4cuda6detail10TensorInfoIKT_T0_EEjPjjS8_iijT1_PSB_Ps
; %bb.0:
	s_load_b128 s[4:7], s[0:1], 0x1c0
	s_bfe_u32 s2, ttmp6, 0x40010
	s_and_b32 s8, ttmp7, 0xffff
	s_add_co_i32 s9, s2, 1
	s_bfe_u32 s10, ttmp6, 0x40004
	s_mul_i32 s9, s8, s9
	s_load_b64 s[2:3], s[0:1], 0x1e0
	s_add_co_i32 s10, s10, s9
	s_bfe_u32 s11, ttmp6, 0x4000c
	s_bfe_u32 s13, ttmp6, 0x40014
	s_add_co_i32 s11, s11, 1
	s_and_b32 s12, ttmp6, 15
	s_mul_i32 s11, ttmp9, s11
	s_add_co_i32 s13, s13, 1
	s_add_co_i32 s12, s12, s11
	s_getreg_b32 s14, hwreg(HW_REG_IB_STS2, 6, 4)
	s_wait_kmcnt 0x0
	s_cvt_f32_u32 s9, s6
	s_delay_alu instid0(SALU_CYCLE_3) | instskip(SKIP_1) | instid1(SALU_CYCLE_1)
	v_rcp_iflag_f32_e32 v1, s9
	s_lshr_b32 s9, ttmp7, 16
	s_mul_i32 s11, s9, s13
	s_bfe_u32 s13, ttmp6, 0x40008
	s_delay_alu instid0(SALU_CYCLE_1) | instskip(SKIP_1) | instid1(TRANS32_DEP_1)
	s_add_co_i32 s13, s13, s11
	v_nop
	v_readfirstlane_b32 s15, v1
	s_cmp_eq_u32 s14, 0
	s_cselect_b32 s9, s9, s13
	s_load_b32 s13, s[0:1], 0x1b0
	s_mul_f32 s11, s15, 0x4f7ffffe
	s_mul_i32 s3, s3, s9
	s_cselect_b32 s9, ttmp9, s12
	s_cselect_b32 s8, s8, s10
	s_cvt_u32_f32 s11, s11
	s_sub_co_i32 s10, 0, s6
	s_add_co_i32 s3, s3, s8
	s_delay_alu instid0(SALU_CYCLE_1) | instskip(SKIP_3) | instid1(SALU_CYCLE_1)
	s_mul_i32 s20, s3, s2
	s_mul_i32 s10, s10, s11
	s_add_co_i32 s20, s20, s9
	s_mul_hi_u32 s2, s11, s10
	s_add_co_i32 s11, s11, s2
	s_delay_alu instid0(SALU_CYCLE_1) | instskip(NEXT) | instid1(SALU_CYCLE_1)
	s_mul_hi_u32 s2, s20, s11
	s_mul_i32 s3, s2, s6
	s_add_co_i32 s8, s2, 1
	s_sub_co_i32 s3, s20, s3
	s_delay_alu instid0(SALU_CYCLE_1)
	s_sub_co_i32 s9, s3, s6
	s_cmp_ge_u32 s3, s6
	s_cselect_b32 s2, s8, s2
	s_cselect_b32 s3, s9, s3
	s_add_co_i32 s8, s2, 1
	s_cmp_ge_u32 s3, s6
	s_mov_b32 s3, 0
	s_cselect_b32 s2, s8, s2
	s_wait_kmcnt 0x0
	s_cmp_ge_u32 s2, s13
	s_cbranch_scc1 .LBB133_23
; %bb.1:
	s_load_b64 s[14:15], s[0:1], 0x10
	s_mov_b64 s[16:17], 0
	s_wait_kmcnt 0x0
	v_cmp_lt_u64_e64 s8, s[2:3], s[14:15]
	s_and_b32 vcc_lo, exec_lo, s8
	s_cbranch_vccnz .LBB133_3
; %bb.2:
	v_cvt_f32_u32_e32 v1, s14
	s_sub_co_i32 s9, 0, s14
	s_mov_b32 s17, 0
	s_delay_alu instid0(VALU_DEP_1) | instskip(SKIP_1) | instid1(TRANS32_DEP_1)
	v_rcp_iflag_f32_e32 v1, v1
	v_nop
	v_mul_f32_e32 v1, 0x4f7ffffe, v1
	s_delay_alu instid0(VALU_DEP_1) | instskip(NEXT) | instid1(VALU_DEP_1)
	v_cvt_u32_f32_e32 v1, v1
	v_readfirstlane_b32 s8, v1
	s_mul_i32 s9, s9, s8
	s_delay_alu instid0(SALU_CYCLE_1) | instskip(NEXT) | instid1(SALU_CYCLE_1)
	s_mul_hi_u32 s9, s8, s9
	s_add_co_i32 s8, s8, s9
	s_delay_alu instid0(SALU_CYCLE_1) | instskip(NEXT) | instid1(SALU_CYCLE_1)
	s_mul_hi_u32 s8, s2, s8
	s_mul_i32 s9, s8, s14
	s_add_co_i32 s10, s8, 1
	s_sub_co_i32 s9, s2, s9
	s_delay_alu instid0(SALU_CYCLE_1)
	s_sub_co_i32 s11, s9, s14
	s_cmp_ge_u32 s9, s14
	s_cselect_b32 s8, s10, s8
	s_cselect_b32 s9, s11, s9
	s_add_co_i32 s10, s8, 1
	s_cmp_ge_u32 s9, s14
	s_cselect_b32 s16, s10, s8
.LBB133_3:
	v_cmp_gt_u32_e32 vcc_lo, 0x100, v0
	v_lshlrev_b32_e32 v1, 2, v0
	s_and_saveexec_b32 s8, vcc_lo
; %bb.4:
	v_mov_b32_e32 v2, 0
	ds_store_b32 v1, v2
; %bb.5:
	s_or_b32 exec_lo, exec_lo, s8
	s_clause 0x1
	s_load_b32 s21, s[0:1], 0x1a0
	s_load_b128 s[8:11], s[0:1], 0x1d0
	s_mul_i32 s12, s2, s6
	s_mov_b32 s19, 0
	s_sub_co_i32 s23, s20, s12
	s_wait_dscnt 0x0
	s_mul_i32 s12, s5, s23
	s_add_co_i32 s23, s23, 1
	s_lshl_b32 s22, s12, 8
	s_barrier_signal -1
	s_barrier_wait -1
	s_wait_kmcnt 0x0
	s_sub_co_i32 s18, s21, s22
	s_delay_alu instid0(SALU_CYCLE_1) | instskip(NEXT) | instid1(SALU_CYCLE_1)
	s_add_nc_u64 s[12:13], s[18:19], 0xff
	s_lshr_b64 s[12:13], s[12:13], 8
	s_cmp_lt_u32 s23, s6
	s_cselect_b32 s6, s5, s12
	s_delay_alu instid0(SALU_CYCLE_1)
	s_cmp_lt_i32 s6, 1
	s_cbranch_scc1 .LBB133_21
; %bb.6:
	s_clause 0x1
	s_load_b128 s[24:27], s[0:1], 0xd0
	s_load_b64 s[28:29], s[0:1], 0x0
	s_load_b32 s5, s[8:9], s2 offset:0x0 scale_offset
	s_load_b64 s[12:13], s[0:1], 0x1b8
	s_wait_xcnt 0x0
	s_mul_u64 s[0:1], s[16:17], s[14:15]
	v_add_nc_u32_e32 v2, s22, v0
	s_sub_nc_u64 s[0:1], s[2:3], s[0:1]
	s_wait_kmcnt 0x0
	s_mul_u64 s[2:3], s[16:17], s[24:25]
	s_mul_u64 s[8:9], s[0:1], s[26:27]
	s_add_nc_u64 s[2:3], s[28:29], s[2:3]
	s_and_b32 s1, s4, 0xff
	s_cmp_eq_u32 s6, 1
	s_add_nc_u64 s[2:3], s[2:3], s[8:9]
	s_cbranch_scc1 .LBB133_16
; %bb.7:
	v_dual_mov_b32 v3, 1 :: v_dual_mov_b32 v4, v2
	s_and_b32 s4, s6, 0x7ffffffe
	s_mov_b32 s8, 0
	s_branch .LBB133_9
.LBB133_8:                              ;   in Loop: Header=BB133_9 Depth=1
	s_or_b32 exec_lo, exec_lo, s9
	v_add_nc_u32_e32 v4, 0x200, v4
	s_add_co_i32 s8, s8, 2
	s_delay_alu instid0(SALU_CYCLE_1)
	s_cmp_eq_u32 s4, s8
	s_cbranch_scc1 .LBB133_15
.LBB133_9:                              ; =>This Inner Loop Header: Depth=1
	s_mov_b32 s9, exec_lo
	v_cmpx_gt_u32_e64 s21, v4
	s_cbranch_execz .LBB133_12
; %bb.10:                               ;   in Loop: Header=BB133_9 Depth=1
	v_mad_nc_u64_u32 v[6:7], s12, v4, s[2:3]
	s_delay_alu instid0(VALU_DEP_1) | instskip(SKIP_4) | instid1(VALU_DEP_1)
	v_mad_u32 v7, s13, v4, v7
	global_load_i8 v5, v[6:7], off
	s_wait_loadcnt 0x0
	v_add_nc_u32_e32 v5, 0x80, v5
	s_wait_xcnt 0x0
	v_bitop3_b32 v6, v5, s7, s5 bitop3:0x48
	s_delay_alu instid0(VALU_DEP_1)
	v_cmp_eq_u32_e64 s0, 0, v6
	s_and_b32 exec_lo, exec_lo, s0
; %bb.11:                               ;   in Loop: Header=BB133_9 Depth=1
	v_lshrrev_b32_e32 v5, s1, v5
	s_delay_alu instid0(VALU_DEP_1)
	v_lshlrev_b32_e32 v5, 2, v5
	ds_add_u32 v5, v3
.LBB133_12:                             ;   in Loop: Header=BB133_9 Depth=1
	s_or_b32 exec_lo, exec_lo, s9
	v_add_nc_u32_e32 v5, 0x100, v4
	s_mov_b32 s9, exec_lo
	s_delay_alu instid0(VALU_DEP_1)
	v_cmpx_gt_u32_e64 s21, v5
	s_cbranch_execz .LBB133_8
; %bb.13:                               ;   in Loop: Header=BB133_9 Depth=1
	v_mad_nc_u64_u32 v[6:7], s12, v5, s[2:3]
	s_delay_alu instid0(VALU_DEP_1) | instskip(SKIP_3) | instid1(VALU_DEP_1)
	v_mad_u32 v7, s13, v5, v7
	global_load_i8 v5, v[6:7], off
	s_wait_loadcnt 0x0
	v_add_nc_u32_e32 v5, 0x80, v5
	v_bitop3_b32 v6, v5, s7, s5 bitop3:0x48
	s_delay_alu instid0(VALU_DEP_1)
	v_cmp_eq_u32_e64 s0, 0, v6
	s_and_b32 exec_lo, exec_lo, s0
	s_cbranch_execz .LBB133_8
; %bb.14:                               ;   in Loop: Header=BB133_9 Depth=1
	v_lshrrev_b32_e32 v5, s1, v5
	s_delay_alu instid0(VALU_DEP_1)
	v_lshlrev_b32_e32 v5, 2, v5
	ds_add_u32 v5, v3
	s_branch .LBB133_8
.LBB133_15:
	s_lshl_b32 s19, s4, 8
.LBB133_16:
	s_bitcmp0_b32 s6, 0
	s_cbranch_scc1 .LBB133_21
; %bb.17:
	v_add_nc_u32_e32 v2, s19, v2
	s_mov_b32 s4, exec_lo
	s_delay_alu instid0(VALU_DEP_1)
	v_cmpx_gt_u32_e64 s21, v2
	s_cbranch_execz .LBB133_20
; %bb.18:
	v_mad_nc_u64_u32 v[4:5], s12, v2, s[2:3]
	s_delay_alu instid0(VALU_DEP_1) | instskip(SKIP_3) | instid1(VALU_DEP_1)
	v_mad_u32 v5, s13, v2, v5
	global_load_i8 v2, v[4:5], off
	s_wait_loadcnt 0x0
	v_add_nc_u32_e32 v2, 0x80, v2
	v_bitop3_b32 v3, v2, s7, s5 bitop3:0x48
	s_delay_alu instid0(VALU_DEP_1)
	v_cmp_eq_u32_e64 s0, 0, v3
	s_and_b32 exec_lo, exec_lo, s0
; %bb.19:
	v_dual_mov_b32 v3, 1 :: v_dual_lshrrev_b32 v2, s1, v2
	s_delay_alu instid0(VALU_DEP_1)
	v_lshlrev_b32_e32 v2, 2, v2
	ds_add_u32 v2, v3
.LBB133_20:
	s_or_b32 exec_lo, exec_lo, s4
.LBB133_21:
	s_wait_dscnt 0x0
	s_barrier_signal -1
	s_barrier_wait -1
	s_and_saveexec_b32 s0, vcc_lo
	s_cbranch_execz .LBB133_23
; %bb.22:
	ds_load_b32 v1, v1
	v_lshl_or_b32 v0, s20, 8, v0
	s_wait_dscnt 0x0
	global_store_b16 v0, v1, s[10:11] scale_offset
.LBB133_23:
	s_endpgm
	.section	.rodata,"a",@progbits
	.p2align	6, 0x0
	.amdhsa_kernel _ZN2at6native6mbtopk23computeBlockDigitCountsIamjLi2EEEvNS_4cuda6detail10TensorInfoIKT_T0_EEjPjjS8_iijT1_PSB_Ps
		.amdhsa_group_segment_fixed_size 1024
		.amdhsa_private_segment_fixed_size 0
		.amdhsa_kernarg_size 736
		.amdhsa_user_sgpr_count 2
		.amdhsa_user_sgpr_dispatch_ptr 0
		.amdhsa_user_sgpr_queue_ptr 0
		.amdhsa_user_sgpr_kernarg_segment_ptr 1
		.amdhsa_user_sgpr_dispatch_id 0
		.amdhsa_user_sgpr_kernarg_preload_length 0
		.amdhsa_user_sgpr_kernarg_preload_offset 0
		.amdhsa_user_sgpr_private_segment_size 0
		.amdhsa_wavefront_size32 1
		.amdhsa_uses_dynamic_stack 0
		.amdhsa_enable_private_segment 0
		.amdhsa_system_sgpr_workgroup_id_x 1
		.amdhsa_system_sgpr_workgroup_id_y 1
		.amdhsa_system_sgpr_workgroup_id_z 1
		.amdhsa_system_sgpr_workgroup_info 0
		.amdhsa_system_vgpr_workitem_id 0
		.amdhsa_next_free_vgpr 8
		.amdhsa_next_free_sgpr 30
		.amdhsa_named_barrier_count 0
		.amdhsa_reserve_vcc 1
		.amdhsa_float_round_mode_32 0
		.amdhsa_float_round_mode_16_64 0
		.amdhsa_float_denorm_mode_32 3
		.amdhsa_float_denorm_mode_16_64 3
		.amdhsa_fp16_overflow 0
		.amdhsa_memory_ordered 1
		.amdhsa_forward_progress 1
		.amdhsa_inst_pref_size 9
		.amdhsa_round_robin_scheduling 0
		.amdhsa_exception_fp_ieee_invalid_op 0
		.amdhsa_exception_fp_denorm_src 0
		.amdhsa_exception_fp_ieee_div_zero 0
		.amdhsa_exception_fp_ieee_overflow 0
		.amdhsa_exception_fp_ieee_underflow 0
		.amdhsa_exception_fp_ieee_inexact 0
		.amdhsa_exception_int_div_zero 0
	.end_amdhsa_kernel
	.section	.text._ZN2at6native6mbtopk23computeBlockDigitCountsIamjLi2EEEvNS_4cuda6detail10TensorInfoIKT_T0_EEjPjjS8_iijT1_PSB_Ps,"axG",@progbits,_ZN2at6native6mbtopk23computeBlockDigitCountsIamjLi2EEEvNS_4cuda6detail10TensorInfoIKT_T0_EEjPjjS8_iijT1_PSB_Ps,comdat
.Lfunc_end133:
	.size	_ZN2at6native6mbtopk23computeBlockDigitCountsIamjLi2EEEvNS_4cuda6detail10TensorInfoIKT_T0_EEjPjjS8_iijT1_PSB_Ps, .Lfunc_end133-_ZN2at6native6mbtopk23computeBlockDigitCountsIamjLi2EEEvNS_4cuda6detail10TensorInfoIKT_T0_EEjPjjS8_iijT1_PSB_Ps
                                        ; -- End function
	.set _ZN2at6native6mbtopk23computeBlockDigitCountsIamjLi2EEEvNS_4cuda6detail10TensorInfoIKT_T0_EEjPjjS8_iijT1_PSB_Ps.num_vgpr, 8
	.set _ZN2at6native6mbtopk23computeBlockDigitCountsIamjLi2EEEvNS_4cuda6detail10TensorInfoIKT_T0_EEjPjjS8_iijT1_PSB_Ps.num_agpr, 0
	.set _ZN2at6native6mbtopk23computeBlockDigitCountsIamjLi2EEEvNS_4cuda6detail10TensorInfoIKT_T0_EEjPjjS8_iijT1_PSB_Ps.numbered_sgpr, 30
	.set _ZN2at6native6mbtopk23computeBlockDigitCountsIamjLi2EEEvNS_4cuda6detail10TensorInfoIKT_T0_EEjPjjS8_iijT1_PSB_Ps.num_named_barrier, 0
	.set _ZN2at6native6mbtopk23computeBlockDigitCountsIamjLi2EEEvNS_4cuda6detail10TensorInfoIKT_T0_EEjPjjS8_iijT1_PSB_Ps.private_seg_size, 0
	.set _ZN2at6native6mbtopk23computeBlockDigitCountsIamjLi2EEEvNS_4cuda6detail10TensorInfoIKT_T0_EEjPjjS8_iijT1_PSB_Ps.uses_vcc, 1
	.set _ZN2at6native6mbtopk23computeBlockDigitCountsIamjLi2EEEvNS_4cuda6detail10TensorInfoIKT_T0_EEjPjjS8_iijT1_PSB_Ps.uses_flat_scratch, 0
	.set _ZN2at6native6mbtopk23computeBlockDigitCountsIamjLi2EEEvNS_4cuda6detail10TensorInfoIKT_T0_EEjPjjS8_iijT1_PSB_Ps.has_dyn_sized_stack, 0
	.set _ZN2at6native6mbtopk23computeBlockDigitCountsIamjLi2EEEvNS_4cuda6detail10TensorInfoIKT_T0_EEjPjjS8_iijT1_PSB_Ps.has_recursion, 0
	.set _ZN2at6native6mbtopk23computeBlockDigitCountsIamjLi2EEEvNS_4cuda6detail10TensorInfoIKT_T0_EEjPjjS8_iijT1_PSB_Ps.has_indirect_call, 0
	.section	.AMDGPU.csdata,"",@progbits
; Kernel info:
; codeLenInByte = 1120
; TotalNumSgprs: 32
; NumVgprs: 8
; ScratchSize: 0
; MemoryBound: 0
; FloatMode: 240
; IeeeMode: 1
; LDSByteSize: 1024 bytes/workgroup (compile time only)
; SGPRBlocks: 0
; VGPRBlocks: 0
; NumSGPRsForWavesPerEU: 32
; NumVGPRsForWavesPerEU: 8
; NamedBarCnt: 0
; Occupancy: 16
; WaveLimiterHint : 1
; COMPUTE_PGM_RSRC2:SCRATCH_EN: 0
; COMPUTE_PGM_RSRC2:USER_SGPR: 2
; COMPUTE_PGM_RSRC2:TRAP_HANDLER: 0
; COMPUTE_PGM_RSRC2:TGID_X_EN: 1
; COMPUTE_PGM_RSRC2:TGID_Y_EN: 1
; COMPUTE_PGM_RSRC2:TGID_Z_EN: 1
; COMPUTE_PGM_RSRC2:TIDIG_COMP_CNT: 0
	.section	.text._ZN2at6native6mbtopk10gatherTopKIamLi2EEEvNS_4cuda6detail10TensorInfoIKT_T0_EES8_S8_bjS8_NS5_IS6_S8_EES8_NS5_IlS8_EES8_jjPS6_PjSD_j,"axG",@progbits,_ZN2at6native6mbtopk10gatherTopKIamLi2EEEvNS_4cuda6detail10TensorInfoIKT_T0_EES8_S8_bjS8_NS5_IS6_S8_EES8_NS5_IlS8_EES8_jjPS6_PjSD_j,comdat
	.protected	_ZN2at6native6mbtopk10gatherTopKIamLi2EEEvNS_4cuda6detail10TensorInfoIKT_T0_EES8_S8_bjS8_NS5_IS6_S8_EES8_NS5_IlS8_EES8_jjPS6_PjSD_j ; -- Begin function _ZN2at6native6mbtopk10gatherTopKIamLi2EEEvNS_4cuda6detail10TensorInfoIKT_T0_EES8_S8_bjS8_NS5_IS6_S8_EES8_NS5_IlS8_EES8_jjPS6_PjSD_j
	.globl	_ZN2at6native6mbtopk10gatherTopKIamLi2EEEvNS_4cuda6detail10TensorInfoIKT_T0_EES8_S8_bjS8_NS5_IS6_S8_EES8_NS5_IlS8_EES8_jjPS6_PjSD_j
	.p2align	8
	.type	_ZN2at6native6mbtopk10gatherTopKIamLi2EEEvNS_4cuda6detail10TensorInfoIKT_T0_EES8_S8_bjS8_NS5_IS6_S8_EES8_NS5_IlS8_EES8_jjPS6_PjSD_j,@function
_ZN2at6native6mbtopk10gatherTopKIamLi2EEEvNS_4cuda6detail10TensorInfoIKT_T0_EES8_S8_bjS8_NS5_IS6_S8_EES8_NS5_IlS8_EES8_jjPS6_PjSD_j: ; @_ZN2at6native6mbtopk10gatherTopKIamLi2EEEvNS_4cuda6detail10TensorInfoIKT_T0_EES8_S8_bjS8_NS5_IS6_S8_EES8_NS5_IlS8_EES8_jjPS6_PjSD_j
; %bb.0:
	s_bfe_u32 s2, ttmp6, 0x40010
	s_and_b32 s4, ttmp7, 0xffff
	s_add_co_i32 s5, s2, 1
	s_clause 0x1
	s_load_b32 s6, s[0:1], 0x530
	s_load_b64 s[2:3], s[0:1], 0x538
	s_bfe_u32 s8, ttmp6, 0x4000c
	s_mul_i32 s5, s4, s5
	s_bfe_u32 s7, ttmp6, 0x40004
	s_add_co_i32 s8, s8, 1
	s_bfe_u32 s9, ttmp6, 0x40014
	s_add_co_i32 s7, s7, s5
	s_and_b32 s5, ttmp6, 15
	s_mul_i32 s8, ttmp9, s8
	s_lshr_b32 s10, ttmp7, 16
	s_add_co_i32 s9, s9, 1
	s_add_co_i32 s5, s5, s8
	s_mul_i32 s8, s10, s9
	s_bfe_u32 s9, ttmp6, 0x40008
	s_getreg_b32 s11, hwreg(HW_REG_IB_STS2, 6, 4)
	s_add_co_i32 s9, s9, s8
	s_cmp_eq_u32 s11, 0
	s_cselect_b32 s8, s10, s9
	s_cselect_b32 s4, s4, s7
	s_wait_kmcnt 0x0
	s_mul_i32 s3, s3, s8
	s_cselect_b32 s5, ttmp9, s5
	s_add_co_i32 s3, s3, s4
	s_delay_alu instid0(SALU_CYCLE_1) | instskip(NEXT) | instid1(SALU_CYCLE_1)
	s_mul_i32 s2, s3, s2
	s_add_co_i32 s2, s2, s5
	s_delay_alu instid0(SALU_CYCLE_1)
	s_cmp_ge_u32 s2, s6
	s_cbranch_scc1 .LBB134_48
; %bb.1:
	s_load_b64 s[28:29], s[0:1], 0x510
	s_wait_kmcnt 0x0
	s_cvt_f32_u32 s3, s29
	s_sub_co_i32 s4, 0, s29
	s_lshl_b32 s33, s28, 8
	s_delay_alu instid0(SALU_CYCLE_1) | instskip(SKIP_1) | instid1(TRANS32_DEP_1)
	v_rcp_iflag_f32_e32 v1, s3
	v_nop
	v_readfirstlane_b32 s3, v1
	s_mul_f32 s3, s3, 0x4f7ffffe
	s_delay_alu instid0(SALU_CYCLE_3) | instskip(NEXT) | instid1(SALU_CYCLE_3)
	s_cvt_u32_f32 s3, s3
	s_mul_i32 s4, s4, s3
	s_delay_alu instid0(SALU_CYCLE_1) | instskip(NEXT) | instid1(SALU_CYCLE_1)
	s_mul_hi_u32 s4, s3, s4
	s_add_co_i32 s3, s3, s4
	s_clause 0x1
	s_load_b128 s[4:7], s[0:1], 0x1a0
	s_load_b64 s[34:35], s[0:1], 0x10
	s_mul_hi_u32 s3, s2, s3
	s_delay_alu instid0(SALU_CYCLE_1) | instskip(SKIP_2) | instid1(SALU_CYCLE_1)
	s_mul_i32 s8, s3, s29
	s_add_co_i32 s9, s3, 1
	s_sub_co_i32 s8, s2, s8
	s_sub_co_i32 s10, s8, s29
	s_cmp_ge_u32 s8, s29
	s_cselect_b32 s3, s9, s3
	s_cselect_b32 s8, s10, s8
	s_add_co_i32 s9, s3, 1
	s_cmp_ge_u32 s8, s29
	s_cselect_b32 s30, s9, s3
	s_delay_alu instid0(SALU_CYCLE_1) | instskip(NEXT) | instid1(SALU_CYCLE_1)
	s_mul_i32 s16, s30, s29
	s_sub_co_i32 s48, s2, s16
	s_delay_alu instid0(SALU_CYCLE_1) | instskip(NEXT) | instid1(SALU_CYCLE_1)
	s_add_co_i32 s2, s48, 1
	s_cmp_lt_u32 s2, s29
	s_cbranch_scc1 .LBB134_3
; %bb.2:
	s_mul_i32 s2, s48, s33
	s_mov_b32 s3, 0
	s_wait_kmcnt 0x0
	s_sub_nc_u64 s[8:9], s[4:5], s[2:3]
	s_delay_alu instid0(SALU_CYCLE_1) | instskip(NEXT) | instid1(SALU_CYCLE_1)
	s_add_nc_u64 s[8:9], s[8:9], 0xff
	s_ashr_i32 s2, s9, 31
	s_delay_alu instid0(SALU_CYCLE_1) | instskip(NEXT) | instid1(SALU_CYCLE_1)
	s_lshr_b32 s2, s2, 24
	s_add_nc_u64 s[2:3], s[8:9], s[2:3]
	s_delay_alu instid0(SALU_CYCLE_1) | instskip(NEXT) | instid1(SALU_CYCLE_1)
	s_lshr_b64 s[2:3], s[2:3], 8
	s_mov_b32 s28, s2
.LBB134_3:
	s_load_b64 s[42:43], s[0:1], 0x1d0
	s_mov_b32 s31, 0
	s_mov_b64 s[38:39], 0
	s_wait_kmcnt 0x0
	v_cmp_lt_u64_e64 s2, s[30:31], s[34:35]
	s_mov_b64 s[36:37], 0
	s_and_b32 vcc_lo, exec_lo, s2
	s_cbranch_vccz .LBB134_20
; %bb.4:
	s_load_b64 s[40:41], s[0:1], 0x378
	v_cmp_lt_u64_e64 s2, s[30:31], s[42:43]
	s_and_b32 vcc_lo, exec_lo, s2
	s_cbranch_vccz .LBB134_21
.LBB134_5:
	s_wait_kmcnt 0x0
	v_cmp_lt_u64_e64 s2, s[30:31], s[40:41]
	s_mov_b64 s[44:45], 0
	s_and_b32 vcc_lo, exec_lo, s2
	s_cbranch_vccnz .LBB134_7
.LBB134_6:
	v_cvt_f32_u32_e32 v1, s40
	s_sub_co_i32 s3, 0, s40
	s_mov_b32 s45, 0
	s_delay_alu instid0(VALU_DEP_1) | instskip(SKIP_1) | instid1(TRANS32_DEP_1)
	v_rcp_iflag_f32_e32 v1, v1
	v_nop
	v_mul_f32_e32 v1, 0x4f7ffffe, v1
	s_delay_alu instid0(VALU_DEP_1) | instskip(NEXT) | instid1(VALU_DEP_1)
	v_cvt_u32_f32_e32 v1, v1
	v_readfirstlane_b32 s2, v1
	s_mul_i32 s3, s3, s2
	s_delay_alu instid0(SALU_CYCLE_1) | instskip(NEXT) | instid1(SALU_CYCLE_1)
	s_mul_hi_u32 s3, s2, s3
	s_add_co_i32 s2, s2, s3
	s_delay_alu instid0(SALU_CYCLE_1) | instskip(NEXT) | instid1(SALU_CYCLE_1)
	s_mul_hi_u32 s2, s30, s2
	s_mul_i32 s3, s2, s40
	s_add_co_i32 s8, s2, 1
	s_sub_co_i32 s3, s30, s3
	s_delay_alu instid0(SALU_CYCLE_1)
	s_sub_co_i32 s9, s3, s40
	s_cmp_ge_u32 s3, s40
	s_cselect_b32 s2, s8, s2
	s_cselect_b32 s3, s9, s3
	s_add_co_i32 s8, s2, 1
	s_cmp_ge_u32 s3, s40
	s_cselect_b32 s44, s8, s2
.LBB134_7:
	s_load_b128 s[8:11], s[0:1], 0x518
	v_mov_b32_e32 v1, 0
	s_mov_b32 s17, 0
	s_wait_kmcnt 0x0
	s_add_nc_u64 s[2:3], s[8:9], s[30:31]
	global_load_u8 v6, v1, s[2:3]
	s_wait_xcnt 0x0
	v_cmp_ne_u32_e64 s2, 0, v0
	v_cmp_eq_u32_e64 s3, 0, v0
	s_and_saveexec_b32 s24, s3
	s_cbranch_execz .LBB134_25
; %bb.8:
	s_load_b64 s[18:19], s[0:1], 0x528
	s_lshl_b64 s[20:21], s[16:17], 2
	s_cmp_lt_u32 s29, 4
	s_cbranch_scc1 .LBB134_22
; %bb.9:
	s_mov_b64 s[8:9], 0
	s_mov_b32 s16, 0
.LBB134_10:                             ; =>This Inner Loop Header: Depth=1
	s_add_nc_u64 s[22:23], s[10:11], s[20:21]
	s_cmp_ge_u32 s16, s48
	s_load_b128 s[12:15], s[22:23], 0x0
	s_wait_kmcnt 0x0
	s_add_nc_u64 s[22:23], s[18:19], s[20:21]
	s_cbranch_scc0 .LBB134_17
; %bb.11:                               ;   in Loop: Header=BB134_10 Depth=1
	s_add_co_i32 s25, s16, 1
	s_delay_alu instid0(SALU_CYCLE_1)
	s_cmp_ge_u32 s25, s48
	s_cbranch_scc0 .LBB134_18
.LBB134_12:                             ;   in Loop: Header=BB134_10 Depth=1
	s_add_co_i32 s25, s25, 1
	s_delay_alu instid0(SALU_CYCLE_1)
	s_cmp_ge_u32 s25, s48
	s_cbranch_scc0 .LBB134_19
.LBB134_13:                             ;   in Loop: Header=BB134_10 Depth=1
	s_add_co_i32 s25, s25, 1
	s_delay_alu instid0(SALU_CYCLE_1)
	s_cmp_ge_u32 s25, s48
	s_cbranch_scc1 .LBB134_15
.LBB134_14:                             ;   in Loop: Header=BB134_10 Depth=1
	s_load_b32 s22, s[22:23], 0xc
	s_add_co_i32 s9, s15, s9
	s_wait_kmcnt 0x0
	s_add_co_i32 s8, s22, s8
.LBB134_15:                             ;   in Loop: Header=BB134_10 Depth=1
	s_add_co_i32 s12, s12, s17
	s_add_nc_u64 s[10:11], s[10:11], 16
	s_add_co_i32 s12, s12, s13
	s_add_co_i32 s13, s25, 4
	;; [unrolled: 1-line block ×3, first 2 shown]
	s_add_nc_u64 s[18:19], s[18:19], 16
	s_add_co_i32 s17, s12, s15
	s_add_co_i32 s12, s25, 1
	s_cmp_ge_u32 s13, s29
	s_cbranch_scc1 .LBB134_23
; %bb.16:                               ;   in Loop: Header=BB134_10 Depth=1
	s_mov_b32 s16, s12
	s_branch .LBB134_10
.LBB134_17:                             ;   in Loop: Header=BB134_10 Depth=1
	s_load_b32 s25, s[22:23], 0x0
	s_add_co_i32 s9, s12, s9
	s_wait_kmcnt 0x0
	s_add_co_i32 s8, s25, s8
	s_add_co_i32 s25, s16, 1
	s_delay_alu instid0(SALU_CYCLE_1)
	s_cmp_ge_u32 s25, s48
	s_cbranch_scc1 .LBB134_12
.LBB134_18:                             ;   in Loop: Header=BB134_10 Depth=1
	s_load_b32 s26, s[22:23], 0x4
	s_add_co_i32 s9, s13, s9
	s_wait_kmcnt 0x0
	s_add_co_i32 s8, s26, s8
	s_add_co_i32 s25, s25, 1
	s_delay_alu instid0(SALU_CYCLE_1)
	s_cmp_ge_u32 s25, s48
	s_cbranch_scc1 .LBB134_13
.LBB134_19:                             ;   in Loop: Header=BB134_10 Depth=1
	s_load_b32 s26, s[22:23], 0x8
	s_add_co_i32 s9, s14, s9
	s_wait_kmcnt 0x0
	s_add_co_i32 s8, s26, s8
	s_add_co_i32 s25, s25, 1
	s_delay_alu instid0(SALU_CYCLE_1)
	s_cmp_ge_u32 s25, s48
	s_cbranch_scc0 .LBB134_14
	s_branch .LBB134_15
.LBB134_20:
	v_cvt_f32_u32_e32 v1, s34
	s_sub_co_i32 s3, 0, s34
	s_mov_b32 s37, s31
	s_delay_alu instid0(VALU_DEP_1) | instskip(SKIP_1) | instid1(TRANS32_DEP_1)
	v_rcp_iflag_f32_e32 v1, v1
	v_nop
	v_mul_f32_e32 v1, 0x4f7ffffe, v1
	s_delay_alu instid0(VALU_DEP_1) | instskip(NEXT) | instid1(VALU_DEP_1)
	v_cvt_u32_f32_e32 v1, v1
	v_readfirstlane_b32 s2, v1
	s_mul_i32 s3, s3, s2
	s_delay_alu instid0(SALU_CYCLE_1) | instskip(NEXT) | instid1(SALU_CYCLE_1)
	s_mul_hi_u32 s3, s2, s3
	s_add_co_i32 s2, s2, s3
	s_delay_alu instid0(SALU_CYCLE_1) | instskip(NEXT) | instid1(SALU_CYCLE_1)
	s_mul_hi_u32 s2, s30, s2
	s_mul_i32 s3, s2, s34
	s_add_co_i32 s8, s2, 1
	s_sub_co_i32 s3, s30, s3
	s_delay_alu instid0(SALU_CYCLE_1)
	s_sub_co_i32 s9, s3, s34
	s_cmp_ge_u32 s3, s34
	s_cselect_b32 s2, s8, s2
	s_cselect_b32 s3, s9, s3
	s_add_co_i32 s8, s2, 1
	s_cmp_ge_u32 s3, s34
	s_cselect_b32 s36, s8, s2
	s_load_b64 s[40:41], s[0:1], 0x378
	v_cmp_lt_u64_e64 s2, s[30:31], s[42:43]
	s_and_b32 vcc_lo, exec_lo, s2
	s_cbranch_vccnz .LBB134_5
.LBB134_21:
	v_cvt_f32_u32_e32 v1, s42
	s_sub_co_i32 s3, 0, s42
	s_mov_b32 s39, 0
	s_delay_alu instid0(VALU_DEP_1) | instskip(SKIP_1) | instid1(TRANS32_DEP_1)
	v_rcp_iflag_f32_e32 v1, v1
	v_nop
	v_mul_f32_e32 v1, 0x4f7ffffe, v1
	s_delay_alu instid0(VALU_DEP_1) | instskip(NEXT) | instid1(VALU_DEP_1)
	v_cvt_u32_f32_e32 v1, v1
	v_readfirstlane_b32 s2, v1
	s_mul_i32 s3, s3, s2
	s_delay_alu instid0(SALU_CYCLE_1) | instskip(NEXT) | instid1(SALU_CYCLE_1)
	s_mul_hi_u32 s3, s2, s3
	s_add_co_i32 s2, s2, s3
	s_delay_alu instid0(SALU_CYCLE_1) | instskip(NEXT) | instid1(SALU_CYCLE_1)
	s_mul_hi_u32 s2, s30, s2
	s_mul_i32 s3, s2, s42
	s_add_co_i32 s8, s2, 1
	s_sub_co_i32 s3, s30, s3
	s_delay_alu instid0(SALU_CYCLE_1)
	s_sub_co_i32 s9, s3, s42
	s_cmp_ge_u32 s3, s42
	s_cselect_b32 s2, s8, s2
	s_cselect_b32 s3, s9, s3
	s_add_co_i32 s8, s2, 1
	s_cmp_ge_u32 s3, s42
	s_cselect_b32 s38, s8, s2
	s_wait_kmcnt 0x0
	v_cmp_lt_u64_e64 s2, s[30:31], s[40:41]
	s_mov_b64 s[44:45], 0
	s_and_b32 vcc_lo, exec_lo, s2
	s_cbranch_vccz .LBB134_6
	s_branch .LBB134_7
.LBB134_22:
	s_mov_b64 s[8:9], 0
	s_add_nc_u64 s[10:11], s[10:11], s[20:21]
	s_wait_kmcnt 0x0
	s_add_nc_u64 s[12:13], s[18:19], s[20:21]
	s_mov_b32 s14, 0
	s_delay_alu instid0(SALU_CYCLE_1)
	s_cmp_ge_u32 s14, s29
	s_cbranch_scc0 .LBB134_46
	s_branch .LBB134_24
.LBB134_23:
	s_add_co_i32 s14, s16, 4
	s_add_nc_u64 s[12:13], s[18:19], s[20:21]
	s_add_nc_u64 s[10:11], s[10:11], s[20:21]
	s_cmp_ge_u32 s14, s29
	s_cbranch_scc0 .LBB134_46
.LBB134_24:
	v_dual_mov_b32 v2, s8 :: v_dual_mov_b32 v3, s17
	v_dual_mov_b32 v4, s9 :: v_dual_mov_b32 v1, 0
	ds_store_b96 v1, v[2:4] offset:1056
.LBB134_25:
	s_or_b32 exec_lo, exec_lo, s24
	s_clause 0x5
	s_load_b64 s[46:47], s[0:1], 0x0
	s_load_b128 s[16:19], s[0:1], 0xd0
	s_load_b128 s[8:11], s[0:1], 0x1b8
	;; [unrolled: 1-line block ×5, first 2 shown]
	s_cmp_eq_u32 s28, 0
	s_wait_loadcnt_dscnt 0x0
	s_barrier_signal -1
	s_barrier_wait -1
	s_cbranch_scc1 .LBB134_48
; %bb.26:
	v_dual_mov_b32 v1, 0 :: v_dual_lshrrev_b32 v5, 3, v0
	s_mul_u64 s[34:35], s[36:37], s[34:35]
	s_wait_kmcnt 0x0
	s_mul_u64 s[24:25], s[38:39], s[24:25]
	s_sub_nc_u64 s[34:35], s[30:31], s[34:35]
	ds_load_b96 v[2:4], v1 offset:1056
	s_mul_u64 s[16:17], s[36:37], s[16:17]
	s_mul_u64 s[18:19], s[34:35], s[18:19]
	s_add_nc_u64 s[16:17], s[46:47], s[16:17]
	s_mul_u64 s[20:21], s[44:45], s[20:21]
	s_add_nc_u64 s[10:11], s[10:11], s[24:25]
	s_load_b32 s24, s[0:1], 0x1b0
	s_add_nc_u64 s[16:17], s[16:17], s[18:19]
	s_lshl_b64 s[18:19], s[20:21], 3
	v_dual_add_nc_u32 v10, -1, v0 :: v_dual_bitop2_b32 v8, 28, v5 bitop3:0x40
	s_add_nc_u64 s[18:19], s[14:15], s[18:19]
	s_load_b64 s[14:15], s[0:1], 0x508
	v_bfe_i32 v7, v6, 0, 8
	s_delay_alu instid0(VALU_DEP_2)
	v_lshrrev_b32_e32 v9, 3, v10
	s_mul_u64 s[42:43], s[38:39], s[42:43]
	s_mul_u64 s[34:35], s[44:45], s[40:41]
	v_lshl_add_u32 v8, v0, 2, v8
	v_add_nc_u32_e32 v5, 0x80, v7
	s_wait_xcnt 0x0
	v_cmp_gt_u32_e64 s0, 32, v0
	s_wait_dscnt 0x0
	v_add_nc_u32_e32 v2, v2, v3
	v_and_b32_e32 v3, 0x1ffffffc, v9
	v_and_b32_e32 v7, 0xfc, v0
	v_mbcnt_lo_u32_b32 v9, -1, 0
	v_lshlrev_b32_e32 v12, 5, v0
	v_mad_u32 v0, s48, s33, v0
	s_sub_nc_u64 s[42:43], s[30:31], s[42:43]
	s_sub_nc_u64 s[30:31], s[30:31], s[34:35]
	v_lshl_add_u32 v10, v10, 2, v3
	s_mul_u64 s[22:23], s[30:31], s[22:23]
	v_and_b32_e32 v11, 0xff, v6
	s_lshl_b64 s[20:21], s[22:23], 3
	v_dual_add_nc_u32 v12, v7, v12 :: v_dual_bitop2_b32 v13, 15, v9 bitop3:0x40
	v_add_nc_u32_e32 v15, -1, v9
	v_bfe_i32 v14, v9, 4, 1
	s_mul_u64 s[26:27], s[42:43], s[26:27]
	s_wait_kmcnt 0x0
	s_bitcmp1_b32 s24, 0
	s_add_nc_u64 s[10:11], s[10:11], s[26:27]
	s_add_nc_u64 s[18:19], s[18:19], s[20:21]
	s_cselect_b32 s1, -1, 0
                                        ; implicit-def: $vgpr16
	s_branch .LBB134_29
.LBB134_27:                             ;   in Loop: Header=BB134_29 Depth=1
	s_wait_xcnt 0x0
	s_or_b32 exec_lo, exec_lo, s20
	v_add_nc_u32_e32 v2, v3, v2
.LBB134_28:                             ;   in Loop: Header=BB134_29 Depth=1
	v_add_nc_u32_e32 v4, v17, v4
	v_add_nc_u32_e32 v0, 0x100, v0
	s_add_co_i32 s28, s28, -1
	s_delay_alu instid0(SALU_CYCLE_1)
	s_cmp_lg_u32 s28, 0
	s_cbranch_scc0 .LBB134_48
.LBB134_29:                             ; =>This Inner Loop Header: Depth=1
	v_dual_mov_b32 v3, v1 :: v_dual_mov_b32 v6, v1
	s_mov_b32 s20, exec_lo
	v_cmpx_gt_u64_e64 s[4:5], v[0:1]
	s_cbranch_execz .LBB134_31
; %bb.30:                               ;   in Loop: Header=BB134_29 Depth=1
	v_mad_nc_u64_u32 v[6:7], s8, v0, s[16:17]
	s_delay_alu instid0(VALU_DEP_1) | instskip(SKIP_3) | instid1(VALU_DEP_1)
	v_mad_u32 v7, s9, v0, v7
	global_load_u8 v16, v[6:7], off
	s_wait_loadcnt 0x0
	v_bfe_i32 v3, v16, 0, 8
	v_add_nc_u32_e32 v3, 0x80, v3
	s_delay_alu instid0(VALU_DEP_1)
	v_cmp_gt_u32_e32 vcc_lo, v3, v5
	s_wait_xcnt 0x0
	v_cndmask_b32_e64 v6, 0, 1, vcc_lo
	v_cmp_lt_u32_e32 vcc_lo, v3, v5
	v_cndmask_b32_e64 v3, 0, 1, vcc_lo
	v_cmp_eq_u16_e32 vcc_lo, v16, v11
	s_delay_alu instid0(VALU_DEP_2) | instskip(SKIP_1) | instid1(VALU_DEP_2)
	v_cndmask_b32_e64 v3, v3, v6, s1
	v_cndmask_b32_e64 v6, 0, 1, vcc_lo
	v_and_b32_e32 v3, 1, v3
.LBB134_31:                             ;   in Loop: Header=BB134_29 Depth=1
	s_or_b32 exec_lo, exec_lo, s20
	ds_store_b32 v8, v3
	s_wait_dscnt 0x0
	s_barrier_signal -1
	s_barrier_wait -1
	s_and_saveexec_b32 s20, s0
	s_cbranch_execz .LBB134_33
; %bb.32:                               ;   in Loop: Header=BB134_29 Depth=1
	ds_load_2addr_b32 v[18:19], v12 offset1:1
	ds_load_2addr_b32 v[20:21], v12 offset0:2 offset1:3
	ds_load_2addr_b32 v[22:23], v12 offset0:4 offset1:5
	;; [unrolled: 1-line block ×3, first 2 shown]
	v_cmp_ne_u32_e32 vcc_lo, 0, v13
	; wave barrier
	s_wait_dscnt 0x3
	v_add_nc_u32_e32 v7, v19, v18
	s_wait_dscnt 0x2
	s_delay_alu instid0(VALU_DEP_1) | instskip(SKIP_1) | instid1(VALU_DEP_1)
	v_add3_u32 v7, v7, v20, v21
	s_wait_dscnt 0x1
	v_add3_u32 v7, v7, v22, v23
	s_wait_dscnt 0x0
	s_delay_alu instid0(VALU_DEP_1) | instskip(NEXT) | instid1(VALU_DEP_1)
	v_add3_u32 v7, v7, v24, v25
	v_mov_b32_dpp v17, v7 row_shr:1 row_mask:0xf bank_mask:0xf
	s_delay_alu instid0(VALU_DEP_1) | instskip(SKIP_1) | instid1(VALU_DEP_2)
	v_cndmask_b32_e32 v17, 0, v17, vcc_lo
	v_cmp_lt_u32_e32 vcc_lo, 1, v13
	v_add_nc_u32_e32 v7, v17, v7
	s_delay_alu instid0(VALU_DEP_1) | instskip(NEXT) | instid1(VALU_DEP_1)
	v_mov_b32_dpp v17, v7 row_shr:2 row_mask:0xf bank_mask:0xf
	v_cndmask_b32_e32 v17, 0, v17, vcc_lo
	v_cmp_lt_u32_e32 vcc_lo, 3, v13
	s_delay_alu instid0(VALU_DEP_2) | instskip(NEXT) | instid1(VALU_DEP_1)
	v_add_nc_u32_e32 v7, v7, v17
	v_mov_b32_dpp v17, v7 row_shr:4 row_mask:0xf bank_mask:0xf
	s_delay_alu instid0(VALU_DEP_1) | instskip(SKIP_1) | instid1(VALU_DEP_2)
	v_cndmask_b32_e32 v17, 0, v17, vcc_lo
	v_cmp_lt_u32_e32 vcc_lo, 7, v13
	v_add_nc_u32_e32 v7, v7, v17
	s_delay_alu instid0(VALU_DEP_1) | instskip(NEXT) | instid1(VALU_DEP_1)
	v_mov_b32_dpp v17, v7 row_shr:8 row_mask:0xf bank_mask:0xf
	v_cndmask_b32_e32 v17, 0, v17, vcc_lo
	v_cmp_gt_i32_e32 vcc_lo, 0, v15
	s_delay_alu instid0(VALU_DEP_2) | instskip(SKIP_4) | instid1(VALU_DEP_1)
	v_add_nc_u32_e32 v7, v7, v17
	v_cndmask_b32_e32 v19, v15, v9, vcc_lo
	ds_swizzle_b32 v17, v7 offset:swizzle(BROADCAST,32,15)
	s_wait_dscnt 0x0
	v_dual_lshlrev_b32 v19, 2, v19 :: v_dual_bitop2_b32 v17, v14, v17 bitop3:0x40
	v_add_nc_u32_e32 v7, v7, v17
	ds_bpermute_b32 v7, v19, v7
	s_wait_dscnt 0x0
	v_add_nc_u32_e32 v7, v7, v18
	s_delay_alu instid0(VALU_DEP_1)
	v_cndmask_b32_e64 v7, v7, v3, s3
	ds_store_b32 v12, v7
	; wave barrier
	ds_load_2addr_b32 v[18:19], v12 offset0:1 offset1:2
	ds_load_2addr_b32 v[20:21], v12 offset0:3 offset1:4
	;; [unrolled: 1-line block ×3, first 2 shown]
	ds_load_b32 v17, v12 offset:28
	s_wait_dscnt 0x3
	v_add_nc_u32_e32 v7, v18, v7
	s_delay_alu instid0(VALU_DEP_1) | instskip(SKIP_1) | instid1(VALU_DEP_1)
	v_add_nc_u32_e32 v18, v19, v7
	s_wait_dscnt 0x2
	v_add_nc_u32_e32 v19, v20, v18
	s_delay_alu instid0(VALU_DEP_1) | instskip(SKIP_1) | instid1(VALU_DEP_1)
	v_add_nc_u32_e32 v20, v21, v19
	;; [unrolled: 4-line block ×3, first 2 shown]
	s_wait_dscnt 0x0
	v_add_nc_u32_e32 v17, v17, v22
	ds_store_2addr_b32 v12, v7, v18 offset0:1 offset1:2
	ds_store_2addr_b32 v12, v19, v20 offset0:3 offset1:4
	ds_store_2addr_b32 v12, v21, v22 offset0:5 offset1:6
	ds_store_b32 v12, v17 offset:28
.LBB134_33:                             ;   in Loop: Header=BB134_29 Depth=1
	s_or_b32 exec_lo, exec_lo, s20
	v_mov_b32_e32 v7, 0
	s_wait_dscnt 0x0
	s_barrier_signal -1
	s_barrier_wait -1
	s_and_saveexec_b32 s20, s2
; %bb.34:                               ;   in Loop: Header=BB134_29 Depth=1
	ds_load_b32 v7, v10
; %bb.35:                               ;   in Loop: Header=BB134_29 Depth=1
	s_or_b32 exec_lo, exec_lo, s20
	ds_load_b32 v17, v1 offset:1048
	s_mov_b32 s20, exec_lo
	s_wait_dscnt 0x0
	s_barrier_signal -1
	s_barrier_wait -1
	v_cmpx_ne_u32_e32 0, v3
	s_cbranch_execz .LBB134_37
; %bb.36:                               ;   in Loop: Header=BB134_29 Depth=1
	v_dual_mov_b32 v19, v1 :: v_dual_add_nc_u32 v18, v7, v4
	s_delay_alu instid0(VALU_DEP_1) | instskip(NEXT) | instid1(VALU_DEP_2)
	v_mad_nc_u64_u32 v[22:23], s12, v18, s[10:11]
	v_mul_u64_e32 v[20:21], s[14:15], v[18:19]
	s_delay_alu instid0(VALU_DEP_2) | instskip(NEXT) | instid1(VALU_DEP_2)
	v_mad_u32 v23, s13, v18, v23
	v_lshl_add_u64 v[18:19], v[20:21], 3, s[18:19]
	global_store_b8 v[22:23], v16, off
	global_store_b64 v[18:19], v[0:1], off
.LBB134_37:                             ;   in Loop: Header=BB134_29 Depth=1
	s_wait_xcnt 0x0
	s_or_b32 exec_lo, exec_lo, s20
	v_mov_b32_e32 v3, v1
	s_delay_alu instid0(VALU_DEP_1)
	v_cmp_le_u64_e32 vcc_lo, s[6:7], v[2:3]
	s_cbranch_vccnz .LBB134_28
; %bb.38:                               ;   in Loop: Header=BB134_29 Depth=1
	ds_store_b32 v8, v6
	s_wait_storecnt_dscnt 0x0
	s_barrier_signal -1
	s_barrier_wait -1
	s_and_saveexec_b32 s20, s0
	s_cbranch_execz .LBB134_40
; %bb.39:                               ;   in Loop: Header=BB134_29 Depth=1
	ds_load_2addr_b32 v[18:19], v12 offset1:1
	ds_load_2addr_b32 v[20:21], v12 offset0:2 offset1:3
	ds_load_2addr_b32 v[22:23], v12 offset0:4 offset1:5
	;; [unrolled: 1-line block ×3, first 2 shown]
	v_cmp_ne_u32_e32 vcc_lo, 0, v13
	; wave barrier
	s_wait_dscnt 0x3
	v_add_nc_u32_e32 v3, v19, v18
	s_wait_dscnt 0x2
	s_delay_alu instid0(VALU_DEP_1) | instskip(SKIP_1) | instid1(VALU_DEP_1)
	v_add3_u32 v3, v3, v20, v21
	s_wait_dscnt 0x1
	v_add3_u32 v3, v3, v22, v23
	s_wait_dscnt 0x0
	s_delay_alu instid0(VALU_DEP_1) | instskip(NEXT) | instid1(VALU_DEP_1)
	v_add3_u32 v3, v3, v24, v25
	v_mov_b32_dpp v7, v3 row_shr:1 row_mask:0xf bank_mask:0xf
	s_delay_alu instid0(VALU_DEP_1) | instskip(SKIP_1) | instid1(VALU_DEP_2)
	v_cndmask_b32_e32 v7, 0, v7, vcc_lo
	v_cmp_lt_u32_e32 vcc_lo, 1, v13
	v_add_nc_u32_e32 v3, v7, v3
	s_delay_alu instid0(VALU_DEP_1) | instskip(NEXT) | instid1(VALU_DEP_1)
	v_mov_b32_dpp v7, v3 row_shr:2 row_mask:0xf bank_mask:0xf
	v_cndmask_b32_e32 v7, 0, v7, vcc_lo
	v_cmp_lt_u32_e32 vcc_lo, 3, v13
	s_delay_alu instid0(VALU_DEP_2) | instskip(NEXT) | instid1(VALU_DEP_1)
	v_add_nc_u32_e32 v3, v3, v7
	v_mov_b32_dpp v7, v3 row_shr:4 row_mask:0xf bank_mask:0xf
	s_delay_alu instid0(VALU_DEP_1) | instskip(SKIP_1) | instid1(VALU_DEP_2)
	v_cndmask_b32_e32 v7, 0, v7, vcc_lo
	v_cmp_lt_u32_e32 vcc_lo, 7, v13
	v_add_nc_u32_e32 v3, v3, v7
	s_delay_alu instid0(VALU_DEP_1) | instskip(NEXT) | instid1(VALU_DEP_1)
	v_mov_b32_dpp v7, v3 row_shr:8 row_mask:0xf bank_mask:0xf
	v_cndmask_b32_e32 v7, 0, v7, vcc_lo
	v_cmp_gt_i32_e32 vcc_lo, 0, v15
	s_delay_alu instid0(VALU_DEP_2)
	v_add_nc_u32_e32 v3, v3, v7
	v_cndmask_b32_e32 v19, v15, v9, vcc_lo
	ds_swizzle_b32 v7, v3 offset:swizzle(BROADCAST,32,15)
	v_lshlrev_b32_e32 v19, 2, v19
	s_wait_dscnt 0x0
	v_and_b32_e32 v7, v14, v7
	s_delay_alu instid0(VALU_DEP_1) | instskip(SKIP_3) | instid1(VALU_DEP_1)
	v_add_nc_u32_e32 v3, v3, v7
	ds_bpermute_b32 v3, v19, v3
	s_wait_dscnt 0x0
	v_add_nc_u32_e32 v3, v3, v18
	v_cndmask_b32_e64 v3, v3, v6, s3
	ds_store_b32 v12, v3
	; wave barrier
	ds_load_2addr_b32 v[18:19], v12 offset0:1 offset1:2
	ds_load_2addr_b32 v[20:21], v12 offset0:3 offset1:4
	;; [unrolled: 1-line block ×3, first 2 shown]
	ds_load_b32 v7, v12 offset:28
	s_wait_dscnt 0x3
	v_add_nc_u32_e32 v3, v18, v3
	s_delay_alu instid0(VALU_DEP_1) | instskip(SKIP_1) | instid1(VALU_DEP_1)
	v_add_nc_u32_e32 v18, v19, v3
	s_wait_dscnt 0x2
	v_add_nc_u32_e32 v19, v20, v18
	s_delay_alu instid0(VALU_DEP_1) | instskip(SKIP_1) | instid1(VALU_DEP_1)
	v_add_nc_u32_e32 v20, v21, v19
	;; [unrolled: 4-line block ×3, first 2 shown]
	s_wait_dscnt 0x0
	v_add_nc_u32_e32 v7, v7, v22
	ds_store_2addr_b32 v12, v3, v18 offset0:1 offset1:2
	ds_store_2addr_b32 v12, v19, v20 offset0:3 offset1:4
	;; [unrolled: 1-line block ×3, first 2 shown]
	ds_store_b32 v12, v7 offset:28
.LBB134_40:                             ;   in Loop: Header=BB134_29 Depth=1
	s_or_b32 exec_lo, exec_lo, s20
	v_mov_b32_e32 v7, 0
	s_wait_dscnt 0x0
	s_barrier_signal -1
	s_barrier_wait -1
	s_and_saveexec_b32 s20, s2
; %bb.41:                               ;   in Loop: Header=BB134_29 Depth=1
	ds_load_b32 v7, v10
; %bb.42:                               ;   in Loop: Header=BB134_29 Depth=1
	s_or_b32 exec_lo, exec_lo, s20
	ds_load_b32 v3, v1 offset:1048
	s_mov_b32 s20, exec_lo
	s_wait_dscnt 0x0
	s_barrier_signal -1
	s_barrier_wait -1
	v_cmpx_ne_u32_e32 0, v6
	s_cbranch_execz .LBB134_27
; %bb.43:                               ;   in Loop: Header=BB134_29 Depth=1
	v_dual_mov_b32 v7, v1 :: v_dual_add_nc_u32 v6, v7, v2
	s_delay_alu instid0(VALU_DEP_1)
	v_cmp_gt_u64_e32 vcc_lo, s[6:7], v[6:7]
	s_and_b32 exec_lo, exec_lo, vcc_lo
	s_cbranch_execz .LBB134_27
; %bb.44:                               ;   in Loop: Header=BB134_29 Depth=1
	v_mul_u64_e32 v[18:19], s[14:15], v[6:7]
	v_mad_nc_u64_u32 v[20:21], s12, v6, s[10:11]
	s_delay_alu instid0(VALU_DEP_1) | instskip(NEXT) | instid1(VALU_DEP_3)
	v_mad_u32 v21, s13, v6, v21
	v_lshl_add_u64 v[6:7], v[18:19], 3, s[18:19]
	global_store_b8 v[20:21], v16, off
	global_store_b64 v[6:7], v[0:1], off
	s_branch .LBB134_27
.LBB134_45:                             ;   in Loop: Header=BB134_46 Depth=1
	s_add_co_i32 s14, s14, 1
	s_wait_kmcnt 0x0
	s_add_co_i32 s17, s15, s17
	s_add_nc_u64 s[10:11], s[10:11], 4
	s_cmp_lt_u32 s14, s29
	s_add_nc_u64 s[12:13], s[12:13], 4
	s_cbranch_scc0 .LBB134_24
.LBB134_46:                             ; =>This Inner Loop Header: Depth=1
	s_load_b32 s15, s[10:11], 0x0
	s_cmp_ge_u32 s14, s48
	s_cbranch_scc1 .LBB134_45
; %bb.47:                               ;   in Loop: Header=BB134_46 Depth=1
	s_load_b32 s16, s[12:13], 0x0
	s_wait_kmcnt 0x0
	s_add_co_i32 s9, s15, s9
	s_add_co_i32 s8, s16, s8
	s_branch .LBB134_45
.LBB134_48:
	s_endpgm
	.section	.rodata,"a",@progbits
	.p2align	6, 0x0
	.amdhsa_kernel _ZN2at6native6mbtopk10gatherTopKIamLi2EEEvNS_4cuda6detail10TensorInfoIKT_T0_EES8_S8_bjS8_NS5_IS6_S8_EES8_NS5_IlS8_EES8_jjPS6_PjSD_j
		.amdhsa_group_segment_fixed_size 1068
		.amdhsa_private_segment_fixed_size 0
		.amdhsa_kernarg_size 1592
		.amdhsa_user_sgpr_count 2
		.amdhsa_user_sgpr_dispatch_ptr 0
		.amdhsa_user_sgpr_queue_ptr 0
		.amdhsa_user_sgpr_kernarg_segment_ptr 1
		.amdhsa_user_sgpr_dispatch_id 0
		.amdhsa_user_sgpr_kernarg_preload_length 0
		.amdhsa_user_sgpr_kernarg_preload_offset 0
		.amdhsa_user_sgpr_private_segment_size 0
		.amdhsa_wavefront_size32 1
		.amdhsa_uses_dynamic_stack 0
		.amdhsa_enable_private_segment 0
		.amdhsa_system_sgpr_workgroup_id_x 1
		.amdhsa_system_sgpr_workgroup_id_y 1
		.amdhsa_system_sgpr_workgroup_id_z 1
		.amdhsa_system_sgpr_workgroup_info 0
		.amdhsa_system_vgpr_workitem_id 0
		.amdhsa_next_free_vgpr 26
		.amdhsa_next_free_sgpr 49
		.amdhsa_named_barrier_count 0
		.amdhsa_reserve_vcc 1
		.amdhsa_float_round_mode_32 0
		.amdhsa_float_round_mode_16_64 0
		.amdhsa_float_denorm_mode_32 3
		.amdhsa_float_denorm_mode_16_64 3
		.amdhsa_fp16_overflow 0
		.amdhsa_memory_ordered 1
		.amdhsa_forward_progress 1
		.amdhsa_inst_pref_size 24
		.amdhsa_round_robin_scheduling 0
		.amdhsa_exception_fp_ieee_invalid_op 0
		.amdhsa_exception_fp_denorm_src 0
		.amdhsa_exception_fp_ieee_div_zero 0
		.amdhsa_exception_fp_ieee_overflow 0
		.amdhsa_exception_fp_ieee_underflow 0
		.amdhsa_exception_fp_ieee_inexact 0
		.amdhsa_exception_int_div_zero 0
	.end_amdhsa_kernel
	.section	.text._ZN2at6native6mbtopk10gatherTopKIamLi2EEEvNS_4cuda6detail10TensorInfoIKT_T0_EES8_S8_bjS8_NS5_IS6_S8_EES8_NS5_IlS8_EES8_jjPS6_PjSD_j,"axG",@progbits,_ZN2at6native6mbtopk10gatherTopKIamLi2EEEvNS_4cuda6detail10TensorInfoIKT_T0_EES8_S8_bjS8_NS5_IS6_S8_EES8_NS5_IlS8_EES8_jjPS6_PjSD_j,comdat
.Lfunc_end134:
	.size	_ZN2at6native6mbtopk10gatherTopKIamLi2EEEvNS_4cuda6detail10TensorInfoIKT_T0_EES8_S8_bjS8_NS5_IS6_S8_EES8_NS5_IlS8_EES8_jjPS6_PjSD_j, .Lfunc_end134-_ZN2at6native6mbtopk10gatherTopKIamLi2EEEvNS_4cuda6detail10TensorInfoIKT_T0_EES8_S8_bjS8_NS5_IS6_S8_EES8_NS5_IlS8_EES8_jjPS6_PjSD_j
                                        ; -- End function
	.set _ZN2at6native6mbtopk10gatherTopKIamLi2EEEvNS_4cuda6detail10TensorInfoIKT_T0_EES8_S8_bjS8_NS5_IS6_S8_EES8_NS5_IlS8_EES8_jjPS6_PjSD_j.num_vgpr, 26
	.set _ZN2at6native6mbtopk10gatherTopKIamLi2EEEvNS_4cuda6detail10TensorInfoIKT_T0_EES8_S8_bjS8_NS5_IS6_S8_EES8_NS5_IlS8_EES8_jjPS6_PjSD_j.num_agpr, 0
	.set _ZN2at6native6mbtopk10gatherTopKIamLi2EEEvNS_4cuda6detail10TensorInfoIKT_T0_EES8_S8_bjS8_NS5_IS6_S8_EES8_NS5_IlS8_EES8_jjPS6_PjSD_j.numbered_sgpr, 49
	.set _ZN2at6native6mbtopk10gatherTopKIamLi2EEEvNS_4cuda6detail10TensorInfoIKT_T0_EES8_S8_bjS8_NS5_IS6_S8_EES8_NS5_IlS8_EES8_jjPS6_PjSD_j.num_named_barrier, 0
	.set _ZN2at6native6mbtopk10gatherTopKIamLi2EEEvNS_4cuda6detail10TensorInfoIKT_T0_EES8_S8_bjS8_NS5_IS6_S8_EES8_NS5_IlS8_EES8_jjPS6_PjSD_j.private_seg_size, 0
	.set _ZN2at6native6mbtopk10gatherTopKIamLi2EEEvNS_4cuda6detail10TensorInfoIKT_T0_EES8_S8_bjS8_NS5_IS6_S8_EES8_NS5_IlS8_EES8_jjPS6_PjSD_j.uses_vcc, 1
	.set _ZN2at6native6mbtopk10gatherTopKIamLi2EEEvNS_4cuda6detail10TensorInfoIKT_T0_EES8_S8_bjS8_NS5_IS6_S8_EES8_NS5_IlS8_EES8_jjPS6_PjSD_j.uses_flat_scratch, 0
	.set _ZN2at6native6mbtopk10gatherTopKIamLi2EEEvNS_4cuda6detail10TensorInfoIKT_T0_EES8_S8_bjS8_NS5_IS6_S8_EES8_NS5_IlS8_EES8_jjPS6_PjSD_j.has_dyn_sized_stack, 0
	.set _ZN2at6native6mbtopk10gatherTopKIamLi2EEEvNS_4cuda6detail10TensorInfoIKT_T0_EES8_S8_bjS8_NS5_IS6_S8_EES8_NS5_IlS8_EES8_jjPS6_PjSD_j.has_recursion, 0
	.set _ZN2at6native6mbtopk10gatherTopKIamLi2EEEvNS_4cuda6detail10TensorInfoIKT_T0_EES8_S8_bjS8_NS5_IS6_S8_EES8_NS5_IlS8_EES8_jjPS6_PjSD_j.has_indirect_call, 0
	.section	.AMDGPU.csdata,"",@progbits
; Kernel info:
; codeLenInByte = 3024
; TotalNumSgprs: 51
; NumVgprs: 26
; ScratchSize: 0
; MemoryBound: 0
; FloatMode: 240
; IeeeMode: 1
; LDSByteSize: 1068 bytes/workgroup (compile time only)
; SGPRBlocks: 0
; VGPRBlocks: 1
; NumSGPRsForWavesPerEU: 51
; NumVGPRsForWavesPerEU: 26
; NamedBarCnt: 0
; Occupancy: 16
; WaveLimiterHint : 1
; COMPUTE_PGM_RSRC2:SCRATCH_EN: 0
; COMPUTE_PGM_RSRC2:USER_SGPR: 2
; COMPUTE_PGM_RSRC2:TRAP_HANDLER: 0
; COMPUTE_PGM_RSRC2:TGID_X_EN: 1
; COMPUTE_PGM_RSRC2:TGID_Y_EN: 1
; COMPUTE_PGM_RSRC2:TGID_Z_EN: 1
; COMPUTE_PGM_RSRC2:TIDIG_COMP_CNT: 0
	.section	.text._ZN2at6native6sbtopk10gatherTopKIamLi2ELb0EEEvNS_4cuda6detail10TensorInfoIKT_T0_EES8_S8_bS8_S8_NS5_IS6_S8_EES8_NS5_IlS8_EES8_PS6_,"axG",@progbits,_ZN2at6native6sbtopk10gatherTopKIamLi2ELb0EEEvNS_4cuda6detail10TensorInfoIKT_T0_EES8_S8_bS8_S8_NS5_IS6_S8_EES8_NS5_IlS8_EES8_PS6_,comdat
	.protected	_ZN2at6native6sbtopk10gatherTopKIamLi2ELb0EEEvNS_4cuda6detail10TensorInfoIKT_T0_EES8_S8_bS8_S8_NS5_IS6_S8_EES8_NS5_IlS8_EES8_PS6_ ; -- Begin function _ZN2at6native6sbtopk10gatherTopKIamLi2ELb0EEEvNS_4cuda6detail10TensorInfoIKT_T0_EES8_S8_bS8_S8_NS5_IS6_S8_EES8_NS5_IlS8_EES8_PS6_
	.globl	_ZN2at6native6sbtopk10gatherTopKIamLi2ELb0EEEvNS_4cuda6detail10TensorInfoIKT_T0_EES8_S8_bS8_S8_NS5_IS6_S8_EES8_NS5_IlS8_EES8_PS6_
	.p2align	8
	.type	_ZN2at6native6sbtopk10gatherTopKIamLi2ELb0EEEvNS_4cuda6detail10TensorInfoIKT_T0_EES8_S8_bS8_S8_NS5_IS6_S8_EES8_NS5_IlS8_EES8_PS6_,@function
_ZN2at6native6sbtopk10gatherTopKIamLi2ELb0EEEvNS_4cuda6detail10TensorInfoIKT_T0_EES8_S8_bS8_S8_NS5_IS6_S8_EES8_NS5_IlS8_EES8_PS6_: ; @_ZN2at6native6sbtopk10gatherTopKIamLi2ELb0EEEvNS_4cuda6detail10TensorInfoIKT_T0_EES8_S8_bS8_S8_NS5_IS6_S8_EES8_NS5_IlS8_EES8_PS6_
; %bb.0:
	s_clause 0x1
	s_load_b128 s[28:31], s[0:1], 0x1b8
	s_load_b64 s[12:13], s[0:1], 0x520
	s_bfe_u32 s2, ttmp6, 0x40010
	s_and_b32 s3, ttmp7, 0xffff
	s_add_co_i32 s2, s2, 1
	s_bfe_u32 s5, ttmp6, 0x4000c
	s_mul_i32 s2, s3, s2
	s_bfe_u32 s4, ttmp6, 0x40004
	s_add_co_i32 s5, s5, 1
	s_bfe_u32 s6, ttmp6, 0x40014
	s_add_co_i32 s4, s4, s2
	s_and_b32 s2, ttmp6, 15
	s_mul_i32 s5, ttmp9, s5
	s_lshr_b32 s7, ttmp7, 16
	s_add_co_i32 s6, s6, 1
	s_add_co_i32 s2, s2, s5
	s_mul_i32 s5, s7, s6
	s_bfe_u32 s6, ttmp6, 0x40008
	s_getreg_b32 s8, hwreg(HW_REG_IB_STS2, 6, 4)
	s_add_co_i32 s6, s6, s5
	s_cmp_eq_u32 s8, 0
	s_mov_b32 s51, 0
	s_cselect_b32 s5, s7, s6
	s_cselect_b32 s3, s3, s4
	s_wait_kmcnt 0x0
	s_mul_i32 s5, s13, s5
	s_cselect_b32 s13, ttmp9, s2
	s_add_co_i32 s2, s5, s3
	s_delay_alu instid0(SALU_CYCLE_1) | instskip(NEXT) | instid1(SALU_CYCLE_1)
	s_mul_i32 s2, s2, s12
	s_add_co_i32 s50, s2, s13
	s_delay_alu instid0(SALU_CYCLE_1)
	v_cmp_le_u64_e64 s2, s[28:29], s[50:51]
	s_and_b32 vcc_lo, exec_lo, s2
	s_cbranch_vccnz .LBB135_478
; %bb.1:
	s_clause 0x1
	s_load_b64 s[2:3], s[0:1], 0x10
	s_load_b64 s[10:11], s[0:1], 0x1d8
	s_mov_b64 s[8:9], 0
	s_mov_b64 s[6:7], 0
	s_wait_kmcnt 0x0
	v_cmp_lt_u64_e64 s4, s[50:51], s[2:3]
	s_and_b32 vcc_lo, exec_lo, s4
	s_cbranch_vccnz .LBB135_3
; %bb.2:
	v_cvt_f32_u32_e32 v1, s2
	s_sub_co_i32 s5, 0, s2
	s_delay_alu instid0(VALU_DEP_1) | instskip(SKIP_1) | instid1(TRANS32_DEP_1)
	v_rcp_iflag_f32_e32 v1, v1
	v_nop
	v_mul_f32_e32 v1, 0x4f7ffffe, v1
	s_delay_alu instid0(VALU_DEP_1) | instskip(NEXT) | instid1(VALU_DEP_1)
	v_cvt_u32_f32_e32 v1, v1
	v_readfirstlane_b32 s4, v1
	s_mul_i32 s5, s5, s4
	s_delay_alu instid0(SALU_CYCLE_1) | instskip(NEXT) | instid1(SALU_CYCLE_1)
	s_mul_hi_u32 s5, s4, s5
	s_add_co_i32 s4, s4, s5
	s_delay_alu instid0(SALU_CYCLE_1) | instskip(NEXT) | instid1(SALU_CYCLE_1)
	s_mul_hi_u32 s4, s50, s4
	s_mul_i32 s5, s4, s2
	s_add_co_i32 s6, s4, 1
	s_sub_co_i32 s5, s50, s5
	s_delay_alu instid0(SALU_CYCLE_1)
	s_sub_co_i32 s7, s5, s2
	s_cmp_ge_u32 s5, s2
	s_cselect_b32 s4, s6, s4
	s_cselect_b32 s5, s7, s5
	s_add_co_i32 s6, s4, 1
	s_cmp_ge_u32 s5, s2
	s_mov_b32 s7, 0
	s_cselect_b32 s6, s6, s4
.LBB135_3:
	s_load_b64 s[56:57], s[0:1], 0x380
	v_cmp_lt_u64_e64 s4, s[50:51], s[10:11]
	s_and_b32 vcc_lo, exec_lo, s4
	s_cbranch_vccnz .LBB135_5
; %bb.4:
	v_cvt_f32_u32_e32 v1, s10
	s_sub_co_i32 s5, 0, s10
	s_delay_alu instid0(VALU_DEP_1) | instskip(SKIP_1) | instid1(TRANS32_DEP_1)
	v_rcp_iflag_f32_e32 v1, v1
	v_nop
	v_mul_f32_e32 v1, 0x4f7ffffe, v1
	s_delay_alu instid0(VALU_DEP_1) | instskip(NEXT) | instid1(VALU_DEP_1)
	v_cvt_u32_f32_e32 v1, v1
	v_readfirstlane_b32 s4, v1
	s_mul_i32 s5, s5, s4
	s_delay_alu instid0(SALU_CYCLE_1) | instskip(NEXT) | instid1(SALU_CYCLE_1)
	s_mul_hi_u32 s5, s4, s5
	s_add_co_i32 s4, s4, s5
	s_delay_alu instid0(SALU_CYCLE_1) | instskip(NEXT) | instid1(SALU_CYCLE_1)
	s_mul_hi_u32 s4, s50, s4
	s_mul_i32 s5, s4, s10
	s_add_co_i32 s8, s4, 1
	s_sub_co_i32 s5, s50, s5
	s_delay_alu instid0(SALU_CYCLE_1)
	s_sub_co_i32 s9, s5, s10
	s_cmp_ge_u32 s5, s10
	s_cselect_b32 s4, s8, s4
	s_cselect_b32 s5, s9, s5
	s_add_co_i32 s8, s4, 1
	s_cmp_ge_u32 s5, s10
	s_mov_b32 s9, 0
	s_cselect_b32 s8, s8, s4
.LBB135_5:
	s_wait_kmcnt 0x0
	v_cmp_lt_u64_e64 s4, s[50:51], s[56:57]
                                        ; implicit-def: $vgpr42 : SGPR spill to VGPR lane
	s_mov_b64 s[58:59], 0
	v_writelane_b32 v42, s8, 0
	v_writelane_b32 v42, s9, 1
	s_and_b32 vcc_lo, exec_lo, s4
	s_cbranch_vccnz .LBB135_7
; %bb.6:
	v_cvt_f32_u32_e32 v1, s56
	s_sub_co_i32 s5, 0, s56
	s_mov_b32 s59, 0
	s_delay_alu instid0(VALU_DEP_1) | instskip(SKIP_1) | instid1(TRANS32_DEP_1)
	v_rcp_iflag_f32_e32 v1, v1
	v_nop
	v_mul_f32_e32 v1, 0x4f7ffffe, v1
	s_delay_alu instid0(VALU_DEP_1) | instskip(NEXT) | instid1(VALU_DEP_1)
	v_cvt_u32_f32_e32 v1, v1
	v_readfirstlane_b32 s4, v1
	s_mul_i32 s5, s5, s4
	s_delay_alu instid0(SALU_CYCLE_1) | instskip(NEXT) | instid1(SALU_CYCLE_1)
	s_mul_hi_u32 s5, s4, s5
	s_add_co_i32 s4, s4, s5
	s_delay_alu instid0(SALU_CYCLE_1) | instskip(NEXT) | instid1(SALU_CYCLE_1)
	s_mul_hi_u32 s4, s50, s4
	s_mul_i32 s5, s4, s56
	s_add_co_i32 s8, s4, 1
	s_sub_co_i32 s5, s50, s5
	s_delay_alu instid0(SALU_CYCLE_1)
	s_sub_co_i32 s9, s5, s56
	s_cmp_ge_u32 s5, s56
	s_cselect_b32 s4, s8, s4
	s_cselect_b32 s5, s9, s5
	s_add_co_i32 s8, s4, 1
	s_cmp_ge_u32 s5, s56
	s_cselect_b32 s58, s8, s4
.LBB135_7:
	s_clause 0x2
	s_load_b128 s[8:11], s[0:1], 0xd0
	s_load_b64 s[16:17], s[0:1], 0x0
	s_load_b128 s[36:39], s[0:1], 0x1a0
	v_cmp_eq_u32_e64 s5, 0, v0
	s_add_nc_u64 s[14:15], s[0:1], 0x520
	s_mov_b32 s29, 0
	s_and_saveexec_b32 s4, s5
	s_cbranch_execz .LBB135_9
; %bb.8:
	s_wait_kmcnt 0x0
	v_dual_mov_b32 v2, 0 :: v_dual_mov_b32 v4, s36
	s_delay_alu instid0(VALU_DEP_1)
	v_dual_mov_b32 v5, s37 :: v_dual_mov_b32 v3, v2
	ds_store_b32 v2, v2 offset:5144
	ds_store_b128 v2, v[2:5] offset:5120
.LBB135_9:
	s_or_b32 exec_lo, exec_lo, s4
	s_clause 0x2
	s_load_b32 s4, s[0:1], 0x1b0
	s_load_b64 s[18:19], s[0:1], 0x1c8
	s_load_b128 s[20:23], s[0:1], 0x440
	s_mul_u64 s[2:3], s[6:7], s[2:3]
	s_wait_kmcnt 0x0
	s_mul_u64 s[6:7], s[6:7], s[8:9]
	s_load_b64 s[8:9], s[0:1], 0x370
	v_dual_mov_b32 v3, 0 :: v_dual_add_nc_u32 v2, 2, v0
	s_sub_nc_u64 s[2:3], s[50:51], s[2:3]
	s_add_nc_u64 s[6:7], s[16:17], s[6:7]
	s_mul_u64 s[2:3], s[2:3], s[10:11]
	s_wait_dscnt 0x0
	v_max_u64 v[4:5], s[36:37], v[2:3]
	s_barrier_signal -1
	s_barrier_wait -1
	s_add_nc_u64 s[34:35], s[6:7], s[2:3]
	s_load_b32 s7, s[14:15], 0xc
	v_mbcnt_lo_u32_b32 v13, -1, 0
	v_dual_mov_b32 v17, v3 :: v_dual_mov_b32 v9, -1
	v_writelane_b32 v42, s18, 2
	v_not_b32_e32 v8, v0
	v_mad_nc_u64_u32 v[14:15], s30, v0, s[34:35]
	v_cmp_gt_u32_e32 vcc_lo, 32, v0
	v_cmp_gt_i32_e64 s3, 4, v13
	v_writelane_b32 v42, s19, 3
	s_bitcmp1_b32 s4, 0
	v_dual_mov_b32 v1, v3 :: v_dual_lshlrev_b32 v16, 2, v0
	s_cselect_b32 s4, -1, 0
	v_writelane_b32 v42, s20, 4
	s_xor_b32 s33, s4, -1
	s_and_b32 s86, vcc_lo, s3
	v_lshlrev_b64_e64 v[6:7], v13, -1
	v_mad_u32 v15, s31, v0, v15
	v_writelane_b32 v42, s21, 5
	s_wait_kmcnt 0x0
	s_and_b32 s48, s7, 0xffff
	v_cmp_lt_u64_e64 s87, 0xc00, s[36:37]
	v_cmp_gt_u64_e64 s3, s[36:37], v[0:1]
	v_mov_b64_e32 v[22:23], s[38:39]
	v_writelane_b32 v42, s22, 6
	s_mov_b32 s49, s29
	v_cmp_eq_u32_e64 s2, 0, v13
	v_add_nc_u64_e32 v[4:5], v[4:5], v[8:9]
	v_cmp_gt_u32_e64 s6, 2, v0
	v_writelane_b32 v42, s23, 7
	v_not_b32_e32 v12, v6
	v_lshl_or_b32 v30, v13, 3, 0xc00
	v_dual_mov_b32 v32, 0 :: v_dual_mov_b32 v29, 0
	v_writelane_b32 v42, s8, 8
	v_dual_mov_b32 v19, v5 :: v_dual_bitop2_b32 v18, -4, v4 bitop3:0x40
	v_mov_b32_e32 v31, 0
	s_add_nc_u64 s[64:65], s[48:49], -1
	v_writelane_b32 v42, s9, 9
	s_load_b128 s[8:11], s[0:1], 0x298
	v_add_nc_u64_e32 v[20:21], v[18:19], v[0:1]
	v_cmp_ne_u64_e64 s55, v[4:5], v[18:19]
	s_add_nc_u64 s[66:67], s[64:65], s[36:37]
	s_mov_b32 s89, s30
	s_mov_b32 s90, s31
	;; [unrolled: 1-line block ×10, first 2 shown]
                                        ; implicit-def: $sgpr102
                                        ; implicit-def: $sgpr60
                                        ; implicit-def: $vcc_hi
                                        ; implicit-def: $sgpr61
                                        ; implicit-def: $sgpr104
                                        ; implicit-def: $sgpr41
                                        ; implicit-def: $sgpr42
                                        ; implicit-def: $sgpr62
                                        ; implicit-def: $sgpr40
                                        ; implicit-def: $sgpr63
	s_wait_kmcnt 0x0
	v_writelane_b32 v42, s8, 10
	v_writelane_b32 v42, s9, 11
	;; [unrolled: 1-line block ×4, first 2 shown]
	s_bfe_u32 s9, s7, 0xb0005
	s_cmp_gt_u32 s48, 31
	s_movk_i32 s7, 0x3e0
	s_cselect_b32 s88, -1, 0
	s_cmp_lt_u32 s13, s12
	v_and_or_b32 v28, v0, s7, 0xc00
	s_cselect_b32 s28, 12, 18
	s_add_co_i32 s8, s9, -1
	s_bfe_u32 s95, s48, 0x30005
	s_and_b32 s8, s8, 0xffff
	v_cmp_lt_u64_e64 s7, 3, v[4:5]
	s_cmp_gt_u32 s8, 6
	s_add_nc_u64 s[68:69], s[14:15], s[28:29]
	s_cselect_b32 s96, -1, 0
	s_and_b32 s97, s9, 0x7f8
	s_cmp_lg_u32 s95, 0
	s_cselect_b32 s98, -1, 0
	s_and_b64 s[70:71], s[36:37], 0xffffffff00000000
	s_branch .LBB135_12
.LBB135_10:                             ;   in Loop: Header=BB135_12 Depth=1
	s_or_b32 exec_lo, exec_lo, s12
	v_mov_b64_e32 v[22:23], v[4:5]
	s_and_not1_b32 s8, s63, exec_lo
	s_and_b32 s11, s11, exec_lo
	s_and_not1_b32 s40, s40, exec_lo
	s_or_b32 s63, s8, s11
	s_and_not1_b32 s62, s62, exec_lo
	s_and_not1_b32 s42, s42, exec_lo
	;; [unrolled: 1-line block ×3, first 2 shown]
	s_or_not1_b32 s10, s10, exec_lo
.LBB135_11:                             ;   in Loop: Header=BB135_12 Depth=1
	s_or_b32 exec_lo, exec_lo, s9
	s_delay_alu instid0(SALU_CYCLE_1) | instskip(NEXT) | instid1(SALU_CYCLE_1)
	s_and_b32 s9, exec_lo, s10
	s_or_b32 s100, s9, s100
	s_and_not1_b32 s9, s104, exec_lo
	s_and_b32 s10, s63, exec_lo
	s_and_not1_b32 s11, s61, exec_lo
	s_or_b32 s104, s9, s10
	s_and_b32 s9, s40, exec_lo
	s_and_not1_b32 s10, vcc_hi, exec_lo
	s_and_b32 s12, s62, exec_lo
	s_or_b32 s61, s11, s9
	s_or_b32 vcc_hi, s10, s12
	s_and_not1_b32 s9, s60, exec_lo
	s_and_b32 s10, s42, exec_lo
	s_and_not1_b32 s11, s102, exec_lo
	s_and_b32 s12, s41, exec_lo
	s_or_b32 s60, s9, s10
	s_or_b32 s102, s11, s12
	s_and_not1_b32 exec_lo, exec_lo, s100
	s_cbranch_execz .LBB135_474
.LBB135_12:                             ; =>This Loop Header: Depth=1
                                        ;     Child Loop BB135_17 Depth 2
                                        ;     Child Loop BB135_31 Depth 2
	;; [unrolled: 1-line block ×25, first 2 shown]
	ds_load_b128 v[4:7], v3 offset:5120
	s_wait_dscnt 0x0
	v_readfirstlane_b32 s73, v5
	v_readfirstlane_b32 s72, v4
	s_cmp_lg_u64 s[72:73], 0
	s_cbranch_scc1 .LBB135_44
; %bb.13:                               ;   in Loop: Header=BB135_12 Depth=1
	s_and_b32 vcc_lo, exec_lo, s87
	s_cbranch_vccz .LBB135_25
; %bb.14:                               ;   in Loop: Header=BB135_12 Depth=1
	v_cmp_gt_u64_e32 vcc_lo, 0xc01, v[6:7]
	s_mov_b32 s11, 0
	s_mov_b32 s9, 0
	s_cbranch_vccz .LBB135_26
; %bb.15:                               ;   in Loop: Header=BB135_12 Depth=1
	global_load_u16 v2, v3, s[68:69]
	global_load_u8 v6, v[14:15], off
	v_mov_b64_e32 v[4:5], v[0:1]
	s_mov_b32 s12, 0
	s_wait_loadcnt 0x1
	v_and_b32_e32 v2, 0xffff, v2
	s_branch .LBB135_17
.LBB135_16:                             ;   in Loop: Header=BB135_17 Depth=2
	s_or_b32 exec_lo, exec_lo, s10
	v_mov_b32_e32 v6, v7
	s_and_not1_b32 exec_lo, exec_lo, s12
	s_cbranch_execz .LBB135_98
.LBB135_17:                             ;   Parent Loop BB135_12 Depth=1
                                        ; =>  This Inner Loop Header: Depth=2
	s_delay_alu instid0(VALU_DEP_1) | instskip(SKIP_3) | instid1(VALU_DEP_2)
	v_add_nc_u64_e32 v[4:5], v[4:5], v[2:3]
	s_wait_dscnt 0x0
	v_dual_mov_b32 v8, 0 :: v_dual_mov_b32 v7, 0
	s_mov_b32 s10, exec_lo
	v_cmp_le_u64_e32 vcc_lo, s[36:37], v[4:5]
	s_wait_xcnt 0x0
	v_cmpx_gt_u64_e64 s[36:37], v[4:5]
	s_cbranch_execz .LBB135_19
; %bb.18:                               ;   in Loop: Header=BB135_17 Depth=2
	v_mad_nc_u64_u32 v[10:11], v4, s30, s[34:35]
	s_delay_alu instid0(VALU_DEP_1) | instskip(NEXT) | instid1(VALU_DEP_1)
	v_mad_u32 v7, v5, s30, v11
	v_mad_u32 v11, v4, s31, v7
	global_load_u8 v7, v[10:11], off
.LBB135_19:                             ;   in Loop: Header=BB135_17 Depth=2
	s_wait_xcnt 0x0
	s_or_b32 exec_lo, exec_lo, s10
	s_wait_loadcnt 0x0
	v_bfe_i32 v9, v6, 0, 8
	s_delay_alu instid0(VALU_DEP_1) | instskip(NEXT) | instid1(VALU_DEP_1)
	v_add_nc_u32_e32 v9, 0x80, v9
	v_and_b32_e32 v9, v9, v31
	s_delay_alu instid0(VALU_DEP_1) | instskip(SKIP_2) | instid1(SALU_CYCLE_1)
	v_cmp_eq_u32_e64 s9, v9, v29
	s_cmp_lg_u32 s9, 0
	s_cselect_b32 s10, -1, 0
	s_and_b32 s10, s2, s10
	s_delay_alu instid0(SALU_CYCLE_1)
	s_and_saveexec_b32 s13, s10
	s_cbranch_execz .LBB135_23
; %bb.20:                               ;   in Loop: Header=BB135_17 Depth=2
	s_mov_b32 s16, exec_lo
	s_bcnt1_i32_b32 s14, s9
	v_mbcnt_lo_u32_b32 v8, s16, 0
	s_mov_b32 s15, exec_lo
                                        ; implicit-def: $vgpr9
	s_delay_alu instid0(VALU_DEP_1)
	v_cmpx_eq_u32_e32 0, v8
; %bb.21:                               ;   in Loop: Header=BB135_17 Depth=2
	s_bcnt1_i32_b32 s10, s16
	s_delay_alu instid0(SALU_CYCLE_1) | instskip(NEXT) | instid1(SALU_CYCLE_1)
	s_mul_i32 s10, s14, s10
	v_mov_b32_e32 v9, s10
	ds_add_rtn_u32 v9, v3, v9 offset:5144
; %bb.22:                               ;   in Loop: Header=BB135_17 Depth=2
	s_or_b32 exec_lo, exec_lo, s15
	s_wait_dscnt 0x0
	v_readfirstlane_b32 s10, v9
	s_delay_alu instid0(VALU_DEP_1)
	v_mad_u32_u24 v8, s14, v8, s10
.LBB135_23:                             ;   in Loop: Header=BB135_17 Depth=2
	s_or_b32 exec_lo, exec_lo, s13
	ds_bpermute_b32 v8, v3, v8
	s_and_b32 s10, exec_lo, vcc_lo
	s_delay_alu instid0(SALU_CYCLE_1)
	s_or_b32 s12, s10, s12
	s_and_saveexec_b32 s10, s9
	s_cbranch_execz .LBB135_16
; %bb.24:                               ;   in Loop: Header=BB135_17 Depth=2
	v_and_b32_e32 v9, s9, v12
	s_wait_dscnt 0x0
	s_delay_alu instid0(VALU_DEP_1)
	v_bcnt_u32_b32 v8, v9, v8
	ds_store_b8 v8, v6
	s_branch .LBB135_16
.LBB135_25:                             ;   in Loop: Header=BB135_12 Depth=1
	s_mov_b32 s11, -1
	s_mov_b32 s9, 0
.LBB135_26:                             ;   in Loop: Header=BB135_12 Depth=1
	s_and_b32 vcc_lo, exec_lo, s11
	s_cbranch_vccz .LBB135_42
.LBB135_27:                             ;   in Loop: Header=BB135_12 Depth=1
	s_and_saveexec_b32 s9, s3
	s_cbranch_execz .LBB135_39
; %bb.28:                               ;   in Loop: Header=BB135_12 Depth=1
	global_load_u16 v4, v3, s[68:69]
	global_load_u8 v26, v[14:15], off
	s_mov_b32 s12, exec_lo
	v_mov_b32_e32 v8, v0
	s_wait_loadcnt 0x1
	v_and_b32_e32 v2, 0xffff, v4
	v_readfirstlane_b32 s10, v4
	s_delay_alu instid0(VALU_DEP_2) | instskip(SKIP_1) | instid1(VALU_DEP_1)
	v_add_nc_u32_e32 v2, v2, v0
	s_wait_xcnt 0x0
	v_cmpx_gt_u64_e64 s[36:37], v[2:3]
	s_cbranch_execz .LBB135_38
; %bb.29:                               ;   in Loop: Header=BB135_12 Depth=1
	s_and_b32 s28, s10, 0xffff
	v_mov_b64_e32 v[6:7], v[0:1]
	v_mov_b64_e32 v[4:5], v[2:3]
	s_cmp_eq_u32 s28, 1
	s_mov_b32 s11, -1
	s_cselect_b32 s10, -1, 0
                                        ; implicit-def: $vgpr8_vgpr9
	s_delay_alu instid0(SALU_CYCLE_1) | instskip(NEXT) | instid1(SALU_CYCLE_1)
	s_and_b32 s13, s7, s10
	s_and_saveexec_b32 s10, s13
	s_cbranch_execz .LBB135_33
; %bb.30:                               ;   in Loop: Header=BB135_12 Depth=1
	v_add_nc_u64_e32 v[8:9], 3, v[2:3]
	v_add_nc_u64_e32 v[6:7], 2, v[2:3]
	;; [unrolled: 1-line block ×3, first 2 shown]
	v_mov_b64_e32 v[24:25], v[18:19]
	s_wait_loadcnt 0x0
	v_dual_lshlrev_b32 v33, 24, v26 :: v_dual_mov_b32 v27, v0
	s_mov_b32 s11, 0
	v_mov_b64_e32 v[10:11], v[8:9]
	v_mov_b64_e32 v[8:9], v[6:7]
	;; [unrolled: 1-line block ×4, first 2 shown]
.LBB135_31:                             ;   Parent Loop BB135_12 Depth=1
                                        ; =>  This Inner Loop Header: Depth=2
	s_delay_alu instid0(VALU_DEP_2) | instskip(NEXT) | instid1(VALU_DEP_2)
	v_mad_nc_u64_u32 v[34:35], v6, s30, s[34:35]
	v_mad_nc_u64_u32 v[36:37], v4, s89, s[34:35]
	v_mad_nc_u64_u32 v[38:39], v8, s91, s[34:35]
	v_mad_nc_u64_u32 v[40:41], v10, s93, s[34:35]
	v_add_nc_u64_e32 v[24:25], -4, v[24:25]
	s_delay_alu instid0(VALU_DEP_1)
	v_cmp_eq_u64_e32 vcc_lo, 0, v[24:25]
	v_mad_u32 v26, v7, s30, v35
	v_mad_u32 v37, v5, s89, v37
	;; [unrolled: 1-line block ×4, first 2 shown]
	s_or_b32 s11, vcc_lo, s11
	s_delay_alu instid0(VALU_DEP_4) | instskip(NEXT) | instid1(VALU_DEP_4)
	v_mad_u32 v35, v6, s31, v26
	v_mad_u32 v37, v4, s90, v37
	s_delay_alu instid0(VALU_DEP_4) | instskip(NEXT) | instid1(VALU_DEP_4)
	v_mad_u32 v39, v8, s92, v39
	v_mad_u32 v41, v10, s94, v41
	v_add_nc_u64_e32 v[10:11], 4, v[10:11]
	v_add_nc_u64_e32 v[8:9], 4, v[8:9]
	;; [unrolled: 1-line block ×4, first 2 shown]
	s_clause 0x3
	global_load_u8 v34, v[34:35], off
	global_load_u8 v35, v[36:37], off
	;; [unrolled: 1-line block ×4, first 2 shown]
	s_wait_loadcnt 0x2
	v_perm_b32 v33, v33, v35, 0xc0c0007
	s_wait_loadcnt 0x1
	v_perm_b32 v37, v34, v36, 0xc0c0004
	v_perm_b32 v34, v35, v34, 0xc0c0004
	s_wait_loadcnt 0x0
	v_perm_b32 v35, v36, v26, 0xc0c0004
	s_delay_alu instid0(VALU_DEP_3) | instskip(NEXT) | instid1(VALU_DEP_2)
	v_lshl_or_b32 v33, v37, 16, v33
	v_lshl_or_b32 v34, v35, 16, v34
	ds_store_b32 v27, v33
	v_dual_add_nc_u32 v27, 4, v27 :: v_dual_mov_b32 v33, v34
	s_wait_xcnt 0x0
	s_and_not1_b32 exec_lo, exec_lo, s11
	s_cbranch_execnz .LBB135_31
; %bb.32:                               ;   in Loop: Header=BB135_12 Depth=1
	s_or_b32 exec_lo, exec_lo, s11
	v_add_nc_u64_e32 v[4:5], v[2:3], v[18:19]
	v_mov_b64_e32 v[6:7], v[20:21]
	s_or_not1_b32 s11, s55, exec_lo
	s_delay_alu instid0(VALU_DEP_2)
	v_add_nc_u64_e32 v[8:9], -1, v[4:5]
.LBB135_33:                             ;   in Loop: Header=BB135_12 Depth=1
	s_or_b32 exec_lo, exec_lo, s10
	s_and_saveexec_b32 s13, s11
	s_cbranch_execz .LBB135_37
; %bb.34:                               ;   in Loop: Header=BB135_12 Depth=1
	s_sub_nc_u64 s[10:11], 0, s[28:29]
	s_mov_b32 s14, 0
.LBB135_35:                             ;   Parent Loop BB135_12 Depth=1
                                        ; =>  This Inner Loop Header: Depth=2
	v_mov_b64_e32 v[8:9], v[4:5]
	s_wait_loadcnt 0x0
	ds_store_b8 v6, v26
	v_mad_nc_u64_u32 v[4:5], v8, s30, s[34:35]
	v_mov_b64_e32 v[6:7], v[8:9]
	s_delay_alu instid0(VALU_DEP_2) | instskip(NEXT) | instid1(VALU_DEP_1)
	v_mad_u32 v2, v9, s30, v5
	v_mad_u32 v5, v8, s31, v2
	global_load_u8 v2, v[4:5], off
	s_wait_xcnt 0x0
	v_add_nc_u64_e32 v[4:5], s[28:29], v[8:9]
	s_delay_alu instid0(VALU_DEP_1)
	v_cmp_le_u64_e32 vcc_lo, s[36:37], v[4:5]
	s_or_b32 s14, vcc_lo, s14
	s_wait_loadcnt 0x0
	v_mov_b32_e32 v26, v2
	s_and_not1_b32 exec_lo, exec_lo, s14
	s_cbranch_execnz .LBB135_35
; %bb.36:                               ;   in Loop: Header=BB135_12 Depth=1
	s_or_b32 exec_lo, exec_lo, s14
	v_add_nc_u64_e32 v[8:9], s[10:11], v[4:5]
	v_mov_b32_e32 v26, v2
.LBB135_37:                             ;   in Loop: Header=BB135_12 Depth=1
	s_or_b32 exec_lo, exec_lo, s13
.LBB135_38:                             ;   in Loop: Header=BB135_12 Depth=1
	s_delay_alu instid0(SALU_CYCLE_1)
	s_or_b32 exec_lo, exec_lo, s12
	s_wait_loadcnt 0x0
	ds_store_b8 v8, v26
.LBB135_39:                             ;   in Loop: Header=BB135_12 Depth=1
	s_or_b32 exec_lo, exec_lo, s9
	s_wait_dscnt 0x0
	s_barrier_signal -1
	s_barrier_wait -1
	s_and_saveexec_b32 s9, s5
; %bb.40:                               ;   in Loop: Header=BB135_12 Depth=1
	v_mov_b64_e32 v[4:5], s[36:37]
	ds_store_b64 v3, v[4:5] offset:5120
; %bb.41:                               ;   in Loop: Header=BB135_12 Depth=1
	s_or_b32 exec_lo, exec_lo, s9
	s_mov_b32 s9, -1
	s_wait_dscnt 0x0
	s_barrier_signal -1
	s_barrier_wait -1
.LBB135_42:                             ;   in Loop: Header=BB135_12 Depth=1
	s_and_b32 vcc_lo, exec_lo, s9
	s_mov_b64 s[72:73], 0
	s_cbranch_vccz .LBB135_44
; %bb.43:                               ;   in Loop: Header=BB135_12 Depth=1
	ds_load_b64 v[4:5], v3 offset:5120
	s_wait_dscnt 0x0
	v_readfirstlane_b32 s72, v4
	v_readfirstlane_b32 s73, v5
.LBB135_44:                             ;   in Loop: Header=BB135_12 Depth=1
	s_delay_alu instid0(VALU_DEP_2)
	s_cmp_lt_i32 s72, 1
	s_mov_b32 s9, -1
                                        ; implicit-def: $vgpr10_vgpr11
                                        ; implicit-def: $vgpr6_vgpr7
	s_cbranch_scc1 .LBB135_54
; %bb.45:                               ;   in Loop: Header=BB135_12 Depth=1
	s_and_b32 vcc_lo, exec_lo, s9
	s_cbranch_vccnz .LBB135_68
.LBB135_46:                             ;   in Loop: Header=BB135_12 Depth=1
	s_lshl_b32 s9, s103, 7
	s_and_saveexec_b32 s10, s2
	s_cbranch_execz .LBB135_48
.LBB135_47:                             ;   in Loop: Header=BB135_12 Depth=1
	v_lshl_add_u32 v2, s9, 3, v28
	ds_store_b128 v2, v[4:7]
	ds_store_b128 v2, v[8:11] offset:16
.LBB135_48:                             ;   in Loop: Header=BB135_12 Depth=1
	s_or_b32 exec_lo, exec_lo, s10
	s_wait_dscnt 0x0
	s_barrier_signal -1
	s_barrier_wait -1
	s_and_saveexec_b32 s10, s86
	s_cbranch_execz .LBB135_82
; %bb.49:                               ;   in Loop: Header=BB135_12 Depth=1
	v_mov_b64_e32 v[4:5], 0
	s_and_not1_b32 vcc_lo, exec_lo, s88
	s_cbranch_vccnz .LBB135_81
; %bb.50:                               ;   in Loop: Header=BB135_12 Depth=1
	v_mov_b64_e32 v[4:5], 0
	s_and_not1_b32 vcc_lo, exec_lo, s96
	s_cbranch_vccnz .LBB135_78
; %bb.51:                               ;   in Loop: Header=BB135_12 Depth=1
	v_lshl_add_u32 v2, s103, 10, v30
	s_mov_b32 s11, 0
.LBB135_52:                             ;   Parent Loop BB135_12 Depth=1
                                        ; =>  This Inner Loop Header: Depth=2
	ds_load_2addr_b64 v[6:9], v2 offset1:4
	ds_load_2addr_b64 v[24:27], v2 offset0:8 offset1:12
	s_add_co_i32 s11, s11, 8
	s_delay_alu instid0(SALU_CYCLE_1) | instskip(SKIP_2) | instid1(VALU_DEP_1)
	s_cmp_eq_u32 s97, s11
	s_wait_dscnt 0x1
	v_add_nc_u64_e32 v[4:5], v[6:7], v[4:5]
	v_add_nc_u64_e32 v[8:9], v[8:9], v[4:5]
	ds_load_2addr_b64 v[4:7], v2 offset0:16 offset1:20
	s_wait_dscnt 0x1
	v_add_nc_u64_e32 v[8:9], v[24:25], v[8:9]
	s_delay_alu instid0(VALU_DEP_1) | instskip(SKIP_4) | instid1(VALU_DEP_1)
	v_add_nc_u64_e32 v[24:25], v[26:27], v[8:9]
	ds_load_2addr_b64 v[8:11], v2 offset0:24 offset1:28
	v_add_nc_u32_e32 v2, 0x100, v2
	s_wait_dscnt 0x1
	v_add_nc_u64_e32 v[4:5], v[4:5], v[24:25]
	v_add_nc_u64_e32 v[4:5], v[6:7], v[4:5]
	s_wait_dscnt 0x0
	s_delay_alu instid0(VALU_DEP_1) | instskip(NEXT) | instid1(VALU_DEP_1)
	v_add_nc_u64_e32 v[4:5], v[8:9], v[4:5]
	v_add_nc_u64_e32 v[4:5], v[10:11], v[4:5]
	s_cbranch_scc0 .LBB135_52
; %bb.53:                               ;   in Loop: Header=BB135_12 Depth=1
	s_mov_b32 s11, s97
	s_and_not1_b32 vcc_lo, exec_lo, s98
	s_cbranch_vccz .LBB135_79
	s_branch .LBB135_81
.LBB135_54:                             ;   in Loop: Header=BB135_12 Depth=1
	global_load_u16 v2, v3, s[68:69]
	s_mov_b32 s19, s29
	s_wait_loadcnt 0x0
	v_readfirstlane_b32 s9, v2
	s_and_b32 s9, 0xffff, s9
	s_delay_alu instid0(SALU_CYCLE_1)
	s_lshl_b32 s18, s9, 2
	s_cmp_lg_u64 s[70:71], 0
	s_cbranch_scc0 .LBB135_77
; %bb.55:                               ;   in Loop: Header=BB135_12 Depth=1
	s_cvt_f32_u32 s9, s18
	s_sub_nc_u64 s[12:13], 0, s[18:19]
	s_delay_alu instid0(SALU_CYCLE_2) | instskip(NEXT) | instid1(SALU_CYCLE_3)
	s_fmamk_f32 s9, s101, 0x0, s9
	v_s_rcp_f32 s9, s9
	s_delay_alu instid0(TRANS32_DEP_1) | instskip(NEXT) | instid1(SALU_CYCLE_3)
	s_mul_f32 s9, s9, 0x5f7ffffc
	s_mul_f32 s10, s9, 0x2f800000
	s_delay_alu instid0(SALU_CYCLE_3) | instskip(NEXT) | instid1(SALU_CYCLE_3)
	s_trunc_f32 s10, s10
	s_fmamk_f32 s9, s10, 0xcf800000, s9
	s_cvt_u32_f32 s11, s10
	s_delay_alu instid0(SALU_CYCLE_2) | instskip(NEXT) | instid1(SALU_CYCLE_3)
	s_cvt_u32_f32 s10, s9
	s_mul_u64 s[14:15], s[12:13], s[10:11]
	s_delay_alu instid0(SALU_CYCLE_1)
	s_mul_hi_u32 s17, s10, s15
	s_mul_i32 s16, s10, s15
	s_mul_hi_u32 s28, s10, s14
	s_mul_i32 s20, s11, s14
	s_add_nc_u64 s[16:17], s[28:29], s[16:17]
	s_mul_hi_u32 s9, s11, s14
	s_mul_hi_u32 s21, s11, s15
	s_mul_i32 s14, s11, s15
	s_add_co_u32 s15, s16, s20
	s_add_co_ci_u32 s28, s17, s9
	s_add_co_ci_u32 s15, s21, 0
	s_delay_alu instid0(SALU_CYCLE_1) | instskip(NEXT) | instid1(SALU_CYCLE_1)
	s_add_nc_u64 s[14:15], s[28:29], s[14:15]
	s_add_co_u32 s10, s10, s14
	s_cselect_b32 s9, -1, 0
	s_delay_alu instid0(SALU_CYCLE_1) | instskip(SKIP_1) | instid1(SALU_CYCLE_1)
	s_cmp_lg_u32 s9, 0
	s_add_co_ci_u32 s11, s11, s15
	s_mul_u64 s[12:13], s[12:13], s[10:11]
	s_delay_alu instid0(SALU_CYCLE_1)
	s_mul_hi_u32 s15, s10, s13
	s_mul_i32 s14, s10, s13
	s_mul_hi_u32 s28, s10, s12
	s_mul_i32 s16, s11, s12
	s_add_nc_u64 s[14:15], s[28:29], s[14:15]
	s_mul_hi_u32 s9, s11, s12
	s_mul_hi_u32 s17, s11, s13
	s_mul_i32 s12, s11, s13
	s_add_co_u32 s13, s14, s16
	s_add_co_ci_u32 s28, s15, s9
	s_add_co_ci_u32 s13, s17, 0
	s_delay_alu instid0(SALU_CYCLE_1) | instskip(NEXT) | instid1(SALU_CYCLE_1)
	s_add_nc_u64 s[12:13], s[28:29], s[12:13]
	s_add_co_u32 s9, s10, s12
	s_cselect_b32 s10, -1, 0
	s_mul_hi_u32 s28, s36, s9
	s_cmp_lg_u32 s10, 0
	s_mul_hi_u32 s14, s37, s9
	s_add_co_ci_u32 s12, s11, s13
	s_mul_i32 s9, s37, s9
	s_mul_hi_u32 s11, s36, s12
	s_mul_i32 s10, s36, s12
	s_mul_hi_u32 s13, s37, s12
	s_add_nc_u64 s[10:11], s[28:29], s[10:11]
	s_mul_i32 s12, s37, s12
	s_add_co_u32 s9, s10, s9
	s_add_co_ci_u32 s28, s11, s14
	s_add_co_ci_u32 s13, s13, 0
	s_delay_alu instid0(SALU_CYCLE_1) | instskip(NEXT) | instid1(SALU_CYCLE_1)
	s_add_nc_u64 s[10:11], s[28:29], s[12:13]
	s_and_b64 s[12:13], s[10:11], 0xffffffff00000000
	s_delay_alu instid0(SALU_CYCLE_1) | instskip(NEXT) | instid1(SALU_CYCLE_1)
	s_or_b32 s12, s12, s10
	s_mul_u64 s[10:11], s[18:19], s[12:13]
	s_delay_alu instid0(SALU_CYCLE_1) | instskip(SKIP_1) | instid1(SALU_CYCLE_1)
	s_sub_co_u32 s9, s36, s10
	s_cselect_b32 s10, -1, 0
	s_cmp_lg_u32 s10, 0
	s_sub_co_ci_u32 s10, s37, s11
	s_sub_co_u32 s11, s9, s18
	s_cselect_b32 s12, -1, 0
	s_delay_alu instid0(SALU_CYCLE_1) | instskip(SKIP_3) | instid1(SALU_CYCLE_1)
	s_cmp_lg_u32 s12, 0
	s_sub_co_ci_u32 s12, s10, 0
	s_sub_co_u32 s13, s11, s18
	s_cselect_b32 s14, -1, 0
	s_cmp_lg_u32 s14, 0
	s_sub_co_ci_u32 s14, s12, 0
	s_cmp_ge_u32 s11, s18
	s_cselect_b32 s15, -1, 0
	s_cmp_eq_u32 s12, 0
	s_cselect_b32 s15, s15, -1
	s_delay_alu instid0(SALU_CYCLE_1)
	s_cmp_lg_u32 s15, 0
	s_cselect_b32 s12, s14, s12
	s_cselect_b32 s13, s13, s11
	s_cmp_ge_u32 s9, s18
	s_cselect_b32 s11, -1, 0
	s_cmp_eq_u32 s10, 0
	s_cselect_b32 s11, s11, -1
	s_delay_alu instid0(SALU_CYCLE_1)
	s_cmp_lg_u32 s11, 0
	s_cselect_b32 s11, s12, s10
	s_cselect_b32 s10, s13, s9
	s_cbranch_execnz .LBB135_57
.LBB135_56:                             ;   in Loop: Header=BB135_12 Depth=1
	v_cvt_f32_u32_e32 v4, s18
	s_sub_co_i32 s10, 0, s18
	s_delay_alu instid0(VALU_DEP_1) | instskip(SKIP_1) | instid1(TRANS32_DEP_1)
	v_rcp_iflag_f32_e32 v4, v4
	v_nop
	v_mul_f32_e32 v4, 0x4f7ffffe, v4
	s_delay_alu instid0(VALU_DEP_1) | instskip(NEXT) | instid1(VALU_DEP_1)
	v_cvt_u32_f32_e32 v4, v4
	v_readfirstlane_b32 s9, v4
	s_mul_i32 s10, s10, s9
	s_delay_alu instid0(SALU_CYCLE_1) | instskip(NEXT) | instid1(SALU_CYCLE_1)
	s_mul_hi_u32 s10, s9, s10
	s_add_co_i32 s9, s9, s10
	s_delay_alu instid0(SALU_CYCLE_1) | instskip(NEXT) | instid1(SALU_CYCLE_1)
	s_mul_hi_u32 s9, s36, s9
	s_mul_i32 s9, s9, s18
	s_delay_alu instid0(SALU_CYCLE_1) | instskip(NEXT) | instid1(SALU_CYCLE_1)
	s_sub_co_i32 s9, s36, s9
	s_sub_co_i32 s10, s9, s18
	s_cmp_ge_u32 s9, s18
	s_cselect_b32 s9, s10, s9
	s_delay_alu instid0(SALU_CYCLE_1) | instskip(SKIP_2) | instid1(SALU_CYCLE_1)
	s_sub_co_i32 s10, s9, s18
	s_cmp_ge_u32 s9, s18
	s_cselect_b32 s28, s10, s9
	s_mov_b64 s[10:11], s[28:29]
.LBB135_57:                             ;   in Loop: Header=BB135_12 Depth=1
	v_mov_b64_e32 v[4:5], 0
	v_mov_b64_e32 v[6:7], 0
	;; [unrolled: 1-line block ×4, first 2 shown]
	s_sub_nc_u64 s[20:21], s[36:37], s[10:11]
	s_mov_b32 s43, exec_lo
	s_wait_xcnt 0x0
	v_cmpx_gt_u64_e64 s[20:21], v[16:17]
	s_cbranch_execz .LBB135_61
; %bb.58:                               ;   in Loop: Header=BB135_12 Depth=1
	v_mov_b64_e32 v[24:25], v[16:17]
	s_mov_b64 s[22:23], 0
	s_mov_b32 s44, 0
	s_mov_b64 s[24:25], 0
	s_mov_b64 s[26:27], 0
	;; [unrolled: 1-line block ×3, first 2 shown]
.LBB135_59:                             ;   Parent Loop BB135_12 Depth=1
                                        ; =>  This Inner Loop Header: Depth=2
	s_delay_alu instid0(VALU_DEP_1) | instskip(NEXT) | instid1(VALU_DEP_1)
	v_mad_nc_u64_u32 v[4:5], v24, s30, s[34:35]
	v_mad_u32 v5, v25, s30, v5
	s_delay_alu instid0(VALU_DEP_1) | instskip(SKIP_1) | instid1(VALU_DEP_1)
	v_mad_u32 v5, v24, s31, v5
	v_add_nc_u64_e32 v[24:25], s[18:19], v[24:25]
	v_cmp_le_u64_e32 vcc_lo, s[20:21], v[24:25]
	global_load_i8 v6, v[4:5], off
	s_wait_xcnt 0x0
	v_add_nc_u64_e32 v[4:5], s[30:31], v[4:5]
	global_load_i8 v7, v[4:5], off
	s_wait_xcnt 0x0
	v_add_nc_u64_e32 v[4:5], s[30:31], v[4:5]
	;; [unrolled: 3-line block ×3, first 2 shown]
	global_load_i8 v4, v[4:5], off
	s_wait_loadcnt 0x3
	s_wait_xcnt 0x0
	v_add_nc_u32_e32 v5, 0x80, v6
	s_delay_alu instid0(VALU_DEP_1) | instskip(SKIP_3) | instid1(VALU_DEP_3)
	v_and_b32_e32 v6, v5, v31
	v_bfe_u32 v5, v5, s99, 2
	s_wait_loadcnt 0x2
	v_add_nc_u32_e32 v7, 0x80, v7
	v_cmp_eq_u32_e64 s9, v6, v29
	s_delay_alu instid0(VALU_DEP_3)
	v_cmp_eq_u32_e64 s10, 0, v5
	v_cmp_eq_u32_e64 s11, 1, v5
	;; [unrolled: 1-line block ×4, first 2 shown]
	v_and_b32_e32 v5, v7, v31
	v_bfe_u32 v6, v7, s99, 2
	s_wait_loadcnt 0x1
	v_add_nc_u32_e32 v7, 0x80, v8
	s_and_b32 s10, s9, s10
	s_and_b32 s11, s9, s11
	s_and_b32 s12, s9, s12
	s_and_b32 s9, s9, s13
	v_cndmask_b32_e64 v8, 0, 1, s10
	v_cndmask_b32_e64 v9, 0, 1, s11
	;; [unrolled: 1-line block ×4, first 2 shown]
	v_cmp_eq_u32_e64 s9, v5, v29
	v_cmp_eq_u32_e64 s10, 0, v6
	;; [unrolled: 1-line block ×5, first 2 shown]
	v_and_b32_e32 v5, v7, v31
	v_bfe_u32 v6, v7, s99, 2
	s_wait_loadcnt 0x0
	v_add_nc_u32_e32 v4, 0x80, v4
	s_and_b32 s10, s9, s10
	s_and_b32 s11, s9, s11
	;; [unrolled: 1-line block ×4, first 2 shown]
	v_cmp_ne_u32_e64 s14, 0, v8
	v_cmp_ne_u32_e64 s15, 0, v9
	;; [unrolled: 1-line block ×3, first 2 shown]
	v_cndmask_b32_e64 v7, 0, 1, s10
	v_cndmask_b32_e64 v8, 0, 1, s11
	;; [unrolled: 1-line block ×4, first 2 shown]
	v_cmp_eq_u32_e64 s9, v5, v29
	v_cmp_eq_u32_e64 s10, 0, v6
	;; [unrolled: 1-line block ×5, first 2 shown]
	v_and_b32_e32 v5, v4, v31
	v_bfe_u32 v4, v4, s99, 2
	s_bcnt1_i32_b32 s28, s14
	v_cmp_ne_u32_e64 s14, 0, v7
	s_and_b32 s10, s9, s10
	s_and_b32 s11, s9, s11
	;; [unrolled: 1-line block ×4, first 2 shown]
	s_bcnt1_i32_b32 s45, s15
	s_bcnt1_i32_b32 s46, s16
	v_cmp_ne_u32_e64 s15, 0, v8
	v_cmp_ne_u32_e64 s16, 0, v9
	v_cndmask_b32_e64 v6, 0, 1, s10
	v_cndmask_b32_e64 v9, 0, 1, s9
	v_cmp_eq_u32_e64 s9, v5, v29
	v_cmp_eq_u32_e64 s10, 0, v4
	v_cndmask_b32_e64 v7, 0, 1, s11
	v_cmp_eq_u32_e64 s11, 1, v4
	v_cndmask_b32_e64 v8, 0, 1, s12
	v_cmp_eq_u32_e64 s12, 2, v4
	v_cmp_eq_u32_e64 s13, 3, v4
	s_bcnt1_i32_b32 s14, s14
	v_cmp_ne_u32_e64 s17, 0, v11
	s_bcnt1_i32_b32 s15, s15
	s_add_co_i32 s28, s14, s28
	v_cmp_ne_u32_e64 s14, 0, v6
	s_and_b32 s10, s9, s10
	s_bcnt1_i32_b32 s16, s16
	s_add_co_i32 s45, s15, s45
	v_cmp_ne_u32_e64 s15, 0, v7
	s_and_b32 s11, s9, s11
	v_cndmask_b32_e64 v4, 0, 1, s10
	s_and_b32 s12, s9, s12
	s_and_b32 s9, s9, s13
	s_bcnt1_i32_b32 s47, s17
	v_cmp_ne_u32_e64 s17, 0, v10
	s_add_co_i32 s46, s16, s46
	v_cmp_ne_u32_e64 s16, 0, v8
	v_cndmask_b32_e64 v5, 0, 1, s11
	v_cndmask_b32_e64 v7, 0, 1, s9
	s_bcnt1_i32_b32 s9, s14
	v_cndmask_b32_e64 v6, 0, 1, s12
	s_bcnt1_i32_b32 s10, s15
	s_add_co_i32 s14, s28, s9
	v_cmp_ne_u32_e64 s9, 0, v4
	s_bcnt1_i32_b32 s17, s17
	s_bcnt1_i32_b32 s11, s16
	s_add_co_i32 s15, s45, s10
	v_cmp_ne_u32_e64 s10, 0, v5
	s_add_co_i32 s47, s17, s47
	v_cmp_ne_u32_e64 s17, 0, v9
	;; [unrolled: 2-line block ×3, first 2 shown]
	s_bcnt1_i32_b32 s9, s9
	v_cmp_ne_u32_e64 s12, 0, v7
	s_bcnt1_i32_b32 s10, s10
	s_add_co_i32 s28, s14, s9
	s_bcnt1_i32_b32 s13, s17
	s_bcnt1_i32_b32 s11, s11
	s_add_nc_u64 s[74:75], s[74:75], s[28:29]
	s_add_co_i32 s28, s15, s10
	s_add_co_i32 s13, s47, s13
	s_bcnt1_i32_b32 s12, s12
	s_add_nc_u64 s[26:27], s[26:27], s[28:29]
	s_add_co_i32 s28, s16, s11
	v_mov_b64_e32 v[4:5], s[74:75]
	s_add_nc_u64 s[24:25], s[24:25], s[28:29]
	s_add_co_i32 s28, s13, s12
	v_mov_b64_e32 v[6:7], s[26:27]
	s_add_nc_u64 s[22:23], s[22:23], s[28:29]
	v_mov_b64_e32 v[8:9], s[24:25]
	v_mov_b64_e32 v[10:11], s[22:23]
	s_or_b32 s44, vcc_lo, s44
	s_delay_alu instid0(SALU_CYCLE_1)
	s_and_not1_b32 exec_lo, exec_lo, s44
	s_cbranch_execnz .LBB135_59
; %bb.60:                               ;   in Loop: Header=BB135_12 Depth=1
	s_or_b32 exec_lo, exec_lo, s44
.LBB135_61:                             ;   in Loop: Header=BB135_12 Depth=1
	s_delay_alu instid0(SALU_CYCLE_1) | instskip(SKIP_3) | instid1(VALU_DEP_2)
	s_or_b32 exec_lo, exec_lo, s43
	v_add_nc_u64_e32 v[24:25], s[20:21], v[0:1]
	v_and_b32_e32 v2, 0xffff, v2
	s_mov_b32 s12, exec_lo
	v_cmpx_gt_u64_e64 s[36:37], v[24:25]
	s_cbranch_execz .LBB135_67
; %bb.62:                               ;   in Loop: Header=BB135_12 Depth=1
	v_mad_nc_u64_u32 v[26:27], v24, s30, s[34:35]
	s_mov_b32 s13, 0
	s_delay_alu instid0(VALU_DEP_1) | instskip(NEXT) | instid1(VALU_DEP_1)
	v_mad_u32 v27, v25, s30, v27
	v_mad_u32 v27, v24, s31, v27
	global_load_u8 v27, v[26:27], off
	s_branch .LBB135_64
.LBB135_63:                             ;   in Loop: Header=BB135_64 Depth=2
	s_wait_xcnt 0x0
	s_or_b32 exec_lo, exec_lo, s10
	s_wait_loadcnt 0x0
	v_bfe_i32 v27, v27, 0, 8
	s_and_b32 s11, exec_lo, vcc_lo
	s_delay_alu instid0(SALU_CYCLE_1) | instskip(NEXT) | instid1(VALU_DEP_1)
	s_or_b32 s13, s11, s13
	v_add_nc_u32_e32 v27, 0x80, v27
	s_delay_alu instid0(VALU_DEP_1) | instskip(SKIP_1) | instid1(VALU_DEP_2)
	v_and_b32_e32 v33, v27, v31
	v_bfe_u32 v27, v27, s99, 2
	v_cmp_eq_u32_e64 s9, v33, v29
	s_delay_alu instid0(VALU_DEP_2)
	v_cmp_eq_u32_e64 s10, 0, v27
	v_cmp_eq_u32_e32 vcc_lo, 1, v27
	s_and_b32 s10, s9, s10
	s_and_b32 s11, s9, vcc_lo
	v_cndmask_b32_e64 v33, 0, 1, s10
	v_cmp_eq_u32_e64 s10, 2, v27
	v_cmp_eq_u32_e32 vcc_lo, 3, v27
	v_cndmask_b32_e64 v34, 0, 1, s11
	s_delay_alu instid0(VALU_DEP_4)
	v_cmp_ne_u32_e64 s11, 0, v33
	s_and_b32 s10, s9, s10
	s_and_b32 s9, s9, vcc_lo
	v_cndmask_b32_e64 v27, 0, 1, s10
	v_cndmask_b32_e64 v33, 0, 1, s9
	v_cmp_ne_u32_e64 s10, 0, v34
	s_bcnt1_i32_b32 s28, s11
	v_cmp_ne_u32_e32 vcc_lo, 0, v27
	v_cmp_ne_u32_e64 s9, 0, v33
	v_add_nc_u64_e32 v[4:5], s[28:29], v[4:5]
	s_bcnt1_i32_b32 s28, s10
	v_mov_b32_e32 v27, v26
	v_add_nc_u64_e32 v[6:7], s[28:29], v[6:7]
	s_bcnt1_i32_b32 s28, vcc_lo
	s_delay_alu instid0(SALU_CYCLE_1) | instskip(SKIP_1) | instid1(SALU_CYCLE_1)
	v_add_nc_u64_e32 v[8:9], s[28:29], v[8:9]
	s_bcnt1_i32_b32 s28, s9
	v_add_nc_u64_e32 v[10:11], s[28:29], v[10:11]
	s_and_not1_b32 exec_lo, exec_lo, s13
	s_cbranch_execz .LBB135_66
.LBB135_64:                             ;   Parent Loop BB135_12 Depth=1
                                        ; =>  This Inner Loop Header: Depth=2
	v_add_nc_u64_e32 v[24:25], v[24:25], v[2:3]
	s_wait_xcnt 0x0
	v_mov_b32_e32 v26, 0
	s_mov_b32 s10, exec_lo
	s_delay_alu instid0(VALU_DEP_2)
	v_cmp_le_u64_e32 vcc_lo, s[36:37], v[24:25]
	v_cmpx_gt_u64_e64 s[36:37], v[24:25]
	s_cbranch_execz .LBB135_63
; %bb.65:                               ;   in Loop: Header=BB135_64 Depth=2
	v_mad_nc_u64_u32 v[34:35], v24, s30, s[34:35]
	s_delay_alu instid0(VALU_DEP_1) | instskip(NEXT) | instid1(VALU_DEP_1)
	v_mad_u32 v26, v25, s30, v35
	v_mad_u32 v35, v24, s31, v26
	global_load_u8 v26, v[34:35], off
	s_branch .LBB135_63
.LBB135_66:                             ;   in Loop: Header=BB135_12 Depth=1
	s_or_b32 exec_lo, exec_lo, s13
.LBB135_67:                             ;   in Loop: Header=BB135_12 Depth=1
	s_delay_alu instid0(SALU_CYCLE_1)
	s_or_b32 exec_lo, exec_lo, s12
	s_branch .LBB135_46
.LBB135_68:                             ;   in Loop: Header=BB135_12 Depth=1
	global_load_u16 v2, v3, s[68:69]
	s_mov_b32 s75, s29
	v_mov_b64_e32 v[6:7], 0
	v_mov_b64_e32 v[8:9], 0
	;; [unrolled: 1-line block ×3, first 2 shown]
	s_mov_b32 s44, exec_lo
	s_wait_loadcnt 0x0
	v_readfirstlane_b32 s9, v2
	v_and_b32_e32 v2, 0xffff, v2
	s_and_b32 s43, 0xffff, s9
	s_delay_alu instid0(SALU_CYCLE_1) | instskip(NEXT) | instid1(SALU_CYCLE_1)
	s_lshl_b32 s76, s43, 2
	s_cvt_f32_u32 s9, s76
	s_sub_co_i32 s10, 0, s76
	s_delay_alu instid0(SALU_CYCLE_2) | instskip(SKIP_1) | instid1(TRANS32_DEP_1)
	v_rcp_iflag_f32_e32 v4, s9
	v_nop
	v_readfirstlane_b32 s9, v4
	s_mul_f32 s9, s9, 0x4f7ffffe
	s_delay_alu instid0(SALU_CYCLE_3) | instskip(NEXT) | instid1(SALU_CYCLE_3)
	s_cvt_u32_f32 s9, s9
	s_mul_i32 s10, s10, s9
	s_delay_alu instid0(SALU_CYCLE_1) | instskip(NEXT) | instid1(SALU_CYCLE_1)
	s_mul_hi_u32 s10, s9, s10
	s_add_co_i32 s9, s9, s10
	s_delay_alu instid0(SALU_CYCLE_1) | instskip(NEXT) | instid1(SALU_CYCLE_1)
	s_mul_hi_u32 s9, s72, s9
	s_mul_i32 s10, s9, s76
	s_add_co_i32 s11, s9, 1
	s_sub_co_i32 s10, s72, s10
	s_delay_alu instid0(SALU_CYCLE_1)
	s_sub_co_i32 s12, s10, s76
	s_cmp_ge_u32 s10, s76
	s_cselect_b32 s9, s11, s9
	s_cselect_b32 s10, s12, s10
	s_add_co_i32 s11, s9, 1
	s_cmp_ge_u32 s10, s76
	s_cselect_b32 s74, s11, s9
	s_delay_alu instid0(SALU_CYCLE_1) | instskip(NEXT) | instid1(VALU_DEP_1)
	v_mul_u64_e32 v[4:5], s[74:75], v[2:3]
	v_lshlrev_b64_e32 v[24:25], 2, v[4:5]
	v_mov_b64_e32 v[4:5], 0
	s_wait_xcnt 0x0
	s_delay_alu instid0(VALU_DEP_2)
	v_cmpx_gt_u64_e64 v[24:25], v[16:17]
	s_cbranch_execz .LBB135_72
; %bb.69:                               ;   in Loop: Header=BB135_12 Depth=1
	v_mov_b64_e32 v[26:27], v[16:17]
	v_mov_b32_e32 v33, v16
	s_mov_b32 s77, s29
	s_mov_b64 s[78:79], 0
	s_mov_b32 s45, 0
	s_mov_b64 s[80:81], 0
	s_mov_b64 s[82:83], 0
	;; [unrolled: 1-line block ×3, first 2 shown]
.LBB135_70:                             ;   Parent Loop BB135_12 Depth=1
                                        ; =>  This Inner Loop Header: Depth=2
	ds_load_b32 v4, v33
	v_add_nc_u32_e32 v33, s76, v33
	v_add_nc_u64_e32 v[26:27], s[76:77], v[26:27]
	s_delay_alu instid0(VALU_DEP_1)
	v_cmp_ge_u64_e32 vcc_lo, v[26:27], v[24:25]
	s_wait_dscnt 0x0
	v_bfe_i32 v5, v4, 0, 8
	v_bfe_i32 v6, v4, 8, 8
	;; [unrolled: 1-line block ×3, first 2 shown]
	v_ashrrev_i32_e32 v4, 24, v4
	s_delay_alu instid0(VALU_DEP_4) | instskip(NEXT) | instid1(VALU_DEP_4)
	v_add_nc_u32_e32 v5, 0x80, v5
	v_add_nc_u32_e32 v6, 0x80, v6
	s_delay_alu instid0(VALU_DEP_4) | instskip(NEXT) | instid1(VALU_DEP_4)
	v_add_nc_u32_e32 v7, 0x80, v7
	v_add_nc_u32_e32 v4, 0x80, v4
	s_delay_alu instid0(VALU_DEP_4) | instskip(NEXT) | instid1(VALU_DEP_4)
	v_and_b32_e32 v8, v5, v31
	v_and_b32_e32 v9, v6, v31
	v_bfe_u32 v5, v5, s99, 2
	v_bfe_u32 v6, v6, s99, 2
	v_and_b32_e32 v10, v7, v31
	v_bfe_u32 v7, v7, s99, 2
	v_and_b32_e32 v11, v4, v31
	v_bfe_u32 v4, v4, s99, 2
	v_cmp_eq_u32_e64 s9, v8, v29
	v_cmp_eq_u32_e64 s10, v9, v29
	;; [unrolled: 1-line block ×15, first 2 shown]
	s_and_b32 s13, s9, s13
	s_and_b32 s14, s10, s14
	v_cmp_eq_u32_e64 s20, 1, v4
	v_cmp_eq_u32_e64 s23, 2, v7
	;; [unrolled: 1-line block ×5, first 2 shown]
	s_and_b32 s15, s11, s15
	s_and_b32 s17, s9, s17
	;; [unrolled: 1-line block ×3, first 2 shown]
	v_cndmask_b32_e64 v4, 0, 1, s13
	v_cndmask_b32_e64 v5, 0, 1, s14
	s_and_b32 s16, s12, s16
	s_and_b32 s19, s11, s19
	;; [unrolled: 1-line block ×4, first 2 shown]
	v_cndmask_b32_e64 v6, 0, 1, s15
	v_cndmask_b32_e64 v8, 0, 1, s17
	;; [unrolled: 1-line block ×3, first 2 shown]
	s_and_b32 s9, s9, s25
	s_and_b32 s10, s10, s26
	;; [unrolled: 1-line block ×4, first 2 shown]
	v_cndmask_b32_e64 v7, 0, 1, s16
	v_cndmask_b32_e64 v10, 0, 1, s19
	;; [unrolled: 1-line block ×4, first 2 shown]
	s_and_b32 s11, s11, s27
	v_cndmask_b32_e64 v38, 0, 1, s9
	v_cndmask_b32_e64 v39, 0, 1, s10
	v_cmp_ne_u32_e64 s9, 0, v4
	v_cmp_ne_u32_e64 s10, 0, v5
	s_and_b32 s24, s12, s24
	v_cndmask_b32_e64 v11, 0, 1, s20
	v_cndmask_b32_e64 v36, 0, 1, s23
	s_and_b32 s12, s12, s28
	v_cndmask_b32_e64 v40, 0, 1, s11
	v_cmp_ne_u32_e64 s11, 0, v6
	v_cmp_ne_u32_e64 s13, 0, v8
	;; [unrolled: 1-line block ×3, first 2 shown]
	v_cndmask_b32_e64 v37, 0, 1, s24
	v_cndmask_b32_e64 v41, 0, 1, s12
	v_cmp_ne_u32_e64 s12, 0, v7
	v_cmp_ne_u32_e64 s15, 0, v10
	;; [unrolled: 1-line block ×4, first 2 shown]
	s_bcnt1_i32_b32 s9, s9
	s_bcnt1_i32_b32 s10, s10
	v_cmp_ne_u32_e64 s16, 0, v11
	v_cmp_ne_u32_e64 s19, 0, v36
	;; [unrolled: 1-line block ×4, first 2 shown]
	s_bcnt1_i32_b32 s11, s11
	s_bcnt1_i32_b32 s13, s13
	;; [unrolled: 1-line block ×3, first 2 shown]
	s_add_co_i32 s9, s10, s9
	v_cmp_ne_u32_e64 s20, 0, v37
	v_cmp_ne_u32_e64 s23, 0, v40
	s_bcnt1_i32_b32 s12, s12
	s_bcnt1_i32_b32 s15, s15
	;; [unrolled: 1-line block ×4, first 2 shown]
	s_add_co_i32 s10, s14, s13
	s_add_co_i32 s9, s9, s11
	v_cmp_ne_u32_e64 s24, 0, v41
	s_bcnt1_i32_b32 s16, s16
	s_bcnt1_i32_b32 s19, s19
	;; [unrolled: 1-line block ×4, first 2 shown]
	s_add_co_i32 s13, s18, s17
	s_add_co_i32 s10, s10, s15
	;; [unrolled: 1-line block ×3, first 2 shown]
	s_bcnt1_i32_b32 s20, s20
	s_bcnt1_i32_b32 s23, s23
	s_add_co_i32 s14, s22, s21
	s_add_co_i32 s11, s13, s19
	s_add_nc_u64 s[84:85], s[84:85], s[28:29]
	s_add_co_i32 s28, s10, s16
	s_bcnt1_i32_b32 s24, s24
	s_add_co_i32 s13, s14, s23
	s_add_nc_u64 s[82:83], s[82:83], s[28:29]
	s_add_co_i32 s28, s11, s20
	v_mov_b64_e32 v[4:5], s[84:85]
	s_add_nc_u64 s[80:81], s[80:81], s[28:29]
	s_add_co_i32 s28, s13, s24
	v_mov_b64_e32 v[6:7], s[82:83]
	s_add_nc_u64 s[78:79], s[78:79], s[28:29]
	v_mov_b64_e32 v[8:9], s[80:81]
	v_mov_b64_e32 v[10:11], s[78:79]
	s_or_b32 s45, vcc_lo, s45
	s_delay_alu instid0(SALU_CYCLE_1)
	s_and_not1_b32 exec_lo, exec_lo, s45
	s_cbranch_execnz .LBB135_70
; %bb.71:                               ;   in Loop: Header=BB135_12 Depth=1
	s_or_b32 exec_lo, exec_lo, s45
.LBB135_72:                             ;   in Loop: Header=BB135_12 Depth=1
	s_delay_alu instid0(SALU_CYCLE_1) | instskip(SKIP_3) | instid1(VALU_DEP_1)
	s_or_b32 exec_lo, exec_lo, s44
	v_add_nc_u64_e32 v[24:25], v[24:25], v[0:1]
	s_and_b64 s[14:15], s[72:73], 0x7fffffff
	s_mov_b32 s16, exec_lo
	v_cmpx_gt_u64_e64 s[14:15], v[24:25]
	s_cbranch_execz .LBB135_76
; %bb.73:                               ;   in Loop: Header=BB135_12 Depth=1
	s_mul_i32 s9, s74, s43
	s_mov_b32 s17, 0
	v_lshl_add_u32 v26, s9, 2, v0
.LBB135_74:                             ;   Parent Loop BB135_12 Depth=1
                                        ; =>  This Inner Loop Header: Depth=2
	ds_load_i8 v27, v26
	v_add_nc_u64_e32 v[24:25], v[24:25], v[2:3]
	v_add_nc_u32_e32 v26, s43, v26
	s_delay_alu instid0(VALU_DEP_2) | instskip(SKIP_2) | instid1(VALU_DEP_1)
	v_cmp_le_u64_e32 vcc_lo, s[14:15], v[24:25]
	s_wait_dscnt 0x0
	v_add_nc_u32_e32 v27, 0x80, v27
	v_and_b32_e32 v33, v27, v31
	v_bfe_u32 v27, v27, s99, 2
	s_delay_alu instid0(VALU_DEP_2) | instskip(NEXT) | instid1(VALU_DEP_2)
	v_cmp_eq_u32_e64 s9, v33, v29
	v_cmp_eq_u32_e64 s10, 0, v27
	;; [unrolled: 1-line block ×5, first 2 shown]
	s_and_b32 s10, s9, s10
	s_delay_alu instid0(SALU_CYCLE_1) | instskip(SKIP_1) | instid1(SALU_CYCLE_1)
	v_cndmask_b32_e64 v27, 0, 1, s10
	s_and_b32 s10, s9, s11
	v_cndmask_b32_e64 v33, 0, 1, s10
	s_and_b32 s10, s9, s12
	s_and_b32 s9, s9, s13
	v_cndmask_b32_e64 v34, 0, 1, s10
	v_cndmask_b32_e64 v35, 0, 1, s9
	v_cmp_ne_u32_e64 s9, 0, v27
	v_cmp_ne_u32_e64 s10, 0, v33
	s_delay_alu instid0(VALU_DEP_4) | instskip(NEXT) | instid1(VALU_DEP_4)
	v_cmp_ne_u32_e64 s11, 0, v34
	v_cmp_ne_u32_e64 s12, 0, v35
	s_bcnt1_i32_b32 s28, s9
	s_delay_alu instid0(SALU_CYCLE_1) | instskip(SKIP_1) | instid1(SALU_CYCLE_1)
	v_add_nc_u64_e32 v[4:5], s[28:29], v[4:5]
	s_bcnt1_i32_b32 s28, s10
	v_add_nc_u64_e32 v[6:7], s[28:29], v[6:7]
	s_bcnt1_i32_b32 s28, s11
	s_delay_alu instid0(SALU_CYCLE_1)
	v_add_nc_u64_e32 v[8:9], s[28:29], v[8:9]
	s_bcnt1_i32_b32 s28, s12
	s_or_b32 s17, vcc_lo, s17
	v_add_nc_u64_e32 v[10:11], s[28:29], v[10:11]
	s_and_not1_b32 exec_lo, exec_lo, s17
	s_cbranch_execnz .LBB135_74
; %bb.75:                               ;   in Loop: Header=BB135_12 Depth=1
	s_or_b32 exec_lo, exec_lo, s17
.LBB135_76:                             ;   in Loop: Header=BB135_12 Depth=1
	s_delay_alu instid0(SALU_CYCLE_1)
	s_or_b32 exec_lo, exec_lo, s16
	s_lshl_b32 s9, s103, 7
	s_and_saveexec_b32 s10, s2
	s_cbranch_execnz .LBB135_47
	s_branch .LBB135_48
.LBB135_77:                             ;   in Loop: Header=BB135_12 Depth=1
                                        ; implicit-def: $sgpr10_sgpr11
	s_branch .LBB135_56
.LBB135_78:                             ;   in Loop: Header=BB135_12 Depth=1
	s_mov_b32 s11, 0
	s_and_not1_b32 vcc_lo, exec_lo, s98
	s_cbranch_vccnz .LBB135_81
.LBB135_79:                             ;   in Loop: Header=BB135_12 Depth=1
	s_lshl_b32 s12, s103, 10
	s_lshl_b32 s11, s11, 5
	s_delay_alu instid0(SALU_CYCLE_1)
	v_add3_u32 v2, s12, s11, v30
	s_mov_b32 s11, s95
.LBB135_80:                             ;   Parent Loop BB135_12 Depth=1
                                        ; =>  This Inner Loop Header: Depth=2
	ds_load_b64 v[6:7], v2
	v_add_nc_u32_e32 v2, 32, v2
	s_add_co_i32 s11, s11, -1
	s_delay_alu instid0(SALU_CYCLE_1)
	s_cmp_lg_u32 s11, 0
	s_wait_dscnt 0x0
	v_add_nc_u64_e32 v[4:5], v[6:7], v[4:5]
	s_cbranch_scc1 .LBB135_80
.LBB135_81:                             ;   in Loop: Header=BB135_12 Depth=1
	v_add_lshl_u32 v2, s9, v13, 3
	ds_store_b64 v2, v[4:5] offset:3072
.LBB135_82:                             ;   in Loop: Header=BB135_12 Depth=1
	s_or_b32 exec_lo, exec_lo, s10
	s_lshl_b32 s9, s9, 3
	s_wait_dscnt 0x0
	v_mov_b32_e32 v2, s9
	s_barrier_signal -1
	s_barrier_wait -1
	v_cmp_eq_u64_e64 s9, 1, v[22:23]
	ds_load_b128 v[4:7], v2 offset:3072
	ds_load_b128 v[8:11], v2 offset:3088
	s_lshl_b32 s24, 3, s99
	s_mov_b32 s74, -1
	s_not_b32 s25, s24
	s_mov_b32 s26, 0
	s_and_not1_b32 vcc_lo, exec_lo, s33
	s_mov_b32 s43, 0
	s_mov_b32 s27, 0
                                        ; implicit-def: $sgpr72
                                        ; implicit-def: $sgpr73
                                        ; implicit-def: $vgpr2
	s_wait_dscnt 0x1
	v_readfirstlane_b32 s13, v5
	v_readfirstlane_b32 s12, v4
	;; [unrolled: 1-line block ×4, first 2 shown]
	s_wait_dscnt 0x0
	v_readfirstlane_b32 s17, v9
	v_readfirstlane_b32 s16, v8
	v_readfirstlane_b32 s19, v11
	v_readfirstlane_b32 s18, v10
                                        ; implicit-def: $vgpr4_vgpr5
                                        ; implicit-def: $vgpr8
                                        ; implicit-def: $vgpr9
                                        ; implicit-def: $vgpr10
	s_cbranch_vccnz .LBB135_277
; %bb.83:                               ;   in Loop: Header=BB135_12 Depth=1
	s_cmp_eq_u64 s[12:13], 1
	v_dual_mov_b32 v8, v29 :: v_dual_mov_b32 v9, v31
	v_mov_b32_e32 v10, v32
	s_cselect_b32 s10, -1, 0
                                        ; implicit-def: $sgpr73
                                        ; implicit-def: $sgpr72
	s_delay_alu instid0(SALU_CYCLE_1)
	s_and_b32 s76, s10, s9
	s_mov_b32 s10, -1
	s_and_saveexec_b32 s27, s76
	s_cbranch_execz .LBB135_118
; %bb.84:                               ;   in Loop: Header=BB135_12 Depth=1
	ds_load_b64 v[4:5], v3 offset:5120
	s_wait_dscnt 0x0
	s_barrier_signal -1
	s_barrier_wait -1
	v_readfirstlane_b32 s10, v4
	v_readfirstlane_b32 s11, v5
	s_and_saveexec_b32 s20, s6
; %bb.85:                               ;   in Loop: Header=BB135_12 Depth=1
	ds_store_b8 v0, v3 offset:3072
; %bb.86:                               ;   in Loop: Header=BB135_12 Depth=1
	s_or_b32 exec_lo, exec_lo, s20
	v_and_b32_e32 v8, s25, v29
	v_or_b32_e32 v9, s24, v31
	s_mov_b32 s72, -1
	s_mov_b32 s73, 0
	s_cmp_eq_u64 s[10:11], 0
	s_mov_b32 s22, 0
	s_mov_b32 s23, -1
	s_wait_dscnt 0x0
	s_barrier_signal -1
	s_barrier_wait -1
                                        ; implicit-def: $vgpr10
	s_cbranch_scc1 .LBB135_103
; %bb.87:                               ;   in Loop: Header=BB135_12 Depth=1
	s_add_nc_u64 s[20:21], s[10:11], s[64:65]
	s_delay_alu instid0(SALU_CYCLE_1) | instskip(NEXT) | instid1(SALU_CYCLE_1)
	s_and_b64 s[22:23], s[20:21], 0xffffffff00000000
	s_cmp_lg_u64 s[22:23], 0
	s_cbranch_scc0 .LBB135_144
; %bb.88:                               ;   in Loop: Header=BB135_12 Depth=1
	s_cvt_f32_u32 s8, s48
	s_sub_nc_u64 s[44:45], 0, s[48:49]
	s_delay_alu instid0(SALU_CYCLE_2) | instskip(NEXT) | instid1(SALU_CYCLE_3)
	s_fmamk_f32 s8, s101, 0x0, s8
	v_s_rcp_f32 s8, s8
	s_delay_alu instid0(TRANS32_DEP_1) | instskip(NEXT) | instid1(SALU_CYCLE_3)
	s_mul_f32 s8, s8, 0x5f7ffffc
	s_mul_f32 s22, s8, 0x2f800000
	s_delay_alu instid0(SALU_CYCLE_3) | instskip(NEXT) | instid1(SALU_CYCLE_3)
	s_trunc_f32 s22, s22
	s_fmamk_f32 s8, s22, 0xcf800000, s8
	s_cvt_u32_f32 s23, s22
	s_delay_alu instid0(SALU_CYCLE_2) | instskip(NEXT) | instid1(SALU_CYCLE_3)
	s_cvt_u32_f32 s22, s8
	s_mul_u64 s[46:47], s[44:45], s[22:23]
	s_delay_alu instid0(SALU_CYCLE_1)
	s_mul_hi_u32 s53, s22, s47
	s_mul_i32 s52, s22, s47
	s_mul_hi_u32 s28, s22, s46
	s_mul_i32 s43, s23, s46
	s_add_nc_u64 s[52:53], s[28:29], s[52:53]
	s_mul_hi_u32 s8, s23, s46
	s_mul_hi_u32 s54, s23, s47
	s_add_co_u32 s28, s52, s43
	s_add_co_ci_u32 s28, s53, s8
	s_mul_i32 s46, s23, s47
	s_add_co_ci_u32 s47, s54, 0
	s_delay_alu instid0(SALU_CYCLE_1) | instskip(NEXT) | instid1(SALU_CYCLE_1)
	s_add_nc_u64 s[46:47], s[28:29], s[46:47]
	s_add_co_u32 s22, s22, s46
	s_cselect_b32 s8, -1, 0
	s_delay_alu instid0(SALU_CYCLE_1) | instskip(SKIP_1) | instid1(SALU_CYCLE_1)
	s_cmp_lg_u32 s8, 0
	s_add_co_ci_u32 s23, s23, s47
	s_mul_u64 s[44:45], s[44:45], s[22:23]
	s_delay_alu instid0(SALU_CYCLE_1)
	s_mul_hi_u32 s47, s22, s45
	s_mul_i32 s46, s22, s45
	s_mul_hi_u32 s28, s22, s44
	s_mul_i32 s43, s23, s44
	s_add_nc_u64 s[46:47], s[28:29], s[46:47]
	s_mul_hi_u32 s8, s23, s44
	s_mul_hi_u32 s52, s23, s45
	s_add_co_u32 s28, s46, s43
	s_add_co_ci_u32 s28, s47, s8
	s_mul_i32 s44, s23, s45
	s_add_co_ci_u32 s45, s52, 0
	s_delay_alu instid0(SALU_CYCLE_1) | instskip(NEXT) | instid1(SALU_CYCLE_1)
	s_add_nc_u64 s[44:45], s[28:29], s[44:45]
	s_add_co_u32 s8, s22, s44
	s_cselect_b32 s22, -1, 0
	s_mul_hi_u32 s28, s20, s8
	s_cmp_lg_u32 s22, 0
	s_mul_hi_u32 s43, s21, s8
	s_add_co_ci_u32 s44, s23, s45
	s_mul_i32 s8, s21, s8
	s_mul_hi_u32 s23, s20, s44
	s_mul_i32 s22, s20, s44
	s_mul_hi_u32 s45, s21, s44
	s_add_nc_u64 s[22:23], s[28:29], s[22:23]
	s_mul_i32 s44, s21, s44
	s_add_co_u32 s8, s22, s8
	s_add_co_ci_u32 s28, s23, s43
	s_add_co_ci_u32 s45, s45, 0
	s_delay_alu instid0(SALU_CYCLE_1) | instskip(NEXT) | instid1(SALU_CYCLE_1)
	s_add_nc_u64 s[22:23], s[28:29], s[44:45]
	s_and_b64 s[44:45], s[22:23], 0xffffffff00000000
	s_delay_alu instid0(SALU_CYCLE_1) | instskip(NEXT) | instid1(SALU_CYCLE_1)
	s_or_b32 s44, s44, s22
	s_mul_u64 s[22:23], s[48:49], s[44:45]
	s_delay_alu instid0(SALU_CYCLE_1) | instskip(SKIP_1) | instid1(SALU_CYCLE_1)
	s_sub_co_u32 s8, s20, s22
	s_cselect_b32 s22, -1, 0
	s_cmp_lg_u32 s22, 0
	s_sub_co_ci_u32 s22, s21, s23
	s_sub_co_u32 s23, s8, s48
	s_cselect_b32 s28, -1, 0
	s_delay_alu instid0(SALU_CYCLE_1) | instskip(SKIP_3) | instid1(SALU_CYCLE_1)
	s_cmp_lg_u32 s28, 0
	s_sub_co_ci_u32 s28, s22, 0
	s_sub_co_u32 s43, s23, s48
	s_cselect_b32 s44, -1, 0
	s_cmp_lg_u32 s44, 0
	s_sub_co_ci_u32 s44, s28, 0
	s_cmp_ge_u32 s23, s48
	s_cselect_b32 s45, -1, 0
	s_cmp_eq_u32 s28, 0
	s_cselect_b32 s45, s45, -1
	s_delay_alu instid0(SALU_CYCLE_1)
	s_cmp_lg_u32 s45, 0
	s_cselect_b32 s28, s44, s28
	s_cselect_b32 s43, s43, s23
	s_cmp_ge_u32 s8, s48
	s_cselect_b32 s23, -1, 0
	s_cmp_eq_u32 s22, 0
	s_cselect_b32 s23, s23, -1
	s_delay_alu instid0(SALU_CYCLE_1)
	s_cmp_lg_u32 s23, 0
	s_cselect_b32 s23, s28, s22
	s_cselect_b32 s22, s43, s8
	s_cbranch_execnz .LBB135_90
.LBB135_89:                             ;   in Loop: Header=BB135_12 Depth=1
	v_cvt_f32_u32_e32 v2, s48
	s_sub_co_i32 s22, 0, s48
	s_delay_alu instid0(VALU_DEP_1) | instskip(SKIP_1) | instid1(TRANS32_DEP_1)
	v_rcp_iflag_f32_e32 v2, v2
	v_nop
	v_mul_f32_e32 v2, 0x4f7ffffe, v2
	s_delay_alu instid0(VALU_DEP_1) | instskip(NEXT) | instid1(VALU_DEP_1)
	v_cvt_u32_f32_e32 v2, v2
	v_readfirstlane_b32 s8, v2
	s_mul_i32 s22, s22, s8
	s_delay_alu instid0(SALU_CYCLE_1) | instskip(NEXT) | instid1(SALU_CYCLE_1)
	s_mul_hi_u32 s22, s8, s22
	s_add_co_i32 s8, s8, s22
	s_delay_alu instid0(SALU_CYCLE_1) | instskip(NEXT) | instid1(SALU_CYCLE_1)
	s_mul_hi_u32 s8, s20, s8
	s_mul_i32 s8, s8, s48
	s_delay_alu instid0(SALU_CYCLE_1) | instskip(NEXT) | instid1(SALU_CYCLE_1)
	s_sub_co_i32 s8, s20, s8
	s_sub_co_i32 s22, s8, s48
	s_cmp_ge_u32 s8, s48
	s_cselect_b32 s8, s22, s8
	s_delay_alu instid0(SALU_CYCLE_1) | instskip(SKIP_2) | instid1(SALU_CYCLE_1)
	s_sub_co_i32 s22, s8, s48
	s_cmp_ge_u32 s8, s48
	s_cselect_b32 s28, s22, s8
	s_mov_b64 s[22:23], s[28:29]
.LBB135_90:                             ;   in Loop: Header=BB135_12 Depth=1
	s_delay_alu instid0(SALU_CYCLE_1)
	s_sub_nc_u64 s[20:21], s[20:21], s[22:23]
	s_mov_b32 s23, 0
	s_mov_b32 s22, 0
	s_mov_b32 s28, exec_lo
                                        ; implicit-def: $vgpr10
	v_cmpx_gt_u64_e64 s[20:21], v[0:1]
	s_cbranch_execz .LBB135_102
; %bb.91:                               ;   in Loop: Header=BB135_12 Depth=1
	v_mov_b64_e32 v[4:5], v[0:1]
	v_mov_b32_e32 v2, v0
                                        ; implicit-def: $sgpr43
	s_branch .LBB135_94
.LBB135_92:                             ;   in Loop: Header=BB135_94 Depth=2
	s_or_b32 exec_lo, exec_lo, s44
	s_wait_dscnt 0x0
	s_barrier_signal -1
	s_barrier_wait -1
	ds_load_u16 v6, v3 offset:3072
	s_mov_b32 s44, -1
	s_mov_b32 s45, -1
	s_wait_dscnt 0x0
	s_barrier_signal -1
	s_barrier_wait -1
	v_and_b32_e32 v7, 0xff, v6
	s_delay_alu instid0(VALU_DEP_1)
	v_cmp_ne_u32_e32 vcc_lo, 0, v7
	s_cbranch_vccz .LBB135_97
.LBB135_93:                             ;   in Loop: Header=BB135_94 Depth=2
	s_and_b32 s8, exec_lo, s44
	s_delay_alu instid0(SALU_CYCLE_1) | instskip(SKIP_2) | instid1(SALU_CYCLE_1)
	s_or_b32 s22, s8, s22
	s_and_not1_b32 s8, s43, exec_lo
	s_and_b32 s43, s45, exec_lo
	s_or_b32 s43, s8, s43
	s_and_not1_b32 exec_lo, exec_lo, s22
	s_cbranch_execz .LBB135_101
.LBB135_94:                             ;   Parent Loop BB135_12 Depth=1
                                        ; =>  This Inner Loop Header: Depth=2
	s_mov_b32 s44, exec_lo
	s_delay_alu instid0(VALU_DEP_2)
	v_cmpx_gt_u64_e64 s[10:11], v[4:5]
	s_cbranch_execz .LBB135_92
; %bb.95:                               ;   in Loop: Header=BB135_94 Depth=2
	ds_load_u8 v6, v2
	s_wait_dscnt 0x0
	v_bfe_i32 v7, v6, 0, 8
	s_delay_alu instid0(VALU_DEP_1) | instskip(NEXT) | instid1(VALU_DEP_1)
	v_add_nc_u32_e32 v7, 0x80, v7
	v_and_b32_e32 v7, v7, v9
	s_delay_alu instid0(VALU_DEP_1)
	v_cmp_eq_u32_e32 vcc_lo, v7, v8
	s_and_b32 exec_lo, exec_lo, vcc_lo
	s_cbranch_execz .LBB135_92
; %bb.96:                               ;   in Loop: Header=BB135_94 Depth=2
	v_lshlrev_b16 v6, 8, v6
	s_delay_alu instid0(VALU_DEP_1)
	v_or_b32_e32 v6, 1, v6
	ds_store_b16 v3, v6 offset:3072
	s_branch .LBB135_92
.LBB135_97:                             ;   in Loop: Header=BB135_94 Depth=2
	v_add_nc_u64_e32 v[4:5], s[48:49], v[4:5]
	v_add_nc_u32_e32 v2, s48, v2
	s_mov_b32 s45, 0
	s_delay_alu instid0(VALU_DEP_2)
	v_cmp_le_u64_e32 vcc_lo, s[20:21], v[4:5]
	s_or_not1_b32 s44, vcc_lo, exec_lo
	s_branch .LBB135_93
.LBB135_98:                             ;   in Loop: Header=BB135_12 Depth=1
	s_or_b32 exec_lo, exec_lo, s12
	s_wait_dscnt 0x0
	s_barrier_signal -1
	s_barrier_wait -1
	s_and_saveexec_b32 s9, s5
	s_cbranch_execz .LBB135_100
; %bb.99:                               ;   in Loop: Header=BB135_12 Depth=1
	ds_load_b32 v4, v3 offset:5144
	s_wait_dscnt 0x0
	v_ashrrev_i32_e32 v5, 31, v4
	ds_store_b64 v3, v[4:5] offset:5120
.LBB135_100:                            ;   in Loop: Header=BB135_12 Depth=1
	s_or_b32 exec_lo, exec_lo, s9
	s_wait_dscnt 0x0
	s_barrier_signal -1
	s_mov_b32 s9, -1
	s_barrier_wait -1
	s_and_b32 vcc_lo, exec_lo, s11
	s_cbranch_vccnz .LBB135_27
	s_branch .LBB135_42
.LBB135_101:                            ;   in Loop: Header=BB135_12 Depth=1
	s_or_b32 exec_lo, exec_lo, s22
	v_and_b32_e32 v2, 0xffff, v6
	s_and_b32 s22, s43, exec_lo
	s_delay_alu instid0(VALU_DEP_1)
	v_lshrrev_b32_e32 v10, 8, v2
.LBB135_102:                            ;   in Loop: Header=BB135_12 Depth=1
	s_or_b32 exec_lo, exec_lo, s28
.LBB135_103:                            ;   in Loop: Header=BB135_12 Depth=1
	s_delay_alu instid0(SALU_CYCLE_1)
	s_and_b32 vcc_lo, exec_lo, s23
	s_cbranch_vccz .LBB135_117
; %bb.104:                              ;   in Loop: Header=BB135_12 Depth=1
	s_and_b64 s[10:11], s[66:67], 0xffffffff00000000
	s_delay_alu instid0(SALU_CYCLE_1)
	s_cmp_lg_u64 s[10:11], 0
	s_cbranch_scc0 .LBB135_145
; %bb.105:                              ;   in Loop: Header=BB135_12 Depth=1
	s_cvt_f32_u32 s8, s48
	s_sub_nc_u64 s[20:21], 0, s[48:49]
	s_delay_alu instid0(SALU_CYCLE_2) | instskip(NEXT) | instid1(SALU_CYCLE_3)
	s_fmamk_f32 s8, s101, 0x0, s8
	v_s_rcp_f32 s8, s8
	s_delay_alu instid0(TRANS32_DEP_1) | instskip(NEXT) | instid1(SALU_CYCLE_3)
	s_mul_f32 s8, s8, 0x5f7ffffc
	s_mul_f32 s10, s8, 0x2f800000
	s_delay_alu instid0(SALU_CYCLE_3) | instskip(NEXT) | instid1(SALU_CYCLE_3)
	s_trunc_f32 s10, s10
	s_fmamk_f32 s8, s10, 0xcf800000, s8
	s_cvt_u32_f32 s11, s10
	s_delay_alu instid0(SALU_CYCLE_2) | instskip(NEXT) | instid1(SALU_CYCLE_3)
	s_cvt_u32_f32 s10, s8
	s_mul_u64 s[44:45], s[20:21], s[10:11]
	s_delay_alu instid0(SALU_CYCLE_1)
	s_mul_hi_u32 s47, s10, s45
	s_mul_i32 s46, s10, s45
	s_mul_hi_u32 s28, s10, s44
	s_mul_i32 s23, s11, s44
	s_add_nc_u64 s[46:47], s[28:29], s[46:47]
	s_mul_hi_u32 s8, s11, s44
	s_mul_hi_u32 s43, s11, s45
	s_add_co_u32 s23, s46, s23
	s_add_co_ci_u32 s28, s47, s8
	s_mul_i32 s44, s11, s45
	s_add_co_ci_u32 s45, s43, 0
	s_delay_alu instid0(SALU_CYCLE_1) | instskip(NEXT) | instid1(SALU_CYCLE_1)
	s_add_nc_u64 s[44:45], s[28:29], s[44:45]
	s_add_co_u32 s10, s10, s44
	s_cselect_b32 s8, -1, 0
	s_delay_alu instid0(SALU_CYCLE_1) | instskip(SKIP_1) | instid1(SALU_CYCLE_1)
	s_cmp_lg_u32 s8, 0
	s_add_co_ci_u32 s11, s11, s45
	s_mul_u64 s[20:21], s[20:21], s[10:11]
	s_delay_alu instid0(SALU_CYCLE_1)
	s_mul_hi_u32 s45, s10, s21
	s_mul_i32 s44, s10, s21
	s_mul_hi_u32 s28, s10, s20
	s_mul_i32 s23, s11, s20
	s_add_nc_u64 s[44:45], s[28:29], s[44:45]
	s_mul_hi_u32 s8, s11, s20
	s_mul_hi_u32 s43, s11, s21
	s_mul_i32 s20, s11, s21
	s_add_co_u32 s21, s44, s23
	s_add_co_ci_u32 s28, s45, s8
	s_add_co_ci_u32 s21, s43, 0
	s_delay_alu instid0(SALU_CYCLE_1) | instskip(NEXT) | instid1(SALU_CYCLE_1)
	s_add_nc_u64 s[20:21], s[28:29], s[20:21]
	s_add_co_u32 s8, s10, s20
	s_cselect_b32 s10, -1, 0
	s_mul_hi_u32 s28, s66, s8
	s_cmp_lg_u32 s10, 0
	s_mul_hi_u32 s23, s67, s8
	s_add_co_ci_u32 s20, s11, s21
	s_mul_i32 s8, s67, s8
	s_mul_hi_u32 s11, s66, s20
	s_mul_i32 s10, s66, s20
	s_mul_hi_u32 s21, s67, s20
	s_add_nc_u64 s[10:11], s[28:29], s[10:11]
	s_mul_i32 s20, s67, s20
	s_add_co_u32 s8, s10, s8
	s_add_co_ci_u32 s28, s11, s23
	s_add_co_ci_u32 s21, s21, 0
	s_delay_alu instid0(SALU_CYCLE_1) | instskip(NEXT) | instid1(SALU_CYCLE_1)
	s_add_nc_u64 s[10:11], s[28:29], s[20:21]
	s_and_b64 s[20:21], s[10:11], 0xffffffff00000000
	s_delay_alu instid0(SALU_CYCLE_1) | instskip(NEXT) | instid1(SALU_CYCLE_1)
	s_or_b32 s20, s20, s10
	s_mul_u64 s[10:11], s[48:49], s[20:21]
	s_delay_alu instid0(SALU_CYCLE_1) | instskip(SKIP_1) | instid1(SALU_CYCLE_1)
	s_sub_co_u32 s8, s66, s10
	s_cselect_b32 s10, -1, 0
	s_cmp_lg_u32 s10, 0
	s_sub_co_ci_u32 s10, s67, s11
	s_sub_co_u32 s11, s8, s48
	s_cselect_b32 s20, -1, 0
	s_delay_alu instid0(SALU_CYCLE_1) | instskip(SKIP_3) | instid1(SALU_CYCLE_1)
	s_cmp_lg_u32 s20, 0
	s_sub_co_ci_u32 s20, s10, 0
	s_sub_co_u32 s21, s11, s48
	s_cselect_b32 s23, -1, 0
	s_cmp_lg_u32 s23, 0
	s_sub_co_ci_u32 s23, s20, 0
	s_cmp_ge_u32 s11, s48
	s_cselect_b32 s28, -1, 0
	s_cmp_eq_u32 s20, 0
	s_cselect_b32 s28, s28, -1
	s_delay_alu instid0(SALU_CYCLE_1)
	s_cmp_lg_u32 s28, 0
	s_cselect_b32 s20, s23, s20
	s_cselect_b32 s21, s21, s11
	s_cmp_ge_u32 s8, s48
	s_cselect_b32 s11, -1, 0
	s_cmp_eq_u32 s10, 0
	s_cselect_b32 s11, s11, -1
	s_delay_alu instid0(SALU_CYCLE_1)
	s_cmp_lg_u32 s11, 0
	s_cselect_b32 s11, s20, s10
	s_cselect_b32 s10, s21, s8
	s_cbranch_execnz .LBB135_107
.LBB135_106:                            ;   in Loop: Header=BB135_12 Depth=1
	v_cvt_f32_u32_e32 v2, s48
	s_sub_co_i32 s10, 0, s48
	s_delay_alu instid0(VALU_DEP_1) | instskip(SKIP_1) | instid1(TRANS32_DEP_1)
	v_rcp_iflag_f32_e32 v2, v2
	v_nop
	v_mul_f32_e32 v2, 0x4f7ffffe, v2
	s_delay_alu instid0(VALU_DEP_1) | instskip(NEXT) | instid1(VALU_DEP_1)
	v_cvt_u32_f32_e32 v2, v2
	v_readfirstlane_b32 s8, v2
	s_mul_i32 s10, s10, s8
	s_delay_alu instid0(SALU_CYCLE_1) | instskip(NEXT) | instid1(SALU_CYCLE_1)
	s_mul_hi_u32 s10, s8, s10
	s_add_co_i32 s8, s8, s10
	s_delay_alu instid0(SALU_CYCLE_1) | instskip(NEXT) | instid1(SALU_CYCLE_1)
	s_mul_hi_u32 s8, s66, s8
	s_mul_i32 s8, s8, s48
	s_delay_alu instid0(SALU_CYCLE_1) | instskip(NEXT) | instid1(SALU_CYCLE_1)
	s_sub_co_i32 s8, s66, s8
	s_sub_co_i32 s10, s8, s48
	s_cmp_ge_u32 s8, s48
	s_cselect_b32 s8, s10, s8
	s_delay_alu instid0(SALU_CYCLE_1) | instskip(SKIP_2) | instid1(SALU_CYCLE_1)
	s_sub_co_i32 s10, s8, s48
	s_cmp_ge_u32 s8, s48
	s_cselect_b32 s28, s10, s8
	s_mov_b64 s[10:11], s[28:29]
.LBB135_107:                            ;   in Loop: Header=BB135_12 Depth=1
	s_delay_alu instid0(SALU_CYCLE_1)
	s_sub_nc_u64 s[10:11], s[66:67], s[10:11]
	s_mov_b32 s20, exec_lo
                                        ; implicit-def: $vgpr10
	v_cmpx_gt_u64_e64 s[10:11], v[0:1]
	s_cbranch_execz .LBB135_116
; %bb.108:                              ;   in Loop: Header=BB135_12 Depth=1
	v_mov_b64_e32 v[4:5], v[0:1]
	s_mov_b32 s23, 0
                                        ; implicit-def: $sgpr21
	s_branch .LBB135_111
.LBB135_109:                            ;   in Loop: Header=BB135_111 Depth=2
	s_or_b32 exec_lo, exec_lo, s28
	s_wait_dscnt 0x0
	s_barrier_signal -1
	s_barrier_wait -1
	ds_load_u16 v2, v3 offset:3072
	s_mov_b32 s43, -1
	s_mov_b32 s28, -1
	s_wait_dscnt 0x0
	s_barrier_signal -1
	s_barrier_wait -1
	v_and_b32_e32 v6, 0xff, v2
	s_delay_alu instid0(VALU_DEP_1)
	v_cmp_ne_u32_e32 vcc_lo, 0, v6
	s_cbranch_vccz .LBB135_114
.LBB135_110:                            ;   in Loop: Header=BB135_111 Depth=2
	s_and_b32 s8, exec_lo, s43
	s_delay_alu instid0(SALU_CYCLE_1) | instskip(SKIP_2) | instid1(SALU_CYCLE_1)
	s_or_b32 s23, s8, s23
	s_and_not1_b32 s8, s21, exec_lo
	s_and_b32 s21, s28, exec_lo
	s_or_b32 s21, s8, s21
	s_and_not1_b32 exec_lo, exec_lo, s23
	s_cbranch_execz .LBB135_115
.LBB135_111:                            ;   Parent Loop BB135_12 Depth=1
                                        ; =>  This Inner Loop Header: Depth=2
	s_mov_b32 s28, exec_lo
	s_delay_alu instid0(VALU_DEP_1)
	v_cmpx_gt_u64_e64 s[36:37], v[4:5]
	s_cbranch_execz .LBB135_109
; %bb.112:                              ;   in Loop: Header=BB135_111 Depth=2
	v_mad_nc_u64_u32 v[6:7], v4, s30, s[34:35]
	s_delay_alu instid0(VALU_DEP_1) | instskip(NEXT) | instid1(VALU_DEP_1)
	v_mad_u32 v2, v5, s30, v7
	v_mad_u32 v7, v4, s31, v2
	global_load_u8 v2, v[6:7], off
	s_wait_loadcnt 0x0
	s_wait_xcnt 0x0
	v_bfe_i32 v6, v2, 0, 8
	s_delay_alu instid0(VALU_DEP_1) | instskip(NEXT) | instid1(VALU_DEP_1)
	v_add_nc_u32_e32 v6, 0x80, v6
	v_and_b32_e32 v6, v6, v9
	s_delay_alu instid0(VALU_DEP_1)
	v_cmp_eq_u32_e32 vcc_lo, v6, v8
	s_and_b32 exec_lo, exec_lo, vcc_lo
	s_cbranch_execz .LBB135_109
; %bb.113:                              ;   in Loop: Header=BB135_111 Depth=2
	v_lshlrev_b16 v2, 8, v2
	s_delay_alu instid0(VALU_DEP_1)
	v_or_b32_e32 v2, 1, v2
	ds_store_b16 v3, v2 offset:3072
	s_branch .LBB135_109
.LBB135_114:                            ;   in Loop: Header=BB135_111 Depth=2
	v_add_nc_u64_e32 v[4:5], s[48:49], v[4:5]
	s_mov_b32 s28, 0
	s_delay_alu instid0(VALU_DEP_1)
	v_cmp_le_u64_e32 vcc_lo, s[10:11], v[4:5]
	s_or_not1_b32 s43, vcc_lo, exec_lo
	s_branch .LBB135_110
.LBB135_115:                            ;   in Loop: Header=BB135_12 Depth=1
	s_or_b32 exec_lo, exec_lo, s23
	v_and_b32_e32 v2, 0xffff, v2
	s_and_not1_b32 s8, s22, exec_lo
	s_and_b32 s10, s21, exec_lo
	s_delay_alu instid0(SALU_CYCLE_1) | instskip(NEXT) | instid1(VALU_DEP_1)
	s_or_b32 s22, s8, s10
	v_lshrrev_b32_e32 v10, 8, v2
.LBB135_116:                            ;   in Loop: Header=BB135_12 Depth=1
	s_or_b32 exec_lo, exec_lo, s20
	s_mov_b32 s72, 0
	s_mov_b32 s73, -1
.LBB135_117:                            ;   in Loop: Header=BB135_12 Depth=1
	s_or_not1_b32 s10, s22, exec_lo
.LBB135_118:                            ;   in Loop: Header=BB135_12 Depth=1
	s_or_b32 exec_lo, exec_lo, s27
	s_mov_b32 s74, 0
	s_mov_b32 s43, 0
	;; [unrolled: 1-line block ×3, first 2 shown]
                                        ; implicit-def: $vgpr4_vgpr5
                                        ; implicit-def: $vgpr2
	s_and_saveexec_b32 s75, s10
	s_cbranch_execz .LBB135_276
; %bb.119:                              ;   in Loop: Header=BB135_12 Depth=1
	v_mov_b64_e32 v[4:5], 1
	v_mov_b32_e32 v2, 1
	s_xor_b32 s8, s76, -1
	s_mov_b32 s11, 0
	s_and_saveexec_b32 s10, s8
	s_cbranch_execz .LBB135_128
; %bb.120:                              ;   in Loop: Header=BB135_12 Depth=1
	s_mov_b32 s8, exec_lo
	v_cmpx_ge_u64_e64 s[12:13], v[22:23]
	s_xor_b32 s11, exec_lo, s8
	s_cbranch_execz .LBB135_125
; %bb.121:                              ;   in Loop: Header=BB135_12 Depth=1
	ds_load_b64 v[4:5], v3 offset:5120
	v_and_b32_e32 v8, s25, v8
	v_or_b32_e32 v9, s24, v9
	s_wait_dscnt 0x0
	v_cmp_ne_u64_e32 vcc_lo, 0, v[4:5]
	s_cbranch_vccnz .LBB135_125
; %bb.122:                              ;   in Loop: Header=BB135_12 Depth=1
	s_and_saveexec_b32 s20, s5
; %bb.123:                              ;   in Loop: Header=BB135_12 Depth=1
	v_mov_b64_e32 v[4:5], s[12:13]
	ds_store_b64 v3, v[4:5] offset:5128
; %bb.124:                              ;   in Loop: Header=BB135_12 Depth=1
	s_or_b32 exec_lo, exec_lo, s20
	s_wait_dscnt 0x0
	s_barrier_signal -1
	s_barrier_wait -1
.LBB135_125:                            ;   in Loop: Header=BB135_12 Depth=1
	s_or_saveexec_b32 s11, s11
	v_mov_b64_e32 v[4:5], v[22:23]
	v_mov_b32_e32 v2, 8
	s_mov_b32 s20, 0
	s_xor_b32 exec_lo, exec_lo, s11
; %bb.126:                              ;   in Loop: Header=BB135_12 Depth=1
	v_sub_nc_u64_e64 v[4:5], v[22:23], s[12:13]
	v_mov_b32_e32 v2, 0
	s_mov_b32 s20, exec_lo
; %bb.127:                              ;   in Loop: Header=BB135_12 Depth=1
	s_or_b32 exec_lo, exec_lo, s11
	s_delay_alu instid0(SALU_CYCLE_1)
	s_and_b32 s11, s20, exec_lo
.LBB135_128:                            ;   in Loop: Header=BB135_12 Depth=1
	s_or_b32 exec_lo, exec_lo, s10
	s_mov_b32 s10, -1
                                        ; implicit-def: $sgpr43
                                        ; implicit-def: $sgpr76
	s_and_saveexec_b32 s8, s11
	s_delay_alu instid0(SALU_CYCLE_1)
	s_xor_b32 s27, exec_lo, s8
	s_cbranch_execz .LBB135_273
; %bb.129:                              ;   in Loop: Header=BB135_12 Depth=1
	v_cmp_eq_u64_e32 vcc_lo, 1, v[4:5]
	s_cmp_eq_u64 s[14:15], 1
                                        ; implicit-def: $sgpr76
                                        ; implicit-def: $sgpr43
	s_cselect_b32 s10, -1, 0
	s_delay_alu instid0(SALU_CYCLE_1)
	s_and_b32 s78, s10, vcc_lo
	s_mov_b32 s10, -1
	s_and_saveexec_b32 s77, s78
	s_cbranch_execz .LBB135_163
; %bb.130:                              ;   in Loop: Header=BB135_12 Depth=1
	ds_load_b64 v[6:7], v3 offset:5120
	s_wait_dscnt 0x0
	s_barrier_signal -1
	s_barrier_wait -1
	v_readfirstlane_b32 s10, v6
	v_readfirstlane_b32 s11, v7
	s_and_saveexec_b32 s20, s6
; %bb.131:                              ;   in Loop: Header=BB135_12 Depth=1
	ds_store_b8 v0, v3 offset:3072
; %bb.132:                              ;   in Loop: Header=BB135_12 Depth=1
	s_or_b32 exec_lo, exec_lo, s20
	s_lshl_b32 s20, 1, s99
	v_or_b32_e32 v9, s24, v9
	v_and_or_b32 v8, v8, s25, s20
	s_mov_b32 s43, -1
	s_mov_b32 s76, 0
	s_cmp_eq_u64 s[10:11], 0
	s_mov_b32 s22, 0
	s_mov_b32 s23, -1
	s_wait_dscnt 0x0
	s_barrier_signal -1
	s_barrier_wait -1
                                        ; implicit-def: $vgpr10
	s_cbranch_scc1 .LBB135_148
; %bb.133:                              ;   in Loop: Header=BB135_12 Depth=1
	s_add_nc_u64 s[20:21], s[10:11], s[64:65]
	s_delay_alu instid0(SALU_CYCLE_1) | instskip(NEXT) | instid1(SALU_CYCLE_1)
	s_and_b64 s[22:23], s[20:21], 0xffffffff00000000
	s_cmp_lg_u64 s[22:23], 0
	s_cbranch_scc0 .LBB135_189
; %bb.134:                              ;   in Loop: Header=BB135_12 Depth=1
	s_cvt_f32_u32 s22, s48
	s_sub_nc_u64 s[44:45], 0, s[48:49]
	s_delay_alu instid0(SALU_CYCLE_2) | instskip(NEXT) | instid1(SALU_CYCLE_3)
	s_fmamk_f32 s22, s101, 0x0, s22
	v_s_rcp_f32 s22, s22
	s_delay_alu instid0(TRANS32_DEP_1) | instskip(NEXT) | instid1(SALU_CYCLE_3)
	s_mul_f32 s22, s22, 0x5f7ffffc
	s_mul_f32 s23, s22, 0x2f800000
	s_delay_alu instid0(SALU_CYCLE_3) | instskip(NEXT) | instid1(SALU_CYCLE_3)
	s_trunc_f32 s23, s23
	s_fmamk_f32 s22, s23, 0xcf800000, s22
	s_cvt_u32_f32 s23, s23
	s_delay_alu instid0(SALU_CYCLE_2) | instskip(NEXT) | instid1(SALU_CYCLE_3)
	s_cvt_u32_f32 s22, s22
	s_mul_u64 s[46:47], s[44:45], s[22:23]
	s_delay_alu instid0(SALU_CYCLE_1)
	s_mul_hi_u32 s81, s22, s47
	s_mul_i32 s80, s22, s47
	s_mul_hi_u32 s28, s22, s46
	s_mul_i32 s53, s23, s46
	s_add_nc_u64 s[80:81], s[28:29], s[80:81]
	s_mul_hi_u32 s52, s23, s46
	s_mul_hi_u32 s54, s23, s47
	s_add_co_u32 s28, s80, s53
	s_add_co_ci_u32 s28, s81, s52
	s_mul_i32 s46, s23, s47
	s_add_co_ci_u32 s47, s54, 0
	s_delay_alu instid0(SALU_CYCLE_1) | instskip(NEXT) | instid1(SALU_CYCLE_1)
	s_add_nc_u64 s[46:47], s[28:29], s[46:47]
	s_add_co_u32 s22, s22, s46
	s_cselect_b32 s28, -1, 0
	s_delay_alu instid0(SALU_CYCLE_1) | instskip(SKIP_1) | instid1(SALU_CYCLE_1)
	s_cmp_lg_u32 s28, 0
	s_add_co_ci_u32 s23, s23, s47
	s_mul_u64 s[44:45], s[44:45], s[22:23]
	s_delay_alu instid0(SALU_CYCLE_1)
	s_mul_hi_u32 s47, s22, s45
	s_mul_i32 s46, s22, s45
	s_mul_hi_u32 s28, s22, s44
	s_mul_i32 s53, s23, s44
	s_add_nc_u64 s[46:47], s[28:29], s[46:47]
	s_mul_hi_u32 s52, s23, s44
	s_mul_hi_u32 s54, s23, s45
	s_add_co_u32 s28, s46, s53
	s_add_co_ci_u32 s28, s47, s52
	s_mul_i32 s44, s23, s45
	s_add_co_ci_u32 s45, s54, 0
	s_delay_alu instid0(SALU_CYCLE_1) | instskip(NEXT) | instid1(SALU_CYCLE_1)
	s_add_nc_u64 s[44:45], s[28:29], s[44:45]
	s_add_co_u32 s22, s22, s44
	s_cselect_b32 s44, -1, 0
	s_mul_hi_u32 s28, s20, s22
	s_cmp_lg_u32 s44, 0
	s_mul_hi_u32 s46, s21, s22
	s_add_co_ci_u32 s44, s23, s45
	s_mul_i32 s45, s21, s22
	s_mul_hi_u32 s23, s20, s44
	s_mul_i32 s22, s20, s44
	s_mul_hi_u32 s47, s21, s44
	s_add_nc_u64 s[22:23], s[28:29], s[22:23]
	s_mul_i32 s44, s21, s44
	s_add_co_u32 s22, s22, s45
	s_add_co_ci_u32 s28, s23, s46
	s_add_co_ci_u32 s45, s47, 0
	s_delay_alu instid0(SALU_CYCLE_1) | instskip(NEXT) | instid1(SALU_CYCLE_1)
	s_add_nc_u64 s[22:23], s[28:29], s[44:45]
	s_and_b64 s[44:45], s[22:23], 0xffffffff00000000
	s_delay_alu instid0(SALU_CYCLE_1) | instskip(NEXT) | instid1(SALU_CYCLE_1)
	s_or_b32 s44, s44, s22
	s_mul_u64 s[22:23], s[48:49], s[44:45]
	s_delay_alu instid0(SALU_CYCLE_1) | instskip(SKIP_1) | instid1(SALU_CYCLE_1)
	s_sub_co_u32 s22, s20, s22
	s_cselect_b32 s28, -1, 0
	s_cmp_lg_u32 s28, 0
	s_sub_co_ci_u32 s23, s21, s23
	s_sub_co_u32 s28, s22, s48
	s_cselect_b32 s44, -1, 0
	s_delay_alu instid0(SALU_CYCLE_1) | instskip(SKIP_3) | instid1(SALU_CYCLE_1)
	s_cmp_lg_u32 s44, 0
	s_sub_co_ci_u32 s44, s23, 0
	s_sub_co_u32 s45, s28, s48
	s_cselect_b32 s46, -1, 0
	s_cmp_lg_u32 s46, 0
	s_sub_co_ci_u32 s46, s44, 0
	s_cmp_ge_u32 s28, s48
	s_cselect_b32 s47, -1, 0
	s_cmp_eq_u32 s44, 0
	s_cselect_b32 s47, s47, -1
	s_delay_alu instid0(SALU_CYCLE_1)
	s_cmp_lg_u32 s47, 0
	s_cselect_b32 s44, s46, s44
	s_cselect_b32 s28, s45, s28
	s_cmp_ge_u32 s22, s48
	s_cselect_b32 s45, -1, 0
	s_cmp_eq_u32 s23, 0
	s_cselect_b32 s45, s45, -1
	s_delay_alu instid0(SALU_CYCLE_1)
	s_cmp_lg_u32 s45, 0
	s_cselect_b32 s23, s44, s23
	s_cselect_b32 s22, s28, s22
	s_cbranch_execnz .LBB135_136
.LBB135_135:                            ;   in Loop: Header=BB135_12 Depth=1
	v_cvt_f32_u32_e32 v6, s48
	s_sub_co_i32 s23, 0, s48
	s_delay_alu instid0(VALU_DEP_1) | instskip(SKIP_1) | instid1(TRANS32_DEP_1)
	v_rcp_iflag_f32_e32 v6, v6
	v_nop
	v_mul_f32_e32 v6, 0x4f7ffffe, v6
	s_delay_alu instid0(VALU_DEP_1) | instskip(NEXT) | instid1(VALU_DEP_1)
	v_cvt_u32_f32_e32 v6, v6
	v_readfirstlane_b32 s22, v6
	s_mul_i32 s23, s23, s22
	s_delay_alu instid0(SALU_CYCLE_1) | instskip(NEXT) | instid1(SALU_CYCLE_1)
	s_mul_hi_u32 s23, s22, s23
	s_add_co_i32 s22, s22, s23
	s_delay_alu instid0(SALU_CYCLE_1) | instskip(NEXT) | instid1(SALU_CYCLE_1)
	s_mul_hi_u32 s22, s20, s22
	s_mul_i32 s22, s22, s48
	s_delay_alu instid0(SALU_CYCLE_1) | instskip(NEXT) | instid1(SALU_CYCLE_1)
	s_sub_co_i32 s22, s20, s22
	s_sub_co_i32 s23, s22, s48
	s_cmp_ge_u32 s22, s48
	s_cselect_b32 s22, s23, s22
	s_delay_alu instid0(SALU_CYCLE_1) | instskip(SKIP_2) | instid1(SALU_CYCLE_1)
	s_sub_co_i32 s23, s22, s48
	s_cmp_ge_u32 s22, s48
	s_cselect_b32 s28, s23, s22
	s_mov_b64 s[22:23], s[28:29]
.LBB135_136:                            ;   in Loop: Header=BB135_12 Depth=1
	s_delay_alu instid0(SALU_CYCLE_1)
	s_sub_nc_u64 s[20:21], s[20:21], s[22:23]
	s_mov_b32 s23, 0
	s_mov_b32 s22, 0
	s_mov_b32 s28, exec_lo
                                        ; implicit-def: $vgpr10
	v_cmpx_gt_u64_e64 s[20:21], v[0:1]
	s_cbranch_execz .LBB135_147
; %bb.137:                              ;   in Loop: Header=BB135_12 Depth=1
	v_mov_b64_e32 v[6:7], v[0:1]
	v_mov_b32_e32 v10, v0
                                        ; implicit-def: $sgpr44
	s_branch .LBB135_140
.LBB135_138:                            ;   in Loop: Header=BB135_140 Depth=2
	s_or_b32 exec_lo, exec_lo, s45
	s_wait_dscnt 0x0
	s_barrier_signal -1
	s_barrier_wait -1
	ds_load_u16 v11, v3 offset:3072
	s_mov_b32 s45, -1
	s_mov_b32 s46, -1
	s_wait_dscnt 0x0
	s_barrier_signal -1
	s_barrier_wait -1
	v_and_b32_e32 v24, 0xff, v11
	s_delay_alu instid0(VALU_DEP_1)
	v_cmp_ne_u32_e32 vcc_lo, 0, v24
	s_cbranch_vccz .LBB135_143
.LBB135_139:                            ;   in Loop: Header=BB135_140 Depth=2
	s_and_b32 s8, exec_lo, s45
	s_delay_alu instid0(SALU_CYCLE_1) | instskip(SKIP_2) | instid1(SALU_CYCLE_1)
	s_or_b32 s22, s8, s22
	s_and_not1_b32 s8, s44, exec_lo
	s_and_b32 s44, s46, exec_lo
	s_or_b32 s44, s8, s44
	s_and_not1_b32 exec_lo, exec_lo, s22
	s_cbranch_execz .LBB135_146
.LBB135_140:                            ;   Parent Loop BB135_12 Depth=1
                                        ; =>  This Inner Loop Header: Depth=2
	s_mov_b32 s45, exec_lo
	s_delay_alu instid0(VALU_DEP_2)
	v_cmpx_gt_u64_e64 s[10:11], v[6:7]
	s_cbranch_execz .LBB135_138
; %bb.141:                              ;   in Loop: Header=BB135_140 Depth=2
	ds_load_u8 v11, v10
	s_wait_dscnt 0x0
	v_bfe_i32 v24, v11, 0, 8
	s_delay_alu instid0(VALU_DEP_1) | instskip(NEXT) | instid1(VALU_DEP_1)
	v_add_nc_u32_e32 v24, 0x80, v24
	v_and_b32_e32 v24, v24, v9
	s_delay_alu instid0(VALU_DEP_1)
	v_cmp_eq_u32_e32 vcc_lo, v24, v8
	s_and_b32 exec_lo, exec_lo, vcc_lo
	s_cbranch_execz .LBB135_138
; %bb.142:                              ;   in Loop: Header=BB135_140 Depth=2
	v_lshlrev_b16 v11, 8, v11
	s_delay_alu instid0(VALU_DEP_1)
	v_or_b32_e32 v11, 1, v11
	ds_store_b16 v3, v11 offset:3072
	s_branch .LBB135_138
.LBB135_143:                            ;   in Loop: Header=BB135_140 Depth=2
	v_add_nc_u64_e32 v[6:7], s[48:49], v[6:7]
	v_add_nc_u32_e32 v10, s48, v10
	s_mov_b32 s46, 0
	s_delay_alu instid0(VALU_DEP_2)
	v_cmp_le_u64_e32 vcc_lo, s[20:21], v[6:7]
	s_or_not1_b32 s45, vcc_lo, exec_lo
	s_branch .LBB135_139
.LBB135_144:                            ;   in Loop: Header=BB135_12 Depth=1
                                        ; implicit-def: $sgpr22_sgpr23
	s_branch .LBB135_89
.LBB135_145:                            ;   in Loop: Header=BB135_12 Depth=1
                                        ; implicit-def: $sgpr10_sgpr11
	s_branch .LBB135_106
.LBB135_146:                            ;   in Loop: Header=BB135_12 Depth=1
	s_or_b32 exec_lo, exec_lo, s22
	v_and_b32_e32 v6, 0xffff, v11
	s_and_b32 s22, s44, exec_lo
	s_delay_alu instid0(VALU_DEP_1)
	v_lshrrev_b32_e32 v10, 8, v6
.LBB135_147:                            ;   in Loop: Header=BB135_12 Depth=1
	s_or_b32 exec_lo, exec_lo, s28
.LBB135_148:                            ;   in Loop: Header=BB135_12 Depth=1
	s_delay_alu instid0(SALU_CYCLE_1)
	s_and_b32 vcc_lo, exec_lo, s23
	s_cbranch_vccz .LBB135_162
; %bb.149:                              ;   in Loop: Header=BB135_12 Depth=1
	s_and_b64 s[10:11], s[66:67], 0xffffffff00000000
	s_delay_alu instid0(SALU_CYCLE_1)
	s_cmp_lg_u64 s[10:11], 0
	s_cbranch_scc0 .LBB135_190
; %bb.150:                              ;   in Loop: Header=BB135_12 Depth=1
	s_cvt_f32_u32 s10, s48
	s_sub_nc_u64 s[20:21], 0, s[48:49]
	s_delay_alu instid0(SALU_CYCLE_2) | instskip(NEXT) | instid1(SALU_CYCLE_3)
	s_fmamk_f32 s10, s101, 0x0, s10
	v_s_rcp_f32 s10, s10
	s_delay_alu instid0(TRANS32_DEP_1) | instskip(NEXT) | instid1(SALU_CYCLE_3)
	s_mul_f32 s10, s10, 0x5f7ffffc
	s_mul_f32 s11, s10, 0x2f800000
	s_delay_alu instid0(SALU_CYCLE_3) | instskip(NEXT) | instid1(SALU_CYCLE_3)
	s_trunc_f32 s11, s11
	s_fmamk_f32 s10, s11, 0xcf800000, s10
	s_cvt_u32_f32 s11, s11
	s_delay_alu instid0(SALU_CYCLE_2) | instskip(NEXT) | instid1(SALU_CYCLE_3)
	s_cvt_u32_f32 s10, s10
	s_mul_u64 s[44:45], s[20:21], s[10:11]
	s_delay_alu instid0(SALU_CYCLE_1)
	s_mul_hi_u32 s47, s10, s45
	s_mul_i32 s46, s10, s45
	s_mul_hi_u32 s28, s10, s44
	s_mul_i32 s43, s11, s44
	s_add_nc_u64 s[46:47], s[28:29], s[46:47]
	s_mul_hi_u32 s23, s11, s44
	s_mul_hi_u32 s52, s11, s45
	s_add_co_u32 s28, s46, s43
	s_add_co_ci_u32 s28, s47, s23
	s_mul_i32 s44, s11, s45
	s_add_co_ci_u32 s45, s52, 0
	s_delay_alu instid0(SALU_CYCLE_1) | instskip(NEXT) | instid1(SALU_CYCLE_1)
	s_add_nc_u64 s[44:45], s[28:29], s[44:45]
	s_add_co_u32 s10, s10, s44
	s_cselect_b32 s23, -1, 0
	s_delay_alu instid0(SALU_CYCLE_1) | instskip(SKIP_1) | instid1(SALU_CYCLE_1)
	s_cmp_lg_u32 s23, 0
	s_add_co_ci_u32 s11, s11, s45
	s_mul_u64 s[20:21], s[20:21], s[10:11]
	s_delay_alu instid0(SALU_CYCLE_1)
	s_mul_hi_u32 s45, s10, s21
	s_mul_i32 s44, s10, s21
	s_mul_hi_u32 s28, s10, s20
	s_mul_i32 s43, s11, s20
	s_add_nc_u64 s[44:45], s[28:29], s[44:45]
	s_mul_hi_u32 s23, s11, s20
	s_mul_hi_u32 s46, s11, s21
	s_mul_i32 s20, s11, s21
	s_add_co_u32 s21, s44, s43
	s_add_co_ci_u32 s28, s45, s23
	s_add_co_ci_u32 s21, s46, 0
	s_delay_alu instid0(SALU_CYCLE_1) | instskip(NEXT) | instid1(SALU_CYCLE_1)
	s_add_nc_u64 s[20:21], s[28:29], s[20:21]
	s_add_co_u32 s10, s10, s20
	s_cselect_b32 s20, -1, 0
	s_mul_hi_u32 s28, s66, s10
	s_cmp_lg_u32 s20, 0
	s_mul_hi_u32 s23, s67, s10
	s_add_co_ci_u32 s20, s11, s21
	s_mul_i32 s21, s67, s10
	s_mul_hi_u32 s11, s66, s20
	s_mul_i32 s10, s66, s20
	s_mul_hi_u32 s43, s67, s20
	s_add_nc_u64 s[10:11], s[28:29], s[10:11]
	s_mul_i32 s20, s67, s20
	s_add_co_u32 s10, s10, s21
	s_add_co_ci_u32 s28, s11, s23
	s_add_co_ci_u32 s21, s43, 0
	s_delay_alu instid0(SALU_CYCLE_1) | instskip(NEXT) | instid1(SALU_CYCLE_1)
	s_add_nc_u64 s[10:11], s[28:29], s[20:21]
	s_and_b64 s[20:21], s[10:11], 0xffffffff00000000
	s_delay_alu instid0(SALU_CYCLE_1) | instskip(NEXT) | instid1(SALU_CYCLE_1)
	s_or_b32 s20, s20, s10
	s_mul_u64 s[10:11], s[48:49], s[20:21]
	s_delay_alu instid0(SALU_CYCLE_1) | instskip(SKIP_1) | instid1(SALU_CYCLE_1)
	s_sub_co_u32 s10, s66, s10
	s_cselect_b32 s20, -1, 0
	s_cmp_lg_u32 s20, 0
	s_sub_co_ci_u32 s11, s67, s11
	s_sub_co_u32 s20, s10, s48
	s_cselect_b32 s21, -1, 0
	s_delay_alu instid0(SALU_CYCLE_1) | instskip(SKIP_3) | instid1(SALU_CYCLE_1)
	s_cmp_lg_u32 s21, 0
	s_sub_co_ci_u32 s21, s11, 0
	s_sub_co_u32 s23, s20, s48
	s_cselect_b32 s28, -1, 0
	s_cmp_lg_u32 s28, 0
	s_sub_co_ci_u32 s28, s21, 0
	s_cmp_ge_u32 s20, s48
	s_cselect_b32 s43, -1, 0
	s_cmp_eq_u32 s21, 0
	s_cselect_b32 s43, s43, -1
	s_delay_alu instid0(SALU_CYCLE_1)
	s_cmp_lg_u32 s43, 0
	s_cselect_b32 s21, s28, s21
	s_cselect_b32 s20, s23, s20
	s_cmp_ge_u32 s10, s48
	s_cselect_b32 s23, -1, 0
	s_cmp_eq_u32 s11, 0
	s_cselect_b32 s23, s23, -1
	s_delay_alu instid0(SALU_CYCLE_1)
	s_cmp_lg_u32 s23, 0
	s_cselect_b32 s11, s21, s11
	s_cselect_b32 s10, s20, s10
	s_cbranch_execnz .LBB135_152
.LBB135_151:                            ;   in Loop: Header=BB135_12 Depth=1
	v_cvt_f32_u32_e32 v6, s48
	s_sub_co_i32 s11, 0, s48
	s_delay_alu instid0(VALU_DEP_1) | instskip(SKIP_1) | instid1(TRANS32_DEP_1)
	v_rcp_iflag_f32_e32 v6, v6
	v_nop
	v_mul_f32_e32 v6, 0x4f7ffffe, v6
	s_delay_alu instid0(VALU_DEP_1) | instskip(NEXT) | instid1(VALU_DEP_1)
	v_cvt_u32_f32_e32 v6, v6
	v_readfirstlane_b32 s10, v6
	s_mul_i32 s11, s11, s10
	s_delay_alu instid0(SALU_CYCLE_1) | instskip(NEXT) | instid1(SALU_CYCLE_1)
	s_mul_hi_u32 s11, s10, s11
	s_add_co_i32 s10, s10, s11
	s_delay_alu instid0(SALU_CYCLE_1) | instskip(NEXT) | instid1(SALU_CYCLE_1)
	s_mul_hi_u32 s10, s66, s10
	s_mul_i32 s10, s10, s48
	s_delay_alu instid0(SALU_CYCLE_1) | instskip(NEXT) | instid1(SALU_CYCLE_1)
	s_sub_co_i32 s10, s66, s10
	s_sub_co_i32 s11, s10, s48
	s_cmp_ge_u32 s10, s48
	s_cselect_b32 s10, s11, s10
	s_delay_alu instid0(SALU_CYCLE_1) | instskip(SKIP_2) | instid1(SALU_CYCLE_1)
	s_sub_co_i32 s11, s10, s48
	s_cmp_ge_u32 s10, s48
	s_cselect_b32 s28, s11, s10
	s_mov_b64 s[10:11], s[28:29]
.LBB135_152:                            ;   in Loop: Header=BB135_12 Depth=1
	s_delay_alu instid0(SALU_CYCLE_1)
	s_sub_nc_u64 s[10:11], s[66:67], s[10:11]
	s_mov_b32 s20, exec_lo
                                        ; implicit-def: $vgpr10
	v_nop
	v_cmpx_gt_u64_e64 s[10:11], v[0:1]
	s_cbranch_execz .LBB135_161
; %bb.153:                              ;   in Loop: Header=BB135_12 Depth=1
	v_mov_b64_e32 v[6:7], v[0:1]
	s_mov_b32 s21, 0
                                        ; implicit-def: $sgpr23
	s_branch .LBB135_156
.LBB135_154:                            ;   in Loop: Header=BB135_156 Depth=2
	s_or_b32 exec_lo, exec_lo, s28
	s_wait_dscnt 0x0
	s_barrier_signal -1
	s_barrier_wait -1
	ds_load_u16 v10, v3 offset:3072
	s_mov_b32 s43, -1
	s_mov_b32 s28, -1
	s_wait_dscnt 0x0
	s_barrier_signal -1
	s_barrier_wait -1
	v_and_b32_e32 v11, 0xff, v10
	s_delay_alu instid0(VALU_DEP_1)
	v_cmp_eq_u32_e32 vcc_lo, 0, v11
	s_cbranch_vccnz .LBB135_159
.LBB135_155:                            ;   in Loop: Header=BB135_156 Depth=2
	s_and_b32 s8, exec_lo, s43
	s_delay_alu instid0(SALU_CYCLE_1) | instskip(SKIP_2) | instid1(SALU_CYCLE_1)
	s_or_b32 s21, s8, s21
	s_and_not1_b32 s8, s23, exec_lo
	s_and_b32 s23, s28, exec_lo
	s_or_b32 s23, s8, s23
	s_and_not1_b32 exec_lo, exec_lo, s21
	s_cbranch_execz .LBB135_160
.LBB135_156:                            ;   Parent Loop BB135_12 Depth=1
                                        ; =>  This Inner Loop Header: Depth=2
	s_mov_b32 s28, exec_lo
	s_delay_alu instid0(VALU_DEP_1)
	v_cmpx_gt_u64_e64 s[36:37], v[6:7]
	s_cbranch_execz .LBB135_154
; %bb.157:                              ;   in Loop: Header=BB135_156 Depth=2
	v_mad_nc_u64_u32 v[10:11], v6, s30, s[34:35]
	s_delay_alu instid0(VALU_DEP_1) | instskip(NEXT) | instid1(VALU_DEP_1)
	v_mad_u32 v11, v7, s30, v11
	v_mad_u32 v11, v6, s31, v11
	global_load_u8 v10, v[10:11], off
	s_wait_loadcnt 0x0
	s_wait_xcnt 0x0
	v_bfe_i32 v11, v10, 0, 8
	s_delay_alu instid0(VALU_DEP_1) | instskip(NEXT) | instid1(VALU_DEP_1)
	v_add_nc_u32_e32 v11, 0x80, v11
	v_and_b32_e32 v11, v11, v9
	s_delay_alu instid0(VALU_DEP_1)
	v_cmp_eq_u32_e32 vcc_lo, v11, v8
	s_and_b32 exec_lo, exec_lo, vcc_lo
	s_cbranch_execz .LBB135_154
; %bb.158:                              ;   in Loop: Header=BB135_156 Depth=2
	v_lshlrev_b16 v10, 8, v10
	s_delay_alu instid0(VALU_DEP_1)
	v_or_b32_e32 v10, 1, v10
	ds_store_b16 v3, v10 offset:3072
	s_branch .LBB135_154
.LBB135_159:                            ;   in Loop: Header=BB135_156 Depth=2
	v_add_nc_u64_e32 v[6:7], s[48:49], v[6:7]
	s_mov_b32 s28, 0
	s_delay_alu instid0(VALU_DEP_1)
	v_cmp_le_u64_e32 vcc_lo, s[10:11], v[6:7]
	s_or_not1_b32 s43, vcc_lo, exec_lo
	s_branch .LBB135_155
.LBB135_160:                            ;   in Loop: Header=BB135_12 Depth=1
	s_or_b32 exec_lo, exec_lo, s21
	v_and_b32_e32 v6, 0xffff, v10
	s_and_not1_b32 s8, s22, exec_lo
	s_and_b32 s10, s23, exec_lo
	s_delay_alu instid0(SALU_CYCLE_1) | instskip(NEXT) | instid1(VALU_DEP_1)
	s_or_b32 s22, s8, s10
	v_lshrrev_b32_e32 v10, 8, v6
.LBB135_161:                            ;   in Loop: Header=BB135_12 Depth=1
	s_or_b32 exec_lo, exec_lo, s20
	s_mov_b32 s43, 0
	s_mov_b32 s76, -1
.LBB135_162:                            ;   in Loop: Header=BB135_12 Depth=1
	s_or_not1_b32 s10, s22, exec_lo
.LBB135_163:                            ;   in Loop: Header=BB135_12 Depth=1
	s_or_b32 exec_lo, exec_lo, s77
	s_mov_b32 s11, 0
	s_and_saveexec_b32 s77, s10
	s_cbranch_execz .LBB135_272
; %bb.164:                              ;   in Loop: Header=BB135_12 Depth=1
	v_mov_b64_e32 v[6:7], 1
	v_mov_b32_e32 v2, 1
	s_xor_b32 s20, s78, -1
	s_delay_alu instid0(SALU_CYCLE_1)
	s_and_saveexec_b32 s10, s20
	s_cbranch_execz .LBB135_173
; %bb.165:                              ;   in Loop: Header=BB135_12 Depth=1
	s_mov_b32 s11, exec_lo
	v_cmpx_ge_u64_e64 s[14:15], v[4:5]
	s_xor_b32 s11, exec_lo, s11
	s_cbranch_execz .LBB135_170
; %bb.166:                              ;   in Loop: Header=BB135_12 Depth=1
	ds_load_b64 v[6:7], v3 offset:5120
	s_lshl_b32 s20, 1, s99
	v_or_b32_e32 v9, s24, v9
	v_and_or_b32 v8, v8, s25, s20
	s_wait_dscnt 0x0
	v_cmp_ne_u64_e32 vcc_lo, 0, v[6:7]
	s_cbranch_vccnz .LBB135_170
; %bb.167:                              ;   in Loop: Header=BB135_12 Depth=1
	s_and_saveexec_b32 s20, s5
; %bb.168:                              ;   in Loop: Header=BB135_12 Depth=1
	v_mov_b64_e32 v[6:7], s[14:15]
	ds_store_b64 v3, v[6:7] offset:5128
; %bb.169:                              ;   in Loop: Header=BB135_12 Depth=1
	s_or_b32 exec_lo, exec_lo, s20
	s_wait_dscnt 0x0
	s_barrier_signal -1
	s_barrier_wait -1
.LBB135_170:                            ;   in Loop: Header=BB135_12 Depth=1
	s_or_saveexec_b32 s11, s11
	v_mov_b32_e32 v2, 8
	s_mov_b32 s20, 0
	s_xor_b32 exec_lo, exec_lo, s11
; %bb.171:                              ;   in Loop: Header=BB135_12 Depth=1
	v_sub_nc_u64_e64 v[4:5], v[4:5], s[14:15]
	v_mov_b32_e32 v2, 0
	s_mov_b32 s20, exec_lo
; %bb.172:                              ;   in Loop: Header=BB135_12 Depth=1
	s_or_b32 exec_lo, exec_lo, s11
	s_delay_alu instid0(VALU_DEP_2)
	v_mov_b64_e32 v[6:7], v[4:5]
	s_and_b32 s11, s20, exec_lo
.LBB135_173:                            ;   in Loop: Header=BB135_12 Depth=1
	s_or_b32 exec_lo, exec_lo, s10
	s_mov_b32 s10, -1
                                        ; implicit-def: $sgpr79
                                        ; implicit-def: $sgpr80
	s_and_saveexec_b32 s78, s11
	s_cbranch_execz .LBB135_271
; %bb.174:                              ;   in Loop: Header=BB135_12 Depth=1
	s_delay_alu instid0(VALU_DEP_1) | instskip(SKIP_2) | instid1(SALU_CYCLE_1)
	v_cmp_eq_u64_e32 vcc_lo, 1, v[6:7]
	s_cmp_eq_u64 s[16:17], 1
                                        ; implicit-def: $sgpr80
                                        ; implicit-def: $sgpr79
	s_cselect_b32 s10, -1, 0
	s_and_b32 s82, s10, vcc_lo
	s_mov_b32 s10, -1
	s_and_saveexec_b32 s81, s82
	s_cbranch_execz .LBB135_208
; %bb.175:                              ;   in Loop: Header=BB135_12 Depth=1
	ds_load_b64 v[4:5], v3 offset:5120
	s_wait_dscnt 0x0
	s_barrier_signal -1
	s_barrier_wait -1
	v_readfirstlane_b32 s10, v4
	v_readfirstlane_b32 s11, v5
	s_and_saveexec_b32 s20, s6
; %bb.176:                              ;   in Loop: Header=BB135_12 Depth=1
	ds_store_b8 v0, v3 offset:3072
; %bb.177:                              ;   in Loop: Header=BB135_12 Depth=1
	s_or_b32 exec_lo, exec_lo, s20
	s_lshl_b32 s20, 2, s99
	v_or_b32_e32 v9, s24, v9
	v_and_or_b32 v8, v8, s25, s20
	s_mov_b32 s79, -1
	s_mov_b32 s80, 0
	s_cmp_eq_u64 s[10:11], 0
	s_mov_b32 s22, 0
	s_mov_b32 s23, -1
	s_wait_dscnt 0x0
	s_barrier_signal -1
	s_barrier_wait -1
                                        ; implicit-def: $vgpr10
	s_cbranch_scc1 .LBB135_193
; %bb.178:                              ;   in Loop: Header=BB135_12 Depth=1
	s_add_nc_u64 s[20:21], s[10:11], s[64:65]
	s_delay_alu instid0(SALU_CYCLE_1) | instskip(NEXT) | instid1(SALU_CYCLE_1)
	s_and_b64 s[22:23], s[20:21], 0xffffffff00000000
	s_cmp_lg_u64 s[22:23], 0
	s_cbranch_scc0 .LBB135_225
; %bb.179:                              ;   in Loop: Header=BB135_12 Depth=1
	s_cvt_f32_u32 s22, s48
	s_sub_nc_u64 s[44:45], 0, s[48:49]
	s_delay_alu instid0(SALU_CYCLE_2) | instskip(NEXT) | instid1(SALU_CYCLE_3)
	s_fmamk_f32 s22, s101, 0x0, s22
	v_s_rcp_f32 s22, s22
	s_delay_alu instid0(TRANS32_DEP_1) | instskip(NEXT) | instid1(SALU_CYCLE_3)
	s_mul_f32 s22, s22, 0x5f7ffffc
	s_mul_f32 s23, s22, 0x2f800000
	s_delay_alu instid0(SALU_CYCLE_3) | instskip(NEXT) | instid1(SALU_CYCLE_3)
	s_trunc_f32 s23, s23
	s_fmamk_f32 s22, s23, 0xcf800000, s22
	s_cvt_u32_f32 s23, s23
	s_delay_alu instid0(SALU_CYCLE_2) | instskip(NEXT) | instid1(SALU_CYCLE_3)
	s_cvt_u32_f32 s22, s22
	s_mul_u64 s[46:47], s[44:45], s[22:23]
	s_delay_alu instid0(SALU_CYCLE_1)
	s_mul_hi_u32 s85, s22, s47
	s_mul_i32 s84, s22, s47
	s_mul_hi_u32 s28, s22, s46
	s_mul_i32 s53, s23, s46
	s_add_nc_u64 s[84:85], s[28:29], s[84:85]
	s_mul_hi_u32 s52, s23, s46
	s_mul_hi_u32 s54, s23, s47
	s_add_co_u32 s28, s84, s53
	s_add_co_ci_u32 s28, s85, s52
	s_mul_i32 s46, s23, s47
	s_add_co_ci_u32 s47, s54, 0
	s_delay_alu instid0(SALU_CYCLE_1) | instskip(NEXT) | instid1(SALU_CYCLE_1)
	s_add_nc_u64 s[46:47], s[28:29], s[46:47]
	s_add_co_u32 s22, s22, s46
	s_cselect_b32 s28, -1, 0
	s_delay_alu instid0(SALU_CYCLE_1) | instskip(SKIP_1) | instid1(SALU_CYCLE_1)
	s_cmp_lg_u32 s28, 0
	s_add_co_ci_u32 s23, s23, s47
	s_mul_u64 s[44:45], s[44:45], s[22:23]
	s_delay_alu instid0(SALU_CYCLE_1)
	s_mul_hi_u32 s47, s22, s45
	s_mul_i32 s46, s22, s45
	s_mul_hi_u32 s28, s22, s44
	s_mul_i32 s53, s23, s44
	s_add_nc_u64 s[46:47], s[28:29], s[46:47]
	s_mul_hi_u32 s52, s23, s44
	s_mul_hi_u32 s54, s23, s45
	s_add_co_u32 s28, s46, s53
	s_add_co_ci_u32 s28, s47, s52
	s_mul_i32 s44, s23, s45
	s_add_co_ci_u32 s45, s54, 0
	s_delay_alu instid0(SALU_CYCLE_1) | instskip(NEXT) | instid1(SALU_CYCLE_1)
	s_add_nc_u64 s[44:45], s[28:29], s[44:45]
	s_add_co_u32 s22, s22, s44
	s_cselect_b32 s44, -1, 0
	s_mul_hi_u32 s28, s20, s22
	s_cmp_lg_u32 s44, 0
	s_mul_hi_u32 s46, s21, s22
	s_add_co_ci_u32 s44, s23, s45
	s_mul_i32 s45, s21, s22
	s_mul_hi_u32 s23, s20, s44
	s_mul_i32 s22, s20, s44
	s_mul_hi_u32 s47, s21, s44
	s_add_nc_u64 s[22:23], s[28:29], s[22:23]
	s_mul_i32 s44, s21, s44
	s_add_co_u32 s22, s22, s45
	s_add_co_ci_u32 s28, s23, s46
	s_add_co_ci_u32 s45, s47, 0
	s_delay_alu instid0(SALU_CYCLE_1) | instskip(NEXT) | instid1(SALU_CYCLE_1)
	s_add_nc_u64 s[22:23], s[28:29], s[44:45]
	s_and_b64 s[44:45], s[22:23], 0xffffffff00000000
	s_delay_alu instid0(SALU_CYCLE_1) | instskip(NEXT) | instid1(SALU_CYCLE_1)
	s_or_b32 s44, s44, s22
	s_mul_u64 s[22:23], s[48:49], s[44:45]
	s_delay_alu instid0(SALU_CYCLE_1) | instskip(SKIP_1) | instid1(SALU_CYCLE_1)
	s_sub_co_u32 s22, s20, s22
	s_cselect_b32 s28, -1, 0
	s_cmp_lg_u32 s28, 0
	s_sub_co_ci_u32 s23, s21, s23
	s_sub_co_u32 s28, s22, s48
	s_cselect_b32 s44, -1, 0
	s_delay_alu instid0(SALU_CYCLE_1) | instskip(SKIP_3) | instid1(SALU_CYCLE_1)
	s_cmp_lg_u32 s44, 0
	s_sub_co_ci_u32 s44, s23, 0
	s_sub_co_u32 s45, s28, s48
	s_cselect_b32 s46, -1, 0
	s_cmp_lg_u32 s46, 0
	s_sub_co_ci_u32 s46, s44, 0
	s_cmp_ge_u32 s28, s48
	s_cselect_b32 s47, -1, 0
	s_cmp_eq_u32 s44, 0
	s_cselect_b32 s47, s47, -1
	s_delay_alu instid0(SALU_CYCLE_1)
	s_cmp_lg_u32 s47, 0
	s_cselect_b32 s44, s46, s44
	s_cselect_b32 s28, s45, s28
	s_cmp_ge_u32 s22, s48
	s_cselect_b32 s45, -1, 0
	s_cmp_eq_u32 s23, 0
	s_cselect_b32 s45, s45, -1
	s_delay_alu instid0(SALU_CYCLE_1)
	s_cmp_lg_u32 s45, 0
	s_cselect_b32 s23, s44, s23
	s_cselect_b32 s22, s28, s22
	s_cbranch_execnz .LBB135_181
.LBB135_180:                            ;   in Loop: Header=BB135_12 Depth=1
	v_cvt_f32_u32_e32 v4, s48
	s_sub_co_i32 s23, 0, s48
	s_delay_alu instid0(VALU_DEP_1) | instskip(SKIP_1) | instid1(TRANS32_DEP_1)
	v_rcp_iflag_f32_e32 v4, v4
	v_nop
	v_mul_f32_e32 v4, 0x4f7ffffe, v4
	s_delay_alu instid0(VALU_DEP_1) | instskip(NEXT) | instid1(VALU_DEP_1)
	v_cvt_u32_f32_e32 v4, v4
	v_readfirstlane_b32 s22, v4
	s_mul_i32 s23, s23, s22
	s_delay_alu instid0(SALU_CYCLE_1) | instskip(NEXT) | instid1(SALU_CYCLE_1)
	s_mul_hi_u32 s23, s22, s23
	s_add_co_i32 s22, s22, s23
	s_delay_alu instid0(SALU_CYCLE_1) | instskip(NEXT) | instid1(SALU_CYCLE_1)
	s_mul_hi_u32 s22, s20, s22
	s_mul_i32 s22, s22, s48
	s_delay_alu instid0(SALU_CYCLE_1) | instskip(NEXT) | instid1(SALU_CYCLE_1)
	s_sub_co_i32 s22, s20, s22
	s_sub_co_i32 s23, s22, s48
	s_cmp_ge_u32 s22, s48
	s_cselect_b32 s22, s23, s22
	s_delay_alu instid0(SALU_CYCLE_1) | instskip(SKIP_2) | instid1(SALU_CYCLE_1)
	s_sub_co_i32 s23, s22, s48
	s_cmp_ge_u32 s22, s48
	s_cselect_b32 s28, s23, s22
	s_mov_b64 s[22:23], s[28:29]
.LBB135_181:                            ;   in Loop: Header=BB135_12 Depth=1
	s_delay_alu instid0(SALU_CYCLE_1)
	s_sub_nc_u64 s[20:21], s[20:21], s[22:23]
	s_mov_b32 s23, 0
	s_mov_b32 s22, 0
	s_mov_b32 s28, exec_lo
                                        ; implicit-def: $vgpr10
	v_cmpx_gt_u64_e64 s[20:21], v[0:1]
	s_cbranch_execz .LBB135_192
; %bb.182:                              ;   in Loop: Header=BB135_12 Depth=1
	v_mov_b64_e32 v[4:5], v[0:1]
	v_mov_b32_e32 v10, v0
                                        ; implicit-def: $sgpr44
	s_branch .LBB135_185
.LBB135_183:                            ;   in Loop: Header=BB135_185 Depth=2
	s_or_b32 exec_lo, exec_lo, s45
	s_wait_dscnt 0x0
	s_barrier_signal -1
	s_barrier_wait -1
	ds_load_u16 v11, v3 offset:3072
	s_mov_b32 s45, -1
	s_mov_b32 s46, -1
	s_wait_dscnt 0x0
	s_barrier_signal -1
	s_barrier_wait -1
	v_and_b32_e32 v24, 0xff, v11
	s_delay_alu instid0(VALU_DEP_1)
	v_cmp_ne_u32_e32 vcc_lo, 0, v24
	s_cbranch_vccz .LBB135_188
.LBB135_184:                            ;   in Loop: Header=BB135_185 Depth=2
	s_and_b32 s8, exec_lo, s45
	s_delay_alu instid0(SALU_CYCLE_1) | instskip(SKIP_2) | instid1(SALU_CYCLE_1)
	s_or_b32 s22, s8, s22
	s_and_not1_b32 s8, s44, exec_lo
	s_and_b32 s44, s46, exec_lo
	s_or_b32 s44, s8, s44
	s_and_not1_b32 exec_lo, exec_lo, s22
	s_cbranch_execz .LBB135_191
.LBB135_185:                            ;   Parent Loop BB135_12 Depth=1
                                        ; =>  This Inner Loop Header: Depth=2
	s_mov_b32 s45, exec_lo
	s_delay_alu instid0(VALU_DEP_2)
	v_cmpx_gt_u64_e64 s[10:11], v[4:5]
	s_cbranch_execz .LBB135_183
; %bb.186:                              ;   in Loop: Header=BB135_185 Depth=2
	ds_load_u8 v11, v10
	s_wait_dscnt 0x0
	v_bfe_i32 v24, v11, 0, 8
	s_delay_alu instid0(VALU_DEP_1) | instskip(NEXT) | instid1(VALU_DEP_1)
	v_add_nc_u32_e32 v24, 0x80, v24
	v_and_b32_e32 v24, v24, v9
	s_delay_alu instid0(VALU_DEP_1)
	v_cmp_eq_u32_e32 vcc_lo, v24, v8
	s_and_b32 exec_lo, exec_lo, vcc_lo
	s_cbranch_execz .LBB135_183
; %bb.187:                              ;   in Loop: Header=BB135_185 Depth=2
	v_lshlrev_b16 v11, 8, v11
	s_delay_alu instid0(VALU_DEP_1)
	v_or_b32_e32 v11, 1, v11
	ds_store_b16 v3, v11 offset:3072
	s_branch .LBB135_183
.LBB135_188:                            ;   in Loop: Header=BB135_185 Depth=2
	v_add_nc_u64_e32 v[4:5], s[48:49], v[4:5]
	v_add_nc_u32_e32 v10, s48, v10
	s_mov_b32 s46, 0
	s_delay_alu instid0(VALU_DEP_2)
	v_cmp_le_u64_e32 vcc_lo, s[20:21], v[4:5]
	s_or_not1_b32 s45, vcc_lo, exec_lo
	s_branch .LBB135_184
.LBB135_189:                            ;   in Loop: Header=BB135_12 Depth=1
                                        ; implicit-def: $sgpr22_sgpr23
	s_branch .LBB135_135
.LBB135_190:                            ;   in Loop: Header=BB135_12 Depth=1
                                        ; implicit-def: $sgpr10_sgpr11
	s_branch .LBB135_151
.LBB135_191:                            ;   in Loop: Header=BB135_12 Depth=1
	s_or_b32 exec_lo, exec_lo, s22
	v_and_b32_e32 v4, 0xffff, v11
	s_and_b32 s22, s44, exec_lo
	s_delay_alu instid0(VALU_DEP_1)
	v_lshrrev_b32_e32 v10, 8, v4
.LBB135_192:                            ;   in Loop: Header=BB135_12 Depth=1
	s_or_b32 exec_lo, exec_lo, s28
.LBB135_193:                            ;   in Loop: Header=BB135_12 Depth=1
	s_delay_alu instid0(SALU_CYCLE_1)
	s_and_b32 vcc_lo, exec_lo, s23
	s_cbranch_vccz .LBB135_207
; %bb.194:                              ;   in Loop: Header=BB135_12 Depth=1
	s_and_b64 s[10:11], s[66:67], 0xffffffff00000000
	s_delay_alu instid0(SALU_CYCLE_1)
	s_cmp_lg_u64 s[10:11], 0
	s_cbranch_scc0 .LBB135_226
; %bb.195:                              ;   in Loop: Header=BB135_12 Depth=1
	s_cvt_f32_u32 s10, s48
	s_sub_nc_u64 s[20:21], 0, s[48:49]
	s_delay_alu instid0(SALU_CYCLE_2) | instskip(NEXT) | instid1(SALU_CYCLE_3)
	s_fmamk_f32 s10, s101, 0x0, s10
	v_s_rcp_f32 s10, s10
	s_delay_alu instid0(TRANS32_DEP_1) | instskip(NEXT) | instid1(SALU_CYCLE_3)
	s_mul_f32 s10, s10, 0x5f7ffffc
	s_mul_f32 s11, s10, 0x2f800000
	s_delay_alu instid0(SALU_CYCLE_3) | instskip(NEXT) | instid1(SALU_CYCLE_3)
	s_trunc_f32 s11, s11
	s_fmamk_f32 s10, s11, 0xcf800000, s10
	s_cvt_u32_f32 s11, s11
	s_delay_alu instid0(SALU_CYCLE_2) | instskip(NEXT) | instid1(SALU_CYCLE_3)
	s_cvt_u32_f32 s10, s10
	s_mul_u64 s[44:45], s[20:21], s[10:11]
	s_delay_alu instid0(SALU_CYCLE_1)
	s_mul_hi_u32 s47, s10, s45
	s_mul_i32 s46, s10, s45
	s_mul_hi_u32 s28, s10, s44
	s_mul_i32 s52, s11, s44
	s_add_nc_u64 s[46:47], s[28:29], s[46:47]
	s_mul_hi_u32 s23, s11, s44
	s_mul_hi_u32 s53, s11, s45
	s_add_co_u32 s28, s46, s52
	s_add_co_ci_u32 s28, s47, s23
	s_mul_i32 s44, s11, s45
	s_add_co_ci_u32 s45, s53, 0
	s_delay_alu instid0(SALU_CYCLE_1) | instskip(NEXT) | instid1(SALU_CYCLE_1)
	s_add_nc_u64 s[44:45], s[28:29], s[44:45]
	s_add_co_u32 s10, s10, s44
	s_cselect_b32 s23, -1, 0
	s_delay_alu instid0(SALU_CYCLE_1) | instskip(SKIP_1) | instid1(SALU_CYCLE_1)
	s_cmp_lg_u32 s23, 0
	s_add_co_ci_u32 s11, s11, s45
	s_mul_u64 s[20:21], s[20:21], s[10:11]
	s_delay_alu instid0(SALU_CYCLE_1)
	s_mul_hi_u32 s45, s10, s21
	s_mul_i32 s44, s10, s21
	s_mul_hi_u32 s28, s10, s20
	s_mul_i32 s46, s11, s20
	s_add_nc_u64 s[44:45], s[28:29], s[44:45]
	s_mul_hi_u32 s23, s11, s20
	s_mul_hi_u32 s47, s11, s21
	s_mul_i32 s20, s11, s21
	s_add_co_u32 s21, s44, s46
	s_add_co_ci_u32 s28, s45, s23
	s_add_co_ci_u32 s21, s47, 0
	s_delay_alu instid0(SALU_CYCLE_1) | instskip(NEXT) | instid1(SALU_CYCLE_1)
	s_add_nc_u64 s[20:21], s[28:29], s[20:21]
	s_add_co_u32 s10, s10, s20
	s_cselect_b32 s20, -1, 0
	s_mul_hi_u32 s28, s66, s10
	s_cmp_lg_u32 s20, 0
	s_mul_hi_u32 s23, s67, s10
	s_add_co_ci_u32 s20, s11, s21
	s_mul_i32 s21, s67, s10
	s_mul_hi_u32 s11, s66, s20
	s_mul_i32 s10, s66, s20
	s_mul_hi_u32 s44, s67, s20
	s_add_nc_u64 s[10:11], s[28:29], s[10:11]
	s_mul_i32 s20, s67, s20
	s_add_co_u32 s10, s10, s21
	s_add_co_ci_u32 s28, s11, s23
	s_add_co_ci_u32 s21, s44, 0
	s_delay_alu instid0(SALU_CYCLE_1) | instskip(NEXT) | instid1(SALU_CYCLE_1)
	s_add_nc_u64 s[10:11], s[28:29], s[20:21]
	s_and_b64 s[20:21], s[10:11], 0xffffffff00000000
	s_delay_alu instid0(SALU_CYCLE_1) | instskip(NEXT) | instid1(SALU_CYCLE_1)
	s_or_b32 s20, s20, s10
	s_mul_u64 s[10:11], s[48:49], s[20:21]
	s_delay_alu instid0(SALU_CYCLE_1) | instskip(SKIP_1) | instid1(SALU_CYCLE_1)
	s_sub_co_u32 s10, s66, s10
	s_cselect_b32 s20, -1, 0
	s_cmp_lg_u32 s20, 0
	s_sub_co_ci_u32 s11, s67, s11
	s_sub_co_u32 s20, s10, s48
	s_cselect_b32 s21, -1, 0
	s_delay_alu instid0(SALU_CYCLE_1) | instskip(SKIP_3) | instid1(SALU_CYCLE_1)
	s_cmp_lg_u32 s21, 0
	s_sub_co_ci_u32 s21, s11, 0
	s_sub_co_u32 s23, s20, s48
	s_cselect_b32 s28, -1, 0
	s_cmp_lg_u32 s28, 0
	s_sub_co_ci_u32 s28, s21, 0
	s_cmp_ge_u32 s20, s48
	s_cselect_b32 s44, -1, 0
	s_cmp_eq_u32 s21, 0
	s_cselect_b32 s44, s44, -1
	s_delay_alu instid0(SALU_CYCLE_1)
	s_cmp_lg_u32 s44, 0
	s_cselect_b32 s21, s28, s21
	s_cselect_b32 s20, s23, s20
	s_cmp_ge_u32 s10, s48
	s_cselect_b32 s23, -1, 0
	s_cmp_eq_u32 s11, 0
	s_cselect_b32 s23, s23, -1
	s_delay_alu instid0(SALU_CYCLE_1)
	s_cmp_lg_u32 s23, 0
	s_cselect_b32 s11, s21, s11
	s_cselect_b32 s10, s20, s10
	s_cbranch_execnz .LBB135_197
.LBB135_196:                            ;   in Loop: Header=BB135_12 Depth=1
	v_cvt_f32_u32_e32 v4, s48
	s_sub_co_i32 s11, 0, s48
	s_delay_alu instid0(VALU_DEP_1) | instskip(SKIP_1) | instid1(TRANS32_DEP_1)
	v_rcp_iflag_f32_e32 v4, v4
	v_nop
	v_mul_f32_e32 v4, 0x4f7ffffe, v4
	s_delay_alu instid0(VALU_DEP_1) | instskip(NEXT) | instid1(VALU_DEP_1)
	v_cvt_u32_f32_e32 v4, v4
	v_readfirstlane_b32 s10, v4
	s_mul_i32 s11, s11, s10
	s_delay_alu instid0(SALU_CYCLE_1) | instskip(NEXT) | instid1(SALU_CYCLE_1)
	s_mul_hi_u32 s11, s10, s11
	s_add_co_i32 s10, s10, s11
	s_delay_alu instid0(SALU_CYCLE_1) | instskip(NEXT) | instid1(SALU_CYCLE_1)
	s_mul_hi_u32 s10, s66, s10
	s_mul_i32 s10, s10, s48
	s_delay_alu instid0(SALU_CYCLE_1) | instskip(NEXT) | instid1(SALU_CYCLE_1)
	s_sub_co_i32 s10, s66, s10
	s_sub_co_i32 s11, s10, s48
	s_cmp_ge_u32 s10, s48
	s_cselect_b32 s10, s11, s10
	s_delay_alu instid0(SALU_CYCLE_1) | instskip(SKIP_2) | instid1(SALU_CYCLE_1)
	s_sub_co_i32 s11, s10, s48
	s_cmp_ge_u32 s10, s48
	s_cselect_b32 s28, s11, s10
	s_mov_b64 s[10:11], s[28:29]
.LBB135_197:                            ;   in Loop: Header=BB135_12 Depth=1
	s_delay_alu instid0(SALU_CYCLE_1)
	s_sub_nc_u64 s[10:11], s[66:67], s[10:11]
	s_mov_b32 s20, exec_lo
                                        ; implicit-def: $vgpr10
	v_nop
	v_cmpx_gt_u64_e64 s[10:11], v[0:1]
	s_cbranch_execz .LBB135_206
; %bb.198:                              ;   in Loop: Header=BB135_12 Depth=1
	v_mov_b64_e32 v[4:5], v[0:1]
	s_mov_b32 s21, 0
                                        ; implicit-def: $sgpr23
	s_branch .LBB135_201
.LBB135_199:                            ;   in Loop: Header=BB135_201 Depth=2
	s_or_b32 exec_lo, exec_lo, s28
	s_wait_dscnt 0x0
	s_barrier_signal -1
	s_barrier_wait -1
	ds_load_u16 v10, v3 offset:3072
	s_mov_b32 s44, -1
	s_mov_b32 s28, -1
	s_wait_dscnt 0x0
	s_barrier_signal -1
	s_barrier_wait -1
	v_and_b32_e32 v11, 0xff, v10
	s_delay_alu instid0(VALU_DEP_1)
	v_cmp_eq_u32_e32 vcc_lo, 0, v11
	s_cbranch_vccnz .LBB135_204
.LBB135_200:                            ;   in Loop: Header=BB135_201 Depth=2
	s_and_b32 s8, exec_lo, s44
	s_delay_alu instid0(SALU_CYCLE_1) | instskip(SKIP_2) | instid1(SALU_CYCLE_1)
	s_or_b32 s21, s8, s21
	s_and_not1_b32 s8, s23, exec_lo
	s_and_b32 s23, s28, exec_lo
	s_or_b32 s23, s8, s23
	s_and_not1_b32 exec_lo, exec_lo, s21
	s_cbranch_execz .LBB135_205
.LBB135_201:                            ;   Parent Loop BB135_12 Depth=1
                                        ; =>  This Inner Loop Header: Depth=2
	s_mov_b32 s28, exec_lo
	s_delay_alu instid0(VALU_DEP_1)
	v_cmpx_gt_u64_e64 s[36:37], v[4:5]
	s_cbranch_execz .LBB135_199
; %bb.202:                              ;   in Loop: Header=BB135_201 Depth=2
	v_mad_nc_u64_u32 v[10:11], v4, s30, s[34:35]
	s_delay_alu instid0(VALU_DEP_1) | instskip(NEXT) | instid1(VALU_DEP_1)
	v_mad_u32 v11, v5, s30, v11
	v_mad_u32 v11, v4, s31, v11
	global_load_u8 v10, v[10:11], off
	s_wait_loadcnt 0x0
	s_wait_xcnt 0x0
	v_bfe_i32 v11, v10, 0, 8
	s_delay_alu instid0(VALU_DEP_1) | instskip(NEXT) | instid1(VALU_DEP_1)
	v_add_nc_u32_e32 v11, 0x80, v11
	v_and_b32_e32 v11, v11, v9
	s_delay_alu instid0(VALU_DEP_1)
	v_cmp_eq_u32_e32 vcc_lo, v11, v8
	s_and_b32 exec_lo, exec_lo, vcc_lo
	s_cbranch_execz .LBB135_199
; %bb.203:                              ;   in Loop: Header=BB135_201 Depth=2
	v_lshlrev_b16 v10, 8, v10
	s_delay_alu instid0(VALU_DEP_1)
	v_or_b32_e32 v10, 1, v10
	ds_store_b16 v3, v10 offset:3072
	s_branch .LBB135_199
.LBB135_204:                            ;   in Loop: Header=BB135_201 Depth=2
	v_add_nc_u64_e32 v[4:5], s[48:49], v[4:5]
	s_mov_b32 s28, 0
	s_delay_alu instid0(VALU_DEP_1)
	v_cmp_le_u64_e32 vcc_lo, s[10:11], v[4:5]
	s_or_not1_b32 s44, vcc_lo, exec_lo
	s_branch .LBB135_200
.LBB135_205:                            ;   in Loop: Header=BB135_12 Depth=1
	s_or_b32 exec_lo, exec_lo, s21
	v_and_b32_e32 v4, 0xffff, v10
	s_and_not1_b32 s8, s22, exec_lo
	s_and_b32 s10, s23, exec_lo
	s_delay_alu instid0(SALU_CYCLE_1) | instskip(NEXT) | instid1(VALU_DEP_1)
	s_or_b32 s22, s8, s10
	v_lshrrev_b32_e32 v10, 8, v4
.LBB135_206:                            ;   in Loop: Header=BB135_12 Depth=1
	s_or_b32 exec_lo, exec_lo, s20
	s_mov_b32 s79, 0
	s_mov_b32 s80, -1
.LBB135_207:                            ;   in Loop: Header=BB135_12 Depth=1
	s_or_not1_b32 s10, s22, exec_lo
.LBB135_208:                            ;   in Loop: Header=BB135_12 Depth=1
	s_or_b32 exec_lo, exec_lo, s81
	s_mov_b32 s11, 0
	s_and_saveexec_b32 s81, s10
	s_cbranch_execz .LBB135_270
; %bb.209:                              ;   in Loop: Header=BB135_12 Depth=1
	v_mov_b64_e32 v[4:5], 1
	v_mov_b32_e32 v2, 1
	s_xor_b32 s20, s82, -1
	s_delay_alu instid0(SALU_CYCLE_1)
	s_and_saveexec_b32 s10, s20
	s_cbranch_execz .LBB135_218
; %bb.210:                              ;   in Loop: Header=BB135_12 Depth=1
	s_mov_b32 s11, exec_lo
	v_cmpx_ge_u64_e64 s[16:17], v[6:7]
	s_xor_b32 s11, exec_lo, s11
	s_cbranch_execz .LBB135_215
; %bb.211:                              ;   in Loop: Header=BB135_12 Depth=1
	ds_load_b64 v[4:5], v3 offset:5120
	s_lshl_b32 s20, 2, s99
	v_or_b32_e32 v9, s24, v9
	v_and_or_b32 v8, v8, s25, s20
	s_wait_dscnt 0x0
	v_cmp_ne_u64_e32 vcc_lo, 0, v[4:5]
	s_cbranch_vccnz .LBB135_215
; %bb.212:                              ;   in Loop: Header=BB135_12 Depth=1
	s_and_saveexec_b32 s20, s5
; %bb.213:                              ;   in Loop: Header=BB135_12 Depth=1
	v_mov_b64_e32 v[4:5], s[16:17]
	ds_store_b64 v3, v[4:5] offset:5128
; %bb.214:                              ;   in Loop: Header=BB135_12 Depth=1
	s_or_b32 exec_lo, exec_lo, s20
	s_wait_dscnt 0x0
	s_barrier_signal -1
	s_barrier_wait -1
.LBB135_215:                            ;   in Loop: Header=BB135_12 Depth=1
	s_or_saveexec_b32 s11, s11
	v_mov_b32_e32 v2, 8
	s_mov_b32 s20, 0
	s_xor_b32 exec_lo, exec_lo, s11
; %bb.216:                              ;   in Loop: Header=BB135_12 Depth=1
	v_sub_nc_u64_e64 v[6:7], v[6:7], s[16:17]
	v_mov_b32_e32 v2, 0
	s_mov_b32 s20, exec_lo
; %bb.217:                              ;   in Loop: Header=BB135_12 Depth=1
	s_or_b32 exec_lo, exec_lo, s11
	s_delay_alu instid0(VALU_DEP_2)
	v_mov_b64_e32 v[4:5], v[6:7]
	s_and_b32 s11, s20, exec_lo
.LBB135_218:                            ;   in Loop: Header=BB135_12 Depth=1
	s_or_b32 exec_lo, exec_lo, s10
	s_mov_b32 s10, -1
                                        ; implicit-def: $sgpr44
                                        ; implicit-def: $sgpr85
	s_and_saveexec_b32 s82, s11
	s_cbranch_execz .LBB135_269
; %bb.219:                              ;   in Loop: Header=BB135_12 Depth=1
	s_delay_alu instid0(VALU_DEP_1) | instskip(SKIP_3) | instid1(SALU_CYCLE_1)
	v_cmp_eq_u64_e32 vcc_lo, 1, v[4:5]
	s_cmp_eq_u64 s[18:19], 1
	s_mov_b32 s11, -1
	s_cselect_b32 s10, -1, 0
                                        ; implicit-def: $sgpr44
                                        ; implicit-def: $sgpr85
	s_and_b32 s83, s10, vcc_lo
	s_delay_alu instid0(SALU_CYCLE_1)
	s_and_saveexec_b32 s84, s83
	s_cbranch_execz .LBB135_257
; %bb.220:                              ;   in Loop: Header=BB135_12 Depth=1
	ds_load_b64 v[6:7], v3 offset:5120
	s_wait_dscnt 0x0
	s_barrier_signal -1
	s_barrier_wait -1
	v_readfirstlane_b32 s10, v6
	v_readfirstlane_b32 s11, v7
	s_and_saveexec_b32 s20, s6
; %bb.221:                              ;   in Loop: Header=BB135_12 Depth=1
	ds_store_b8 v0, v3 offset:3072
; %bb.222:                              ;   in Loop: Header=BB135_12 Depth=1
	s_or_b32 exec_lo, exec_lo, s20
	v_or_b32_e32 v8, s24, v8
	v_or_b32_e32 v9, s24, v9
	s_mov_b32 s85, -1
	s_mov_b32 s44, 0
	s_cmp_eq_u64 s[10:11], 0
	s_mov_b32 s22, 0
	s_mov_b32 s23, -1
	s_wait_dscnt 0x0
	s_barrier_signal -1
	s_barrier_wait -1
                                        ; implicit-def: $vgpr10
	s_cbranch_scc1 .LBB135_240
; %bb.223:                              ;   in Loop: Header=BB135_12 Depth=1
	s_add_nc_u64 s[20:21], s[10:11], s[64:65]
	s_wait_kmcnt 0x0
	s_mov_b64 s[56:57], s[58:59]
	s_and_b64 s[22:23], s[20:21], 0xffffffff00000000
	s_mov_b32 s58, s7
	s_mov_b32 s7, s55
	s_cmp_lg_u64 s[22:23], 0
	s_cbranch_scc0 .LBB135_227
; %bb.224:                              ;   in Loop: Header=BB135_12 Depth=1
	s_cvt_f32_u32 s22, s48
	s_sub_nc_u64 s[46:47], 0, s[48:49]
	s_delay_alu instid0(SALU_CYCLE_2) | instskip(NEXT) | instid1(SALU_CYCLE_3)
	s_fmamk_f32 s22, s101, 0x0, s22
	v_s_rcp_f32 s22, s22
	s_delay_alu instid0(TRANS32_DEP_1) | instskip(NEXT) | instid1(SALU_CYCLE_3)
	s_mul_f32 s22, s22, 0x5f7ffffc
	s_mul_f32 s23, s22, 0x2f800000
	s_delay_alu instid0(SALU_CYCLE_3) | instskip(NEXT) | instid1(SALU_CYCLE_3)
	s_trunc_f32 s23, s23
	s_fmamk_f32 s22, s23, 0xcf800000, s22
	s_cvt_u32_f32 s23, s23
	s_delay_alu instid0(SALU_CYCLE_2) | instskip(NEXT) | instid1(SALU_CYCLE_3)
	s_cvt_u32_f32 s22, s22
	s_mul_u64 s[52:53], s[46:47], s[22:23]
	s_delay_alu instid0(SALU_CYCLE_1)
	s_mul_hi_u32 s55, s22, s53
	s_mul_i32 s54, s22, s53
	s_mul_hi_u32 s28, s22, s52
	s_mul_i32 vcc_lo, s23, s52
	s_add_nc_u64 s[54:55], s[28:29], s[54:55]
	s_mul_hi_u32 s45, s23, s52
	s_mul_hi_u32 s8, s23, s53
	s_add_co_u32 s28, s54, vcc_lo
	s_add_co_ci_u32 s28, s55, s45
	s_mul_i32 s52, s23, s53
	s_add_co_ci_u32 s53, s8, 0
	s_delay_alu instid0(SALU_CYCLE_1) | instskip(NEXT) | instid1(SALU_CYCLE_1)
	s_add_nc_u64 s[52:53], s[28:29], s[52:53]
	s_add_co_u32 s22, s22, s52
	s_cselect_b32 s8, -1, 0
	s_delay_alu instid0(SALU_CYCLE_1) | instskip(SKIP_1) | instid1(SALU_CYCLE_1)
	s_cmp_lg_u32 s8, 0
	s_add_co_ci_u32 s23, s23, s53
	s_mul_u64 s[46:47], s[46:47], s[22:23]
	s_delay_alu instid0(SALU_CYCLE_1)
	s_mul_hi_u32 s53, s22, s47
	s_mul_i32 s52, s22, s47
	s_mul_hi_u32 s28, s22, s46
	s_mul_i32 s45, s23, s46
	s_add_nc_u64 s[52:53], s[28:29], s[52:53]
	s_mul_hi_u32 s8, s23, s46
	s_mul_hi_u32 s54, s23, s47
	s_add_co_u32 s28, s52, s45
	s_add_co_ci_u32 s28, s53, s8
	s_mul_i32 s46, s23, s47
	s_add_co_ci_u32 s47, s54, 0
	s_delay_alu instid0(SALU_CYCLE_1) | instskip(NEXT) | instid1(SALU_CYCLE_1)
	s_add_nc_u64 s[46:47], s[28:29], s[46:47]
	s_add_co_u32 s8, s22, s46
	s_cselect_b32 s22, -1, 0
	s_mul_hi_u32 s28, s20, s8
	s_cmp_lg_u32 s22, 0
	s_mul_hi_u32 s45, s21, s8
	s_add_co_ci_u32 s46, s23, s47
	s_mul_i32 s8, s21, s8
	s_mul_hi_u32 s23, s20, s46
	s_mul_i32 s22, s20, s46
	s_mul_hi_u32 s47, s21, s46
	s_add_nc_u64 s[22:23], s[28:29], s[22:23]
	s_mul_i32 s46, s21, s46
	s_add_co_u32 s8, s22, s8
	s_add_co_ci_u32 s28, s23, s45
	s_add_co_ci_u32 s47, s47, 0
	s_delay_alu instid0(SALU_CYCLE_1) | instskip(NEXT) | instid1(SALU_CYCLE_1)
	s_add_nc_u64 s[22:23], s[28:29], s[46:47]
	s_and_b64 s[46:47], s[22:23], 0xffffffff00000000
	s_delay_alu instid0(SALU_CYCLE_1) | instskip(NEXT) | instid1(SALU_CYCLE_1)
	s_or_b32 s46, s46, s22
	s_mul_u64 s[22:23], s[48:49], s[46:47]
	s_delay_alu instid0(SALU_CYCLE_1) | instskip(SKIP_1) | instid1(SALU_CYCLE_1)
	s_sub_co_u32 s8, s20, s22
	s_cselect_b32 s22, -1, 0
	s_cmp_lg_u32 s22, 0
	s_sub_co_ci_u32 s22, s21, s23
	s_sub_co_u32 s23, s8, s48
	s_cselect_b32 s28, -1, 0
	s_delay_alu instid0(SALU_CYCLE_1) | instskip(SKIP_3) | instid1(SALU_CYCLE_1)
	s_cmp_lg_u32 s28, 0
	s_sub_co_ci_u32 s28, s22, 0
	s_sub_co_u32 s45, s23, s48
	s_cselect_b32 s46, -1, 0
	s_cmp_lg_u32 s46, 0
	s_sub_co_ci_u32 s46, s28, 0
	s_cmp_ge_u32 s23, s48
	s_cselect_b32 s47, -1, 0
	s_cmp_eq_u32 s28, 0
	s_cselect_b32 s47, s47, -1
	s_delay_alu instid0(SALU_CYCLE_1)
	s_cmp_lg_u32 s47, 0
	s_cselect_b32 s28, s46, s28
	s_cselect_b32 s45, s45, s23
	s_cmp_ge_u32 s8, s48
	s_cselect_b32 s23, -1, 0
	s_cmp_eq_u32 s22, 0
	s_cselect_b32 s23, s23, -1
	s_delay_alu instid0(SALU_CYCLE_1)
	s_cmp_lg_u32 s23, 0
	s_cselect_b32 s23, s28, s22
	s_cselect_b32 s22, s45, s8
	s_mov_b32 s28, 0
	s_branch .LBB135_228
.LBB135_225:                            ;   in Loop: Header=BB135_12 Depth=1
                                        ; implicit-def: $sgpr22_sgpr23
	s_branch .LBB135_180
.LBB135_226:                            ;   in Loop: Header=BB135_12 Depth=1
                                        ; implicit-def: $sgpr10_sgpr11
	s_branch .LBB135_196
.LBB135_227:                            ;   in Loop: Header=BB135_12 Depth=1
	s_mov_b32 s28, -1
                                        ; implicit-def: $sgpr22_sgpr23
.LBB135_228:                            ;   in Loop: Header=BB135_12 Depth=1
	s_delay_alu instid0(SALU_CYCLE_1)
	s_and_not1_b32 vcc_lo, exec_lo, s28
	s_cbranch_vccnz .LBB135_230
; %bb.229:                              ;   in Loop: Header=BB135_12 Depth=1
	v_cvt_f32_u32_e32 v6, s48
	s_sub_co_i32 s23, 0, s48
	s_delay_alu instid0(VALU_DEP_1) | instskip(SKIP_1) | instid1(TRANS32_DEP_1)
	v_rcp_iflag_f32_e32 v6, v6
	v_nop
	v_mul_f32_e32 v6, 0x4f7ffffe, v6
	s_delay_alu instid0(VALU_DEP_1) | instskip(NEXT) | instid1(VALU_DEP_1)
	v_cvt_u32_f32_e32 v6, v6
	v_readfirstlane_b32 s22, v6
	s_mul_i32 s23, s23, s22
	s_delay_alu instid0(SALU_CYCLE_1) | instskip(NEXT) | instid1(SALU_CYCLE_1)
	s_mul_hi_u32 s23, s22, s23
	s_add_co_i32 s22, s22, s23
	s_delay_alu instid0(SALU_CYCLE_1) | instskip(NEXT) | instid1(SALU_CYCLE_1)
	s_mul_hi_u32 s22, s20, s22
	s_mul_i32 s22, s22, s48
	s_delay_alu instid0(SALU_CYCLE_1) | instskip(NEXT) | instid1(SALU_CYCLE_1)
	s_sub_co_i32 s22, s20, s22
	s_sub_co_i32 s23, s22, s48
	s_cmp_ge_u32 s22, s48
	s_cselect_b32 s22, s23, s22
	s_delay_alu instid0(SALU_CYCLE_1) | instskip(SKIP_2) | instid1(SALU_CYCLE_1)
	s_sub_co_i32 s23, s22, s48
	s_cmp_ge_u32 s22, s48
	s_cselect_b32 s28, s23, s22
	s_mov_b64 s[22:23], s[28:29]
.LBB135_230:                            ;   in Loop: Header=BB135_12 Depth=1
	s_delay_alu instid0(SALU_CYCLE_1)
	s_sub_nc_u64 s[20:21], s[20:21], s[22:23]
	s_mov_b32 s23, 0
	s_mov_b32 s22, 0
	s_mov_b32 s28, exec_lo
                                        ; implicit-def: $vgpr10
	v_cmpx_gt_u64_e64 s[20:21], v[0:1]
	s_mov_b32 s55, s7
	s_mov_b32 s7, s58
	s_mov_b64 s[58:59], s[56:57]
	s_load_b64 s[56:57], s[0:1], 0x380
	s_cbranch_execz .LBB135_239
; %bb.231:                              ;   in Loop: Header=BB135_12 Depth=1
	v_mov_b64_e32 v[6:7], v[0:1]
	v_mov_b32_e32 v10, v0
                                        ; implicit-def: $sgpr45
	s_branch .LBB135_234
.LBB135_232:                            ;   in Loop: Header=BB135_234 Depth=2
	s_or_b32 exec_lo, exec_lo, s46
	s_wait_dscnt 0x0
	s_barrier_signal -1
	s_barrier_wait -1
	ds_load_u16 v11, v3 offset:3072
	s_mov_b32 s46, -1
	s_mov_b32 s47, -1
	s_wait_dscnt 0x0
	s_barrier_signal -1
	s_barrier_wait -1
	v_and_b32_e32 v24, 0xff, v11
	s_delay_alu instid0(VALU_DEP_1)
	v_cmp_ne_u32_e32 vcc_lo, 0, v24
	s_cbranch_vccz .LBB135_237
.LBB135_233:                            ;   in Loop: Header=BB135_234 Depth=2
	s_and_b32 s8, exec_lo, s46
	s_delay_alu instid0(SALU_CYCLE_1) | instskip(SKIP_2) | instid1(SALU_CYCLE_1)
	s_or_b32 s22, s8, s22
	s_and_not1_b32 s8, s45, exec_lo
	s_and_b32 s45, s47, exec_lo
	s_or_b32 s45, s8, s45
	s_and_not1_b32 exec_lo, exec_lo, s22
	s_cbranch_execz .LBB135_238
.LBB135_234:                            ;   Parent Loop BB135_12 Depth=1
                                        ; =>  This Inner Loop Header: Depth=2
	s_mov_b32 s46, exec_lo
	s_delay_alu instid0(VALU_DEP_2)
	v_cmpx_gt_u64_e64 s[10:11], v[6:7]
	s_cbranch_execz .LBB135_232
; %bb.235:                              ;   in Loop: Header=BB135_234 Depth=2
	ds_load_u8 v11, v10
	s_wait_dscnt 0x0
	v_bfe_i32 v24, v11, 0, 8
	s_delay_alu instid0(VALU_DEP_1) | instskip(NEXT) | instid1(VALU_DEP_1)
	v_add_nc_u32_e32 v24, 0x80, v24
	v_and_b32_e32 v24, v24, v9
	s_delay_alu instid0(VALU_DEP_1)
	v_cmp_eq_u32_e32 vcc_lo, v24, v8
	s_and_b32 exec_lo, exec_lo, vcc_lo
	s_cbranch_execz .LBB135_232
; %bb.236:                              ;   in Loop: Header=BB135_234 Depth=2
	v_lshlrev_b16 v11, 8, v11
	s_delay_alu instid0(VALU_DEP_1)
	v_or_b32_e32 v11, 1, v11
	ds_store_b16 v3, v11 offset:3072
	s_branch .LBB135_232
.LBB135_237:                            ;   in Loop: Header=BB135_234 Depth=2
	v_add_nc_u64_e32 v[6:7], s[48:49], v[6:7]
	v_add_nc_u32_e32 v10, s48, v10
	s_mov_b32 s47, 0
	s_delay_alu instid0(VALU_DEP_2)
	v_cmp_le_u64_e32 vcc_lo, s[20:21], v[6:7]
	s_or_not1_b32 s46, vcc_lo, exec_lo
	s_branch .LBB135_233
.LBB135_238:                            ;   in Loop: Header=BB135_12 Depth=1
	s_or_b32 exec_lo, exec_lo, s22
	v_and_b32_e32 v6, 0xffff, v11
	s_and_b32 s22, s45, exec_lo
	s_delay_alu instid0(VALU_DEP_1)
	v_lshrrev_b32_e32 v10, 8, v6
.LBB135_239:                            ;   in Loop: Header=BB135_12 Depth=1
	s_or_b32 exec_lo, exec_lo, s28
.LBB135_240:                            ;   in Loop: Header=BB135_12 Depth=1
	s_delay_alu instid0(SALU_CYCLE_1)
	s_and_b32 vcc_lo, exec_lo, s23
	s_cbranch_vccz .LBB135_256
; %bb.241:                              ;   in Loop: Header=BB135_12 Depth=1
	s_and_b64 s[10:11], s[66:67], 0xffffffff00000000
	s_delay_alu instid0(SALU_CYCLE_1)
	s_cmp_lg_u64 s[10:11], 0
	s_cbranch_scc0 .LBB135_243
; %bb.242:                              ;   in Loop: Header=BB135_12 Depth=1
	s_cvt_f32_u32 s8, s48
	s_sub_nc_u64 s[20:21], 0, s[48:49]
	s_delay_alu instid0(SALU_CYCLE_2) | instskip(NEXT) | instid1(SALU_CYCLE_3)
	s_fmamk_f32 s8, s101, 0x0, s8
	v_s_rcp_f32 s8, s8
	s_delay_alu instid0(TRANS32_DEP_1) | instskip(NEXT) | instid1(SALU_CYCLE_3)
	s_mul_f32 s8, s8, 0x5f7ffffc
	s_mul_f32 s10, s8, 0x2f800000
	s_delay_alu instid0(SALU_CYCLE_3) | instskip(NEXT) | instid1(SALU_CYCLE_3)
	s_trunc_f32 s10, s10
	s_fmamk_f32 s8, s10, 0xcf800000, s8
	s_cvt_u32_f32 s11, s10
	s_delay_alu instid0(SALU_CYCLE_2) | instskip(NEXT) | instid1(SALU_CYCLE_3)
	s_cvt_u32_f32 s10, s8
	s_mul_u64 s[44:45], s[20:21], s[10:11]
	s_delay_alu instid0(SALU_CYCLE_1)
	s_mul_hi_u32 s47, s10, s45
	s_mul_i32 s46, s10, s45
	s_mul_hi_u32 s28, s10, s44
	s_mul_i32 s23, s11, s44
	s_add_nc_u64 s[46:47], s[28:29], s[46:47]
	s_mul_hi_u32 s8, s11, s44
	s_mul_hi_u32 s52, s11, s45
	s_add_co_u32 s23, s46, s23
	s_add_co_ci_u32 s28, s47, s8
	s_mul_i32 s44, s11, s45
	s_add_co_ci_u32 s45, s52, 0
	s_delay_alu instid0(SALU_CYCLE_1) | instskip(NEXT) | instid1(SALU_CYCLE_1)
	s_add_nc_u64 s[44:45], s[28:29], s[44:45]
	s_add_co_u32 s10, s10, s44
	s_cselect_b32 s8, -1, 0
	s_delay_alu instid0(SALU_CYCLE_1) | instskip(SKIP_1) | instid1(SALU_CYCLE_1)
	s_cmp_lg_u32 s8, 0
	s_add_co_ci_u32 s11, s11, s45
	s_mul_u64 s[20:21], s[20:21], s[10:11]
	s_delay_alu instid0(SALU_CYCLE_1)
	s_mul_hi_u32 s45, s10, s21
	s_mul_i32 s44, s10, s21
	s_mul_hi_u32 s28, s10, s20
	s_mul_i32 s23, s11, s20
	s_add_nc_u64 s[44:45], s[28:29], s[44:45]
	s_mul_hi_u32 s8, s11, s20
	s_mul_hi_u32 s46, s11, s21
	s_mul_i32 s20, s11, s21
	s_add_co_u32 s21, s44, s23
	s_add_co_ci_u32 s28, s45, s8
	s_add_co_ci_u32 s21, s46, 0
	s_delay_alu instid0(SALU_CYCLE_1) | instskip(NEXT) | instid1(SALU_CYCLE_1)
	s_add_nc_u64 s[20:21], s[28:29], s[20:21]
	s_add_co_u32 s8, s10, s20
	s_cselect_b32 s10, -1, 0
	s_mul_hi_u32 s28, s66, s8
	s_cmp_lg_u32 s10, 0
	s_mul_hi_u32 s23, s67, s8
	s_add_co_ci_u32 s20, s11, s21
	s_mul_i32 s8, s67, s8
	s_mul_hi_u32 s11, s66, s20
	s_mul_i32 s10, s66, s20
	s_mul_hi_u32 s21, s67, s20
	s_add_nc_u64 s[10:11], s[28:29], s[10:11]
	s_mul_i32 s20, s67, s20
	s_add_co_u32 s8, s10, s8
	s_add_co_ci_u32 s28, s11, s23
	s_add_co_ci_u32 s21, s21, 0
	s_delay_alu instid0(SALU_CYCLE_1) | instskip(NEXT) | instid1(SALU_CYCLE_1)
	s_add_nc_u64 s[10:11], s[28:29], s[20:21]
	s_and_b64 s[20:21], s[10:11], 0xffffffff00000000
	s_delay_alu instid0(SALU_CYCLE_1) | instskip(NEXT) | instid1(SALU_CYCLE_1)
	s_or_b32 s20, s20, s10
	s_mul_u64 s[10:11], s[48:49], s[20:21]
	s_delay_alu instid0(SALU_CYCLE_1) | instskip(SKIP_1) | instid1(SALU_CYCLE_1)
	s_sub_co_u32 s8, s66, s10
	s_cselect_b32 s10, -1, 0
	s_cmp_lg_u32 s10, 0
	s_sub_co_ci_u32 s10, s67, s11
	s_sub_co_u32 s11, s8, s48
	s_cselect_b32 s20, -1, 0
	s_delay_alu instid0(SALU_CYCLE_1) | instskip(SKIP_3) | instid1(SALU_CYCLE_1)
	s_cmp_lg_u32 s20, 0
	s_sub_co_ci_u32 s20, s10, 0
	s_sub_co_u32 s21, s11, s48
	s_cselect_b32 s23, -1, 0
	s_cmp_lg_u32 s23, 0
	s_sub_co_ci_u32 s23, s20, 0
	s_cmp_ge_u32 s11, s48
	s_cselect_b32 s28, -1, 0
	s_cmp_eq_u32 s20, 0
	s_cselect_b32 s28, s28, -1
	s_delay_alu instid0(SALU_CYCLE_1)
	s_cmp_lg_u32 s28, 0
	s_cselect_b32 s20, s23, s20
	s_cselect_b32 s21, s21, s11
	s_cmp_ge_u32 s8, s48
	s_cselect_b32 s11, -1, 0
	s_cmp_eq_u32 s10, 0
	s_cselect_b32 s11, s11, -1
	s_delay_alu instid0(SALU_CYCLE_1)
	s_cmp_lg_u32 s11, 0
	s_cselect_b32 s11, s20, s10
	s_cselect_b32 s10, s21, s8
	s_mov_b32 s20, 0
	s_branch .LBB135_244
.LBB135_243:                            ;   in Loop: Header=BB135_12 Depth=1
	s_mov_b32 s20, -1
                                        ; implicit-def: $sgpr10_sgpr11
.LBB135_244:                            ;   in Loop: Header=BB135_12 Depth=1
	s_delay_alu instid0(SALU_CYCLE_1)
	s_and_not1_b32 vcc_lo, exec_lo, s20
	s_cbranch_vccnz .LBB135_246
; %bb.245:                              ;   in Loop: Header=BB135_12 Depth=1
	v_cvt_f32_u32_e32 v6, s48
	s_sub_co_i32 s10, 0, s48
	s_delay_alu instid0(VALU_DEP_1) | instskip(SKIP_1) | instid1(TRANS32_DEP_1)
	v_rcp_iflag_f32_e32 v6, v6
	v_nop
	v_mul_f32_e32 v6, 0x4f7ffffe, v6
	s_delay_alu instid0(VALU_DEP_1) | instskip(NEXT) | instid1(VALU_DEP_1)
	v_cvt_u32_f32_e32 v6, v6
	v_readfirstlane_b32 s8, v6
	s_mul_i32 s10, s10, s8
	s_delay_alu instid0(SALU_CYCLE_1) | instskip(NEXT) | instid1(SALU_CYCLE_1)
	s_mul_hi_u32 s10, s8, s10
	s_add_co_i32 s8, s8, s10
	s_delay_alu instid0(SALU_CYCLE_1) | instskip(NEXT) | instid1(SALU_CYCLE_1)
	s_mul_hi_u32 s8, s66, s8
	s_mul_i32 s8, s8, s48
	s_delay_alu instid0(SALU_CYCLE_1) | instskip(NEXT) | instid1(SALU_CYCLE_1)
	s_sub_co_i32 s8, s66, s8
	s_sub_co_i32 s10, s8, s48
	s_cmp_ge_u32 s8, s48
	s_cselect_b32 s8, s10, s8
	s_delay_alu instid0(SALU_CYCLE_1) | instskip(SKIP_2) | instid1(SALU_CYCLE_1)
	s_sub_co_i32 s10, s8, s48
	s_cmp_ge_u32 s8, s48
	s_cselect_b32 s28, s10, s8
	s_mov_b64 s[10:11], s[28:29]
.LBB135_246:                            ;   in Loop: Header=BB135_12 Depth=1
	s_delay_alu instid0(SALU_CYCLE_1)
	s_sub_nc_u64 s[10:11], s[66:67], s[10:11]
	s_mov_b32 s20, exec_lo
                                        ; implicit-def: $vgpr10
	v_cmpx_gt_u64_e64 s[10:11], v[0:1]
	s_cbranch_execz .LBB135_255
; %bb.247:                              ;   in Loop: Header=BB135_12 Depth=1
	v_mov_b64_e32 v[6:7], v[0:1]
	s_mov_b32 s21, 0
                                        ; implicit-def: $sgpr23
	s_branch .LBB135_250
.LBB135_248:                            ;   in Loop: Header=BB135_250 Depth=2
	s_or_b32 exec_lo, exec_lo, s28
	s_wait_dscnt 0x0
	s_barrier_signal -1
	s_barrier_wait -1
	ds_load_u16 v10, v3 offset:3072
	s_mov_b32 s44, -1
	s_mov_b32 s28, -1
	s_wait_dscnt 0x0
	s_barrier_signal -1
	s_barrier_wait -1
	v_and_b32_e32 v11, 0xff, v10
	s_delay_alu instid0(VALU_DEP_1)
	v_cmp_eq_u32_e32 vcc_lo, 0, v11
	s_cbranch_vccnz .LBB135_253
.LBB135_249:                            ;   in Loop: Header=BB135_250 Depth=2
	s_and_b32 s8, exec_lo, s44
	s_delay_alu instid0(SALU_CYCLE_1) | instskip(SKIP_2) | instid1(SALU_CYCLE_1)
	s_or_b32 s21, s8, s21
	s_and_not1_b32 s8, s23, exec_lo
	s_and_b32 s23, s28, exec_lo
	s_or_b32 s23, s8, s23
	s_and_not1_b32 exec_lo, exec_lo, s21
	s_cbranch_execz .LBB135_254
.LBB135_250:                            ;   Parent Loop BB135_12 Depth=1
                                        ; =>  This Inner Loop Header: Depth=2
	s_mov_b32 s28, exec_lo
	s_delay_alu instid0(VALU_DEP_1)
	v_cmpx_gt_u64_e64 s[36:37], v[6:7]
	s_cbranch_execz .LBB135_248
; %bb.251:                              ;   in Loop: Header=BB135_250 Depth=2
	v_mad_nc_u64_u32 v[10:11], v6, s30, s[34:35]
	s_delay_alu instid0(VALU_DEP_1) | instskip(NEXT) | instid1(VALU_DEP_1)
	v_mad_u32 v11, v7, s30, v11
	v_mad_u32 v11, v6, s31, v11
	global_load_u8 v10, v[10:11], off
	s_wait_loadcnt 0x0
	v_bfe_i32 v11, v10, 0, 8
	s_delay_alu instid0(VALU_DEP_1) | instskip(NEXT) | instid1(VALU_DEP_1)
	v_add_nc_u32_e32 v11, 0x80, v11
	v_and_b32_e32 v11, v11, v9
	s_delay_alu instid0(VALU_DEP_1)
	v_cmp_eq_u32_e32 vcc_lo, v11, v8
	s_and_b32 exec_lo, exec_lo, vcc_lo
	s_cbranch_execz .LBB135_248
; %bb.252:                              ;   in Loop: Header=BB135_250 Depth=2
	v_lshlrev_b16 v10, 8, v10
	s_delay_alu instid0(VALU_DEP_1)
	v_or_b32_e32 v10, 1, v10
	ds_store_b16 v3, v10 offset:3072
	s_branch .LBB135_248
.LBB135_253:                            ;   in Loop: Header=BB135_250 Depth=2
	v_add_nc_u64_e32 v[6:7], s[48:49], v[6:7]
	s_mov_b32 s28, 0
	s_delay_alu instid0(VALU_DEP_1)
	v_cmp_le_u64_e32 vcc_lo, s[10:11], v[6:7]
	s_or_not1_b32 s44, vcc_lo, exec_lo
	s_branch .LBB135_249
.LBB135_254:                            ;   in Loop: Header=BB135_12 Depth=1
	s_or_b32 exec_lo, exec_lo, s21
	v_and_b32_e32 v6, 0xffff, v10
	s_and_not1_b32 s8, s22, exec_lo
	s_and_b32 s10, s23, exec_lo
	s_delay_alu instid0(SALU_CYCLE_1) | instskip(NEXT) | instid1(VALU_DEP_1)
	s_or_b32 s22, s8, s10
	v_lshrrev_b32_e32 v10, 8, v6
.LBB135_255:                            ;   in Loop: Header=BB135_12 Depth=1
	s_or_b32 exec_lo, exec_lo, s20
	s_mov_b32 s85, 0
	s_mov_b32 s44, -1
.LBB135_256:                            ;   in Loop: Header=BB135_12 Depth=1
	s_or_not1_b32 s11, s22, exec_lo
.LBB135_257:                            ;   in Loop: Header=BB135_12 Depth=1
	s_or_b32 exec_lo, exec_lo, s84
	s_mov_b32 s20, 0
	s_and_saveexec_b32 s10, s11
	s_cbranch_execz .LBB135_268
; %bb.258:                              ;   in Loop: Header=BB135_12 Depth=1
	v_mov_b64_e32 v[6:7], 1
	v_mov_b32_e32 v2, 1
	s_xor_b32 s8, s83, -1
	s_delay_alu instid0(SALU_CYCLE_1)
	s_and_saveexec_b32 s11, s8
	s_cbranch_execz .LBB135_267
; %bb.259:                              ;   in Loop: Header=BB135_12 Depth=1
	s_mov_b32 s8, exec_lo
	v_cmpx_ge_u64_e64 s[18:19], v[4:5]
	s_xor_b32 s20, exec_lo, s8
	s_cbranch_execz .LBB135_264
; %bb.260:                              ;   in Loop: Header=BB135_12 Depth=1
	ds_load_b64 v[6:7], v3 offset:5120
	v_or_b32_e32 v8, s24, v8
	v_or_b32_e32 v9, s24, v9
	s_wait_dscnt 0x0
	v_cmp_ne_u64_e32 vcc_lo, 0, v[6:7]
	s_cbranch_vccnz .LBB135_264
; %bb.261:                              ;   in Loop: Header=BB135_12 Depth=1
	s_and_saveexec_b32 s21, s5
; %bb.262:                              ;   in Loop: Header=BB135_12 Depth=1
	v_mov_b64_e32 v[6:7], s[18:19]
	ds_store_b64 v3, v[6:7] offset:5128
; %bb.263:                              ;   in Loop: Header=BB135_12 Depth=1
	s_or_b32 exec_lo, exec_lo, s21
	s_wait_dscnt 0x0
	s_barrier_signal -1
	s_barrier_wait -1
.LBB135_264:                            ;   in Loop: Header=BB135_12 Depth=1
	s_and_not1_saveexec_b32 s20, s20
; %bb.265:                              ;   in Loop: Header=BB135_12 Depth=1
	v_sub_nc_u64_e64 v[4:5], v[4:5], s[18:19]
; %bb.266:                              ;   in Loop: Header=BB135_12 Depth=1
	s_or_b32 exec_lo, exec_lo, s20
	s_delay_alu instid0(VALU_DEP_1)
	v_mov_b64_e32 v[6:7], v[4:5]
	v_mov_b32_e32 v2, 8
.LBB135_267:                            ;   in Loop: Header=BB135_12 Depth=1
	s_or_b32 exec_lo, exec_lo, s11
	s_delay_alu instid0(VALU_DEP_2)
	v_mov_b64_e32 v[4:5], v[6:7]
	s_mov_b32 s20, exec_lo
.LBB135_268:                            ;   in Loop: Header=BB135_12 Depth=1
	s_or_b32 exec_lo, exec_lo, s10
	s_delay_alu instid0(SALU_CYCLE_1)
	s_or_not1_b32 s10, s20, exec_lo
.LBB135_269:                            ;   in Loop: Header=BB135_12 Depth=1
	s_or_b32 exec_lo, exec_lo, s82
	s_delay_alu instid0(VALU_DEP_1)
	v_mov_b64_e32 v[6:7], v[4:5]
	s_and_not1_b32 s11, s80, exec_lo
	s_and_b32 s20, s44, exec_lo
	s_and_not1_b32 s21, s79, exec_lo
	s_and_b32 s22, s85, exec_lo
	s_or_b32 s80, s11, s20
	s_or_b32 s79, s21, s22
	s_and_b32 s11, s10, exec_lo
.LBB135_270:                            ;   in Loop: Header=BB135_12 Depth=1
	s_or_b32 exec_lo, exec_lo, s81
	s_delay_alu instid0(SALU_CYCLE_1)
	s_or_not1_b32 s10, s11, exec_lo
.LBB135_271:                            ;   in Loop: Header=BB135_12 Depth=1
	s_or_b32 exec_lo, exec_lo, s78
	v_mov_b64_e32 v[4:5], v[6:7]
	s_and_not1_b32 s11, s76, exec_lo
	s_and_b32 s20, s80, exec_lo
	s_and_not1_b32 s21, s43, exec_lo
	s_and_b32 s22, s79, exec_lo
	s_or_b32 s76, s11, s20
	s_or_b32 s43, s21, s22
	s_and_b32 s11, s10, exec_lo
.LBB135_272:                            ;   in Loop: Header=BB135_12 Depth=1
	s_or_b32 exec_lo, exec_lo, s77
	s_delay_alu instid0(SALU_CYCLE_1)
	s_or_not1_b32 s10, s11, exec_lo
.LBB135_273:                            ;   in Loop: Header=BB135_12 Depth=1
	s_or_b32 exec_lo, exec_lo, s27
	s_mov_b32 s11, 0
	s_mov_b32 s20, 0
	s_and_saveexec_b32 s21, s10
	s_delay_alu instid0(SALU_CYCLE_1)
	s_xor_b32 s21, exec_lo, s21
; %bb.274:                              ;   in Loop: Header=BB135_12 Depth=1
	v_cmp_ne_u32_e32 vcc_lo, 8, v2
	v_cmp_eq_u32_e64 s10, 8, v2
	s_and_b32 s20, vcc_lo, exec_lo
	s_and_b32 s11, s10, exec_lo
; %bb.275:                              ;   in Loop: Header=BB135_12 Depth=1
	s_or_b32 exec_lo, exec_lo, s21
	s_delay_alu instid0(SALU_CYCLE_1)
	s_and_not1_b32 s10, s73, exec_lo
	s_and_b32 s21, s76, exec_lo
	s_and_not1_b32 s22, s72, exec_lo
	s_and_b32 s23, s43, exec_lo
	s_or_b32 s73, s10, s21
	s_or_b32 s72, s22, s23
	s_and_b32 s27, s20, exec_lo
	s_and_b32 s43, s11, exec_lo
.LBB135_276:                            ;   in Loop: Header=BB135_12 Depth=1
	s_or_b32 exec_lo, exec_lo, s75
.LBB135_277:                            ;   in Loop: Header=BB135_12 Depth=1
	s_delay_alu instid0(SALU_CYCLE_1)
	s_and_b32 vcc_lo, exec_lo, s74
	s_cbranch_vccz .LBB135_293
; %bb.278:                              ;   in Loop: Header=BB135_12 Depth=1
	s_cmp_eq_u64 s[18:19], 1
                                        ; implicit-def: $sgpr74
                                        ; implicit-def: $sgpr26
	s_cselect_b32 s10, -1, 0
	s_delay_alu instid0(SALU_CYCLE_1)
	s_and_b32 s9, s10, s9
	s_mov_b32 s10, -1
	s_and_saveexec_b32 s72, s9
	s_cbranch_execz .LBB135_311
; %bb.279:                              ;   in Loop: Header=BB135_12 Depth=1
	ds_load_b64 v[4:5], v3 offset:5120
	s_wait_dscnt 0x0
	s_barrier_signal -1
	s_barrier_wait -1
	v_readfirstlane_b32 s10, v4
	v_readfirstlane_b32 s11, v5
	s_and_saveexec_b32 s20, s6
; %bb.280:                              ;   in Loop: Header=BB135_12 Depth=1
	ds_store_b8 v0, v3 offset:3072
; %bb.281:                              ;   in Loop: Header=BB135_12 Depth=1
	s_or_b32 exec_lo, exec_lo, s20
	v_or_b32_e32 v29, s24, v29
	v_or_b32_e32 v31, s24, v31
	s_mov_b32 s26, -1
	s_mov_b32 s74, 0
	s_cmp_eq_u64 s[10:11], 0
	s_mov_b32 s22, 0
	s_mov_b32 s23, -1
	s_wait_dscnt 0x0
	s_barrier_signal -1
	s_barrier_wait -1
                                        ; implicit-def: $vgpr32
	s_cbranch_scc1 .LBB135_296
; %bb.282:                              ;   in Loop: Header=BB135_12 Depth=1
	s_add_nc_u64 s[20:21], s[10:11], s[64:65]
	s_delay_alu instid0(SALU_CYCLE_1) | instskip(NEXT) | instid1(SALU_CYCLE_1)
	s_and_b64 s[22:23], s[20:21], 0xffffffff00000000
	s_cmp_lg_u64 s[22:23], 0
	s_cbranch_scc0 .LBB135_337
; %bb.283:                              ;   in Loop: Header=BB135_12 Depth=1
	s_cvt_f32_u32 s22, s48
	s_sub_nc_u64 s[44:45], 0, s[48:49]
	s_delay_alu instid0(SALU_CYCLE_2) | instskip(NEXT) | instid1(SALU_CYCLE_3)
	s_fmamk_f32 s22, s101, 0x0, s22
	v_s_rcp_f32 s22, s22
	s_delay_alu instid0(TRANS32_DEP_1) | instskip(NEXT) | instid1(SALU_CYCLE_3)
	s_mul_f32 s22, s22, 0x5f7ffffc
	s_mul_f32 s23, s22, 0x2f800000
	s_delay_alu instid0(SALU_CYCLE_3) | instskip(NEXT) | instid1(SALU_CYCLE_3)
	s_trunc_f32 s23, s23
	s_fmamk_f32 s22, s23, 0xcf800000, s22
	s_cvt_u32_f32 s23, s23
	s_delay_alu instid0(SALU_CYCLE_2) | instskip(NEXT) | instid1(SALU_CYCLE_3)
	s_cvt_u32_f32 s22, s22
	s_mul_u64 s[46:47], s[44:45], s[22:23]
	s_delay_alu instid0(SALU_CYCLE_1)
	s_mul_hi_u32 s77, s22, s47
	s_mul_i32 s76, s22, s47
	s_mul_hi_u32 s28, s22, s46
	s_mul_i32 s53, s23, s46
	s_add_nc_u64 s[76:77], s[28:29], s[76:77]
	s_mul_hi_u32 s52, s23, s46
	s_mul_hi_u32 s54, s23, s47
	s_add_co_u32 s28, s76, s53
	s_add_co_ci_u32 s28, s77, s52
	s_mul_i32 s46, s23, s47
	s_add_co_ci_u32 s47, s54, 0
	s_delay_alu instid0(SALU_CYCLE_1) | instskip(NEXT) | instid1(SALU_CYCLE_1)
	s_add_nc_u64 s[46:47], s[28:29], s[46:47]
	s_add_co_u32 s22, s22, s46
	s_cselect_b32 s28, -1, 0
	s_delay_alu instid0(SALU_CYCLE_1) | instskip(SKIP_1) | instid1(SALU_CYCLE_1)
	s_cmp_lg_u32 s28, 0
	s_add_co_ci_u32 s23, s23, s47
	s_mul_u64 s[44:45], s[44:45], s[22:23]
	s_delay_alu instid0(SALU_CYCLE_1)
	s_mul_hi_u32 s47, s22, s45
	s_mul_i32 s46, s22, s45
	s_mul_hi_u32 s28, s22, s44
	s_mul_i32 s53, s23, s44
	s_add_nc_u64 s[46:47], s[28:29], s[46:47]
	s_mul_hi_u32 s52, s23, s44
	s_mul_hi_u32 s54, s23, s45
	s_add_co_u32 s28, s46, s53
	s_add_co_ci_u32 s28, s47, s52
	s_mul_i32 s44, s23, s45
	s_add_co_ci_u32 s45, s54, 0
	s_delay_alu instid0(SALU_CYCLE_1) | instskip(NEXT) | instid1(SALU_CYCLE_1)
	s_add_nc_u64 s[44:45], s[28:29], s[44:45]
	s_add_co_u32 s22, s22, s44
	s_cselect_b32 s44, -1, 0
	s_mul_hi_u32 s28, s20, s22
	s_cmp_lg_u32 s44, 0
	s_mul_hi_u32 s46, s21, s22
	s_add_co_ci_u32 s44, s23, s45
	s_mul_i32 s45, s21, s22
	s_mul_hi_u32 s23, s20, s44
	s_mul_i32 s22, s20, s44
	s_mul_hi_u32 s47, s21, s44
	s_add_nc_u64 s[22:23], s[28:29], s[22:23]
	s_mul_i32 s44, s21, s44
	s_add_co_u32 s22, s22, s45
	s_add_co_ci_u32 s28, s23, s46
	s_add_co_ci_u32 s45, s47, 0
	s_delay_alu instid0(SALU_CYCLE_1) | instskip(NEXT) | instid1(SALU_CYCLE_1)
	s_add_nc_u64 s[22:23], s[28:29], s[44:45]
	s_and_b64 s[44:45], s[22:23], 0xffffffff00000000
	s_delay_alu instid0(SALU_CYCLE_1) | instskip(NEXT) | instid1(SALU_CYCLE_1)
	s_or_b32 s44, s44, s22
	s_mul_u64 s[22:23], s[48:49], s[44:45]
	s_delay_alu instid0(SALU_CYCLE_1) | instskip(SKIP_1) | instid1(SALU_CYCLE_1)
	s_sub_co_u32 s22, s20, s22
	s_cselect_b32 s28, -1, 0
	s_cmp_lg_u32 s28, 0
	s_sub_co_ci_u32 s23, s21, s23
	s_sub_co_u32 s28, s22, s48
	s_cselect_b32 s44, -1, 0
	s_delay_alu instid0(SALU_CYCLE_1) | instskip(SKIP_3) | instid1(SALU_CYCLE_1)
	s_cmp_lg_u32 s44, 0
	s_sub_co_ci_u32 s44, s23, 0
	s_sub_co_u32 s45, s28, s48
	s_cselect_b32 s46, -1, 0
	s_cmp_lg_u32 s46, 0
	s_sub_co_ci_u32 s46, s44, 0
	s_cmp_ge_u32 s28, s48
	s_cselect_b32 s47, -1, 0
	s_cmp_eq_u32 s44, 0
	s_cselect_b32 s47, s47, -1
	s_delay_alu instid0(SALU_CYCLE_1)
	s_cmp_lg_u32 s47, 0
	s_cselect_b32 s44, s46, s44
	s_cselect_b32 s28, s45, s28
	s_cmp_ge_u32 s22, s48
	s_cselect_b32 s45, -1, 0
	s_cmp_eq_u32 s23, 0
	s_cselect_b32 s45, s45, -1
	s_delay_alu instid0(SALU_CYCLE_1)
	s_cmp_lg_u32 s45, 0
	s_cselect_b32 s23, s44, s23
	s_cselect_b32 s22, s28, s22
	s_cbranch_execnz .LBB135_285
.LBB135_284:                            ;   in Loop: Header=BB135_12 Depth=1
	v_cvt_f32_u32_e32 v2, s48
	s_sub_co_i32 s23, 0, s48
	s_delay_alu instid0(VALU_DEP_1) | instskip(SKIP_1) | instid1(TRANS32_DEP_1)
	v_rcp_iflag_f32_e32 v2, v2
	v_nop
	v_mul_f32_e32 v2, 0x4f7ffffe, v2
	s_delay_alu instid0(VALU_DEP_1) | instskip(NEXT) | instid1(VALU_DEP_1)
	v_cvt_u32_f32_e32 v2, v2
	v_readfirstlane_b32 s22, v2
	s_mul_i32 s23, s23, s22
	s_delay_alu instid0(SALU_CYCLE_1) | instskip(NEXT) | instid1(SALU_CYCLE_1)
	s_mul_hi_u32 s23, s22, s23
	s_add_co_i32 s22, s22, s23
	s_delay_alu instid0(SALU_CYCLE_1) | instskip(NEXT) | instid1(SALU_CYCLE_1)
	s_mul_hi_u32 s22, s20, s22
	s_mul_i32 s22, s22, s48
	s_delay_alu instid0(SALU_CYCLE_1) | instskip(NEXT) | instid1(SALU_CYCLE_1)
	s_sub_co_i32 s22, s20, s22
	s_sub_co_i32 s23, s22, s48
	s_cmp_ge_u32 s22, s48
	s_cselect_b32 s22, s23, s22
	s_delay_alu instid0(SALU_CYCLE_1) | instskip(SKIP_2) | instid1(SALU_CYCLE_1)
	s_sub_co_i32 s23, s22, s48
	s_cmp_ge_u32 s22, s48
	s_cselect_b32 s28, s23, s22
	s_mov_b64 s[22:23], s[28:29]
.LBB135_285:                            ;   in Loop: Header=BB135_12 Depth=1
	s_delay_alu instid0(SALU_CYCLE_1)
	s_sub_nc_u64 s[20:21], s[20:21], s[22:23]
	s_mov_b32 s23, 0
	s_mov_b32 s22, 0
	s_mov_b32 s28, exec_lo
                                        ; implicit-def: $vgpr32
	v_cmpx_gt_u64_e64 s[20:21], v[0:1]
	s_cbranch_execz .LBB135_295
; %bb.286:                              ;   in Loop: Header=BB135_12 Depth=1
	v_mov_b64_e32 v[4:5], v[0:1]
	v_mov_b32_e32 v2, v0
                                        ; implicit-def: $sgpr44
	s_branch .LBB135_289
.LBB135_287:                            ;   in Loop: Header=BB135_289 Depth=2
	s_or_b32 exec_lo, exec_lo, s45
	s_wait_dscnt 0x0
	s_barrier_signal -1
	s_barrier_wait -1
	ds_load_u16 v6, v3 offset:3072
	s_mov_b32 s45, -1
	s_mov_b32 s46, -1
	s_wait_dscnt 0x0
	s_barrier_signal -1
	s_barrier_wait -1
	v_and_b32_e32 v7, 0xff, v6
	s_delay_alu instid0(VALU_DEP_1)
	v_cmp_ne_u32_e32 vcc_lo, 0, v7
	s_cbranch_vccz .LBB135_292
.LBB135_288:                            ;   in Loop: Header=BB135_289 Depth=2
	s_and_b32 s8, exec_lo, s45
	s_delay_alu instid0(SALU_CYCLE_1) | instskip(SKIP_2) | instid1(SALU_CYCLE_1)
	s_or_b32 s22, s8, s22
	s_and_not1_b32 s8, s44, exec_lo
	s_and_b32 s44, s46, exec_lo
	s_or_b32 s44, s8, s44
	s_and_not1_b32 exec_lo, exec_lo, s22
	s_cbranch_execz .LBB135_294
.LBB135_289:                            ;   Parent Loop BB135_12 Depth=1
                                        ; =>  This Inner Loop Header: Depth=2
	s_mov_b32 s45, exec_lo
	s_delay_alu instid0(VALU_DEP_2)
	v_cmpx_gt_u64_e64 s[10:11], v[4:5]
	s_cbranch_execz .LBB135_287
; %bb.290:                              ;   in Loop: Header=BB135_289 Depth=2
	ds_load_u8 v6, v2
	s_wait_dscnt 0x0
	v_bfe_i32 v7, v6, 0, 8
	s_delay_alu instid0(VALU_DEP_1) | instskip(NEXT) | instid1(VALU_DEP_1)
	v_add_nc_u32_e32 v7, 0x80, v7
	v_and_b32_e32 v7, v7, v31
	s_delay_alu instid0(VALU_DEP_1)
	v_cmp_eq_u32_e32 vcc_lo, v7, v29
	s_and_b32 exec_lo, exec_lo, vcc_lo
	s_cbranch_execz .LBB135_287
; %bb.291:                              ;   in Loop: Header=BB135_289 Depth=2
	v_lshlrev_b16 v6, 8, v6
	s_delay_alu instid0(VALU_DEP_1)
	v_or_b32_e32 v6, 1, v6
	ds_store_b16 v3, v6 offset:3072
	s_branch .LBB135_287
.LBB135_292:                            ;   in Loop: Header=BB135_289 Depth=2
	v_add_nc_u64_e32 v[4:5], s[48:49], v[4:5]
	v_add_nc_u32_e32 v2, s48, v2
	s_mov_b32 s46, 0
	s_delay_alu instid0(VALU_DEP_2)
	v_cmp_le_u64_e32 vcc_lo, s[20:21], v[4:5]
	s_or_not1_b32 s45, vcc_lo, exec_lo
	s_branch .LBB135_288
.LBB135_293:                            ;   in Loop: Header=BB135_12 Depth=1
	v_dual_mov_b32 v29, v8 :: v_dual_mov_b32 v31, v9
	v_mov_b32_e32 v32, v10
	s_mov_b32 s74, 0
	s_and_saveexec_b32 s9, s43
	s_cbranch_execnz .LBB135_470
	s_branch .LBB135_471
.LBB135_294:                            ;   in Loop: Header=BB135_12 Depth=1
	s_or_b32 exec_lo, exec_lo, s22
	v_and_b32_e32 v2, 0xffff, v6
	s_and_b32 s22, s44, exec_lo
	s_delay_alu instid0(VALU_DEP_1)
	v_lshrrev_b32_e32 v32, 8, v2
.LBB135_295:                            ;   in Loop: Header=BB135_12 Depth=1
	s_or_b32 exec_lo, exec_lo, s28
.LBB135_296:                            ;   in Loop: Header=BB135_12 Depth=1
	s_delay_alu instid0(SALU_CYCLE_1)
	s_and_b32 vcc_lo, exec_lo, s23
	s_cbranch_vccz .LBB135_310
; %bb.297:                              ;   in Loop: Header=BB135_12 Depth=1
	s_and_b64 s[10:11], s[66:67], 0xffffffff00000000
	s_delay_alu instid0(SALU_CYCLE_1)
	s_cmp_lg_u64 s[10:11], 0
	s_cbranch_scc0 .LBB135_338
; %bb.298:                              ;   in Loop: Header=BB135_12 Depth=1
	s_cvt_f32_u32 s10, s48
	s_sub_nc_u64 s[20:21], 0, s[48:49]
	s_delay_alu instid0(SALU_CYCLE_2) | instskip(NEXT) | instid1(SALU_CYCLE_3)
	s_fmamk_f32 s10, s101, 0x0, s10
	v_s_rcp_f32 s10, s10
	s_delay_alu instid0(TRANS32_DEP_1) | instskip(NEXT) | instid1(SALU_CYCLE_3)
	s_mul_f32 s10, s10, 0x5f7ffffc
	s_mul_f32 s11, s10, 0x2f800000
	s_delay_alu instid0(SALU_CYCLE_3) | instskip(NEXT) | instid1(SALU_CYCLE_3)
	s_trunc_f32 s11, s11
	s_fmamk_f32 s10, s11, 0xcf800000, s10
	s_cvt_u32_f32 s11, s11
	s_delay_alu instid0(SALU_CYCLE_2) | instskip(NEXT) | instid1(SALU_CYCLE_3)
	s_cvt_u32_f32 s10, s10
	s_mul_u64 s[44:45], s[20:21], s[10:11]
	s_delay_alu instid0(SALU_CYCLE_1)
	s_mul_hi_u32 s47, s10, s45
	s_mul_i32 s46, s10, s45
	s_mul_hi_u32 s28, s10, s44
	s_mul_i32 s26, s11, s44
	s_add_nc_u64 s[46:47], s[28:29], s[46:47]
	s_mul_hi_u32 s23, s11, s44
	s_mul_hi_u32 s52, s11, s45
	s_add_co_u32 s26, s46, s26
	s_add_co_ci_u32 s28, s47, s23
	s_mul_i32 s44, s11, s45
	s_add_co_ci_u32 s45, s52, 0
	s_delay_alu instid0(SALU_CYCLE_1) | instskip(NEXT) | instid1(SALU_CYCLE_1)
	s_add_nc_u64 s[44:45], s[28:29], s[44:45]
	s_add_co_u32 s10, s10, s44
	s_cselect_b32 s23, -1, 0
	s_delay_alu instid0(SALU_CYCLE_1) | instskip(SKIP_1) | instid1(SALU_CYCLE_1)
	s_cmp_lg_u32 s23, 0
	s_add_co_ci_u32 s11, s11, s45
	s_mul_u64 s[20:21], s[20:21], s[10:11]
	s_delay_alu instid0(SALU_CYCLE_1)
	s_mul_hi_u32 s45, s10, s21
	s_mul_i32 s44, s10, s21
	s_mul_hi_u32 s28, s10, s20
	s_mul_i32 s26, s11, s20
	s_add_nc_u64 s[44:45], s[28:29], s[44:45]
	s_mul_hi_u32 s23, s11, s20
	s_mul_hi_u32 s46, s11, s21
	s_mul_i32 s20, s11, s21
	s_add_co_u32 s21, s44, s26
	s_add_co_ci_u32 s28, s45, s23
	s_add_co_ci_u32 s21, s46, 0
	s_delay_alu instid0(SALU_CYCLE_1) | instskip(NEXT) | instid1(SALU_CYCLE_1)
	s_add_nc_u64 s[20:21], s[28:29], s[20:21]
	s_add_co_u32 s10, s10, s20
	s_cselect_b32 s20, -1, 0
	s_mul_hi_u32 s28, s66, s10
	s_cmp_lg_u32 s20, 0
	s_mul_hi_u32 s23, s67, s10
	s_add_co_ci_u32 s20, s11, s21
	s_mul_i32 s21, s67, s10
	s_mul_hi_u32 s11, s66, s20
	s_mul_i32 s10, s66, s20
	s_mul_hi_u32 s26, s67, s20
	s_add_nc_u64 s[10:11], s[28:29], s[10:11]
	s_mul_i32 s20, s67, s20
	s_add_co_u32 s10, s10, s21
	s_add_co_ci_u32 s28, s11, s23
	s_add_co_ci_u32 s21, s26, 0
	s_delay_alu instid0(SALU_CYCLE_1) | instskip(NEXT) | instid1(SALU_CYCLE_1)
	s_add_nc_u64 s[10:11], s[28:29], s[20:21]
	s_and_b64 s[20:21], s[10:11], 0xffffffff00000000
	s_delay_alu instid0(SALU_CYCLE_1) | instskip(NEXT) | instid1(SALU_CYCLE_1)
	s_or_b32 s20, s20, s10
	s_mul_u64 s[10:11], s[48:49], s[20:21]
	s_delay_alu instid0(SALU_CYCLE_1) | instskip(SKIP_1) | instid1(SALU_CYCLE_1)
	s_sub_co_u32 s10, s66, s10
	s_cselect_b32 s20, -1, 0
	s_cmp_lg_u32 s20, 0
	s_sub_co_ci_u32 s11, s67, s11
	s_sub_co_u32 s20, s10, s48
	s_cselect_b32 s21, -1, 0
	s_delay_alu instid0(SALU_CYCLE_1) | instskip(SKIP_3) | instid1(SALU_CYCLE_1)
	s_cmp_lg_u32 s21, 0
	s_sub_co_ci_u32 s21, s11, 0
	s_sub_co_u32 s23, s20, s48
	s_cselect_b32 s26, -1, 0
	s_cmp_lg_u32 s26, 0
	s_sub_co_ci_u32 s26, s21, 0
	s_cmp_ge_u32 s20, s48
	s_cselect_b32 s28, -1, 0
	s_cmp_eq_u32 s21, 0
	s_cselect_b32 s28, s28, -1
	s_delay_alu instid0(SALU_CYCLE_1)
	s_cmp_lg_u32 s28, 0
	s_cselect_b32 s21, s26, s21
	s_cselect_b32 s20, s23, s20
	s_cmp_ge_u32 s10, s48
	s_cselect_b32 s23, -1, 0
	s_cmp_eq_u32 s11, 0
	s_cselect_b32 s23, s23, -1
	s_delay_alu instid0(SALU_CYCLE_1)
	s_cmp_lg_u32 s23, 0
	s_cselect_b32 s11, s21, s11
	s_cselect_b32 s10, s20, s10
	s_cbranch_execnz .LBB135_300
.LBB135_299:                            ;   in Loop: Header=BB135_12 Depth=1
	v_cvt_f32_u32_e32 v2, s48
	s_sub_co_i32 s11, 0, s48
	s_delay_alu instid0(VALU_DEP_1) | instskip(SKIP_1) | instid1(TRANS32_DEP_1)
	v_rcp_iflag_f32_e32 v2, v2
	v_nop
	v_mul_f32_e32 v2, 0x4f7ffffe, v2
	s_delay_alu instid0(VALU_DEP_1) | instskip(NEXT) | instid1(VALU_DEP_1)
	v_cvt_u32_f32_e32 v2, v2
	v_readfirstlane_b32 s10, v2
	s_mul_i32 s11, s11, s10
	s_delay_alu instid0(SALU_CYCLE_1) | instskip(NEXT) | instid1(SALU_CYCLE_1)
	s_mul_hi_u32 s11, s10, s11
	s_add_co_i32 s10, s10, s11
	s_delay_alu instid0(SALU_CYCLE_1) | instskip(NEXT) | instid1(SALU_CYCLE_1)
	s_mul_hi_u32 s10, s66, s10
	s_mul_i32 s10, s10, s48
	s_delay_alu instid0(SALU_CYCLE_1) | instskip(NEXT) | instid1(SALU_CYCLE_1)
	s_sub_co_i32 s10, s66, s10
	s_sub_co_i32 s11, s10, s48
	s_cmp_ge_u32 s10, s48
	s_cselect_b32 s10, s11, s10
	s_delay_alu instid0(SALU_CYCLE_1) | instskip(SKIP_2) | instid1(SALU_CYCLE_1)
	s_sub_co_i32 s11, s10, s48
	s_cmp_ge_u32 s10, s48
	s_cselect_b32 s28, s11, s10
	s_mov_b64 s[10:11], s[28:29]
.LBB135_300:                            ;   in Loop: Header=BB135_12 Depth=1
	s_delay_alu instid0(SALU_CYCLE_1)
	s_sub_nc_u64 s[10:11], s[66:67], s[10:11]
	s_mov_b32 s20, exec_lo
                                        ; implicit-def: $vgpr32
	v_nop
	v_cmpx_gt_u64_e64 s[10:11], v[0:1]
	s_cbranch_execz .LBB135_309
; %bb.301:                              ;   in Loop: Header=BB135_12 Depth=1
	v_mov_b64_e32 v[4:5], v[0:1]
	s_mov_b32 s23, 0
                                        ; implicit-def: $sgpr21
	s_branch .LBB135_304
.LBB135_302:                            ;   in Loop: Header=BB135_304 Depth=2
	s_or_b32 exec_lo, exec_lo, s26
	s_wait_dscnt 0x0
	s_barrier_signal -1
	s_barrier_wait -1
	ds_load_u16 v2, v3 offset:3072
	s_mov_b32 s28, -1
	s_mov_b32 s26, -1
	s_wait_dscnt 0x0
	s_barrier_signal -1
	s_barrier_wait -1
	v_and_b32_e32 v6, 0xff, v2
	s_delay_alu instid0(VALU_DEP_1)
	v_cmp_ne_u32_e32 vcc_lo, 0, v6
	s_cbranch_vccz .LBB135_307
.LBB135_303:                            ;   in Loop: Header=BB135_304 Depth=2
	s_and_b32 s8, exec_lo, s28
	s_delay_alu instid0(SALU_CYCLE_1) | instskip(SKIP_2) | instid1(SALU_CYCLE_1)
	s_or_b32 s23, s8, s23
	s_and_not1_b32 s8, s21, exec_lo
	s_and_b32 s21, s26, exec_lo
	s_or_b32 s21, s8, s21
	s_and_not1_b32 exec_lo, exec_lo, s23
	s_cbranch_execz .LBB135_308
.LBB135_304:                            ;   Parent Loop BB135_12 Depth=1
                                        ; =>  This Inner Loop Header: Depth=2
	s_mov_b32 s26, exec_lo
	s_delay_alu instid0(VALU_DEP_1)
	v_cmpx_gt_u64_e64 s[36:37], v[4:5]
	s_cbranch_execz .LBB135_302
; %bb.305:                              ;   in Loop: Header=BB135_304 Depth=2
	v_mad_nc_u64_u32 v[6:7], v4, s30, s[34:35]
	s_delay_alu instid0(VALU_DEP_1) | instskip(NEXT) | instid1(VALU_DEP_1)
	v_mad_u32 v2, v5, s30, v7
	v_mad_u32 v7, v4, s31, v2
	global_load_u8 v2, v[6:7], off
	s_wait_loadcnt 0x0
	v_bfe_i32 v6, v2, 0, 8
	s_delay_alu instid0(VALU_DEP_1) | instskip(NEXT) | instid1(VALU_DEP_1)
	v_add_nc_u32_e32 v6, 0x80, v6
	v_and_b32_e32 v6, v6, v31
	s_delay_alu instid0(VALU_DEP_1)
	v_cmp_eq_u32_e32 vcc_lo, v6, v29
	s_and_b32 exec_lo, exec_lo, vcc_lo
	s_cbranch_execz .LBB135_302
; %bb.306:                              ;   in Loop: Header=BB135_304 Depth=2
	v_lshlrev_b16 v2, 8, v2
	s_delay_alu instid0(VALU_DEP_1)
	v_or_b32_e32 v2, 1, v2
	ds_store_b16 v3, v2 offset:3072
	s_branch .LBB135_302
.LBB135_307:                            ;   in Loop: Header=BB135_304 Depth=2
	v_add_nc_u64_e32 v[4:5], s[48:49], v[4:5]
	s_mov_b32 s26, 0
	s_delay_alu instid0(VALU_DEP_1)
	v_cmp_le_u64_e32 vcc_lo, s[10:11], v[4:5]
	s_or_not1_b32 s28, vcc_lo, exec_lo
	s_branch .LBB135_303
.LBB135_308:                            ;   in Loop: Header=BB135_12 Depth=1
	s_or_b32 exec_lo, exec_lo, s23
	v_and_b32_e32 v2, 0xffff, v2
	s_and_not1_b32 s8, s22, exec_lo
	s_and_b32 s10, s21, exec_lo
	s_delay_alu instid0(SALU_CYCLE_1) | instskip(NEXT) | instid1(VALU_DEP_1)
	s_or_b32 s22, s8, s10
	v_lshrrev_b32_e32 v32, 8, v2
.LBB135_309:                            ;   in Loop: Header=BB135_12 Depth=1
	s_or_b32 exec_lo, exec_lo, s20
	s_mov_b32 s26, 0
	s_mov_b32 s74, -1
.LBB135_310:                            ;   in Loop: Header=BB135_12 Depth=1
	s_or_not1_b32 s10, s22, exec_lo
.LBB135_311:                            ;   in Loop: Header=BB135_12 Depth=1
	s_or_b32 exec_lo, exec_lo, s72
                                        ; implicit-def: $vgpr4_vgpr5
                                        ; implicit-def: $vgpr2
	s_and_saveexec_b32 s22, s10
	s_cbranch_execz .LBB135_469
; %bb.312:                              ;   in Loop: Header=BB135_12 Depth=1
	v_mov_b64_e32 v[4:5], 1
	v_mov_b32_e32 v2, 1
	s_xor_b32 s10, s9, -1
	s_mov_b32 s11, 0
	s_and_saveexec_b32 s9, s10
	s_cbranch_execz .LBB135_321
; %bb.313:                              ;   in Loop: Header=BB135_12 Depth=1
	s_mov_b32 s10, exec_lo
	v_cmpx_ge_u64_e64 s[18:19], v[22:23]
	s_xor_b32 s10, exec_lo, s10
	s_cbranch_execz .LBB135_318
; %bb.314:                              ;   in Loop: Header=BB135_12 Depth=1
	ds_load_b64 v[4:5], v3 offset:5120
	v_or_b32_e32 v29, s24, v29
	v_or_b32_e32 v31, s24, v31
	s_wait_dscnt 0x0
	v_cmp_ne_u64_e32 vcc_lo, 0, v[4:5]
	s_cbranch_vccnz .LBB135_318
; %bb.315:                              ;   in Loop: Header=BB135_12 Depth=1
	s_and_saveexec_b32 s11, s5
; %bb.316:                              ;   in Loop: Header=BB135_12 Depth=1
	v_mov_b64_e32 v[4:5], s[18:19]
	ds_store_b64 v3, v[4:5] offset:5128
; %bb.317:                              ;   in Loop: Header=BB135_12 Depth=1
	s_or_b32 exec_lo, exec_lo, s11
	s_wait_dscnt 0x0
	s_barrier_signal -1
	s_barrier_wait -1
.LBB135_318:                            ;   in Loop: Header=BB135_12 Depth=1
	s_or_saveexec_b32 s10, s10
	v_mov_b32_e32 v2, 5
	s_mov_b32 s11, 0
	s_xor_b32 exec_lo, exec_lo, s10
; %bb.319:                              ;   in Loop: Header=BB135_12 Depth=1
	v_sub_nc_u64_e64 v[22:23], v[22:23], s[18:19]
	v_mov_b32_e32 v2, 0
	s_mov_b32 s11, exec_lo
; %bb.320:                              ;   in Loop: Header=BB135_12 Depth=1
	s_or_b32 exec_lo, exec_lo, s10
	s_delay_alu instid0(VALU_DEP_2)
	v_mov_b64_e32 v[4:5], v[22:23]
	s_and_b32 s11, s11, exec_lo
.LBB135_321:                            ;   in Loop: Header=BB135_12 Depth=1
	s_or_b32 exec_lo, exec_lo, s9
	s_mov_b32 s10, -1
                                        ; implicit-def: $sgpr23
                                        ; implicit-def: $sgpr72
	s_and_saveexec_b32 s9, s11
	s_delay_alu instid0(SALU_CYCLE_1)
	s_xor_b32 s9, exec_lo, s9
	s_cbranch_execz .LBB135_466
; %bb.322:                              ;   in Loop: Header=BB135_12 Depth=1
	v_cmp_eq_u64_e32 vcc_lo, 1, v[4:5]
	s_cmp_eq_u64 s[16:17], 1
                                        ; implicit-def: $sgpr72
                                        ; implicit-def: $sgpr23
	s_cselect_b32 s10, -1, 0
	s_delay_alu instid0(SALU_CYCLE_1)
	s_and_b32 s73, s10, vcc_lo
	s_mov_b32 s10, -1
	s_and_saveexec_b32 s75, s73
	s_cbranch_execz .LBB135_356
; %bb.323:                              ;   in Loop: Header=BB135_12 Depth=1
	ds_load_b64 v[6:7], v3 offset:5120
	s_wait_dscnt 0x0
	s_barrier_signal -1
	s_barrier_wait -1
	v_readfirstlane_b32 s10, v6
	v_readfirstlane_b32 s11, v7
	s_and_saveexec_b32 s18, s6
; %bb.324:                              ;   in Loop: Header=BB135_12 Depth=1
	ds_store_b8 v0, v3 offset:3072
; %bb.325:                              ;   in Loop: Header=BB135_12 Depth=1
	s_or_b32 exec_lo, exec_lo, s18
	s_lshl_b32 s18, 2, s99
	v_or_b32_e32 v31, s24, v31
	v_and_or_b32 v29, v29, s25, s18
	s_mov_b32 s23, -1
	s_mov_b32 s72, 0
	s_cmp_eq_u64 s[10:11], 0
	s_mov_b32 s20, 0
	s_mov_b32 s21, -1
	s_wait_dscnt 0x0
	s_barrier_signal -1
	s_barrier_wait -1
                                        ; implicit-def: $vgpr32
	s_cbranch_scc1 .LBB135_341
; %bb.326:                              ;   in Loop: Header=BB135_12 Depth=1
	s_add_nc_u64 s[18:19], s[10:11], s[64:65]
	s_delay_alu instid0(SALU_CYCLE_1) | instskip(NEXT) | instid1(SALU_CYCLE_1)
	s_and_b64 s[20:21], s[18:19], 0xffffffff00000000
	s_cmp_lg_u64 s[20:21], 0
	s_cbranch_scc0 .LBB135_382
; %bb.327:                              ;   in Loop: Header=BB135_12 Depth=1
	s_cvt_f32_u32 s20, s48
	s_sub_nc_u64 s[44:45], 0, s[48:49]
	s_delay_alu instid0(SALU_CYCLE_2) | instskip(NEXT) | instid1(SALU_CYCLE_3)
	s_fmamk_f32 s20, s101, 0x0, s20
	v_s_rcp_f32 s20, s20
	s_delay_alu instid0(TRANS32_DEP_1) | instskip(NEXT) | instid1(SALU_CYCLE_3)
	s_mul_f32 s20, s20, 0x5f7ffffc
	s_mul_f32 s21, s20, 0x2f800000
	s_delay_alu instid0(SALU_CYCLE_3) | instskip(NEXT) | instid1(SALU_CYCLE_3)
	s_trunc_f32 s21, s21
	s_fmamk_f32 s20, s21, 0xcf800000, s20
	s_cvt_u32_f32 s21, s21
	s_delay_alu instid0(SALU_CYCLE_2) | instskip(NEXT) | instid1(SALU_CYCLE_3)
	s_cvt_u32_f32 s20, s20
	s_mul_u64 s[46:47], s[44:45], s[20:21]
	s_delay_alu instid0(SALU_CYCLE_1)
	s_mul_hi_u32 s77, s20, s47
	s_mul_i32 s76, s20, s47
	s_mul_hi_u32 s28, s20, s46
	s_mul_i32 s53, s21, s46
	s_add_nc_u64 s[76:77], s[28:29], s[76:77]
	s_mul_hi_u32 s52, s21, s46
	s_mul_hi_u32 s54, s21, s47
	s_add_co_u32 s28, s76, s53
	s_add_co_ci_u32 s28, s77, s52
	s_mul_i32 s46, s21, s47
	s_add_co_ci_u32 s47, s54, 0
	s_delay_alu instid0(SALU_CYCLE_1) | instskip(NEXT) | instid1(SALU_CYCLE_1)
	s_add_nc_u64 s[46:47], s[28:29], s[46:47]
	s_add_co_u32 s20, s20, s46
	s_cselect_b32 s28, -1, 0
	s_delay_alu instid0(SALU_CYCLE_1) | instskip(SKIP_1) | instid1(SALU_CYCLE_1)
	s_cmp_lg_u32 s28, 0
	s_add_co_ci_u32 s21, s21, s47
	s_mul_u64 s[44:45], s[44:45], s[20:21]
	s_delay_alu instid0(SALU_CYCLE_1)
	s_mul_hi_u32 s47, s20, s45
	s_mul_i32 s46, s20, s45
	s_mul_hi_u32 s28, s20, s44
	s_mul_i32 s53, s21, s44
	s_add_nc_u64 s[46:47], s[28:29], s[46:47]
	s_mul_hi_u32 s52, s21, s44
	s_mul_hi_u32 s54, s21, s45
	s_add_co_u32 s28, s46, s53
	s_add_co_ci_u32 s28, s47, s52
	s_mul_i32 s44, s21, s45
	s_add_co_ci_u32 s45, s54, 0
	s_delay_alu instid0(SALU_CYCLE_1) | instskip(NEXT) | instid1(SALU_CYCLE_1)
	s_add_nc_u64 s[44:45], s[28:29], s[44:45]
	s_add_co_u32 s20, s20, s44
	s_cselect_b32 s44, -1, 0
	s_mul_hi_u32 s28, s18, s20
	s_cmp_lg_u32 s44, 0
	s_mul_hi_u32 s46, s19, s20
	s_add_co_ci_u32 s44, s21, s45
	s_mul_i32 s45, s19, s20
	s_mul_hi_u32 s21, s18, s44
	s_mul_i32 s20, s18, s44
	s_mul_hi_u32 s47, s19, s44
	s_add_nc_u64 s[20:21], s[28:29], s[20:21]
	s_mul_i32 s44, s19, s44
	s_add_co_u32 s20, s20, s45
	s_add_co_ci_u32 s28, s21, s46
	s_add_co_ci_u32 s45, s47, 0
	s_delay_alu instid0(SALU_CYCLE_1) | instskip(NEXT) | instid1(SALU_CYCLE_1)
	s_add_nc_u64 s[20:21], s[28:29], s[44:45]
	s_and_b64 s[44:45], s[20:21], 0xffffffff00000000
	s_delay_alu instid0(SALU_CYCLE_1) | instskip(NEXT) | instid1(SALU_CYCLE_1)
	s_or_b32 s44, s44, s20
	s_mul_u64 s[20:21], s[48:49], s[44:45]
	s_delay_alu instid0(SALU_CYCLE_1) | instskip(SKIP_1) | instid1(SALU_CYCLE_1)
	s_sub_co_u32 s20, s18, s20
	s_cselect_b32 s28, -1, 0
	s_cmp_lg_u32 s28, 0
	s_sub_co_ci_u32 s21, s19, s21
	s_sub_co_u32 s28, s20, s48
	s_cselect_b32 s44, -1, 0
	s_delay_alu instid0(SALU_CYCLE_1) | instskip(SKIP_3) | instid1(SALU_CYCLE_1)
	s_cmp_lg_u32 s44, 0
	s_sub_co_ci_u32 s44, s21, 0
	s_sub_co_u32 s45, s28, s48
	s_cselect_b32 s46, -1, 0
	s_cmp_lg_u32 s46, 0
	s_sub_co_ci_u32 s46, s44, 0
	s_cmp_ge_u32 s28, s48
	s_cselect_b32 s47, -1, 0
	s_cmp_eq_u32 s44, 0
	s_cselect_b32 s47, s47, -1
	s_delay_alu instid0(SALU_CYCLE_1)
	s_cmp_lg_u32 s47, 0
	s_cselect_b32 s44, s46, s44
	s_cselect_b32 s28, s45, s28
	s_cmp_ge_u32 s20, s48
	s_cselect_b32 s45, -1, 0
	s_cmp_eq_u32 s21, 0
	s_cselect_b32 s45, s45, -1
	s_delay_alu instid0(SALU_CYCLE_1)
	s_cmp_lg_u32 s45, 0
	s_cselect_b32 s21, s44, s21
	s_cselect_b32 s20, s28, s20
	s_cbranch_execnz .LBB135_329
.LBB135_328:                            ;   in Loop: Header=BB135_12 Depth=1
	v_cvt_f32_u32_e32 v6, s48
	s_sub_co_i32 s21, 0, s48
	s_delay_alu instid0(VALU_DEP_1) | instskip(SKIP_1) | instid1(TRANS32_DEP_1)
	v_rcp_iflag_f32_e32 v6, v6
	v_nop
	v_mul_f32_e32 v6, 0x4f7ffffe, v6
	s_delay_alu instid0(VALU_DEP_1) | instskip(NEXT) | instid1(VALU_DEP_1)
	v_cvt_u32_f32_e32 v6, v6
	v_readfirstlane_b32 s20, v6
	s_mul_i32 s21, s21, s20
	s_delay_alu instid0(SALU_CYCLE_1) | instskip(NEXT) | instid1(SALU_CYCLE_1)
	s_mul_hi_u32 s21, s20, s21
	s_add_co_i32 s20, s20, s21
	s_delay_alu instid0(SALU_CYCLE_1) | instskip(NEXT) | instid1(SALU_CYCLE_1)
	s_mul_hi_u32 s20, s18, s20
	s_mul_i32 s20, s20, s48
	s_delay_alu instid0(SALU_CYCLE_1) | instskip(NEXT) | instid1(SALU_CYCLE_1)
	s_sub_co_i32 s20, s18, s20
	s_sub_co_i32 s21, s20, s48
	s_cmp_ge_u32 s20, s48
	s_cselect_b32 s20, s21, s20
	s_delay_alu instid0(SALU_CYCLE_1) | instskip(SKIP_2) | instid1(SALU_CYCLE_1)
	s_sub_co_i32 s21, s20, s48
	s_cmp_ge_u32 s20, s48
	s_cselect_b32 s28, s21, s20
	s_mov_b64 s[20:21], s[28:29]
.LBB135_329:                            ;   in Loop: Header=BB135_12 Depth=1
	s_delay_alu instid0(SALU_CYCLE_1)
	s_sub_nc_u64 s[18:19], s[18:19], s[20:21]
	s_mov_b32 s21, 0
	s_mov_b32 s20, 0
	s_mov_b32 s28, exec_lo
                                        ; implicit-def: $vgpr32
	v_cmpx_gt_u64_e64 s[18:19], v[0:1]
	s_cbranch_execz .LBB135_340
; %bb.330:                              ;   in Loop: Header=BB135_12 Depth=1
	v_mov_b64_e32 v[6:7], v[0:1]
	v_mov_b32_e32 v8, v0
                                        ; implicit-def: $sgpr44
	s_branch .LBB135_333
.LBB135_331:                            ;   in Loop: Header=BB135_333 Depth=2
	s_or_b32 exec_lo, exec_lo, s45
	s_wait_dscnt 0x0
	s_barrier_signal -1
	s_barrier_wait -1
	ds_load_u16 v9, v3 offset:3072
	s_mov_b32 s45, -1
	s_mov_b32 s46, -1
	s_wait_dscnt 0x0
	s_barrier_signal -1
	s_barrier_wait -1
	v_and_b32_e32 v10, 0xff, v9
	s_delay_alu instid0(VALU_DEP_1)
	v_cmp_ne_u32_e32 vcc_lo, 0, v10
	s_cbranch_vccz .LBB135_336
.LBB135_332:                            ;   in Loop: Header=BB135_333 Depth=2
	s_and_b32 s8, exec_lo, s45
	s_delay_alu instid0(SALU_CYCLE_1) | instskip(SKIP_2) | instid1(SALU_CYCLE_1)
	s_or_b32 s20, s8, s20
	s_and_not1_b32 s8, s44, exec_lo
	s_and_b32 s44, s46, exec_lo
	s_or_b32 s44, s8, s44
	s_and_not1_b32 exec_lo, exec_lo, s20
	s_cbranch_execz .LBB135_339
.LBB135_333:                            ;   Parent Loop BB135_12 Depth=1
                                        ; =>  This Inner Loop Header: Depth=2
	s_mov_b32 s45, exec_lo
	s_delay_alu instid0(VALU_DEP_2)
	v_cmpx_gt_u64_e64 s[10:11], v[6:7]
	s_cbranch_execz .LBB135_331
; %bb.334:                              ;   in Loop: Header=BB135_333 Depth=2
	ds_load_u8 v9, v8
	s_wait_dscnt 0x0
	v_bfe_i32 v10, v9, 0, 8
	s_delay_alu instid0(VALU_DEP_1) | instskip(NEXT) | instid1(VALU_DEP_1)
	v_add_nc_u32_e32 v10, 0x80, v10
	v_and_b32_e32 v10, v10, v31
	s_delay_alu instid0(VALU_DEP_1)
	v_cmp_eq_u32_e32 vcc_lo, v10, v29
	s_and_b32 exec_lo, exec_lo, vcc_lo
	s_cbranch_execz .LBB135_331
; %bb.335:                              ;   in Loop: Header=BB135_333 Depth=2
	v_lshlrev_b16 v9, 8, v9
	s_delay_alu instid0(VALU_DEP_1)
	v_or_b32_e32 v9, 1, v9
	ds_store_b16 v3, v9 offset:3072
	s_branch .LBB135_331
.LBB135_336:                            ;   in Loop: Header=BB135_333 Depth=2
	v_add_nc_u64_e32 v[6:7], s[48:49], v[6:7]
	v_add_nc_u32_e32 v8, s48, v8
	s_mov_b32 s46, 0
	s_delay_alu instid0(VALU_DEP_2)
	v_cmp_le_u64_e32 vcc_lo, s[18:19], v[6:7]
	s_or_not1_b32 s45, vcc_lo, exec_lo
	s_branch .LBB135_332
.LBB135_337:                            ;   in Loop: Header=BB135_12 Depth=1
                                        ; implicit-def: $sgpr22_sgpr23
	s_branch .LBB135_284
.LBB135_338:                            ;   in Loop: Header=BB135_12 Depth=1
                                        ; implicit-def: $sgpr10_sgpr11
	s_branch .LBB135_299
.LBB135_339:                            ;   in Loop: Header=BB135_12 Depth=1
	s_or_b32 exec_lo, exec_lo, s20
	v_and_b32_e32 v6, 0xffff, v9
	s_and_b32 s20, s44, exec_lo
	s_delay_alu instid0(VALU_DEP_1)
	v_lshrrev_b32_e32 v32, 8, v6
.LBB135_340:                            ;   in Loop: Header=BB135_12 Depth=1
	s_or_b32 exec_lo, exec_lo, s28
.LBB135_341:                            ;   in Loop: Header=BB135_12 Depth=1
	s_delay_alu instid0(SALU_CYCLE_1)
	s_and_b32 vcc_lo, exec_lo, s21
	s_cbranch_vccz .LBB135_355
; %bb.342:                              ;   in Loop: Header=BB135_12 Depth=1
	s_and_b64 s[10:11], s[66:67], 0xffffffff00000000
	s_delay_alu instid0(SALU_CYCLE_1)
	s_cmp_lg_u64 s[10:11], 0
	s_cbranch_scc0 .LBB135_383
; %bb.343:                              ;   in Loop: Header=BB135_12 Depth=1
	s_cvt_f32_u32 s10, s48
	s_sub_nc_u64 s[18:19], 0, s[48:49]
	s_delay_alu instid0(SALU_CYCLE_2) | instskip(NEXT) | instid1(SALU_CYCLE_3)
	s_fmamk_f32 s10, s101, 0x0, s10
	v_s_rcp_f32 s10, s10
	s_delay_alu instid0(TRANS32_DEP_1) | instskip(NEXT) | instid1(SALU_CYCLE_3)
	s_mul_f32 s10, s10, 0x5f7ffffc
	s_mul_f32 s11, s10, 0x2f800000
	s_delay_alu instid0(SALU_CYCLE_3) | instskip(NEXT) | instid1(SALU_CYCLE_3)
	s_trunc_f32 s11, s11
	s_fmamk_f32 s10, s11, 0xcf800000, s10
	s_cvt_u32_f32 s11, s11
	s_delay_alu instid0(SALU_CYCLE_2) | instskip(NEXT) | instid1(SALU_CYCLE_3)
	s_cvt_u32_f32 s10, s10
	s_mul_u64 s[44:45], s[18:19], s[10:11]
	s_delay_alu instid0(SALU_CYCLE_1)
	s_mul_hi_u32 s47, s10, s45
	s_mul_i32 s46, s10, s45
	s_mul_hi_u32 s28, s10, s44
	s_mul_i32 s23, s11, s44
	s_add_nc_u64 s[46:47], s[28:29], s[46:47]
	s_mul_hi_u32 s21, s11, s44
	s_mul_hi_u32 s52, s11, s45
	s_add_co_u32 s23, s46, s23
	s_add_co_ci_u32 s28, s47, s21
	s_mul_i32 s44, s11, s45
	s_add_co_ci_u32 s45, s52, 0
	s_delay_alu instid0(SALU_CYCLE_1) | instskip(NEXT) | instid1(SALU_CYCLE_1)
	s_add_nc_u64 s[44:45], s[28:29], s[44:45]
	s_add_co_u32 s10, s10, s44
	s_cselect_b32 s21, -1, 0
	s_delay_alu instid0(SALU_CYCLE_1) | instskip(SKIP_1) | instid1(SALU_CYCLE_1)
	s_cmp_lg_u32 s21, 0
	s_add_co_ci_u32 s11, s11, s45
	s_mul_u64 s[18:19], s[18:19], s[10:11]
	s_delay_alu instid0(SALU_CYCLE_1)
	s_mul_hi_u32 s45, s10, s19
	s_mul_i32 s44, s10, s19
	s_mul_hi_u32 s28, s10, s18
	s_mul_i32 s23, s11, s18
	s_add_nc_u64 s[44:45], s[28:29], s[44:45]
	s_mul_hi_u32 s21, s11, s18
	s_mul_hi_u32 s46, s11, s19
	s_mul_i32 s18, s11, s19
	s_add_co_u32 s19, s44, s23
	s_add_co_ci_u32 s28, s45, s21
	s_add_co_ci_u32 s19, s46, 0
	s_delay_alu instid0(SALU_CYCLE_1) | instskip(NEXT) | instid1(SALU_CYCLE_1)
	s_add_nc_u64 s[18:19], s[28:29], s[18:19]
	s_add_co_u32 s10, s10, s18
	s_cselect_b32 s18, -1, 0
	s_mul_hi_u32 s28, s66, s10
	s_cmp_lg_u32 s18, 0
	s_mul_hi_u32 s21, s67, s10
	s_add_co_ci_u32 s18, s11, s19
	s_mul_i32 s19, s67, s10
	s_mul_hi_u32 s11, s66, s18
	s_mul_i32 s10, s66, s18
	s_mul_hi_u32 s23, s67, s18
	s_add_nc_u64 s[10:11], s[28:29], s[10:11]
	s_mul_i32 s18, s67, s18
	s_add_co_u32 s10, s10, s19
	s_add_co_ci_u32 s28, s11, s21
	s_add_co_ci_u32 s19, s23, 0
	s_delay_alu instid0(SALU_CYCLE_1) | instskip(NEXT) | instid1(SALU_CYCLE_1)
	s_add_nc_u64 s[10:11], s[28:29], s[18:19]
	s_and_b64 s[18:19], s[10:11], 0xffffffff00000000
	s_delay_alu instid0(SALU_CYCLE_1) | instskip(NEXT) | instid1(SALU_CYCLE_1)
	s_or_b32 s18, s18, s10
	s_mul_u64 s[10:11], s[48:49], s[18:19]
	s_delay_alu instid0(SALU_CYCLE_1) | instskip(SKIP_1) | instid1(SALU_CYCLE_1)
	s_sub_co_u32 s10, s66, s10
	s_cselect_b32 s18, -1, 0
	s_cmp_lg_u32 s18, 0
	s_sub_co_ci_u32 s11, s67, s11
	s_sub_co_u32 s18, s10, s48
	s_cselect_b32 s19, -1, 0
	s_delay_alu instid0(SALU_CYCLE_1) | instskip(SKIP_3) | instid1(SALU_CYCLE_1)
	s_cmp_lg_u32 s19, 0
	s_sub_co_ci_u32 s19, s11, 0
	s_sub_co_u32 s21, s18, s48
	s_cselect_b32 s23, -1, 0
	s_cmp_lg_u32 s23, 0
	s_sub_co_ci_u32 s23, s19, 0
	s_cmp_ge_u32 s18, s48
	s_cselect_b32 s28, -1, 0
	s_cmp_eq_u32 s19, 0
	s_cselect_b32 s28, s28, -1
	s_delay_alu instid0(SALU_CYCLE_1)
	s_cmp_lg_u32 s28, 0
	s_cselect_b32 s19, s23, s19
	s_cselect_b32 s18, s21, s18
	s_cmp_ge_u32 s10, s48
	s_cselect_b32 s21, -1, 0
	s_cmp_eq_u32 s11, 0
	s_cselect_b32 s21, s21, -1
	s_delay_alu instid0(SALU_CYCLE_1)
	s_cmp_lg_u32 s21, 0
	s_cselect_b32 s11, s19, s11
	s_cselect_b32 s10, s18, s10
	s_cbranch_execnz .LBB135_345
.LBB135_344:                            ;   in Loop: Header=BB135_12 Depth=1
	v_cvt_f32_u32_e32 v6, s48
	s_sub_co_i32 s11, 0, s48
	s_delay_alu instid0(VALU_DEP_1) | instskip(SKIP_1) | instid1(TRANS32_DEP_1)
	v_rcp_iflag_f32_e32 v6, v6
	v_nop
	v_mul_f32_e32 v6, 0x4f7ffffe, v6
	s_delay_alu instid0(VALU_DEP_1) | instskip(NEXT) | instid1(VALU_DEP_1)
	v_cvt_u32_f32_e32 v6, v6
	v_readfirstlane_b32 s10, v6
	s_mul_i32 s11, s11, s10
	s_delay_alu instid0(SALU_CYCLE_1) | instskip(NEXT) | instid1(SALU_CYCLE_1)
	s_mul_hi_u32 s11, s10, s11
	s_add_co_i32 s10, s10, s11
	s_delay_alu instid0(SALU_CYCLE_1) | instskip(NEXT) | instid1(SALU_CYCLE_1)
	s_mul_hi_u32 s10, s66, s10
	s_mul_i32 s10, s10, s48
	s_delay_alu instid0(SALU_CYCLE_1) | instskip(NEXT) | instid1(SALU_CYCLE_1)
	s_sub_co_i32 s10, s66, s10
	s_sub_co_i32 s11, s10, s48
	s_cmp_ge_u32 s10, s48
	s_cselect_b32 s10, s11, s10
	s_delay_alu instid0(SALU_CYCLE_1) | instskip(SKIP_2) | instid1(SALU_CYCLE_1)
	s_sub_co_i32 s11, s10, s48
	s_cmp_ge_u32 s10, s48
	s_cselect_b32 s28, s11, s10
	s_mov_b64 s[10:11], s[28:29]
.LBB135_345:                            ;   in Loop: Header=BB135_12 Depth=1
	s_delay_alu instid0(SALU_CYCLE_1)
	s_sub_nc_u64 s[10:11], s[66:67], s[10:11]
	s_mov_b32 s18, exec_lo
                                        ; implicit-def: $vgpr32
	v_nop
	v_cmpx_gt_u64_e64 s[10:11], v[0:1]
	s_cbranch_execz .LBB135_354
; %bb.346:                              ;   in Loop: Header=BB135_12 Depth=1
	v_mov_b64_e32 v[6:7], v[0:1]
	s_mov_b32 s19, 0
                                        ; implicit-def: $sgpr21
	s_branch .LBB135_349
.LBB135_347:                            ;   in Loop: Header=BB135_349 Depth=2
	s_or_b32 exec_lo, exec_lo, s23
	s_wait_dscnt 0x0
	s_barrier_signal -1
	s_barrier_wait -1
	ds_load_u16 v8, v3 offset:3072
	s_mov_b32 s28, -1
	s_mov_b32 s23, -1
	s_wait_dscnt 0x0
	s_barrier_signal -1
	s_barrier_wait -1
	v_and_b32_e32 v9, 0xff, v8
	s_delay_alu instid0(VALU_DEP_1)
	v_cmp_eq_u32_e32 vcc_lo, 0, v9
	s_cbranch_vccnz .LBB135_352
.LBB135_348:                            ;   in Loop: Header=BB135_349 Depth=2
	s_and_b32 s8, exec_lo, s28
	s_delay_alu instid0(SALU_CYCLE_1) | instskip(SKIP_2) | instid1(SALU_CYCLE_1)
	s_or_b32 s19, s8, s19
	s_and_not1_b32 s8, s21, exec_lo
	s_and_b32 s21, s23, exec_lo
	s_or_b32 s21, s8, s21
	s_and_not1_b32 exec_lo, exec_lo, s19
	s_cbranch_execz .LBB135_353
.LBB135_349:                            ;   Parent Loop BB135_12 Depth=1
                                        ; =>  This Inner Loop Header: Depth=2
	s_mov_b32 s23, exec_lo
	s_delay_alu instid0(VALU_DEP_1)
	v_cmpx_gt_u64_e64 s[36:37], v[6:7]
	s_cbranch_execz .LBB135_347
; %bb.350:                              ;   in Loop: Header=BB135_349 Depth=2
	v_mad_nc_u64_u32 v[8:9], v6, s30, s[34:35]
	s_delay_alu instid0(VALU_DEP_1) | instskip(NEXT) | instid1(VALU_DEP_1)
	v_mad_u32 v9, v7, s30, v9
	v_mad_u32 v9, v6, s31, v9
	global_load_u8 v8, v[8:9], off
	s_wait_loadcnt 0x0
	v_bfe_i32 v9, v8, 0, 8
	s_delay_alu instid0(VALU_DEP_1) | instskip(NEXT) | instid1(VALU_DEP_1)
	v_add_nc_u32_e32 v9, 0x80, v9
	v_and_b32_e32 v9, v9, v31
	s_delay_alu instid0(VALU_DEP_1)
	v_cmp_eq_u32_e32 vcc_lo, v9, v29
	s_and_b32 exec_lo, exec_lo, vcc_lo
	s_cbranch_execz .LBB135_347
; %bb.351:                              ;   in Loop: Header=BB135_349 Depth=2
	v_lshlrev_b16 v8, 8, v8
	s_delay_alu instid0(VALU_DEP_1)
	v_or_b32_e32 v8, 1, v8
	ds_store_b16 v3, v8 offset:3072
	s_branch .LBB135_347
.LBB135_352:                            ;   in Loop: Header=BB135_349 Depth=2
	v_add_nc_u64_e32 v[6:7], s[48:49], v[6:7]
	s_mov_b32 s23, 0
	s_delay_alu instid0(VALU_DEP_1)
	v_cmp_le_u64_e32 vcc_lo, s[10:11], v[6:7]
	s_or_not1_b32 s28, vcc_lo, exec_lo
	s_branch .LBB135_348
.LBB135_353:                            ;   in Loop: Header=BB135_12 Depth=1
	s_or_b32 exec_lo, exec_lo, s19
	v_and_b32_e32 v6, 0xffff, v8
	s_and_not1_b32 s8, s20, exec_lo
	s_and_b32 s10, s21, exec_lo
	s_delay_alu instid0(SALU_CYCLE_1) | instskip(NEXT) | instid1(VALU_DEP_1)
	s_or_b32 s20, s8, s10
	v_lshrrev_b32_e32 v32, 8, v6
.LBB135_354:                            ;   in Loop: Header=BB135_12 Depth=1
	s_or_b32 exec_lo, exec_lo, s18
	s_mov_b32 s23, 0
	s_mov_b32 s72, -1
.LBB135_355:                            ;   in Loop: Header=BB135_12 Depth=1
	s_or_not1_b32 s10, s20, exec_lo
.LBB135_356:                            ;   in Loop: Header=BB135_12 Depth=1
	s_or_b32 exec_lo, exec_lo, s75
	s_mov_b32 s11, 0
	s_and_saveexec_b32 s20, s10
	s_cbranch_execz .LBB135_465
; %bb.357:                              ;   in Loop: Header=BB135_12 Depth=1
	v_mov_b64_e32 v[6:7], 1
	v_mov_b32_e32 v2, 1
	s_xor_b32 s18, s73, -1
	s_delay_alu instid0(SALU_CYCLE_1)
	s_and_saveexec_b32 s10, s18
	s_cbranch_execz .LBB135_366
; %bb.358:                              ;   in Loop: Header=BB135_12 Depth=1
	s_mov_b32 s11, exec_lo
	v_cmpx_ge_u64_e64 s[16:17], v[4:5]
	s_xor_b32 s11, exec_lo, s11
	s_cbranch_execz .LBB135_363
; %bb.359:                              ;   in Loop: Header=BB135_12 Depth=1
	ds_load_b64 v[6:7], v3 offset:5120
	s_lshl_b32 s18, 2, s99
	v_or_b32_e32 v31, s24, v31
	v_and_or_b32 v29, v29, s25, s18
	s_wait_dscnt 0x0
	v_cmp_ne_u64_e32 vcc_lo, 0, v[6:7]
	s_cbranch_vccnz .LBB135_363
; %bb.360:                              ;   in Loop: Header=BB135_12 Depth=1
	s_and_saveexec_b32 s18, s5
; %bb.361:                              ;   in Loop: Header=BB135_12 Depth=1
	v_mov_b64_e32 v[6:7], s[16:17]
	ds_store_b64 v3, v[6:7] offset:5128
; %bb.362:                              ;   in Loop: Header=BB135_12 Depth=1
	s_or_b32 exec_lo, exec_lo, s18
	s_wait_dscnt 0x0
	s_barrier_signal -1
	s_barrier_wait -1
.LBB135_363:                            ;   in Loop: Header=BB135_12 Depth=1
	s_or_saveexec_b32 s11, s11
	v_mov_b32_e32 v2, 5
	s_mov_b32 s18, 0
	s_xor_b32 exec_lo, exec_lo, s11
; %bb.364:                              ;   in Loop: Header=BB135_12 Depth=1
	v_sub_nc_u64_e64 v[4:5], v[4:5], s[16:17]
	v_mov_b32_e32 v2, 0
	s_mov_b32 s18, exec_lo
; %bb.365:                              ;   in Loop: Header=BB135_12 Depth=1
	s_or_b32 exec_lo, exec_lo, s11
	s_delay_alu instid0(VALU_DEP_2)
	v_mov_b64_e32 v[6:7], v[4:5]
	s_and_b32 s11, s18, exec_lo
.LBB135_366:                            ;   in Loop: Header=BB135_12 Depth=1
	s_or_b32 exec_lo, exec_lo, s10
	s_mov_b32 s10, -1
                                        ; implicit-def: $sgpr73
                                        ; implicit-def: $sgpr75
	s_and_saveexec_b32 s21, s11
	s_cbranch_execz .LBB135_464
; %bb.367:                              ;   in Loop: Header=BB135_12 Depth=1
	s_delay_alu instid0(VALU_DEP_1) | instskip(SKIP_2) | instid1(SALU_CYCLE_1)
	v_cmp_eq_u64_e32 vcc_lo, 1, v[6:7]
	s_cmp_eq_u64 s[14:15], 1
                                        ; implicit-def: $sgpr75
                                        ; implicit-def: $sgpr73
	s_cselect_b32 s10, -1, 0
	s_and_b32 s76, s10, vcc_lo
	s_mov_b32 s10, -1
	s_and_saveexec_b32 s77, s76
	s_cbranch_execz .LBB135_401
; %bb.368:                              ;   in Loop: Header=BB135_12 Depth=1
	ds_load_b64 v[4:5], v3 offset:5120
	s_wait_dscnt 0x0
	s_barrier_signal -1
	s_barrier_wait -1
	v_readfirstlane_b32 s10, v4
	v_readfirstlane_b32 s11, v5
	s_and_saveexec_b32 s16, s6
; %bb.369:                              ;   in Loop: Header=BB135_12 Depth=1
	ds_store_b8 v0, v3 offset:3072
; %bb.370:                              ;   in Loop: Header=BB135_12 Depth=1
	s_or_b32 exec_lo, exec_lo, s16
	s_lshl_b32 s16, 1, s99
	v_or_b32_e32 v31, s24, v31
	v_and_or_b32 v29, v29, s25, s16
	s_mov_b32 s73, -1
	s_mov_b32 s75, 0
	s_cmp_eq_u64 s[10:11], 0
	s_mov_b32 s18, 0
	s_mov_b32 s19, -1
	s_wait_dscnt 0x0
	s_barrier_signal -1
	s_barrier_wait -1
                                        ; implicit-def: $vgpr32
	s_cbranch_scc1 .LBB135_386
; %bb.371:                              ;   in Loop: Header=BB135_12 Depth=1
	s_add_nc_u64 s[16:17], s[10:11], s[64:65]
	s_delay_alu instid0(SALU_CYCLE_1) | instskip(NEXT) | instid1(SALU_CYCLE_1)
	s_and_b64 s[18:19], s[16:17], 0xffffffff00000000
	s_cmp_lg_u64 s[18:19], 0
	s_cbranch_scc0 .LBB135_418
; %bb.372:                              ;   in Loop: Header=BB135_12 Depth=1
	s_cvt_f32_u32 s18, s48
	s_sub_nc_u64 s[44:45], 0, s[48:49]
	s_delay_alu instid0(SALU_CYCLE_2) | instskip(NEXT) | instid1(SALU_CYCLE_3)
	s_fmamk_f32 s18, s101, 0x0, s18
	v_s_rcp_f32 s18, s18
	s_delay_alu instid0(TRANS32_DEP_1) | instskip(NEXT) | instid1(SALU_CYCLE_3)
	s_mul_f32 s18, s18, 0x5f7ffffc
	s_mul_f32 s19, s18, 0x2f800000
	s_delay_alu instid0(SALU_CYCLE_3) | instskip(NEXT) | instid1(SALU_CYCLE_3)
	s_trunc_f32 s19, s19
	s_fmamk_f32 s18, s19, 0xcf800000, s18
	s_cvt_u32_f32 s19, s19
	s_delay_alu instid0(SALU_CYCLE_2) | instskip(NEXT) | instid1(SALU_CYCLE_3)
	s_cvt_u32_f32 s18, s18
	s_mul_u64 s[46:47], s[44:45], s[18:19]
	s_delay_alu instid0(SALU_CYCLE_1)
	s_mul_hi_u32 s79, s18, s47
	s_mul_i32 s78, s18, s47
	s_mul_hi_u32 s28, s18, s46
	s_mul_i32 s53, s19, s46
	s_add_nc_u64 s[78:79], s[28:29], s[78:79]
	s_mul_hi_u32 s52, s19, s46
	s_mul_hi_u32 s54, s19, s47
	s_add_co_u32 s28, s78, s53
	s_add_co_ci_u32 s28, s79, s52
	s_mul_i32 s46, s19, s47
	s_add_co_ci_u32 s47, s54, 0
	s_delay_alu instid0(SALU_CYCLE_1) | instskip(NEXT) | instid1(SALU_CYCLE_1)
	s_add_nc_u64 s[46:47], s[28:29], s[46:47]
	s_add_co_u32 s18, s18, s46
	s_cselect_b32 s28, -1, 0
	s_delay_alu instid0(SALU_CYCLE_1) | instskip(SKIP_1) | instid1(SALU_CYCLE_1)
	s_cmp_lg_u32 s28, 0
	s_add_co_ci_u32 s19, s19, s47
	s_mul_u64 s[44:45], s[44:45], s[18:19]
	s_delay_alu instid0(SALU_CYCLE_1)
	s_mul_hi_u32 s47, s18, s45
	s_mul_i32 s46, s18, s45
	s_mul_hi_u32 s28, s18, s44
	s_mul_i32 s53, s19, s44
	s_add_nc_u64 s[46:47], s[28:29], s[46:47]
	s_mul_hi_u32 s52, s19, s44
	s_mul_hi_u32 s54, s19, s45
	s_add_co_u32 s28, s46, s53
	s_add_co_ci_u32 s28, s47, s52
	s_mul_i32 s44, s19, s45
	s_add_co_ci_u32 s45, s54, 0
	s_delay_alu instid0(SALU_CYCLE_1) | instskip(NEXT) | instid1(SALU_CYCLE_1)
	s_add_nc_u64 s[44:45], s[28:29], s[44:45]
	s_add_co_u32 s18, s18, s44
	s_cselect_b32 s44, -1, 0
	s_mul_hi_u32 s28, s16, s18
	s_cmp_lg_u32 s44, 0
	s_mul_hi_u32 s46, s17, s18
	s_add_co_ci_u32 s44, s19, s45
	s_mul_i32 s45, s17, s18
	s_mul_hi_u32 s19, s16, s44
	s_mul_i32 s18, s16, s44
	s_mul_hi_u32 s47, s17, s44
	s_add_nc_u64 s[18:19], s[28:29], s[18:19]
	s_mul_i32 s44, s17, s44
	s_add_co_u32 s18, s18, s45
	s_add_co_ci_u32 s28, s19, s46
	s_add_co_ci_u32 s45, s47, 0
	s_delay_alu instid0(SALU_CYCLE_1) | instskip(NEXT) | instid1(SALU_CYCLE_1)
	s_add_nc_u64 s[18:19], s[28:29], s[44:45]
	s_and_b64 s[44:45], s[18:19], 0xffffffff00000000
	s_delay_alu instid0(SALU_CYCLE_1) | instskip(NEXT) | instid1(SALU_CYCLE_1)
	s_or_b32 s44, s44, s18
	s_mul_u64 s[18:19], s[48:49], s[44:45]
	s_delay_alu instid0(SALU_CYCLE_1) | instskip(SKIP_1) | instid1(SALU_CYCLE_1)
	s_sub_co_u32 s18, s16, s18
	s_cselect_b32 s28, -1, 0
	s_cmp_lg_u32 s28, 0
	s_sub_co_ci_u32 s19, s17, s19
	s_sub_co_u32 s28, s18, s48
	s_cselect_b32 s44, -1, 0
	s_delay_alu instid0(SALU_CYCLE_1) | instskip(SKIP_3) | instid1(SALU_CYCLE_1)
	s_cmp_lg_u32 s44, 0
	s_sub_co_ci_u32 s44, s19, 0
	s_sub_co_u32 s45, s28, s48
	s_cselect_b32 s46, -1, 0
	s_cmp_lg_u32 s46, 0
	s_sub_co_ci_u32 s46, s44, 0
	s_cmp_ge_u32 s28, s48
	s_cselect_b32 s47, -1, 0
	s_cmp_eq_u32 s44, 0
	s_cselect_b32 s47, s47, -1
	s_delay_alu instid0(SALU_CYCLE_1)
	s_cmp_lg_u32 s47, 0
	s_cselect_b32 s44, s46, s44
	s_cselect_b32 s28, s45, s28
	s_cmp_ge_u32 s18, s48
	s_cselect_b32 s45, -1, 0
	s_cmp_eq_u32 s19, 0
	s_cselect_b32 s45, s45, -1
	s_delay_alu instid0(SALU_CYCLE_1)
	s_cmp_lg_u32 s45, 0
	s_cselect_b32 s19, s44, s19
	s_cselect_b32 s18, s28, s18
	s_cbranch_execnz .LBB135_374
.LBB135_373:                            ;   in Loop: Header=BB135_12 Depth=1
	v_cvt_f32_u32_e32 v4, s48
	s_sub_co_i32 s19, 0, s48
	s_delay_alu instid0(VALU_DEP_1) | instskip(SKIP_1) | instid1(TRANS32_DEP_1)
	v_rcp_iflag_f32_e32 v4, v4
	v_nop
	v_mul_f32_e32 v4, 0x4f7ffffe, v4
	s_delay_alu instid0(VALU_DEP_1) | instskip(NEXT) | instid1(VALU_DEP_1)
	v_cvt_u32_f32_e32 v4, v4
	v_readfirstlane_b32 s18, v4
	s_mul_i32 s19, s19, s18
	s_delay_alu instid0(SALU_CYCLE_1) | instskip(NEXT) | instid1(SALU_CYCLE_1)
	s_mul_hi_u32 s19, s18, s19
	s_add_co_i32 s18, s18, s19
	s_delay_alu instid0(SALU_CYCLE_1) | instskip(NEXT) | instid1(SALU_CYCLE_1)
	s_mul_hi_u32 s18, s16, s18
	s_mul_i32 s18, s18, s48
	s_delay_alu instid0(SALU_CYCLE_1) | instskip(NEXT) | instid1(SALU_CYCLE_1)
	s_sub_co_i32 s18, s16, s18
	s_sub_co_i32 s19, s18, s48
	s_cmp_ge_u32 s18, s48
	s_cselect_b32 s18, s19, s18
	s_delay_alu instid0(SALU_CYCLE_1) | instskip(SKIP_2) | instid1(SALU_CYCLE_1)
	s_sub_co_i32 s19, s18, s48
	s_cmp_ge_u32 s18, s48
	s_cselect_b32 s28, s19, s18
	s_mov_b64 s[18:19], s[28:29]
.LBB135_374:                            ;   in Loop: Header=BB135_12 Depth=1
	s_delay_alu instid0(SALU_CYCLE_1)
	s_sub_nc_u64 s[16:17], s[16:17], s[18:19]
	s_mov_b32 s19, 0
	s_mov_b32 s18, 0
	s_mov_b32 s28, exec_lo
                                        ; implicit-def: $vgpr32
	v_cmpx_gt_u64_e64 s[16:17], v[0:1]
	s_cbranch_execz .LBB135_385
; %bb.375:                              ;   in Loop: Header=BB135_12 Depth=1
	v_mov_b64_e32 v[4:5], v[0:1]
	v_mov_b32_e32 v8, v0
                                        ; implicit-def: $sgpr44
	s_branch .LBB135_378
.LBB135_376:                            ;   in Loop: Header=BB135_378 Depth=2
	s_or_b32 exec_lo, exec_lo, s45
	s_wait_dscnt 0x0
	s_barrier_signal -1
	s_barrier_wait -1
	ds_load_u16 v9, v3 offset:3072
	s_mov_b32 s45, -1
	s_mov_b32 s46, -1
	s_wait_dscnt 0x0
	s_barrier_signal -1
	s_barrier_wait -1
	v_and_b32_e32 v10, 0xff, v9
	s_delay_alu instid0(VALU_DEP_1)
	v_cmp_ne_u32_e32 vcc_lo, 0, v10
	s_cbranch_vccz .LBB135_381
.LBB135_377:                            ;   in Loop: Header=BB135_378 Depth=2
	s_and_b32 s8, exec_lo, s45
	s_delay_alu instid0(SALU_CYCLE_1) | instskip(SKIP_2) | instid1(SALU_CYCLE_1)
	s_or_b32 s18, s8, s18
	s_and_not1_b32 s8, s44, exec_lo
	s_and_b32 s44, s46, exec_lo
	s_or_b32 s44, s8, s44
	s_and_not1_b32 exec_lo, exec_lo, s18
	s_cbranch_execz .LBB135_384
.LBB135_378:                            ;   Parent Loop BB135_12 Depth=1
                                        ; =>  This Inner Loop Header: Depth=2
	s_mov_b32 s45, exec_lo
	s_delay_alu instid0(VALU_DEP_2)
	v_cmpx_gt_u64_e64 s[10:11], v[4:5]
	s_cbranch_execz .LBB135_376
; %bb.379:                              ;   in Loop: Header=BB135_378 Depth=2
	ds_load_u8 v9, v8
	s_wait_dscnt 0x0
	v_bfe_i32 v10, v9, 0, 8
	s_delay_alu instid0(VALU_DEP_1) | instskip(NEXT) | instid1(VALU_DEP_1)
	v_add_nc_u32_e32 v10, 0x80, v10
	v_and_b32_e32 v10, v10, v31
	s_delay_alu instid0(VALU_DEP_1)
	v_cmp_eq_u32_e32 vcc_lo, v10, v29
	s_and_b32 exec_lo, exec_lo, vcc_lo
	s_cbranch_execz .LBB135_376
; %bb.380:                              ;   in Loop: Header=BB135_378 Depth=2
	v_lshlrev_b16 v9, 8, v9
	s_delay_alu instid0(VALU_DEP_1)
	v_or_b32_e32 v9, 1, v9
	ds_store_b16 v3, v9 offset:3072
	s_branch .LBB135_376
.LBB135_381:                            ;   in Loop: Header=BB135_378 Depth=2
	v_add_nc_u64_e32 v[4:5], s[48:49], v[4:5]
	v_add_nc_u32_e32 v8, s48, v8
	s_mov_b32 s46, 0
	s_delay_alu instid0(VALU_DEP_2)
	v_cmp_le_u64_e32 vcc_lo, s[16:17], v[4:5]
	s_or_not1_b32 s45, vcc_lo, exec_lo
	s_branch .LBB135_377
.LBB135_382:                            ;   in Loop: Header=BB135_12 Depth=1
                                        ; implicit-def: $sgpr20_sgpr21
	s_branch .LBB135_328
.LBB135_383:                            ;   in Loop: Header=BB135_12 Depth=1
                                        ; implicit-def: $sgpr10_sgpr11
	s_branch .LBB135_344
.LBB135_384:                            ;   in Loop: Header=BB135_12 Depth=1
	s_or_b32 exec_lo, exec_lo, s18
	v_and_b32_e32 v4, 0xffff, v9
	s_and_b32 s18, s44, exec_lo
	s_delay_alu instid0(VALU_DEP_1)
	v_lshrrev_b32_e32 v32, 8, v4
.LBB135_385:                            ;   in Loop: Header=BB135_12 Depth=1
	s_or_b32 exec_lo, exec_lo, s28
.LBB135_386:                            ;   in Loop: Header=BB135_12 Depth=1
	s_delay_alu instid0(SALU_CYCLE_1)
	s_and_b32 vcc_lo, exec_lo, s19
	s_cbranch_vccz .LBB135_400
; %bb.387:                              ;   in Loop: Header=BB135_12 Depth=1
	s_and_b64 s[10:11], s[66:67], 0xffffffff00000000
	s_delay_alu instid0(SALU_CYCLE_1)
	s_cmp_lg_u64 s[10:11], 0
	s_cbranch_scc0 .LBB135_419
; %bb.388:                              ;   in Loop: Header=BB135_12 Depth=1
	s_cvt_f32_u32 s10, s48
	s_sub_nc_u64 s[16:17], 0, s[48:49]
	s_delay_alu instid0(SALU_CYCLE_2) | instskip(NEXT) | instid1(SALU_CYCLE_3)
	s_fmamk_f32 s10, s101, 0x0, s10
	v_s_rcp_f32 s10, s10
	s_delay_alu instid0(TRANS32_DEP_1) | instskip(NEXT) | instid1(SALU_CYCLE_3)
	s_mul_f32 s10, s10, 0x5f7ffffc
	s_mul_f32 s11, s10, 0x2f800000
	s_delay_alu instid0(SALU_CYCLE_3) | instskip(NEXT) | instid1(SALU_CYCLE_3)
	s_trunc_f32 s11, s11
	s_fmamk_f32 s10, s11, 0xcf800000, s10
	s_cvt_u32_f32 s11, s11
	s_delay_alu instid0(SALU_CYCLE_2) | instskip(NEXT) | instid1(SALU_CYCLE_3)
	s_cvt_u32_f32 s10, s10
	s_mul_u64 s[44:45], s[16:17], s[10:11]
	s_delay_alu instid0(SALU_CYCLE_1)
	s_mul_hi_u32 s47, s10, s45
	s_mul_i32 s46, s10, s45
	s_mul_hi_u32 s28, s10, s44
	s_mul_i32 s52, s11, s44
	s_add_nc_u64 s[46:47], s[28:29], s[46:47]
	s_mul_hi_u32 s19, s11, s44
	s_mul_hi_u32 s53, s11, s45
	s_add_co_u32 s28, s46, s52
	s_add_co_ci_u32 s28, s47, s19
	s_mul_i32 s44, s11, s45
	s_add_co_ci_u32 s45, s53, 0
	s_delay_alu instid0(SALU_CYCLE_1) | instskip(NEXT) | instid1(SALU_CYCLE_1)
	s_add_nc_u64 s[44:45], s[28:29], s[44:45]
	s_add_co_u32 s10, s10, s44
	s_cselect_b32 s19, -1, 0
	s_delay_alu instid0(SALU_CYCLE_1) | instskip(SKIP_1) | instid1(SALU_CYCLE_1)
	s_cmp_lg_u32 s19, 0
	s_add_co_ci_u32 s11, s11, s45
	s_mul_u64 s[16:17], s[16:17], s[10:11]
	s_delay_alu instid0(SALU_CYCLE_1)
	s_mul_hi_u32 s45, s10, s17
	s_mul_i32 s44, s10, s17
	s_mul_hi_u32 s28, s10, s16
	s_mul_i32 s46, s11, s16
	s_add_nc_u64 s[44:45], s[28:29], s[44:45]
	s_mul_hi_u32 s19, s11, s16
	s_mul_hi_u32 s47, s11, s17
	s_mul_i32 s16, s11, s17
	s_add_co_u32 s17, s44, s46
	s_add_co_ci_u32 s28, s45, s19
	s_add_co_ci_u32 s17, s47, 0
	s_delay_alu instid0(SALU_CYCLE_1) | instskip(NEXT) | instid1(SALU_CYCLE_1)
	s_add_nc_u64 s[16:17], s[28:29], s[16:17]
	s_add_co_u32 s10, s10, s16
	s_cselect_b32 s16, -1, 0
	s_mul_hi_u32 s28, s66, s10
	s_cmp_lg_u32 s16, 0
	s_mul_hi_u32 s19, s67, s10
	s_add_co_ci_u32 s16, s11, s17
	s_mul_i32 s17, s67, s10
	s_mul_hi_u32 s11, s66, s16
	s_mul_i32 s10, s66, s16
	s_mul_hi_u32 s44, s67, s16
	s_add_nc_u64 s[10:11], s[28:29], s[10:11]
	s_mul_i32 s16, s67, s16
	s_add_co_u32 s10, s10, s17
	s_add_co_ci_u32 s28, s11, s19
	s_add_co_ci_u32 s17, s44, 0
	s_delay_alu instid0(SALU_CYCLE_1) | instskip(NEXT) | instid1(SALU_CYCLE_1)
	s_add_nc_u64 s[10:11], s[28:29], s[16:17]
	s_and_b64 s[16:17], s[10:11], 0xffffffff00000000
	s_delay_alu instid0(SALU_CYCLE_1) | instskip(NEXT) | instid1(SALU_CYCLE_1)
	s_or_b32 s16, s16, s10
	s_mul_u64 s[10:11], s[48:49], s[16:17]
	s_delay_alu instid0(SALU_CYCLE_1) | instskip(SKIP_1) | instid1(SALU_CYCLE_1)
	s_sub_co_u32 s10, s66, s10
	s_cselect_b32 s16, -1, 0
	s_cmp_lg_u32 s16, 0
	s_sub_co_ci_u32 s11, s67, s11
	s_sub_co_u32 s16, s10, s48
	s_cselect_b32 s17, -1, 0
	s_delay_alu instid0(SALU_CYCLE_1) | instskip(SKIP_3) | instid1(SALU_CYCLE_1)
	s_cmp_lg_u32 s17, 0
	s_sub_co_ci_u32 s17, s11, 0
	s_sub_co_u32 s19, s16, s48
	s_cselect_b32 s28, -1, 0
	s_cmp_lg_u32 s28, 0
	s_sub_co_ci_u32 s28, s17, 0
	s_cmp_ge_u32 s16, s48
	s_cselect_b32 s44, -1, 0
	s_cmp_eq_u32 s17, 0
	s_cselect_b32 s44, s44, -1
	s_delay_alu instid0(SALU_CYCLE_1)
	s_cmp_lg_u32 s44, 0
	s_cselect_b32 s17, s28, s17
	s_cselect_b32 s16, s19, s16
	s_cmp_ge_u32 s10, s48
	s_cselect_b32 s19, -1, 0
	s_cmp_eq_u32 s11, 0
	s_cselect_b32 s19, s19, -1
	s_delay_alu instid0(SALU_CYCLE_1)
	s_cmp_lg_u32 s19, 0
	s_cselect_b32 s11, s17, s11
	s_cselect_b32 s10, s16, s10
	s_cbranch_execnz .LBB135_390
.LBB135_389:                            ;   in Loop: Header=BB135_12 Depth=1
	v_cvt_f32_u32_e32 v4, s48
	s_sub_co_i32 s11, 0, s48
	s_delay_alu instid0(VALU_DEP_1) | instskip(SKIP_1) | instid1(TRANS32_DEP_1)
	v_rcp_iflag_f32_e32 v4, v4
	v_nop
	v_mul_f32_e32 v4, 0x4f7ffffe, v4
	s_delay_alu instid0(VALU_DEP_1) | instskip(NEXT) | instid1(VALU_DEP_1)
	v_cvt_u32_f32_e32 v4, v4
	v_readfirstlane_b32 s10, v4
	s_mul_i32 s11, s11, s10
	s_delay_alu instid0(SALU_CYCLE_1) | instskip(NEXT) | instid1(SALU_CYCLE_1)
	s_mul_hi_u32 s11, s10, s11
	s_add_co_i32 s10, s10, s11
	s_delay_alu instid0(SALU_CYCLE_1) | instskip(NEXT) | instid1(SALU_CYCLE_1)
	s_mul_hi_u32 s10, s66, s10
	s_mul_i32 s10, s10, s48
	s_delay_alu instid0(SALU_CYCLE_1) | instskip(NEXT) | instid1(SALU_CYCLE_1)
	s_sub_co_i32 s10, s66, s10
	s_sub_co_i32 s11, s10, s48
	s_cmp_ge_u32 s10, s48
	s_cselect_b32 s10, s11, s10
	s_delay_alu instid0(SALU_CYCLE_1) | instskip(SKIP_2) | instid1(SALU_CYCLE_1)
	s_sub_co_i32 s11, s10, s48
	s_cmp_ge_u32 s10, s48
	s_cselect_b32 s28, s11, s10
	s_mov_b64 s[10:11], s[28:29]
.LBB135_390:                            ;   in Loop: Header=BB135_12 Depth=1
	s_delay_alu instid0(SALU_CYCLE_1)
	s_sub_nc_u64 s[10:11], s[66:67], s[10:11]
	s_mov_b32 s16, exec_lo
                                        ; implicit-def: $vgpr32
	v_nop
	v_cmpx_gt_u64_e64 s[10:11], v[0:1]
	s_cbranch_execz .LBB135_399
; %bb.391:                              ;   in Loop: Header=BB135_12 Depth=1
	v_mov_b64_e32 v[4:5], v[0:1]
	s_mov_b32 s17, 0
                                        ; implicit-def: $sgpr19
	s_branch .LBB135_394
.LBB135_392:                            ;   in Loop: Header=BB135_394 Depth=2
	s_or_b32 exec_lo, exec_lo, s28
	s_wait_dscnt 0x0
	s_barrier_signal -1
	s_barrier_wait -1
	ds_load_u16 v8, v3 offset:3072
	s_mov_b32 s44, -1
	s_mov_b32 s28, -1
	s_wait_dscnt 0x0
	s_barrier_signal -1
	s_barrier_wait -1
	v_and_b32_e32 v9, 0xff, v8
	s_delay_alu instid0(VALU_DEP_1)
	v_cmp_eq_u32_e32 vcc_lo, 0, v9
	s_cbranch_vccnz .LBB135_397
.LBB135_393:                            ;   in Loop: Header=BB135_394 Depth=2
	s_and_b32 s8, exec_lo, s44
	s_delay_alu instid0(SALU_CYCLE_1) | instskip(SKIP_2) | instid1(SALU_CYCLE_1)
	s_or_b32 s17, s8, s17
	s_and_not1_b32 s8, s19, exec_lo
	s_and_b32 s19, s28, exec_lo
	s_or_b32 s19, s8, s19
	s_and_not1_b32 exec_lo, exec_lo, s17
	s_cbranch_execz .LBB135_398
.LBB135_394:                            ;   Parent Loop BB135_12 Depth=1
                                        ; =>  This Inner Loop Header: Depth=2
	s_mov_b32 s28, exec_lo
	s_delay_alu instid0(VALU_DEP_1)
	v_cmpx_gt_u64_e64 s[36:37], v[4:5]
	s_cbranch_execz .LBB135_392
; %bb.395:                              ;   in Loop: Header=BB135_394 Depth=2
	v_mad_nc_u64_u32 v[8:9], v4, s30, s[34:35]
	s_delay_alu instid0(VALU_DEP_1) | instskip(NEXT) | instid1(VALU_DEP_1)
	v_mad_u32 v9, v5, s30, v9
	v_mad_u32 v9, v4, s31, v9
	global_load_u8 v8, v[8:9], off
	s_wait_loadcnt 0x0
	v_bfe_i32 v9, v8, 0, 8
	s_delay_alu instid0(VALU_DEP_1) | instskip(NEXT) | instid1(VALU_DEP_1)
	v_add_nc_u32_e32 v9, 0x80, v9
	v_and_b32_e32 v9, v9, v31
	s_delay_alu instid0(VALU_DEP_1)
	v_cmp_eq_u32_e32 vcc_lo, v9, v29
	s_and_b32 exec_lo, exec_lo, vcc_lo
	s_cbranch_execz .LBB135_392
; %bb.396:                              ;   in Loop: Header=BB135_394 Depth=2
	v_lshlrev_b16 v8, 8, v8
	s_delay_alu instid0(VALU_DEP_1)
	v_or_b32_e32 v8, 1, v8
	ds_store_b16 v3, v8 offset:3072
	s_branch .LBB135_392
.LBB135_397:                            ;   in Loop: Header=BB135_394 Depth=2
	v_add_nc_u64_e32 v[4:5], s[48:49], v[4:5]
	s_mov_b32 s28, 0
	s_delay_alu instid0(VALU_DEP_1)
	v_cmp_le_u64_e32 vcc_lo, s[10:11], v[4:5]
	s_or_not1_b32 s44, vcc_lo, exec_lo
	s_branch .LBB135_393
.LBB135_398:                            ;   in Loop: Header=BB135_12 Depth=1
	s_or_b32 exec_lo, exec_lo, s17
	v_and_b32_e32 v4, 0xffff, v8
	s_and_not1_b32 s8, s18, exec_lo
	s_and_b32 s10, s19, exec_lo
	s_delay_alu instid0(SALU_CYCLE_1) | instskip(NEXT) | instid1(VALU_DEP_1)
	s_or_b32 s18, s8, s10
	v_lshrrev_b32_e32 v32, 8, v4
.LBB135_399:                            ;   in Loop: Header=BB135_12 Depth=1
	s_or_b32 exec_lo, exec_lo, s16
	s_mov_b32 s73, 0
	s_mov_b32 s75, -1
.LBB135_400:                            ;   in Loop: Header=BB135_12 Depth=1
	s_or_not1_b32 s10, s18, exec_lo
.LBB135_401:                            ;   in Loop: Header=BB135_12 Depth=1
	s_or_b32 exec_lo, exec_lo, s77
	s_mov_b32 s11, 0
	s_and_saveexec_b32 s18, s10
	s_cbranch_execz .LBB135_463
; %bb.402:                              ;   in Loop: Header=BB135_12 Depth=1
	v_mov_b64_e32 v[4:5], 1
	v_mov_b32_e32 v2, 1
	s_xor_b32 s16, s76, -1
	s_delay_alu instid0(SALU_CYCLE_1)
	s_and_saveexec_b32 s10, s16
	s_cbranch_execz .LBB135_411
; %bb.403:                              ;   in Loop: Header=BB135_12 Depth=1
	s_mov_b32 s11, exec_lo
	v_cmpx_ge_u64_e64 s[14:15], v[6:7]
	s_xor_b32 s11, exec_lo, s11
	s_cbranch_execz .LBB135_408
; %bb.404:                              ;   in Loop: Header=BB135_12 Depth=1
	ds_load_b64 v[4:5], v3 offset:5120
	s_lshl_b32 s16, 1, s99
	v_or_b32_e32 v31, s24, v31
	v_and_or_b32 v29, v29, s25, s16
	s_wait_dscnt 0x0
	v_cmp_ne_u64_e32 vcc_lo, 0, v[4:5]
	s_cbranch_vccnz .LBB135_408
; %bb.405:                              ;   in Loop: Header=BB135_12 Depth=1
	s_and_saveexec_b32 s16, s5
; %bb.406:                              ;   in Loop: Header=BB135_12 Depth=1
	v_mov_b64_e32 v[4:5], s[14:15]
	ds_store_b64 v3, v[4:5] offset:5128
; %bb.407:                              ;   in Loop: Header=BB135_12 Depth=1
	s_or_b32 exec_lo, exec_lo, s16
	s_wait_dscnt 0x0
	s_barrier_signal -1
	s_barrier_wait -1
.LBB135_408:                            ;   in Loop: Header=BB135_12 Depth=1
	s_or_saveexec_b32 s11, s11
	v_mov_b32_e32 v2, 5
	s_mov_b32 s16, 0
	s_xor_b32 exec_lo, exec_lo, s11
; %bb.409:                              ;   in Loop: Header=BB135_12 Depth=1
	v_sub_nc_u64_e64 v[6:7], v[6:7], s[14:15]
	v_mov_b32_e32 v2, 0
	s_mov_b32 s16, exec_lo
; %bb.410:                              ;   in Loop: Header=BB135_12 Depth=1
	s_or_b32 exec_lo, exec_lo, s11
	s_delay_alu instid0(VALU_DEP_2)
	v_mov_b64_e32 v[4:5], v[6:7]
	s_and_b32 s11, s16, exec_lo
.LBB135_411:                            ;   in Loop: Header=BB135_12 Depth=1
	s_or_b32 exec_lo, exec_lo, s10
	s_mov_b32 s10, -1
                                        ; implicit-def: $sgpr79
                                        ; implicit-def: $sgpr78
	s_and_saveexec_b32 s19, s11
	s_cbranch_execz .LBB135_462
; %bb.412:                              ;   in Loop: Header=BB135_12 Depth=1
	s_delay_alu instid0(VALU_DEP_1) | instskip(SKIP_3) | instid1(SALU_CYCLE_1)
	v_cmp_eq_u64_e32 vcc_lo, 1, v[4:5]
	s_cmp_eq_u64 s[12:13], 1
	s_mov_b32 s11, -1
	s_cselect_b32 s10, -1, 0
                                        ; implicit-def: $sgpr79
                                        ; implicit-def: $sgpr78
	s_and_b32 s76, s10, vcc_lo
	s_delay_alu instid0(SALU_CYCLE_1)
	s_and_saveexec_b32 s77, s76
	s_cbranch_execz .LBB135_450
; %bb.413:                              ;   in Loop: Header=BB135_12 Depth=1
	ds_load_b64 v[6:7], v3 offset:5120
	s_wait_dscnt 0x0
	s_barrier_signal -1
	s_barrier_wait -1
	v_readfirstlane_b32 s10, v6
	v_readfirstlane_b32 s11, v7
	s_and_saveexec_b32 s14, s6
; %bb.414:                              ;   in Loop: Header=BB135_12 Depth=1
	ds_store_b8 v0, v3 offset:3072
; %bb.415:                              ;   in Loop: Header=BB135_12 Depth=1
	s_or_b32 exec_lo, exec_lo, s14
	v_and_b32_e32 v29, s25, v29
	v_or_b32_e32 v31, s24, v31
	s_mov_b32 s78, -1
	s_mov_b32 s79, 0
	s_cmp_eq_u64 s[10:11], 0
	s_mov_b32 s16, 0
	s_mov_b32 s17, -1
	s_wait_dscnt 0x0
	s_barrier_signal -1
	s_barrier_wait -1
                                        ; implicit-def: $vgpr32
	s_cbranch_scc1 .LBB135_433
; %bb.416:                              ;   in Loop: Header=BB135_12 Depth=1
	s_add_nc_u64 s[14:15], s[10:11], s[64:65]
	s_delay_alu instid0(SALU_CYCLE_1) | instskip(NEXT) | instid1(SALU_CYCLE_1)
	s_and_b64 s[16:17], s[14:15], 0xffffffff00000000
	s_cmp_lg_u64 s[16:17], 0
	s_cbranch_scc0 .LBB135_420
; %bb.417:                              ;   in Loop: Header=BB135_12 Depth=1
	s_cvt_f32_u32 s16, s48
	s_sub_nc_u64 s[44:45], 0, s[48:49]
	s_delay_alu instid0(SALU_CYCLE_2) | instskip(NEXT) | instid1(SALU_CYCLE_3)
	s_fmamk_f32 s16, s101, 0x0, s16
	v_s_rcp_f32 s16, s16
	s_delay_alu instid0(TRANS32_DEP_1) | instskip(NEXT) | instid1(SALU_CYCLE_3)
	s_mul_f32 s16, s16, 0x5f7ffffc
	s_mul_f32 s17, s16, 0x2f800000
	s_delay_alu instid0(SALU_CYCLE_3) | instskip(NEXT) | instid1(SALU_CYCLE_3)
	s_trunc_f32 s17, s17
	s_fmamk_f32 s16, s17, 0xcf800000, s16
	s_cvt_u32_f32 s17, s17
	s_delay_alu instid0(SALU_CYCLE_2) | instskip(NEXT) | instid1(SALU_CYCLE_3)
	s_cvt_u32_f32 s16, s16
	s_mul_u64 s[46:47], s[44:45], s[16:17]
	s_delay_alu instid0(SALU_CYCLE_1)
	s_mul_hi_u32 s81, s16, s47
	s_mul_i32 s80, s16, s47
	s_mul_hi_u32 s28, s16, s46
	s_mul_i32 s53, s17, s46
	s_add_nc_u64 s[80:81], s[28:29], s[80:81]
	s_mul_hi_u32 s52, s17, s46
	s_mul_hi_u32 s54, s17, s47
	s_add_co_u32 s28, s80, s53
	s_add_co_ci_u32 s28, s81, s52
	s_mul_i32 s46, s17, s47
	s_add_co_ci_u32 s47, s54, 0
	s_delay_alu instid0(SALU_CYCLE_1) | instskip(NEXT) | instid1(SALU_CYCLE_1)
	s_add_nc_u64 s[46:47], s[28:29], s[46:47]
	s_add_co_u32 s16, s16, s46
	s_cselect_b32 s28, -1, 0
	s_delay_alu instid0(SALU_CYCLE_1) | instskip(SKIP_1) | instid1(SALU_CYCLE_1)
	s_cmp_lg_u32 s28, 0
	s_add_co_ci_u32 s17, s17, s47
	s_mul_u64 s[44:45], s[44:45], s[16:17]
	s_delay_alu instid0(SALU_CYCLE_1)
	s_mul_hi_u32 s47, s16, s45
	s_mul_i32 s46, s16, s45
	s_mul_hi_u32 s28, s16, s44
	s_mul_i32 s53, s17, s44
	s_add_nc_u64 s[46:47], s[28:29], s[46:47]
	s_mul_hi_u32 s52, s17, s44
	s_mul_hi_u32 s54, s17, s45
	s_add_co_u32 s28, s46, s53
	s_add_co_ci_u32 s28, s47, s52
	s_mul_i32 s44, s17, s45
	s_add_co_ci_u32 s45, s54, 0
	s_delay_alu instid0(SALU_CYCLE_1) | instskip(NEXT) | instid1(SALU_CYCLE_1)
	s_add_nc_u64 s[44:45], s[28:29], s[44:45]
	s_add_co_u32 s16, s16, s44
	s_cselect_b32 s44, -1, 0
	s_mul_hi_u32 s28, s14, s16
	s_cmp_lg_u32 s44, 0
	s_mul_hi_u32 s46, s15, s16
	s_add_co_ci_u32 s44, s17, s45
	s_mul_i32 s45, s15, s16
	s_mul_hi_u32 s17, s14, s44
	s_mul_i32 s16, s14, s44
	s_mul_hi_u32 s47, s15, s44
	s_add_nc_u64 s[16:17], s[28:29], s[16:17]
	s_mul_i32 s44, s15, s44
	s_add_co_u32 s16, s16, s45
	s_add_co_ci_u32 s28, s17, s46
	s_add_co_ci_u32 s45, s47, 0
	s_delay_alu instid0(SALU_CYCLE_1) | instskip(NEXT) | instid1(SALU_CYCLE_1)
	s_add_nc_u64 s[16:17], s[28:29], s[44:45]
	s_and_b64 s[44:45], s[16:17], 0xffffffff00000000
	s_delay_alu instid0(SALU_CYCLE_1) | instskip(NEXT) | instid1(SALU_CYCLE_1)
	s_or_b32 s44, s44, s16
	s_mul_u64 s[16:17], s[48:49], s[44:45]
	s_delay_alu instid0(SALU_CYCLE_1) | instskip(SKIP_1) | instid1(SALU_CYCLE_1)
	s_sub_co_u32 s16, s14, s16
	s_cselect_b32 s28, -1, 0
	s_cmp_lg_u32 s28, 0
	s_sub_co_ci_u32 s17, s15, s17
	s_sub_co_u32 s28, s16, s48
	s_cselect_b32 s44, -1, 0
	s_delay_alu instid0(SALU_CYCLE_1) | instskip(SKIP_3) | instid1(SALU_CYCLE_1)
	s_cmp_lg_u32 s44, 0
	s_sub_co_ci_u32 s44, s17, 0
	s_sub_co_u32 s45, s28, s48
	s_cselect_b32 s46, -1, 0
	s_cmp_lg_u32 s46, 0
	s_sub_co_ci_u32 s46, s44, 0
	s_cmp_ge_u32 s28, s48
	s_cselect_b32 s47, -1, 0
	s_cmp_eq_u32 s44, 0
	s_cselect_b32 s47, s47, -1
	s_delay_alu instid0(SALU_CYCLE_1)
	s_cmp_lg_u32 s47, 0
	s_cselect_b32 s44, s46, s44
	s_cselect_b32 s28, s45, s28
	s_cmp_ge_u32 s16, s48
	s_cselect_b32 s45, -1, 0
	s_cmp_eq_u32 s17, 0
	s_cselect_b32 s45, s45, -1
	s_delay_alu instid0(SALU_CYCLE_1)
	s_cmp_lg_u32 s45, 0
	s_cselect_b32 s17, s44, s17
	s_cselect_b32 s16, s28, s16
	s_mov_b32 s28, 0
	s_branch .LBB135_421
.LBB135_418:                            ;   in Loop: Header=BB135_12 Depth=1
                                        ; implicit-def: $sgpr18_sgpr19
	s_branch .LBB135_373
.LBB135_419:                            ;   in Loop: Header=BB135_12 Depth=1
                                        ; implicit-def: $sgpr10_sgpr11
	s_branch .LBB135_389
.LBB135_420:                            ;   in Loop: Header=BB135_12 Depth=1
	s_mov_b32 s28, -1
                                        ; implicit-def: $sgpr16_sgpr17
.LBB135_421:                            ;   in Loop: Header=BB135_12 Depth=1
	s_delay_alu instid0(SALU_CYCLE_1)
	s_and_not1_b32 vcc_lo, exec_lo, s28
	s_cbranch_vccnz .LBB135_423
; %bb.422:                              ;   in Loop: Header=BB135_12 Depth=1
	v_cvt_f32_u32_e32 v6, s48
	s_sub_co_i32 s17, 0, s48
	s_delay_alu instid0(VALU_DEP_1) | instskip(SKIP_1) | instid1(TRANS32_DEP_1)
	v_rcp_iflag_f32_e32 v6, v6
	v_nop
	v_mul_f32_e32 v6, 0x4f7ffffe, v6
	s_delay_alu instid0(VALU_DEP_1) | instskip(NEXT) | instid1(VALU_DEP_1)
	v_cvt_u32_f32_e32 v6, v6
	v_readfirstlane_b32 s16, v6
	s_mul_i32 s17, s17, s16
	s_delay_alu instid0(SALU_CYCLE_1) | instskip(NEXT) | instid1(SALU_CYCLE_1)
	s_mul_hi_u32 s17, s16, s17
	s_add_co_i32 s16, s16, s17
	s_delay_alu instid0(SALU_CYCLE_1) | instskip(NEXT) | instid1(SALU_CYCLE_1)
	s_mul_hi_u32 s16, s14, s16
	s_mul_i32 s16, s16, s48
	s_delay_alu instid0(SALU_CYCLE_1) | instskip(NEXT) | instid1(SALU_CYCLE_1)
	s_sub_co_i32 s16, s14, s16
	s_sub_co_i32 s17, s16, s48
	s_cmp_ge_u32 s16, s48
	s_cselect_b32 s16, s17, s16
	s_delay_alu instid0(SALU_CYCLE_1) | instskip(SKIP_2) | instid1(SALU_CYCLE_1)
	s_sub_co_i32 s17, s16, s48
	s_cmp_ge_u32 s16, s48
	s_cselect_b32 s28, s17, s16
	s_mov_b64 s[16:17], s[28:29]
.LBB135_423:                            ;   in Loop: Header=BB135_12 Depth=1
	s_delay_alu instid0(SALU_CYCLE_1)
	s_sub_nc_u64 s[14:15], s[14:15], s[16:17]
	s_mov_b32 s17, 0
	s_mov_b32 s16, 0
	s_mov_b32 s28, exec_lo
                                        ; implicit-def: $vgpr32
	v_cmpx_gt_u64_e64 s[14:15], v[0:1]
	s_cbranch_execz .LBB135_432
; %bb.424:                              ;   in Loop: Header=BB135_12 Depth=1
	v_mov_b64_e32 v[6:7], v[0:1]
	v_mov_b32_e32 v8, v0
                                        ; implicit-def: $sgpr44
	s_branch .LBB135_427
.LBB135_425:                            ;   in Loop: Header=BB135_427 Depth=2
	s_or_b32 exec_lo, exec_lo, s45
	s_wait_dscnt 0x0
	s_barrier_signal -1
	s_barrier_wait -1
	ds_load_u16 v9, v3 offset:3072
	s_mov_b32 s45, -1
	s_mov_b32 s46, -1
	s_wait_dscnt 0x0
	s_barrier_signal -1
	s_barrier_wait -1
	v_and_b32_e32 v10, 0xff, v9
	s_delay_alu instid0(VALU_DEP_1)
	v_cmp_ne_u32_e32 vcc_lo, 0, v10
	s_cbranch_vccz .LBB135_430
.LBB135_426:                            ;   in Loop: Header=BB135_427 Depth=2
	s_and_b32 s8, exec_lo, s45
	s_delay_alu instid0(SALU_CYCLE_1) | instskip(SKIP_2) | instid1(SALU_CYCLE_1)
	s_or_b32 s16, s8, s16
	s_and_not1_b32 s8, s44, exec_lo
	s_and_b32 s44, s46, exec_lo
	s_or_b32 s44, s8, s44
	s_and_not1_b32 exec_lo, exec_lo, s16
	s_cbranch_execz .LBB135_431
.LBB135_427:                            ;   Parent Loop BB135_12 Depth=1
                                        ; =>  This Inner Loop Header: Depth=2
	s_mov_b32 s45, exec_lo
	s_delay_alu instid0(VALU_DEP_2)
	v_cmpx_gt_u64_e64 s[10:11], v[6:7]
	s_cbranch_execz .LBB135_425
; %bb.428:                              ;   in Loop: Header=BB135_427 Depth=2
	ds_load_u8 v9, v8
	s_wait_dscnt 0x0
	v_bfe_i32 v10, v9, 0, 8
	s_delay_alu instid0(VALU_DEP_1) | instskip(NEXT) | instid1(VALU_DEP_1)
	v_add_nc_u32_e32 v10, 0x80, v10
	v_and_b32_e32 v10, v10, v31
	s_delay_alu instid0(VALU_DEP_1)
	v_cmp_eq_u32_e32 vcc_lo, v10, v29
	s_and_b32 exec_lo, exec_lo, vcc_lo
	s_cbranch_execz .LBB135_425
; %bb.429:                              ;   in Loop: Header=BB135_427 Depth=2
	v_lshlrev_b16 v9, 8, v9
	s_delay_alu instid0(VALU_DEP_1)
	v_or_b32_e32 v9, 1, v9
	ds_store_b16 v3, v9 offset:3072
	s_branch .LBB135_425
.LBB135_430:                            ;   in Loop: Header=BB135_427 Depth=2
	v_add_nc_u64_e32 v[6:7], s[48:49], v[6:7]
	v_add_nc_u32_e32 v8, s48, v8
	s_mov_b32 s46, 0
	s_delay_alu instid0(VALU_DEP_2)
	v_cmp_le_u64_e32 vcc_lo, s[14:15], v[6:7]
	s_or_not1_b32 s45, vcc_lo, exec_lo
	s_branch .LBB135_426
.LBB135_431:                            ;   in Loop: Header=BB135_12 Depth=1
	s_or_b32 exec_lo, exec_lo, s16
	v_and_b32_e32 v6, 0xffff, v9
	s_and_b32 s16, s44, exec_lo
	s_delay_alu instid0(VALU_DEP_1)
	v_lshrrev_b32_e32 v32, 8, v6
.LBB135_432:                            ;   in Loop: Header=BB135_12 Depth=1
	s_or_b32 exec_lo, exec_lo, s28
.LBB135_433:                            ;   in Loop: Header=BB135_12 Depth=1
	s_delay_alu instid0(SALU_CYCLE_1)
	s_and_b32 vcc_lo, exec_lo, s17
	s_cbranch_vccz .LBB135_449
; %bb.434:                              ;   in Loop: Header=BB135_12 Depth=1
	s_and_b64 s[10:11], s[66:67], 0xffffffff00000000
	s_delay_alu instid0(SALU_CYCLE_1)
	s_cmp_lg_u64 s[10:11], 0
	s_cbranch_scc0 .LBB135_436
; %bb.435:                              ;   in Loop: Header=BB135_12 Depth=1
	s_cvt_f32_u32 s10, s48
	s_sub_nc_u64 s[14:15], 0, s[48:49]
	s_delay_alu instid0(SALU_CYCLE_2) | instskip(NEXT) | instid1(SALU_CYCLE_3)
	s_fmamk_f32 s10, s101, 0x0, s10
	v_s_rcp_f32 s10, s10
	s_delay_alu instid0(TRANS32_DEP_1) | instskip(NEXT) | instid1(SALU_CYCLE_3)
	s_mul_f32 s10, s10, 0x5f7ffffc
	s_mul_f32 s11, s10, 0x2f800000
	s_delay_alu instid0(SALU_CYCLE_3) | instskip(NEXT) | instid1(SALU_CYCLE_3)
	s_trunc_f32 s11, s11
	s_fmamk_f32 s10, s11, 0xcf800000, s10
	s_cvt_u32_f32 s11, s11
	s_delay_alu instid0(SALU_CYCLE_2) | instskip(NEXT) | instid1(SALU_CYCLE_3)
	s_cvt_u32_f32 s10, s10
	s_mul_u64 s[44:45], s[14:15], s[10:11]
	s_delay_alu instid0(SALU_CYCLE_1)
	s_mul_hi_u32 s47, s10, s45
	s_mul_i32 s46, s10, s45
	s_mul_hi_u32 s28, s10, s44
	s_mul_i32 s52, s11, s44
	s_add_nc_u64 s[46:47], s[28:29], s[46:47]
	s_mul_hi_u32 s17, s11, s44
	s_mul_hi_u32 s53, s11, s45
	s_add_co_u32 s28, s46, s52
	s_add_co_ci_u32 s28, s47, s17
	s_mul_i32 s44, s11, s45
	s_add_co_ci_u32 s45, s53, 0
	s_delay_alu instid0(SALU_CYCLE_1) | instskip(NEXT) | instid1(SALU_CYCLE_1)
	s_add_nc_u64 s[44:45], s[28:29], s[44:45]
	s_add_co_u32 s10, s10, s44
	s_cselect_b32 s17, -1, 0
	s_delay_alu instid0(SALU_CYCLE_1) | instskip(SKIP_1) | instid1(SALU_CYCLE_1)
	s_cmp_lg_u32 s17, 0
	s_add_co_ci_u32 s11, s11, s45
	s_mul_u64 s[14:15], s[14:15], s[10:11]
	s_delay_alu instid0(SALU_CYCLE_1)
	s_mul_hi_u32 s45, s10, s15
	s_mul_i32 s44, s10, s15
	s_mul_hi_u32 s28, s10, s14
	s_mul_i32 s46, s11, s14
	s_add_nc_u64 s[44:45], s[28:29], s[44:45]
	s_mul_hi_u32 s17, s11, s14
	s_mul_hi_u32 s47, s11, s15
	s_mul_i32 s14, s11, s15
	s_add_co_u32 s15, s44, s46
	s_add_co_ci_u32 s28, s45, s17
	s_add_co_ci_u32 s15, s47, 0
	s_delay_alu instid0(SALU_CYCLE_1) | instskip(NEXT) | instid1(SALU_CYCLE_1)
	s_add_nc_u64 s[14:15], s[28:29], s[14:15]
	s_add_co_u32 s10, s10, s14
	s_cselect_b32 s14, -1, 0
	s_mul_hi_u32 s28, s66, s10
	s_cmp_lg_u32 s14, 0
	s_mul_hi_u32 s17, s67, s10
	s_add_co_ci_u32 s14, s11, s15
	s_mul_i32 s15, s67, s10
	s_mul_hi_u32 s11, s66, s14
	s_mul_i32 s10, s66, s14
	s_mul_hi_u32 s44, s67, s14
	s_add_nc_u64 s[10:11], s[28:29], s[10:11]
	s_mul_i32 s14, s67, s14
	s_add_co_u32 s10, s10, s15
	s_add_co_ci_u32 s28, s11, s17
	s_add_co_ci_u32 s15, s44, 0
	s_delay_alu instid0(SALU_CYCLE_1) | instskip(NEXT) | instid1(SALU_CYCLE_1)
	s_add_nc_u64 s[10:11], s[28:29], s[14:15]
	s_and_b64 s[14:15], s[10:11], 0xffffffff00000000
	s_delay_alu instid0(SALU_CYCLE_1) | instskip(NEXT) | instid1(SALU_CYCLE_1)
	s_or_b32 s14, s14, s10
	s_mul_u64 s[10:11], s[48:49], s[14:15]
	s_delay_alu instid0(SALU_CYCLE_1) | instskip(SKIP_1) | instid1(SALU_CYCLE_1)
	s_sub_co_u32 s10, s66, s10
	s_cselect_b32 s14, -1, 0
	s_cmp_lg_u32 s14, 0
	s_sub_co_ci_u32 s11, s67, s11
	s_sub_co_u32 s14, s10, s48
	s_cselect_b32 s15, -1, 0
	s_delay_alu instid0(SALU_CYCLE_1) | instskip(SKIP_3) | instid1(SALU_CYCLE_1)
	s_cmp_lg_u32 s15, 0
	s_sub_co_ci_u32 s15, s11, 0
	s_sub_co_u32 s17, s14, s48
	s_cselect_b32 s28, -1, 0
	s_cmp_lg_u32 s28, 0
	s_sub_co_ci_u32 s28, s15, 0
	s_cmp_ge_u32 s14, s48
	s_cselect_b32 s44, -1, 0
	s_cmp_eq_u32 s15, 0
	s_cselect_b32 s44, s44, -1
	s_delay_alu instid0(SALU_CYCLE_1)
	s_cmp_lg_u32 s44, 0
	s_cselect_b32 s15, s28, s15
	s_cselect_b32 s14, s17, s14
	s_cmp_ge_u32 s10, s48
	s_cselect_b32 s17, -1, 0
	s_cmp_eq_u32 s11, 0
	s_cselect_b32 s17, s17, -1
	s_delay_alu instid0(SALU_CYCLE_1)
	s_cmp_lg_u32 s17, 0
	s_cselect_b32 s11, s15, s11
	s_cselect_b32 s10, s14, s10
	s_mov_b32 s14, 0
	s_branch .LBB135_437
.LBB135_436:                            ;   in Loop: Header=BB135_12 Depth=1
	s_mov_b32 s14, -1
                                        ; implicit-def: $sgpr10_sgpr11
.LBB135_437:                            ;   in Loop: Header=BB135_12 Depth=1
	s_delay_alu instid0(SALU_CYCLE_1)
	s_and_not1_b32 vcc_lo, exec_lo, s14
	s_cbranch_vccnz .LBB135_439
; %bb.438:                              ;   in Loop: Header=BB135_12 Depth=1
	v_cvt_f32_u32_e32 v6, s48
	s_sub_co_i32 s11, 0, s48
	s_delay_alu instid0(VALU_DEP_1) | instskip(SKIP_1) | instid1(TRANS32_DEP_1)
	v_rcp_iflag_f32_e32 v6, v6
	v_nop
	v_mul_f32_e32 v6, 0x4f7ffffe, v6
	s_delay_alu instid0(VALU_DEP_1) | instskip(NEXT) | instid1(VALU_DEP_1)
	v_cvt_u32_f32_e32 v6, v6
	v_readfirstlane_b32 s10, v6
	s_mul_i32 s11, s11, s10
	s_delay_alu instid0(SALU_CYCLE_1) | instskip(NEXT) | instid1(SALU_CYCLE_1)
	s_mul_hi_u32 s11, s10, s11
	s_add_co_i32 s10, s10, s11
	s_delay_alu instid0(SALU_CYCLE_1) | instskip(NEXT) | instid1(SALU_CYCLE_1)
	s_mul_hi_u32 s10, s66, s10
	s_mul_i32 s10, s10, s48
	s_delay_alu instid0(SALU_CYCLE_1) | instskip(NEXT) | instid1(SALU_CYCLE_1)
	s_sub_co_i32 s10, s66, s10
	s_sub_co_i32 s11, s10, s48
	s_cmp_ge_u32 s10, s48
	s_cselect_b32 s10, s11, s10
	s_delay_alu instid0(SALU_CYCLE_1) | instskip(SKIP_2) | instid1(SALU_CYCLE_1)
	s_sub_co_i32 s11, s10, s48
	s_cmp_ge_u32 s10, s48
	s_cselect_b32 s28, s11, s10
	s_mov_b64 s[10:11], s[28:29]
.LBB135_439:                            ;   in Loop: Header=BB135_12 Depth=1
	s_delay_alu instid0(SALU_CYCLE_1)
	s_sub_nc_u64 s[10:11], s[66:67], s[10:11]
	s_mov_b32 s14, exec_lo
                                        ; implicit-def: $vgpr32
	v_nop
	v_cmpx_gt_u64_e64 s[10:11], v[0:1]
	s_cbranch_execz .LBB135_448
; %bb.440:                              ;   in Loop: Header=BB135_12 Depth=1
	v_mov_b64_e32 v[6:7], v[0:1]
	s_mov_b32 s15, 0
                                        ; implicit-def: $sgpr17
	s_branch .LBB135_443
.LBB135_441:                            ;   in Loop: Header=BB135_443 Depth=2
	s_or_b32 exec_lo, exec_lo, s28
	s_wait_dscnt 0x0
	s_barrier_signal -1
	s_barrier_wait -1
	ds_load_u16 v8, v3 offset:3072
	s_mov_b32 s44, -1
	s_mov_b32 s28, -1
	s_wait_dscnt 0x0
	s_barrier_signal -1
	s_barrier_wait -1
	v_and_b32_e32 v9, 0xff, v8
	s_delay_alu instid0(VALU_DEP_1)
	v_cmp_eq_u32_e32 vcc_lo, 0, v9
	s_cbranch_vccnz .LBB135_446
.LBB135_442:                            ;   in Loop: Header=BB135_443 Depth=2
	s_and_b32 s8, exec_lo, s44
	s_delay_alu instid0(SALU_CYCLE_1) | instskip(SKIP_2) | instid1(SALU_CYCLE_1)
	s_or_b32 s15, s8, s15
	s_and_not1_b32 s8, s17, exec_lo
	s_and_b32 s17, s28, exec_lo
	s_or_b32 s17, s8, s17
	s_and_not1_b32 exec_lo, exec_lo, s15
	s_cbranch_execz .LBB135_447
.LBB135_443:                            ;   Parent Loop BB135_12 Depth=1
                                        ; =>  This Inner Loop Header: Depth=2
	s_mov_b32 s28, exec_lo
	s_delay_alu instid0(VALU_DEP_1)
	v_cmpx_gt_u64_e64 s[36:37], v[6:7]
	s_cbranch_execz .LBB135_441
; %bb.444:                              ;   in Loop: Header=BB135_443 Depth=2
	v_mad_nc_u64_u32 v[8:9], v6, s30, s[34:35]
	s_delay_alu instid0(VALU_DEP_1) | instskip(NEXT) | instid1(VALU_DEP_1)
	v_mad_u32 v9, v7, s30, v9
	v_mad_u32 v9, v6, s31, v9
	global_load_u8 v8, v[8:9], off
	s_wait_loadcnt 0x0
	v_bfe_i32 v9, v8, 0, 8
	s_delay_alu instid0(VALU_DEP_1) | instskip(NEXT) | instid1(VALU_DEP_1)
	v_add_nc_u32_e32 v9, 0x80, v9
	v_and_b32_e32 v9, v9, v31
	s_delay_alu instid0(VALU_DEP_1)
	v_cmp_eq_u32_e32 vcc_lo, v9, v29
	s_and_b32 exec_lo, exec_lo, vcc_lo
	s_cbranch_execz .LBB135_441
; %bb.445:                              ;   in Loop: Header=BB135_443 Depth=2
	v_lshlrev_b16 v8, 8, v8
	s_delay_alu instid0(VALU_DEP_1)
	v_or_b32_e32 v8, 1, v8
	ds_store_b16 v3, v8 offset:3072
	s_branch .LBB135_441
.LBB135_446:                            ;   in Loop: Header=BB135_443 Depth=2
	v_add_nc_u64_e32 v[6:7], s[48:49], v[6:7]
	s_mov_b32 s28, 0
	s_delay_alu instid0(VALU_DEP_1)
	v_cmp_le_u64_e32 vcc_lo, s[10:11], v[6:7]
	s_or_not1_b32 s44, vcc_lo, exec_lo
	s_branch .LBB135_442
.LBB135_447:                            ;   in Loop: Header=BB135_12 Depth=1
	s_or_b32 exec_lo, exec_lo, s15
	v_and_b32_e32 v6, 0xffff, v8
	s_and_not1_b32 s8, s16, exec_lo
	s_and_b32 s10, s17, exec_lo
	s_delay_alu instid0(SALU_CYCLE_1) | instskip(NEXT) | instid1(VALU_DEP_1)
	s_or_b32 s16, s8, s10
	v_lshrrev_b32_e32 v32, 8, v6
.LBB135_448:                            ;   in Loop: Header=BB135_12 Depth=1
	s_or_b32 exec_lo, exec_lo, s14
	s_mov_b32 s78, 0
	s_mov_b32 s79, -1
.LBB135_449:                            ;   in Loop: Header=BB135_12 Depth=1
	s_or_not1_b32 s11, s16, exec_lo
.LBB135_450:                            ;   in Loop: Header=BB135_12 Depth=1
	s_or_b32 exec_lo, exec_lo, s77
	s_mov_b32 s14, 0
	s_and_saveexec_b32 s10, s11
	s_cbranch_execz .LBB135_461
; %bb.451:                              ;   in Loop: Header=BB135_12 Depth=1
	v_mov_b64_e32 v[6:7], 1
	v_mov_b32_e32 v2, 1
	s_xor_b32 s14, s76, -1
	s_delay_alu instid0(SALU_CYCLE_1)
	s_and_saveexec_b32 s11, s14
	s_cbranch_execz .LBB135_460
; %bb.452:                              ;   in Loop: Header=BB135_12 Depth=1
	s_mov_b32 s14, exec_lo
	v_cmpx_ge_u64_e64 s[12:13], v[4:5]
	s_xor_b32 s14, exec_lo, s14
	s_cbranch_execz .LBB135_457
; %bb.453:                              ;   in Loop: Header=BB135_12 Depth=1
	ds_load_b64 v[6:7], v3 offset:5120
	v_and_b32_e32 v29, s25, v29
	v_or_b32_e32 v31, s24, v31
	s_wait_dscnt 0x0
	v_cmp_ne_u64_e32 vcc_lo, 0, v[6:7]
	s_cbranch_vccnz .LBB135_457
; %bb.454:                              ;   in Loop: Header=BB135_12 Depth=1
	s_and_saveexec_b32 s15, s5
; %bb.455:                              ;   in Loop: Header=BB135_12 Depth=1
	v_mov_b64_e32 v[6:7], s[12:13]
	ds_store_b64 v3, v[6:7] offset:5128
; %bb.456:                              ;   in Loop: Header=BB135_12 Depth=1
	s_or_b32 exec_lo, exec_lo, s15
	s_wait_dscnt 0x0
	s_barrier_signal -1
	s_barrier_wait -1
.LBB135_457:                            ;   in Loop: Header=BB135_12 Depth=1
	s_and_not1_saveexec_b32 s14, s14
; %bb.458:                              ;   in Loop: Header=BB135_12 Depth=1
	v_sub_nc_u64_e64 v[4:5], v[4:5], s[12:13]
; %bb.459:                              ;   in Loop: Header=BB135_12 Depth=1
	s_or_b32 exec_lo, exec_lo, s14
	s_delay_alu instid0(VALU_DEP_1)
	v_mov_b64_e32 v[6:7], v[4:5]
	v_mov_b32_e32 v2, 5
.LBB135_460:                            ;   in Loop: Header=BB135_12 Depth=1
	s_or_b32 exec_lo, exec_lo, s11
	s_delay_alu instid0(VALU_DEP_2)
	v_mov_b64_e32 v[4:5], v[6:7]
	s_mov_b32 s14, exec_lo
.LBB135_461:                            ;   in Loop: Header=BB135_12 Depth=1
	s_or_b32 exec_lo, exec_lo, s10
	s_delay_alu instid0(SALU_CYCLE_1)
	s_or_not1_b32 s10, s14, exec_lo
.LBB135_462:                            ;   in Loop: Header=BB135_12 Depth=1
	s_or_b32 exec_lo, exec_lo, s19
	s_delay_alu instid0(VALU_DEP_1)
	v_mov_b64_e32 v[6:7], v[4:5]
	s_and_not1_b32 s11, s75, exec_lo
	s_and_b32 s12, s79, exec_lo
	s_and_not1_b32 s13, s73, exec_lo
	s_and_b32 s14, s78, exec_lo
	s_or_b32 s75, s11, s12
	s_or_b32 s73, s13, s14
	s_and_b32 s11, s10, exec_lo
.LBB135_463:                            ;   in Loop: Header=BB135_12 Depth=1
	s_or_b32 exec_lo, exec_lo, s18
	s_delay_alu instid0(SALU_CYCLE_1)
	s_or_not1_b32 s10, s11, exec_lo
.LBB135_464:                            ;   in Loop: Header=BB135_12 Depth=1
	s_or_b32 exec_lo, exec_lo, s21
	v_mov_b64_e32 v[4:5], v[6:7]
	s_and_not1_b32 s11, s72, exec_lo
	s_and_b32 s12, s75, exec_lo
	s_and_not1_b32 s13, s23, exec_lo
	s_and_b32 s14, s73, exec_lo
	s_or_b32 s72, s11, s12
	s_or_b32 s23, s13, s14
	s_and_b32 s11, s10, exec_lo
.LBB135_465:                            ;   in Loop: Header=BB135_12 Depth=1
	s_or_b32 exec_lo, exec_lo, s20
	s_delay_alu instid0(SALU_CYCLE_1)
	s_or_not1_b32 s10, s11, exec_lo
.LBB135_466:                            ;   in Loop: Header=BB135_12 Depth=1
	s_or_b32 exec_lo, exec_lo, s9
	s_mov_b32 s9, s43
	s_mov_b32 s11, s27
	s_and_saveexec_b32 s12, s10
; %bb.467:                              ;   in Loop: Header=BB135_12 Depth=1
	v_cmp_ne_u32_e32 vcc_lo, 5, v2
	v_cmp_eq_u32_e64 s9, 5, v2
	s_and_not1_b32 s10, s27, exec_lo
	s_and_not1_b32 s13, s43, exec_lo
	s_and_b32 s11, vcc_lo, exec_lo
	s_and_b32 s9, s9, exec_lo
	s_or_b32 s11, s10, s11
	s_or_b32 s9, s13, s9
; %bb.468:                              ;   in Loop: Header=BB135_12 Depth=1
	s_or_b32 exec_lo, exec_lo, s12
	s_delay_alu instid0(SALU_CYCLE_1)
	s_and_not1_b32 s8, s74, exec_lo
	s_and_b32 s10, s72, exec_lo
	s_and_not1_b32 s12, s26, exec_lo
	s_and_b32 s13, s23, exec_lo
	s_or_b32 s74, s8, s10
	s_and_not1_b32 s8, s27, exec_lo
	s_and_b32 s10, s11, exec_lo
	s_and_not1_b32 s11, s43, exec_lo
	s_and_b32 s9, s9, exec_lo
	s_or_b32 s26, s12, s13
	s_or_b32 s27, s8, s10
	;; [unrolled: 1-line block ×3, first 2 shown]
.LBB135_469:                            ;   in Loop: Header=BB135_12 Depth=1
	s_or_b32 exec_lo, exec_lo, s22
	s_mov_b32 s72, 0
	s_mov_b32 s73, 0
	s_and_saveexec_b32 s9, s43
.LBB135_470:                            ;   in Loop: Header=BB135_12 Depth=1
	v_mov_b32_e32 v2, 0
	s_or_b32 s27, s27, exec_lo
.LBB135_471:                            ;   in Loop: Header=BB135_12 Depth=1
	s_or_b32 exec_lo, exec_lo, s9
	v_mov_b64_e32 v[22:23], v[4:5]
	s_and_not1_b32 s8, s40, exec_lo
	s_and_b32 s9, s74, exec_lo
	s_and_not1_b32 s11, s62, exec_lo
	s_and_b32 s12, s26, exec_lo
	s_or_b32 s40, s8, s9
	s_or_b32 s62, s11, s12
	s_and_not1_b32 s8, s42, exec_lo
	s_and_b32 s9, s73, exec_lo
	s_and_not1_b32 s11, s41, exec_lo
	s_and_b32 s12, s72, exec_lo
	s_mov_b32 s10, -1
	s_and_not1_b32 s63, s63, exec_lo
	s_or_b32 s42, s8, s9
	s_or_b32 s41, s11, s12
	s_and_saveexec_b32 s8, s27
	s_delay_alu instid0(SALU_CYCLE_1)
	s_xor_b32 s9, exec_lo, s8
	s_cbranch_execz .LBB135_11
; %bb.472:                              ;   in Loop: Header=BB135_12 Depth=1
	s_mov_b32 s11, -1
	s_mov_b32 s12, exec_lo
	v_cmpx_eq_u32_e32 0, v2
	s_cbranch_execz .LBB135_10
; %bb.473:                              ;   in Loop: Header=BB135_12 Depth=1
	s_xor_b32 s103, s103, 1
	s_add_co_i32 s13, s99, -2
	s_cmp_eq_u32 s99, 0
	s_mov_b32 s99, s13
	s_cselect_b32 s10, -1, 0
	s_xor_b32 s11, exec_lo, -1
	s_or_not1_b32 s10, s10, exec_lo
	s_branch .LBB135_10
.LBB135_474:
	s_or_b32 exec_lo, exec_lo, s100
	s_xor_b32 s7, s61, -1
	s_xor_b32 s9, vcc_hi, -1
	s_xor_b32 s10, s60, -1
	s_xor_b32 s11, s102, -1
	;; [unrolled: 1-line block ×3, first 2 shown]
	s_mov_b32 s8, 0
	s_and_saveexec_b32 s12, s11
	s_delay_alu instid0(SALU_CYCLE_1)
	s_xor_b32 s16, exec_lo, s12
	s_cbranch_execnz .LBB135_479
; %bb.475:
	s_wait_xcnt 0x0
	s_and_not1_saveexec_b32 s0, s16
	s_cbranch_execnz .LBB135_498
.LBB135_476:
	s_or_b32 exec_lo, exec_lo, s0
	s_and_saveexec_b32 s0, s8
.LBB135_477:
	; divergent unreachable
.LBB135_478:
	s_endpgm
.LBB135_479:
	s_and_saveexec_b32 s11, s10
	s_delay_alu instid0(SALU_CYCLE_1)
	s_xor_b32 s17, exec_lo, s11
	s_cbranch_execz .LBB135_496
; %bb.480:
	s_and_saveexec_b32 s10, s9
	s_delay_alu instid0(SALU_CYCLE_1)
	s_xor_b32 s18, exec_lo, s10
	s_cbranch_execz .LBB135_494
; %bb.481:
	;; [unrolled: 5-line block ×3, first 2 shown]
	s_and_saveexec_b32 s7, s6
	s_delay_alu instid0(SALU_CYCLE_1)
	s_xor_b32 s6, exec_lo, s7
; %bb.483:
	v_xor_b32_e32 v32, 0xffffff80, v29
; %bb.484:
	s_or_b32 exec_lo, exec_lo, s6
	s_and_saveexec_b32 s6, s5
; %bb.485:
	v_mov_b64_e32 v[2:3], 0
	v_mov_b32_e32 v4, 0
	ds_store_b64 v4, v[2:3] offset:5136
; %bb.486:
	s_or_b32 exec_lo, exec_lo, s6
	v_mov_b32_e32 v13, 0
	s_wait_dscnt 0x0
	s_barrier_signal -1
	s_barrier_wait -1
	s_and_saveexec_b32 s5, s3
	s_cbranch_execz .LBB135_488
; %bb.487:
	global_load_u8 v13, v[14:15], off
.LBB135_488:
	s_wait_xcnt 0x0
	s_or_b32 exec_lo, exec_lo, s5
	s_load_b64 s[6:7], s[0:1], 0x1d8
	v_readlane_b32 s20, v42, 0
	v_readlane_b32 s21, v42, 1
	;; [unrolled: 1-line block ×4, first 2 shown]
	s_add_nc_u64 s[10:11], s[36:37], 31
	s_mov_b64 s[12:13], 0xffffffffffffffe0
	v_readlane_b32 s26, v42, 12
	s_and_b64 s[10:11], s[10:11], s[12:13]
	s_wait_kmcnt 0x0
	s_mul_u64 s[12:13], s[58:59], s[56:57]
	v_readlane_b32 s27, v42, 13
	s_sub_nc_u64 s[12:13], s[50:51], s[12:13]
	v_cmp_gt_u64_e32 vcc_lo, s[10:11], v[0:1]
	s_mov_b32 s5, 0
	s_mul_u64 s[14:15], s[20:21], s[6:7]
	s_clause 0x1
	s_load_b64 s[6:7], s[0:1], 0x368
	s_load_b64 s[8:9], s[0:1], 0x510
	s_wait_xcnt 0x0
	s_sub_nc_u64 s[0:1], s[50:51], s[14:15]
	s_mul_u64 s[14:15], s[20:21], s[24:25]
	v_readlane_b32 s20, v42, 4
	v_readlane_b32 s22, v42, 6
	;; [unrolled: 1-line block ×4, first 2 shown]
	s_mul_u64 s[0:1], s[0:1], s[26:27]
	s_mul_u64 s[12:13], s[12:13], s[22:23]
	v_readlane_b32 s22, v42, 2
	v_readlane_b32 s23, v42, 3
	s_mul_u64 s[20:21], s[58:59], s[20:21]
	s_delay_alu instid0(SALU_CYCLE_1)
	s_lshl_b64 s[20:21], s[20:21], 3
	s_add_nc_u64 s[14:15], s[22:23], s[14:15]
	v_readlane_b32 s22, v42, 8
	v_readlane_b32 s23, v42, 9
	s_add_nc_u64 s[20:21], s[22:23], s[20:21]
	s_lshl_b64 s[22:23], s[12:13], 3
	s_add_nc_u64 s[12:13], s[14:15], s[0:1]
	s_add_nc_u64 s[14:15], s[20:21], s[22:23]
	s_mov_b32 s0, -1
	s_mov_b32 s1, 0
	s_and_saveexec_b32 s20, vcc_lo
	s_cbranch_execnz .LBB135_499
; %bb.489:
	s_or_b32 exec_lo, exec_lo, s20
	s_and_saveexec_b32 s4, s0
	s_cbranch_execnz .LBB135_514
.LBB135_490:
	s_or_b32 exec_lo, exec_lo, s4
	s_and_saveexec_b32 s0, s1
	s_delay_alu instid0(SALU_CYCLE_1)
	s_xor_b32 s0, exec_lo, s0
	s_cbranch_execnz .LBB135_537
.LBB135_491:
	s_or_b32 exec_lo, exec_lo, s0
	s_wait_kmcnt 0x0
	s_and_b32 s8, s5, exec_lo
.LBB135_492:
	s_wait_xcnt 0x0
	s_and_not1_saveexec_b32 s0, s19
	s_cbranch_execnz .LBB135_539
.LBB135_493:
	s_or_b32 exec_lo, exec_lo, s0
	s_delay_alu instid0(SALU_CYCLE_1)
	s_and_b32 s8, s8, exec_lo
.LBB135_494:
	s_wait_xcnt 0x0
	s_and_not1_saveexec_b32 s0, s18
	s_cbranch_execnz .LBB135_538
.LBB135_495:
	s_or_b32 exec_lo, exec_lo, s0
	s_delay_alu instid0(SALU_CYCLE_1)
	s_and_b32 s8, s8, exec_lo
.LBB135_496:
	s_wait_xcnt 0x0
	s_and_not1_saveexec_b32 s0, s17
	s_cbranch_execnz .LBB135_533
.LBB135_497:
	s_or_b32 exec_lo, exec_lo, s0
	s_delay_alu instid0(SALU_CYCLE_1)
	s_and_b32 s8, s8, exec_lo
	s_and_not1_saveexec_b32 s0, s16
	s_cbranch_execz .LBB135_476
.LBB135_498:
	s_or_b32 s8, s8, exec_lo
	s_trap 2
	s_or_b32 exec_lo, exec_lo, s0
	s_and_saveexec_b32 s0, s8
	s_cbranch_execnz .LBB135_477
	s_branch .LBB135_478
.LBB135_499:
	v_bfe_i32 v2, v32, 0, 8
	v_mov_b64_e32 v[8:9], v[0:1]
	v_mov_b32_e32 v3, 0
	s_mov_b32 s21, 0
                                        ; implicit-def: $sgpr22
                                        ; implicit-def: $vgpr6_vgpr7
	s_delay_alu instid0(VALU_DEP_3)
	v_add_nc_u32_e32 v16, 0x80, v2
	s_branch .LBB135_501
.LBB135_500:                            ;   in Loop: Header=BB135_501 Depth=1
	s_or_b32 exec_lo, exec_lo, s24
	s_xor_b32 s0, s23, -1
	s_and_b32 s1, exec_lo, s1
	v_mov_b64_e32 v[8:9], v[4:5]
	v_mov_b32_e32 v13, v17
	s_or_b32 s21, s1, s21
	s_and_not1_b32 s1, s22, exec_lo
	s_and_b32 s0, s0, exec_lo
	s_delay_alu instid0(SALU_CYCLE_1)
	s_or_b32 s22, s1, s0
	s_and_not1_b32 exec_lo, exec_lo, s21
	s_cbranch_execz .LBB135_513
.LBB135_501:                            ; =>This Inner Loop Header: Depth=1
	s_delay_alu instid0(VALU_DEP_3) | instskip(SKIP_2) | instid1(VALU_DEP_2)
	v_add_nc_u64_e32 v[4:5], s[48:49], v[8:9]
	v_mov_b32_e32 v17, 0
	s_mov_b32 s1, exec_lo
	v_cmpx_gt_u64_e64 s[36:37], v[4:5]
	s_cbranch_execz .LBB135_503
; %bb.502:                              ;   in Loop: Header=BB135_501 Depth=1
	v_mad_nc_u64_u32 v[10:11], v4, s30, s[34:35]
	s_delay_alu instid0(VALU_DEP_1) | instskip(NEXT) | instid1(VALU_DEP_1)
	v_mad_u32 v2, v5, s30, v11
	v_mad_u32 v11, v4, s31, v2
	global_load_u8 v17, v[10:11], off
.LBB135_503:                            ;   in Loop: Header=BB135_501 Depth=1
	s_wait_xcnt 0x0
	s_or_b32 exec_lo, exec_lo, s1
	s_wait_loadcnt 0x0
	v_bfe_i32 v2, v13, 0, 8
	s_delay_alu instid0(VALU_DEP_1) | instskip(NEXT) | instid1(VALU_DEP_1)
	v_add_nc_u32_e32 v2, 0x80, v2
	v_cmp_gt_u32_e64 s0, v2, v16
	s_delay_alu instid0(VALU_DEP_1) | instskip(SKIP_1) | instid1(VALU_DEP_1)
	v_cndmask_b32_e64 v10, 0, 1, s0
	v_cmp_lt_u32_e64 s0, v2, v16
	v_cndmask_b32_e64 v2, 0, 1, s0
	v_cmp_gt_u64_e64 s0, s[36:37], v[8:9]
	s_delay_alu instid0(VALU_DEP_2) | instskip(NEXT) | instid1(VALU_DEP_1)
	v_cndmask_b32_e64 v2, v2, v10, s4
	v_and_b32_e32 v2, 1, v2
	s_delay_alu instid0(VALU_DEP_1) | instskip(SKIP_1) | instid1(SALU_CYCLE_1)
	v_cmp_eq_u32_e64 s1, 1, v2
	s_and_b32 s23, s0, s1
	v_cndmask_b32_e64 v2, 0, 1, s23
	s_delay_alu instid0(VALU_DEP_1) | instskip(SKIP_2) | instid1(SALU_CYCLE_1)
	v_cmp_ne_u32_e64 s0, 0, v2
	s_cmp_lg_u32 s0, 0
	s_cselect_b32 s1, -1, 0
	s_and_b32 s1, s2, s1
	s_delay_alu instid0(SALU_CYCLE_1)
	s_and_saveexec_b32 s24, s1
	s_cbranch_execz .LBB135_507
; %bb.504:                              ;   in Loop: Header=BB135_501 Depth=1
	s_mov_b32 s27, exec_lo
	s_bcnt1_i32_b32 s25, s0
	v_mbcnt_lo_u32_b32 v10, s27, 0
	s_mov_b32 s26, exec_lo
                                        ; implicit-def: $vgpr6_vgpr7
	s_delay_alu instid0(VALU_DEP_1)
	v_cmpx_eq_u32_e32 0, v10
	s_cbranch_execz .LBB135_506
; %bb.505:                              ;   in Loop: Header=BB135_501 Depth=1
	s_bcnt1_i32_b32 s1, s27
	s_delay_alu instid0(SALU_CYCLE_1) | instskip(NEXT) | instid1(SALU_CYCLE_1)
	s_mul_i32 s1, s25, s1
	v_mov_b32_e32 v2, s1
	s_wait_dscnt 0x0
	ds_add_rtn_u64 v[6:7], v3, v[2:3] offset:5136
.LBB135_506:                            ;   in Loop: Header=BB135_501 Depth=1
	s_or_b32 exec_lo, exec_lo, s26
	s_wait_dscnt 0x0
	v_readfirstlane_b32 s27, v7
	v_readfirstlane_b32 s26, v6
	s_delay_alu instid0(VALU_DEP_1)
	v_mad_nc_u64_u32 v[6:7], s25, v10, s[26:27]
.LBB135_507:                            ;   in Loop: Header=BB135_501 Depth=1
	s_or_b32 exec_lo, exec_lo, s24
	s_wait_dscnt 0x1
	ds_bpermute_b32 v6, v3, v6
	s_wait_dscnt 0x1
	ds_bpermute_b32 v7, v3, v7
	s_mov_b32 s1, -1
	s_mov_b32 s25, -1
	s_and_saveexec_b32 s24, s23
	s_cbranch_execz .LBB135_511
; %bb.508:                              ;   in Loop: Header=BB135_501 Depth=1
	v_and_b32_e32 v2, s0, v12
	s_mov_b32 s23, 0
	s_mov_b32 s25, exec_lo
	s_delay_alu instid0(VALU_DEP_1) | instskip(SKIP_1) | instid1(VALU_DEP_1)
	v_bcnt_u32_b32 v2, v2, 0
	s_wait_dscnt 0x0
	v_add_nc_u64_e32 v[10:11], v[6:7], v[2:3]
	s_delay_alu instid0(VALU_DEP_1)
	v_cmpx_gt_u64_e64 s[38:39], v[10:11]
	s_cbranch_execz .LBB135_510
; %bb.509:                              ;   in Loop: Header=BB135_501 Depth=1
	s_wait_kmcnt 0x0
	v_mul_u64_e32 v[18:19], s[8:9], v[10:11]
	v_mad_nc_u64_u32 v[20:21], v10, s6, s[12:13]
	s_mov_b32 s23, exec_lo
	s_delay_alu instid0(VALU_DEP_1) | instskip(NEXT) | instid1(VALU_DEP_1)
	v_mad_u32 v2, v11, s6, v21
	v_mad_u32 v21, v10, s7, v2
	s_delay_alu instid0(VALU_DEP_4)
	v_lshl_add_u64 v[10:11], v[18:19], 3, s[14:15]
	global_store_b8 v[20:21], v13, off
	global_store_b64 v[10:11], v[8:9], off
.LBB135_510:                            ;   in Loop: Header=BB135_501 Depth=1
	s_wait_xcnt 0x0
	s_or_b32 exec_lo, exec_lo, s25
	s_delay_alu instid0(SALU_CYCLE_1)
	s_or_not1_b32 s25, s23, exec_lo
.LBB135_511:                            ;   in Loop: Header=BB135_501 Depth=1
	s_or_b32 exec_lo, exec_lo, s24
	s_mov_b32 s23, -1
	s_and_saveexec_b32 s24, s25
	s_cbranch_execz .LBB135_500
; %bb.512:                              ;   in Loop: Header=BB135_501 Depth=1
	v_cmp_le_u64_e64 s0, s[10:11], v[4:5]
	s_xor_b32 s23, exec_lo, -1
	s_or_not1_b32 s1, s0, exec_lo
	s_branch .LBB135_500
.LBB135_513:
	s_or_b32 exec_lo, exec_lo, s21
	s_delay_alu instid0(SALU_CYCLE_1)
	s_mov_b32 s1, exec_lo
	s_or_not1_b32 s0, s22, exec_lo
	s_or_b32 exec_lo, exec_lo, s20
	s_and_saveexec_b32 s4, s0
	s_cbranch_execz .LBB135_490
.LBB135_514:
	v_mov_b32_e32 v2, 0
	s_wait_storecnt 0x0
	s_wait_loadcnt_dscnt 0x0
	s_barrier_signal -1
	s_barrier_wait -1
	s_and_saveexec_b32 s0, s3
	s_cbranch_execz .LBB135_516
; %bb.515:
	global_load_u8 v2, v[14:15], off
.LBB135_516:
	s_wait_xcnt 0x0
	s_or_b32 exec_lo, exec_lo, s0
	s_mov_b32 s0, 0
	s_and_saveexec_b32 s3, vcc_lo
	s_cbranch_execz .LBB135_536
; %bb.517:
	v_and_b32_e32 v10, 0xff, v32
	v_mov_b32_e32 v3, 0
	s_mov_b32 s5, 0
                                        ; implicit-def: $sgpr20
                                        ; implicit-def: $vgpr6_vgpr7
	s_branch .LBB135_520
.LBB135_518:                            ;   in Loop: Header=BB135_520 Depth=1
	s_or_b32 exec_lo, exec_lo, s21
	s_delay_alu instid0(SALU_CYCLE_1)
	s_or_not1_b32 s23, s23, exec_lo
	s_or_not1_b32 s22, s22, exec_lo
.LBB135_519:                            ;   in Loop: Header=BB135_520 Depth=1
	s_or_b32 exec_lo, exec_lo, s0
	s_xor_b32 s0, s23, -1
	s_and_b32 s21, exec_lo, s22
	v_mov_b64_e32 v[0:1], v[4:5]
	s_or_b32 s5, s21, s5
	v_mov_b32_e32 v2, v11
	s_and_not1_b32 s20, s20, exec_lo
	s_and_b32 s0, s0, exec_lo
	s_delay_alu instid0(SALU_CYCLE_1)
	s_or_b32 s20, s20, s0
	s_and_not1_b32 exec_lo, exec_lo, s5
	s_cbranch_execz .LBB135_534
.LBB135_520:                            ; =>This Inner Loop Header: Depth=1
	v_add_nc_u64_e32 v[4:5], s[48:49], v[0:1]
	v_mov_b32_e32 v11, 0
	s_mov_b32 s0, exec_lo
	s_delay_alu instid0(VALU_DEP_2)
	v_cmpx_gt_u64_e64 s[36:37], v[4:5]
	s_cbranch_execz .LBB135_522
; %bb.521:                              ;   in Loop: Header=BB135_520 Depth=1
	v_mad_nc_u64_u32 v[8:9], v4, s30, s[34:35]
	s_delay_alu instid0(VALU_DEP_1) | instskip(NEXT) | instid1(VALU_DEP_1)
	v_mad_u32 v9, v5, s30, v9
	v_mad_u32 v9, v4, s31, v9
	global_load_u8 v11, v[8:9], off
.LBB135_522:                            ;   in Loop: Header=BB135_520 Depth=1
	s_wait_xcnt 0x0
	s_or_b32 exec_lo, exec_lo, s0
	s_wait_loadcnt 0x0
	v_and_b32_e32 v2, 0xff, v2
	v_cmp_gt_u64_e32 vcc_lo, s[36:37], v[0:1]
	s_delay_alu instid0(VALU_DEP_2) | instskip(SKIP_1) | instid1(SALU_CYCLE_1)
	v_cmp_eq_u16_e64 s0, v2, v10
	s_and_b32 s21, vcc_lo, s0
	v_cndmask_b32_e64 v2, 0, 1, s21
	s_delay_alu instid0(VALU_DEP_1) | instskip(SKIP_2) | instid1(SALU_CYCLE_1)
	v_cmp_ne_u32_e32 vcc_lo, 0, v2
	s_cmp_lg_u32 vcc_lo, 0
	s_cselect_b32 s0, -1, 0
	s_and_b32 s0, s2, s0
	s_delay_alu instid0(SALU_CYCLE_1)
	s_and_saveexec_b32 s22, s0
	s_cbranch_execz .LBB135_526
; %bb.523:                              ;   in Loop: Header=BB135_520 Depth=1
	s_mov_b32 s25, exec_lo
	s_bcnt1_i32_b32 s23, vcc_lo
	v_mbcnt_lo_u32_b32 v8, s25, 0
	s_mov_b32 s24, exec_lo
                                        ; implicit-def: $vgpr6_vgpr7
	s_delay_alu instid0(VALU_DEP_1)
	v_cmpx_eq_u32_e32 0, v8
; %bb.524:                              ;   in Loop: Header=BB135_520 Depth=1
	s_bcnt1_i32_b32 s0, s25
	s_delay_alu instid0(SALU_CYCLE_1) | instskip(NEXT) | instid1(SALU_CYCLE_1)
	s_mul_i32 s0, s23, s0
	v_mov_b32_e32 v2, s0
	ds_add_rtn_u64 v[6:7], v3, v[2:3] offset:5136
; %bb.525:                              ;   in Loop: Header=BB135_520 Depth=1
	s_or_b32 exec_lo, exec_lo, s24
	s_wait_dscnt 0x0
	v_readfirstlane_b32 s25, v7
	v_readfirstlane_b32 s24, v6
	s_delay_alu instid0(VALU_DEP_1)
	v_mad_nc_u64_u32 v[6:7], s23, v8, s[24:25]
.LBB135_526:                            ;   in Loop: Header=BB135_520 Depth=1
	s_or_b32 exec_lo, exec_lo, s22
	ds_bpermute_b32 v6, v3, v6
	ds_bpermute_b32 v7, v3, v7
	s_cmp_eq_u32 vcc_lo, 0
	s_mov_b32 s22, -1
	s_cselect_b32 s23, -1, 0
	s_wait_dscnt 0x0
	v_cmp_gt_u64_e64 s0, s[38:39], v[6:7]
	s_or_b32 s24, s23, s0
	s_mov_b32 s23, -1
	s_and_saveexec_b32 s0, s24
	s_cbranch_execz .LBB135_519
; %bb.527:                              ;   in Loop: Header=BB135_520 Depth=1
	v_and_b32_e32 v2, vcc_lo, v12
	v_sub_nc_u64_e32 v[8:9], s[38:39], v[6:7]
	s_mov_b32 s24, -1
	s_delay_alu instid0(VALU_DEP_2) | instskip(NEXT) | instid1(VALU_DEP_1)
	v_bcnt_u32_b32 v2, v2, 0
	v_bcnt_u32_b32 v2, 0, v2
	s_delay_alu instid0(VALU_DEP_1) | instskip(SKIP_1) | instid1(SALU_CYCLE_1)
	v_cmp_gt_u64_e32 vcc_lo, v[8:9], v[2:3]
	s_and_b32 s25, s21, vcc_lo
	s_and_saveexec_b32 s21, s25
	s_cbranch_execz .LBB135_531
; %bb.528:                              ;   in Loop: Header=BB135_520 Depth=1
	v_add_nc_u64_e32 v[8:9], v[6:7], v[2:3]
	s_mov_b32 s24, 0
	s_mov_b32 s23, exec_lo
	s_delay_alu instid0(VALU_DEP_1)
	v_cmpx_gt_u64_e64 s[38:39], v[8:9]
	s_cbranch_execz .LBB135_530
; %bb.529:                              ;   in Loop: Header=BB135_520 Depth=1
	s_wait_kmcnt 0x0
	v_mul_u64_e32 v[14:15], s[8:9], v[8:9]
	v_mad_nc_u64_u32 v[16:17], v8, s6, s[12:13]
	s_mov_b32 s24, exec_lo
	s_delay_alu instid0(VALU_DEP_1) | instskip(NEXT) | instid1(VALU_DEP_1)
	v_mad_u32 v2, v9, s6, v17
	v_mad_u32 v17, v8, s7, v2
	s_delay_alu instid0(VALU_DEP_4)
	v_lshl_add_u64 v[8:9], v[14:15], 3, s[14:15]
	global_store_b8 v[16:17], v32, off
	global_store_b64 v[8:9], v[0:1], off
.LBB135_530:                            ;   in Loop: Header=BB135_520 Depth=1
	s_wait_xcnt 0x0
	s_or_b32 exec_lo, exec_lo, s23
	s_delay_alu instid0(SALU_CYCLE_1)
	s_xor_b32 s23, exec_lo, -1
	s_or_not1_b32 s24, s24, exec_lo
.LBB135_531:                            ;   in Loop: Header=BB135_520 Depth=1
	s_or_b32 exec_lo, exec_lo, s21
	s_and_saveexec_b32 s21, s24
	s_cbranch_execz .LBB135_518
; %bb.532:                              ;   in Loop: Header=BB135_520 Depth=1
	v_cmp_le_u64_e32 vcc_lo, s[10:11], v[4:5]
	s_or_b32 s23, s23, exec_lo
	s_or_not1_b32 s22, vcc_lo, exec_lo
	s_branch .LBB135_518
.LBB135_533:
	s_or_b32 s8, s8, exec_lo
	s_trap 2
	s_branch .LBB135_497
.LBB135_534:
	s_or_b32 exec_lo, exec_lo, s5
	s_mov_b32 s0, 0
	s_and_saveexec_b32 s2, s20
	s_delay_alu instid0(SALU_CYCLE_1)
	s_xor_b32 s2, exec_lo, s2
	s_cbranch_execnz .LBB135_540
.LBB135_535:
	s_or_b32 exec_lo, exec_lo, s2
	s_delay_alu instid0(SALU_CYCLE_1)
	s_and_b32 s0, s0, exec_lo
.LBB135_536:
	s_or_b32 exec_lo, exec_lo, s3
	s_delay_alu instid0(SALU_CYCLE_1) | instskip(SKIP_3) | instid1(SALU_CYCLE_1)
	s_and_b32 s5, s0, exec_lo
	s_and_not1_b32 s1, s1, exec_lo
	s_or_b32 exec_lo, exec_lo, s4
	s_and_saveexec_b32 s0, s1
	s_xor_b32 s0, exec_lo, s0
	s_cbranch_execz .LBB135_491
.LBB135_537:
	s_or_b32 s5, s5, exec_lo
	s_trap 2
	s_branch .LBB135_491
.LBB135_538:
	s_or_b32 s8, s8, exec_lo
	s_trap 2
	s_branch .LBB135_495
.LBB135_539:
	s_or_b32 s8, s8, exec_lo
	s_trap 2
	s_branch .LBB135_493
.LBB135_540:
	s_mov_b32 s0, exec_lo
	s_trap 2
	s_branch .LBB135_535
	.section	.rodata,"a",@progbits
	.p2align	6, 0x0
	.amdhsa_kernel _ZN2at6native6sbtopk10gatherTopKIamLi2ELb0EEEvNS_4cuda6detail10TensorInfoIKT_T0_EES8_S8_bS8_S8_NS5_IS6_S8_EES8_NS5_IlS8_EES8_PS6_
		.amdhsa_group_segment_fixed_size 5152
		.amdhsa_private_segment_fixed_size 0
		.amdhsa_kernarg_size 1568
		.amdhsa_user_sgpr_count 2
		.amdhsa_user_sgpr_dispatch_ptr 0
		.amdhsa_user_sgpr_queue_ptr 0
		.amdhsa_user_sgpr_kernarg_segment_ptr 1
		.amdhsa_user_sgpr_dispatch_id 0
		.amdhsa_user_sgpr_kernarg_preload_length 0
		.amdhsa_user_sgpr_kernarg_preload_offset 0
		.amdhsa_user_sgpr_private_segment_size 0
		.amdhsa_wavefront_size32 1
		.amdhsa_uses_dynamic_stack 0
		.amdhsa_enable_private_segment 0
		.amdhsa_system_sgpr_workgroup_id_x 1
		.amdhsa_system_sgpr_workgroup_id_y 1
		.amdhsa_system_sgpr_workgroup_id_z 1
		.amdhsa_system_sgpr_workgroup_info 0
		.amdhsa_system_vgpr_workitem_id 0
		.amdhsa_next_free_vgpr 43
		.amdhsa_next_free_sgpr 105
		.amdhsa_named_barrier_count 0
		.amdhsa_reserve_vcc 1
		.amdhsa_float_round_mode_32 0
		.amdhsa_float_round_mode_16_64 0
		.amdhsa_float_denorm_mode_32 3
		.amdhsa_float_denorm_mode_16_64 3
		.amdhsa_fp16_overflow 0
		.amdhsa_memory_ordered 1
		.amdhsa_forward_progress 1
		.amdhsa_inst_pref_size 203
		.amdhsa_round_robin_scheduling 0
		.amdhsa_exception_fp_ieee_invalid_op 0
		.amdhsa_exception_fp_denorm_src 0
		.amdhsa_exception_fp_ieee_div_zero 0
		.amdhsa_exception_fp_ieee_overflow 0
		.amdhsa_exception_fp_ieee_underflow 0
		.amdhsa_exception_fp_ieee_inexact 0
		.amdhsa_exception_int_div_zero 0
	.end_amdhsa_kernel
	.section	.text._ZN2at6native6sbtopk10gatherTopKIamLi2ELb0EEEvNS_4cuda6detail10TensorInfoIKT_T0_EES8_S8_bS8_S8_NS5_IS6_S8_EES8_NS5_IlS8_EES8_PS6_,"axG",@progbits,_ZN2at6native6sbtopk10gatherTopKIamLi2ELb0EEEvNS_4cuda6detail10TensorInfoIKT_T0_EES8_S8_bS8_S8_NS5_IS6_S8_EES8_NS5_IlS8_EES8_PS6_,comdat
.Lfunc_end135:
	.size	_ZN2at6native6sbtopk10gatherTopKIamLi2ELb0EEEvNS_4cuda6detail10TensorInfoIKT_T0_EES8_S8_bS8_S8_NS5_IS6_S8_EES8_NS5_IlS8_EES8_PS6_, .Lfunc_end135-_ZN2at6native6sbtopk10gatherTopKIamLi2ELb0EEEvNS_4cuda6detail10TensorInfoIKT_T0_EES8_S8_bS8_S8_NS5_IS6_S8_EES8_NS5_IlS8_EES8_PS6_
                                        ; -- End function
	.set _ZN2at6native6sbtopk10gatherTopKIamLi2ELb0EEEvNS_4cuda6detail10TensorInfoIKT_T0_EES8_S8_bS8_S8_NS5_IS6_S8_EES8_NS5_IlS8_EES8_PS6_.num_vgpr, 43
	.set _ZN2at6native6sbtopk10gatherTopKIamLi2ELb0EEEvNS_4cuda6detail10TensorInfoIKT_T0_EES8_S8_bS8_S8_NS5_IS6_S8_EES8_NS5_IlS8_EES8_PS6_.num_agpr, 0
	.set _ZN2at6native6sbtopk10gatherTopKIamLi2ELb0EEEvNS_4cuda6detail10TensorInfoIKT_T0_EES8_S8_bS8_S8_NS5_IS6_S8_EES8_NS5_IlS8_EES8_PS6_.numbered_sgpr, 105
	.set _ZN2at6native6sbtopk10gatherTopKIamLi2ELb0EEEvNS_4cuda6detail10TensorInfoIKT_T0_EES8_S8_bS8_S8_NS5_IS6_S8_EES8_NS5_IlS8_EES8_PS6_.num_named_barrier, 0
	.set _ZN2at6native6sbtopk10gatherTopKIamLi2ELb0EEEvNS_4cuda6detail10TensorInfoIKT_T0_EES8_S8_bS8_S8_NS5_IS6_S8_EES8_NS5_IlS8_EES8_PS6_.private_seg_size, 0
	.set _ZN2at6native6sbtopk10gatherTopKIamLi2ELb0EEEvNS_4cuda6detail10TensorInfoIKT_T0_EES8_S8_bS8_S8_NS5_IS6_S8_EES8_NS5_IlS8_EES8_PS6_.uses_vcc, 1
	.set _ZN2at6native6sbtopk10gatherTopKIamLi2ELb0EEEvNS_4cuda6detail10TensorInfoIKT_T0_EES8_S8_bS8_S8_NS5_IS6_S8_EES8_NS5_IlS8_EES8_PS6_.uses_flat_scratch, 0
	.set _ZN2at6native6sbtopk10gatherTopKIamLi2ELb0EEEvNS_4cuda6detail10TensorInfoIKT_T0_EES8_S8_bS8_S8_NS5_IS6_S8_EES8_NS5_IlS8_EES8_PS6_.has_dyn_sized_stack, 0
	.set _ZN2at6native6sbtopk10gatherTopKIamLi2ELb0EEEvNS_4cuda6detail10TensorInfoIKT_T0_EES8_S8_bS8_S8_NS5_IS6_S8_EES8_NS5_IlS8_EES8_PS6_.has_recursion, 0
	.set _ZN2at6native6sbtopk10gatherTopKIamLi2ELb0EEEvNS_4cuda6detail10TensorInfoIKT_T0_EES8_S8_bS8_S8_NS5_IS6_S8_EES8_NS5_IlS8_EES8_PS6_.has_indirect_call, 0
	.section	.AMDGPU.csdata,"",@progbits
; Kernel info:
; codeLenInByte = 25916
; TotalNumSgprs: 107
; NumVgprs: 43
; ScratchSize: 0
; MemoryBound: 0
; FloatMode: 240
; IeeeMode: 1
; LDSByteSize: 5152 bytes/workgroup (compile time only)
; SGPRBlocks: 0
; VGPRBlocks: 2
; NumSGPRsForWavesPerEU: 107
; NumVGPRsForWavesPerEU: 43
; NamedBarCnt: 0
; Occupancy: 16
; WaveLimiterHint : 1
; COMPUTE_PGM_RSRC2:SCRATCH_EN: 0
; COMPUTE_PGM_RSRC2:USER_SGPR: 2
; COMPUTE_PGM_RSRC2:TRAP_HANDLER: 0
; COMPUTE_PGM_RSRC2:TGID_X_EN: 1
; COMPUTE_PGM_RSRC2:TGID_Y_EN: 1
; COMPUTE_PGM_RSRC2:TGID_Z_EN: 1
; COMPUTE_PGM_RSRC2:TIDIG_COMP_CNT: 0
	.section	.text._ZN2at6native6mbtopk23computeBlockDigitCountsIamjLi3EEEvNS_4cuda6detail10TensorInfoIKT_T0_EEjPjjS8_iijT1_PSB_Ps,"axG",@progbits,_ZN2at6native6mbtopk23computeBlockDigitCountsIamjLi3EEEvNS_4cuda6detail10TensorInfoIKT_T0_EEjPjjS8_iijT1_PSB_Ps,comdat
	.protected	_ZN2at6native6mbtopk23computeBlockDigitCountsIamjLi3EEEvNS_4cuda6detail10TensorInfoIKT_T0_EEjPjjS8_iijT1_PSB_Ps ; -- Begin function _ZN2at6native6mbtopk23computeBlockDigitCountsIamjLi3EEEvNS_4cuda6detail10TensorInfoIKT_T0_EEjPjjS8_iijT1_PSB_Ps
	.globl	_ZN2at6native6mbtopk23computeBlockDigitCountsIamjLi3EEEvNS_4cuda6detail10TensorInfoIKT_T0_EEjPjjS8_iijT1_PSB_Ps
	.p2align	8
	.type	_ZN2at6native6mbtopk23computeBlockDigitCountsIamjLi3EEEvNS_4cuda6detail10TensorInfoIKT_T0_EEjPjjS8_iijT1_PSB_Ps,@function
_ZN2at6native6mbtopk23computeBlockDigitCountsIamjLi3EEEvNS_4cuda6detail10TensorInfoIKT_T0_EEjPjjS8_iijT1_PSB_Ps: ; @_ZN2at6native6mbtopk23computeBlockDigitCountsIamjLi3EEEvNS_4cuda6detail10TensorInfoIKT_T0_EEjPjjS8_iijT1_PSB_Ps
; %bb.0:
	s_load_b128 s[4:7], s[0:1], 0x1c0
	s_bfe_u32 s2, ttmp6, 0x40010
	s_and_b32 s8, ttmp7, 0xffff
	s_add_co_i32 s9, s2, 1
	s_bfe_u32 s10, ttmp6, 0x40004
	s_mul_i32 s9, s8, s9
	s_load_b64 s[2:3], s[0:1], 0x1e0
	s_add_co_i32 s10, s10, s9
	s_bfe_u32 s11, ttmp6, 0x4000c
	s_bfe_u32 s13, ttmp6, 0x40014
	s_add_co_i32 s11, s11, 1
	s_and_b32 s12, ttmp6, 15
	s_mul_i32 s11, ttmp9, s11
	s_add_co_i32 s13, s13, 1
	s_add_co_i32 s12, s12, s11
	s_getreg_b32 s14, hwreg(HW_REG_IB_STS2, 6, 4)
	s_wait_kmcnt 0x0
	s_cvt_f32_u32 s9, s6
	s_delay_alu instid0(SALU_CYCLE_3) | instskip(SKIP_1) | instid1(SALU_CYCLE_1)
	v_rcp_iflag_f32_e32 v1, s9
	s_lshr_b32 s9, ttmp7, 16
	s_mul_i32 s11, s9, s13
	s_bfe_u32 s13, ttmp6, 0x40008
	s_delay_alu instid0(SALU_CYCLE_1) | instskip(SKIP_1) | instid1(TRANS32_DEP_1)
	s_add_co_i32 s13, s13, s11
	v_nop
	v_readfirstlane_b32 s15, v1
	s_cmp_eq_u32 s14, 0
	s_cselect_b32 s9, s9, s13
	s_load_b32 s13, s[0:1], 0x1b0
	s_mul_f32 s11, s15, 0x4f7ffffe
	s_mul_i32 s3, s3, s9
	s_cselect_b32 s9, ttmp9, s12
	s_cselect_b32 s8, s8, s10
	s_cvt_u32_f32 s11, s11
	s_sub_co_i32 s10, 0, s6
	s_add_co_i32 s3, s3, s8
	s_delay_alu instid0(SALU_CYCLE_1) | instskip(SKIP_3) | instid1(SALU_CYCLE_1)
	s_mul_i32 s24, s3, s2
	s_mul_i32 s10, s10, s11
	s_add_co_i32 s24, s24, s9
	s_mul_hi_u32 s2, s11, s10
	s_add_co_i32 s11, s11, s2
	s_delay_alu instid0(SALU_CYCLE_1) | instskip(NEXT) | instid1(SALU_CYCLE_1)
	s_mul_hi_u32 s2, s24, s11
	s_mul_i32 s3, s2, s6
	s_add_co_i32 s8, s2, 1
	s_sub_co_i32 s3, s24, s3
	s_delay_alu instid0(SALU_CYCLE_1)
	s_sub_co_i32 s9, s3, s6
	s_cmp_ge_u32 s3, s6
	s_cselect_b32 s2, s8, s2
	s_cselect_b32 s3, s9, s3
	s_add_co_i32 s8, s2, 1
	s_cmp_ge_u32 s3, s6
	s_mov_b32 s3, 0
	s_cselect_b32 s2, s8, s2
	s_wait_kmcnt 0x0
	s_cmp_ge_u32 s2, s13
	s_cbranch_scc1 .LBB136_25
; %bb.1:
	s_load_b128 s[12:15], s[0:1], 0x10
	s_mov_b64 s[16:17], 0
	s_mov_b64 s[18:19], 0
	s_wait_kmcnt 0x0
	v_cmp_lt_u64_e64 s8, s[2:3], s[14:15]
	s_and_b32 vcc_lo, exec_lo, s8
	s_cbranch_vccz .LBB136_15
; %bb.2:
	v_cmp_lt_u64_e64 s8, s[18:19], s[12:13]
	s_and_b32 vcc_lo, exec_lo, s8
	s_cbranch_vccz .LBB136_16
.LBB136_3:
	v_cmp_gt_u32_e32 vcc_lo, 0x100, v0
	v_lshlrev_b32_e32 v1, 2, v0
	s_and_saveexec_b32 s8, vcc_lo
.LBB136_4:
	v_mov_b32_e32 v2, 0
	ds_store_b32 v1, v2
.LBB136_5:
	s_or_b32 exec_lo, exec_lo, s8
	s_clause 0x1
	s_load_b32 s25, s[0:1], 0x1a0
	s_load_b128 s[8:11], s[0:1], 0x1d0
	s_mul_i32 s20, s2, s6
	s_mov_b32 s23, 0
	s_sub_co_i32 s27, s24, s20
	s_wait_dscnt 0x0
	s_mul_i32 s20, s5, s27
	s_add_co_i32 s27, s27, 1
	s_lshl_b32 s26, s20, 8
	s_barrier_signal -1
	s_barrier_wait -1
	s_wait_kmcnt 0x0
	s_sub_co_i32 s22, s25, s26
	s_delay_alu instid0(SALU_CYCLE_1) | instskip(NEXT) | instid1(SALU_CYCLE_1)
	s_add_nc_u64 s[20:21], s[22:23], 0xff
	s_lshr_b64 s[20:21], s[20:21], 8
	s_cmp_lt_u32 s27, s6
	s_cselect_b32 s6, s5, s20
	s_delay_alu instid0(SALU_CYCLE_1)
	s_cmp_lt_i32 s6, 1
	s_cbranch_scc1 .LBB136_23
; %bb.6:
	s_clause 0x2
	s_load_b128 s[28:31], s[0:1], 0xd0
	s_load_b64 s[34:35], s[0:1], 0x0
	s_load_b64 s[36:37], s[0:1], 0xe0
	s_load_b32 s5, s[8:9], s2 offset:0x0 scale_offset
	s_load_b64 s[20:21], s[0:1], 0x1b8
	s_wait_xcnt 0x0
	s_mul_u64 s[0:1], s[18:19], s[14:15]
	s_mul_u64 s[8:9], s[16:17], s[12:13]
	s_sub_nc_u64 s[0:1], s[2:3], s[0:1]
	s_sub_nc_u64 s[2:3], s[18:19], s[8:9]
	v_add_nc_u32_e32 v2, s26, v0
	s_wait_kmcnt 0x0
	s_mul_u64 s[8:9], s[16:17], s[28:29]
	s_mul_u64 s[2:3], s[2:3], s[30:31]
	s_add_nc_u64 s[8:9], s[34:35], s[8:9]
	s_mul_u64 s[12:13], s[0:1], s[36:37]
	s_add_nc_u64 s[2:3], s[8:9], s[2:3]
	s_and_b32 s1, s4, 0xff
	s_cmp_eq_u32 s6, 1
	s_add_nc_u64 s[2:3], s[2:3], s[12:13]
	s_cbranch_scc1 .LBB136_18
; %bb.7:
	v_dual_mov_b32 v3, 1 :: v_dual_mov_b32 v4, v2
	s_and_b32 s4, s6, 0x7ffffffe
	s_mov_b32 s8, 0
	s_branch .LBB136_9
.LBB136_8:                              ;   in Loop: Header=BB136_9 Depth=1
	s_or_b32 exec_lo, exec_lo, s9
	v_add_nc_u32_e32 v4, 0x200, v4
	s_add_co_i32 s8, s8, 2
	s_delay_alu instid0(SALU_CYCLE_1)
	s_cmp_eq_u32 s4, s8
	s_cbranch_scc1 .LBB136_17
.LBB136_9:                              ; =>This Inner Loop Header: Depth=1
	s_mov_b32 s9, exec_lo
	v_cmpx_gt_u32_e64 s25, v4
	s_cbranch_execz .LBB136_12
; %bb.10:                               ;   in Loop: Header=BB136_9 Depth=1
	v_mad_nc_u64_u32 v[6:7], s20, v4, s[2:3]
	s_delay_alu instid0(VALU_DEP_1) | instskip(SKIP_4) | instid1(VALU_DEP_1)
	v_mad_u32 v7, s21, v4, v7
	global_load_i8 v5, v[6:7], off
	s_wait_loadcnt 0x0
	v_add_nc_u32_e32 v5, 0x80, v5
	s_wait_xcnt 0x0
	v_bitop3_b32 v6, v5, s7, s5 bitop3:0x48
	s_delay_alu instid0(VALU_DEP_1)
	v_cmp_eq_u32_e64 s0, 0, v6
	s_and_b32 exec_lo, exec_lo, s0
; %bb.11:                               ;   in Loop: Header=BB136_9 Depth=1
	v_lshrrev_b32_e32 v5, s1, v5
	s_delay_alu instid0(VALU_DEP_1)
	v_lshlrev_b32_e32 v5, 2, v5
	ds_add_u32 v5, v3
.LBB136_12:                             ;   in Loop: Header=BB136_9 Depth=1
	s_or_b32 exec_lo, exec_lo, s9
	v_add_nc_u32_e32 v5, 0x100, v4
	s_mov_b32 s9, exec_lo
	s_delay_alu instid0(VALU_DEP_1)
	v_cmpx_gt_u32_e64 s25, v5
	s_cbranch_execz .LBB136_8
; %bb.13:                               ;   in Loop: Header=BB136_9 Depth=1
	v_mad_nc_u64_u32 v[6:7], s20, v5, s[2:3]
	s_delay_alu instid0(VALU_DEP_1) | instskip(SKIP_3) | instid1(VALU_DEP_1)
	v_mad_u32 v7, s21, v5, v7
	global_load_i8 v5, v[6:7], off
	s_wait_loadcnt 0x0
	v_add_nc_u32_e32 v5, 0x80, v5
	v_bitop3_b32 v6, v5, s7, s5 bitop3:0x48
	s_delay_alu instid0(VALU_DEP_1)
	v_cmp_eq_u32_e64 s0, 0, v6
	s_and_b32 exec_lo, exec_lo, s0
	s_cbranch_execz .LBB136_8
; %bb.14:                               ;   in Loop: Header=BB136_9 Depth=1
	v_lshrrev_b32_e32 v5, s1, v5
	s_delay_alu instid0(VALU_DEP_1)
	v_lshlrev_b32_e32 v5, 2, v5
	ds_add_u32 v5, v3
	s_branch .LBB136_8
.LBB136_15:
	v_cvt_f32_u32_e32 v1, s14
	s_sub_co_i32 s9, 0, s14
	s_mov_b32 s19, 0
	s_delay_alu instid0(VALU_DEP_1) | instskip(SKIP_1) | instid1(TRANS32_DEP_1)
	v_rcp_iflag_f32_e32 v1, v1
	v_nop
	v_mul_f32_e32 v1, 0x4f7ffffe, v1
	s_delay_alu instid0(VALU_DEP_1) | instskip(NEXT) | instid1(VALU_DEP_1)
	v_cvt_u32_f32_e32 v1, v1
	v_readfirstlane_b32 s8, v1
	s_mul_i32 s9, s9, s8
	s_delay_alu instid0(SALU_CYCLE_1) | instskip(NEXT) | instid1(SALU_CYCLE_1)
	s_mul_hi_u32 s9, s8, s9
	s_add_co_i32 s8, s8, s9
	s_delay_alu instid0(SALU_CYCLE_1) | instskip(NEXT) | instid1(SALU_CYCLE_1)
	s_mul_hi_u32 s8, s2, s8
	s_mul_i32 s9, s8, s14
	s_add_co_i32 s10, s8, 1
	s_sub_co_i32 s9, s2, s9
	s_delay_alu instid0(SALU_CYCLE_1)
	s_sub_co_i32 s11, s9, s14
	s_cmp_ge_u32 s9, s14
	s_cselect_b32 s8, s10, s8
	s_cselect_b32 s9, s11, s9
	s_add_co_i32 s10, s8, 1
	s_cmp_ge_u32 s9, s14
	s_cselect_b32 s18, s10, s8
	s_delay_alu instid0(SALU_CYCLE_1)
	v_cmp_lt_u64_e64 s8, s[18:19], s[12:13]
	s_and_b32 vcc_lo, exec_lo, s8
	s_cbranch_vccnz .LBB136_3
.LBB136_16:
	v_cvt_f32_u32_e32 v1, s12
	s_sub_co_i32 s9, 0, s12
	s_mov_b32 s17, 0
	s_delay_alu instid0(VALU_DEP_1) | instskip(SKIP_1) | instid1(TRANS32_DEP_1)
	v_rcp_iflag_f32_e32 v1, v1
	v_nop
	v_mul_f32_e32 v1, 0x4f7ffffe, v1
	s_delay_alu instid0(VALU_DEP_1) | instskip(NEXT) | instid1(VALU_DEP_1)
	v_cvt_u32_f32_e32 v1, v1
	v_readfirstlane_b32 s8, v1
	s_mul_i32 s9, s9, s8
	s_delay_alu instid0(SALU_CYCLE_1) | instskip(NEXT) | instid1(SALU_CYCLE_1)
	s_mul_hi_u32 s9, s8, s9
	s_add_co_i32 s8, s8, s9
	s_delay_alu instid0(SALU_CYCLE_1) | instskip(NEXT) | instid1(SALU_CYCLE_1)
	s_mul_hi_u32 s8, s18, s8
	s_mul_i32 s9, s8, s12
	s_add_co_i32 s10, s8, 1
	s_sub_co_i32 s9, s18, s9
	s_delay_alu instid0(SALU_CYCLE_1)
	s_sub_co_i32 s11, s9, s12
	s_cmp_ge_u32 s9, s12
	s_cselect_b32 s8, s10, s8
	s_cselect_b32 s9, s11, s9
	s_add_co_i32 s10, s8, 1
	s_cmp_ge_u32 s9, s12
	s_cselect_b32 s16, s10, s8
	v_cmp_gt_u32_e32 vcc_lo, 0x100, v0
	v_lshlrev_b32_e32 v1, 2, v0
	s_and_saveexec_b32 s8, vcc_lo
	s_cbranch_execnz .LBB136_4
	s_branch .LBB136_5
.LBB136_17:
	s_lshl_b32 s23, s4, 8
.LBB136_18:
	s_bitcmp0_b32 s6, 0
	s_cbranch_scc1 .LBB136_23
; %bb.19:
	v_add_nc_u32_e32 v2, s23, v2
	s_mov_b32 s4, exec_lo
	s_delay_alu instid0(VALU_DEP_1)
	v_cmpx_gt_u32_e64 s25, v2
	s_cbranch_execz .LBB136_22
; %bb.20:
	v_mad_nc_u64_u32 v[4:5], s20, v2, s[2:3]
	s_delay_alu instid0(VALU_DEP_1) | instskip(SKIP_3) | instid1(VALU_DEP_1)
	v_mad_u32 v5, s21, v2, v5
	global_load_i8 v2, v[4:5], off
	s_wait_loadcnt 0x0
	v_add_nc_u32_e32 v2, 0x80, v2
	v_bitop3_b32 v3, v2, s7, s5 bitop3:0x48
	s_delay_alu instid0(VALU_DEP_1)
	v_cmp_eq_u32_e64 s0, 0, v3
	s_and_b32 exec_lo, exec_lo, s0
; %bb.21:
	v_dual_mov_b32 v3, 1 :: v_dual_lshrrev_b32 v2, s1, v2
	s_delay_alu instid0(VALU_DEP_1)
	v_lshlrev_b32_e32 v2, 2, v2
	ds_add_u32 v2, v3
.LBB136_22:
	s_or_b32 exec_lo, exec_lo, s4
.LBB136_23:
	s_wait_dscnt 0x0
	s_barrier_signal -1
	s_barrier_wait -1
	s_and_saveexec_b32 s0, vcc_lo
	s_cbranch_execz .LBB136_25
; %bb.24:
	ds_load_b32 v1, v1
	v_lshl_or_b32 v0, s24, 8, v0
	s_wait_dscnt 0x0
	global_store_b16 v0, v1, s[10:11] scale_offset
.LBB136_25:
	s_endpgm
	.section	.rodata,"a",@progbits
	.p2align	6, 0x0
	.amdhsa_kernel _ZN2at6native6mbtopk23computeBlockDigitCountsIamjLi3EEEvNS_4cuda6detail10TensorInfoIKT_T0_EEjPjjS8_iijT1_PSB_Ps
		.amdhsa_group_segment_fixed_size 1024
		.amdhsa_private_segment_fixed_size 0
		.amdhsa_kernarg_size 736
		.amdhsa_user_sgpr_count 2
		.amdhsa_user_sgpr_dispatch_ptr 0
		.amdhsa_user_sgpr_queue_ptr 0
		.amdhsa_user_sgpr_kernarg_segment_ptr 1
		.amdhsa_user_sgpr_dispatch_id 0
		.amdhsa_user_sgpr_kernarg_preload_length 0
		.amdhsa_user_sgpr_kernarg_preload_offset 0
		.amdhsa_user_sgpr_private_segment_size 0
		.amdhsa_wavefront_size32 1
		.amdhsa_uses_dynamic_stack 0
		.amdhsa_enable_private_segment 0
		.amdhsa_system_sgpr_workgroup_id_x 1
		.amdhsa_system_sgpr_workgroup_id_y 1
		.amdhsa_system_sgpr_workgroup_id_z 1
		.amdhsa_system_sgpr_workgroup_info 0
		.amdhsa_system_vgpr_workitem_id 0
		.amdhsa_next_free_vgpr 8
		.amdhsa_next_free_sgpr 38
		.amdhsa_named_barrier_count 0
		.amdhsa_reserve_vcc 1
		.amdhsa_float_round_mode_32 0
		.amdhsa_float_round_mode_16_64 0
		.amdhsa_float_denorm_mode_32 3
		.amdhsa_float_denorm_mode_16_64 3
		.amdhsa_fp16_overflow 0
		.amdhsa_memory_ordered 1
		.amdhsa_forward_progress 1
		.amdhsa_inst_pref_size 11
		.amdhsa_round_robin_scheduling 0
		.amdhsa_exception_fp_ieee_invalid_op 0
		.amdhsa_exception_fp_denorm_src 0
		.amdhsa_exception_fp_ieee_div_zero 0
		.amdhsa_exception_fp_ieee_overflow 0
		.amdhsa_exception_fp_ieee_underflow 0
		.amdhsa_exception_fp_ieee_inexact 0
		.amdhsa_exception_int_div_zero 0
	.end_amdhsa_kernel
	.section	.text._ZN2at6native6mbtopk23computeBlockDigitCountsIamjLi3EEEvNS_4cuda6detail10TensorInfoIKT_T0_EEjPjjS8_iijT1_PSB_Ps,"axG",@progbits,_ZN2at6native6mbtopk23computeBlockDigitCountsIamjLi3EEEvNS_4cuda6detail10TensorInfoIKT_T0_EEjPjjS8_iijT1_PSB_Ps,comdat
.Lfunc_end136:
	.size	_ZN2at6native6mbtopk23computeBlockDigitCountsIamjLi3EEEvNS_4cuda6detail10TensorInfoIKT_T0_EEjPjjS8_iijT1_PSB_Ps, .Lfunc_end136-_ZN2at6native6mbtopk23computeBlockDigitCountsIamjLi3EEEvNS_4cuda6detail10TensorInfoIKT_T0_EEjPjjS8_iijT1_PSB_Ps
                                        ; -- End function
	.set _ZN2at6native6mbtopk23computeBlockDigitCountsIamjLi3EEEvNS_4cuda6detail10TensorInfoIKT_T0_EEjPjjS8_iijT1_PSB_Ps.num_vgpr, 8
	.set _ZN2at6native6mbtopk23computeBlockDigitCountsIamjLi3EEEvNS_4cuda6detail10TensorInfoIKT_T0_EEjPjjS8_iijT1_PSB_Ps.num_agpr, 0
	.set _ZN2at6native6mbtopk23computeBlockDigitCountsIamjLi3EEEvNS_4cuda6detail10TensorInfoIKT_T0_EEjPjjS8_iijT1_PSB_Ps.numbered_sgpr, 38
	.set _ZN2at6native6mbtopk23computeBlockDigitCountsIamjLi3EEEvNS_4cuda6detail10TensorInfoIKT_T0_EEjPjjS8_iijT1_PSB_Ps.num_named_barrier, 0
	.set _ZN2at6native6mbtopk23computeBlockDigitCountsIamjLi3EEEvNS_4cuda6detail10TensorInfoIKT_T0_EEjPjjS8_iijT1_PSB_Ps.private_seg_size, 0
	.set _ZN2at6native6mbtopk23computeBlockDigitCountsIamjLi3EEEvNS_4cuda6detail10TensorInfoIKT_T0_EEjPjjS8_iijT1_PSB_Ps.uses_vcc, 1
	.set _ZN2at6native6mbtopk23computeBlockDigitCountsIamjLi3EEEvNS_4cuda6detail10TensorInfoIKT_T0_EEjPjjS8_iijT1_PSB_Ps.uses_flat_scratch, 0
	.set _ZN2at6native6mbtopk23computeBlockDigitCountsIamjLi3EEEvNS_4cuda6detail10TensorInfoIKT_T0_EEjPjjS8_iijT1_PSB_Ps.has_dyn_sized_stack, 0
	.set _ZN2at6native6mbtopk23computeBlockDigitCountsIamjLi3EEEvNS_4cuda6detail10TensorInfoIKT_T0_EEjPjjS8_iijT1_PSB_Ps.has_recursion, 0
	.set _ZN2at6native6mbtopk23computeBlockDigitCountsIamjLi3EEEvNS_4cuda6detail10TensorInfoIKT_T0_EEjPjjS8_iijT1_PSB_Ps.has_indirect_call, 0
	.section	.AMDGPU.csdata,"",@progbits
; Kernel info:
; codeLenInByte = 1320
; TotalNumSgprs: 40
; NumVgprs: 8
; ScratchSize: 0
; MemoryBound: 0
; FloatMode: 240
; IeeeMode: 1
; LDSByteSize: 1024 bytes/workgroup (compile time only)
; SGPRBlocks: 0
; VGPRBlocks: 0
; NumSGPRsForWavesPerEU: 40
; NumVGPRsForWavesPerEU: 8
; NamedBarCnt: 0
; Occupancy: 16
; WaveLimiterHint : 1
; COMPUTE_PGM_RSRC2:SCRATCH_EN: 0
; COMPUTE_PGM_RSRC2:USER_SGPR: 2
; COMPUTE_PGM_RSRC2:TRAP_HANDLER: 0
; COMPUTE_PGM_RSRC2:TGID_X_EN: 1
; COMPUTE_PGM_RSRC2:TGID_Y_EN: 1
; COMPUTE_PGM_RSRC2:TGID_Z_EN: 1
; COMPUTE_PGM_RSRC2:TIDIG_COMP_CNT: 0
	.section	.text._ZN2at6native6mbtopk10gatherTopKIamLi3EEEvNS_4cuda6detail10TensorInfoIKT_T0_EES8_S8_bjS8_NS5_IS6_S8_EES8_NS5_IlS8_EES8_jjPS6_PjSD_j,"axG",@progbits,_ZN2at6native6mbtopk10gatherTopKIamLi3EEEvNS_4cuda6detail10TensorInfoIKT_T0_EES8_S8_bjS8_NS5_IS6_S8_EES8_NS5_IlS8_EES8_jjPS6_PjSD_j,comdat
	.protected	_ZN2at6native6mbtopk10gatherTopKIamLi3EEEvNS_4cuda6detail10TensorInfoIKT_T0_EES8_S8_bjS8_NS5_IS6_S8_EES8_NS5_IlS8_EES8_jjPS6_PjSD_j ; -- Begin function _ZN2at6native6mbtopk10gatherTopKIamLi3EEEvNS_4cuda6detail10TensorInfoIKT_T0_EES8_S8_bjS8_NS5_IS6_S8_EES8_NS5_IlS8_EES8_jjPS6_PjSD_j
	.globl	_ZN2at6native6mbtopk10gatherTopKIamLi3EEEvNS_4cuda6detail10TensorInfoIKT_T0_EES8_S8_bjS8_NS5_IS6_S8_EES8_NS5_IlS8_EES8_jjPS6_PjSD_j
	.p2align	8
	.type	_ZN2at6native6mbtopk10gatherTopKIamLi3EEEvNS_4cuda6detail10TensorInfoIKT_T0_EES8_S8_bjS8_NS5_IS6_S8_EES8_NS5_IlS8_EES8_jjPS6_PjSD_j,@function
_ZN2at6native6mbtopk10gatherTopKIamLi3EEEvNS_4cuda6detail10TensorInfoIKT_T0_EES8_S8_bjS8_NS5_IS6_S8_EES8_NS5_IlS8_EES8_jjPS6_PjSD_j: ; @_ZN2at6native6mbtopk10gatherTopKIamLi3EEEvNS_4cuda6detail10TensorInfoIKT_T0_EES8_S8_bjS8_NS5_IS6_S8_EES8_NS5_IlS8_EES8_jjPS6_PjSD_j
; %bb.0:
	s_bfe_u32 s2, ttmp6, 0x40010
	s_and_b32 s4, ttmp7, 0xffff
	s_add_co_i32 s5, s2, 1
	s_clause 0x1
	s_load_b32 s6, s[0:1], 0x530
	s_load_b64 s[2:3], s[0:1], 0x538
	s_bfe_u32 s8, ttmp6, 0x4000c
	s_mul_i32 s5, s4, s5
	s_bfe_u32 s7, ttmp6, 0x40004
	s_add_co_i32 s8, s8, 1
	s_bfe_u32 s9, ttmp6, 0x40014
	s_add_co_i32 s7, s7, s5
	s_and_b32 s5, ttmp6, 15
	s_mul_i32 s8, ttmp9, s8
	s_lshr_b32 s10, ttmp7, 16
	s_add_co_i32 s9, s9, 1
	s_add_co_i32 s5, s5, s8
	s_mul_i32 s8, s10, s9
	s_bfe_u32 s9, ttmp6, 0x40008
	s_getreg_b32 s11, hwreg(HW_REG_IB_STS2, 6, 4)
	s_add_co_i32 s9, s9, s8
	s_cmp_eq_u32 s11, 0
	s_cselect_b32 s8, s10, s9
	s_cselect_b32 s4, s4, s7
	s_wait_kmcnt 0x0
	s_mul_i32 s3, s3, s8
	s_cselect_b32 s5, ttmp9, s5
	s_add_co_i32 s3, s3, s4
	s_delay_alu instid0(SALU_CYCLE_1) | instskip(NEXT) | instid1(SALU_CYCLE_1)
	s_mul_i32 s2, s3, s2
	s_add_co_i32 s2, s2, s5
	s_delay_alu instid0(SALU_CYCLE_1)
	s_cmp_ge_u32 s2, s6
	s_cbranch_scc1 .LBB137_54
; %bb.1:
	s_load_b64 s[34:35], s[0:1], 0x510
	s_wait_kmcnt 0x0
	s_cvt_f32_u32 s3, s35
	s_sub_co_i32 s4, 0, s35
	s_lshl_b32 s33, s34, 8
	s_delay_alu instid0(SALU_CYCLE_1) | instskip(SKIP_1) | instid1(TRANS32_DEP_1)
	v_rcp_iflag_f32_e32 v1, s3
	v_nop
	v_readfirstlane_b32 s3, v1
	s_mul_f32 s3, s3, 0x4f7ffffe
	s_delay_alu instid0(SALU_CYCLE_3) | instskip(NEXT) | instid1(SALU_CYCLE_3)
	s_cvt_u32_f32 s3, s3
	s_mul_i32 s4, s4, s3
	s_delay_alu instid0(SALU_CYCLE_1) | instskip(NEXT) | instid1(SALU_CYCLE_1)
	s_mul_hi_u32 s4, s3, s4
	s_add_co_i32 s3, s3, s4
	s_clause 0x1
	s_load_b128 s[4:7], s[0:1], 0x1a0
	s_load_b128 s[8:11], s[0:1], 0x10
	s_mul_hi_u32 s3, s2, s3
	s_delay_alu instid0(SALU_CYCLE_1) | instskip(SKIP_2) | instid1(SALU_CYCLE_1)
	s_mul_i32 s12, s3, s35
	s_add_co_i32 s13, s3, 1
	s_sub_co_i32 s12, s2, s12
	s_sub_co_i32 s14, s12, s35
	s_cmp_ge_u32 s12, s35
	s_cselect_b32 s3, s13, s3
	s_cselect_b32 s12, s14, s12
	s_add_co_i32 s13, s3, 1
	s_cmp_ge_u32 s12, s35
	s_cselect_b32 s44, s13, s3
	s_delay_alu instid0(SALU_CYCLE_1) | instskip(NEXT) | instid1(SALU_CYCLE_1)
	s_mul_i32 s50, s44, s35
	s_sub_co_i32 s72, s2, s50
	s_delay_alu instid0(SALU_CYCLE_1) | instskip(NEXT) | instid1(SALU_CYCLE_1)
	s_add_co_i32 s2, s72, 1
	s_cmp_lt_u32 s2, s35
	s_cbranch_scc1 .LBB137_3
; %bb.2:
	s_mul_i32 s2, s72, s33
	s_mov_b32 s3, 0
	s_wait_kmcnt 0x0
	s_sub_nc_u64 s[12:13], s[4:5], s[2:3]
	s_delay_alu instid0(SALU_CYCLE_1) | instskip(NEXT) | instid1(SALU_CYCLE_1)
	s_add_nc_u64 s[12:13], s[12:13], 0xff
	s_ashr_i32 s2, s13, 31
	s_delay_alu instid0(SALU_CYCLE_1) | instskip(NEXT) | instid1(SALU_CYCLE_1)
	s_lshr_b32 s2, s2, 24
	s_add_nc_u64 s[2:3], s[12:13], s[2:3]
	s_delay_alu instid0(SALU_CYCLE_1) | instskip(NEXT) | instid1(SALU_CYCLE_1)
	s_lshr_b64 s[2:3], s[2:3], 8
	s_mov_b32 s34, s2
.LBB137_3:
	s_mov_b32 s45, 0
	s_mov_b64 s[46:47], 0
	s_wait_kmcnt 0x0
	v_cmp_lt_u64_e64 s2, s[44:45], s[10:11]
	s_mov_b64 s[48:49], 0
	s_and_b32 vcc_lo, exec_lo, s2
	s_cbranch_vccnz .LBB137_5
; %bb.4:
	v_cvt_f32_u32_e32 v1, s10
	s_sub_co_i32 s3, 0, s10
	s_mov_b32 s49, s45
	s_delay_alu instid0(VALU_DEP_1) | instskip(SKIP_1) | instid1(TRANS32_DEP_1)
	v_rcp_iflag_f32_e32 v1, v1
	v_nop
	v_mul_f32_e32 v1, 0x4f7ffffe, v1
	s_delay_alu instid0(VALU_DEP_1) | instskip(NEXT) | instid1(VALU_DEP_1)
	v_cvt_u32_f32_e32 v1, v1
	v_readfirstlane_b32 s2, v1
	s_mul_i32 s3, s3, s2
	s_delay_alu instid0(SALU_CYCLE_1) | instskip(NEXT) | instid1(SALU_CYCLE_1)
	s_mul_hi_u32 s3, s2, s3
	s_add_co_i32 s2, s2, s3
	s_delay_alu instid0(SALU_CYCLE_1) | instskip(NEXT) | instid1(SALU_CYCLE_1)
	s_mul_hi_u32 s2, s44, s2
	s_mul_i32 s3, s2, s10
	s_add_co_i32 s12, s2, 1
	s_sub_co_i32 s3, s44, s3
	s_delay_alu instid0(SALU_CYCLE_1)
	s_sub_co_i32 s13, s3, s10
	s_cmp_ge_u32 s3, s10
	s_cselect_b32 s2, s12, s2
	s_cselect_b32 s3, s13, s3
	s_add_co_i32 s12, s2, 1
	s_cmp_ge_u32 s3, s10
	s_cselect_b32 s48, s12, s2
.LBB137_5:
	s_load_b128 s[20:23], s[0:1], 0x1d0
	v_cmp_lt_u64_e64 s2, s[48:49], s[8:9]
	s_and_b32 vcc_lo, exec_lo, s2
	s_cbranch_vccnz .LBB137_7
; %bb.6:
	v_cvt_f32_u32_e32 v1, s8
	s_sub_co_i32 s3, 0, s8
	s_mov_b32 s47, 0
	s_delay_alu instid0(VALU_DEP_1) | instskip(SKIP_1) | instid1(TRANS32_DEP_1)
	v_rcp_iflag_f32_e32 v1, v1
	v_nop
	v_mul_f32_e32 v1, 0x4f7ffffe, v1
	s_delay_alu instid0(VALU_DEP_1) | instskip(NEXT) | instid1(VALU_DEP_1)
	v_cvt_u32_f32_e32 v1, v1
	v_readfirstlane_b32 s2, v1
	s_mul_i32 s3, s3, s2
	s_delay_alu instid0(SALU_CYCLE_1) | instskip(NEXT) | instid1(SALU_CYCLE_1)
	s_mul_hi_u32 s3, s2, s3
	s_add_co_i32 s2, s2, s3
	s_delay_alu instid0(SALU_CYCLE_1) | instskip(NEXT) | instid1(SALU_CYCLE_1)
	s_mul_hi_u32 s2, s48, s2
	s_mul_i32 s3, s2, s8
	s_add_co_i32 s12, s2, 1
	s_sub_co_i32 s3, s48, s3
	s_delay_alu instid0(SALU_CYCLE_1)
	s_sub_co_i32 s13, s3, s8
	s_cmp_ge_u32 s3, s8
	s_cselect_b32 s2, s12, s2
	s_cselect_b32 s3, s13, s3
	s_add_co_i32 s12, s2, 1
	s_cmp_ge_u32 s3, s8
	s_cselect_b32 s46, s12, s2
.LBB137_7:
	s_wait_kmcnt 0x0
	v_cmp_lt_u64_e64 s2, s[44:45], s[22:23]
	s_mov_b64 s[54:55], 0
	s_mov_b64 s[52:53], 0
	s_and_b32 vcc_lo, exec_lo, s2
	s_cbranch_vccnz .LBB137_9
; %bb.8:
	v_cvt_f32_u32_e32 v1, s22
	s_sub_co_i32 s3, 0, s22
	s_mov_b32 s53, 0
	s_delay_alu instid0(VALU_DEP_1) | instskip(SKIP_1) | instid1(TRANS32_DEP_1)
	v_rcp_iflag_f32_e32 v1, v1
	v_nop
	v_mul_f32_e32 v1, 0x4f7ffffe, v1
	s_delay_alu instid0(VALU_DEP_1) | instskip(NEXT) | instid1(VALU_DEP_1)
	v_cvt_u32_f32_e32 v1, v1
	v_readfirstlane_b32 s2, v1
	s_mul_i32 s3, s3, s2
	s_delay_alu instid0(SALU_CYCLE_1) | instskip(NEXT) | instid1(SALU_CYCLE_1)
	s_mul_hi_u32 s3, s2, s3
	s_add_co_i32 s2, s2, s3
	s_delay_alu instid0(SALU_CYCLE_1) | instskip(NEXT) | instid1(SALU_CYCLE_1)
	s_mul_hi_u32 s2, s44, s2
	s_mul_i32 s3, s2, s22
	s_add_co_i32 s12, s2, 1
	s_sub_co_i32 s3, s44, s3
	s_delay_alu instid0(SALU_CYCLE_1)
	s_sub_co_i32 s13, s3, s22
	s_cmp_ge_u32 s3, s22
	s_cselect_b32 s2, s12, s2
	s_cselect_b32 s3, s13, s3
	s_add_co_i32 s12, s2, 1
	s_cmp_ge_u32 s3, s22
	s_cselect_b32 s52, s12, s2
.LBB137_9:
	s_load_b128 s[24:27], s[0:1], 0x378
	v_cmp_lt_u64_e64 s2, s[52:53], s[20:21]
	s_and_b32 vcc_lo, exec_lo, s2
	s_cbranch_vccnz .LBB137_11
; %bb.10:
	v_cvt_f32_u32_e32 v1, s20
	s_sub_co_i32 s3, 0, s20
	s_mov_b32 s55, 0
	s_delay_alu instid0(VALU_DEP_1) | instskip(SKIP_1) | instid1(TRANS32_DEP_1)
	v_rcp_iflag_f32_e32 v1, v1
	v_nop
	v_mul_f32_e32 v1, 0x4f7ffffe, v1
	s_delay_alu instid0(VALU_DEP_1) | instskip(NEXT) | instid1(VALU_DEP_1)
	v_cvt_u32_f32_e32 v1, v1
	v_readfirstlane_b32 s2, v1
	s_mul_i32 s3, s3, s2
	s_delay_alu instid0(SALU_CYCLE_1) | instskip(NEXT) | instid1(SALU_CYCLE_1)
	s_mul_hi_u32 s3, s2, s3
	s_add_co_i32 s2, s2, s3
	s_delay_alu instid0(SALU_CYCLE_1) | instskip(NEXT) | instid1(SALU_CYCLE_1)
	s_mul_hi_u32 s2, s52, s2
	s_mul_i32 s3, s2, s20
	s_add_co_i32 s12, s2, 1
	s_sub_co_i32 s3, s52, s3
	s_delay_alu instid0(SALU_CYCLE_1)
	s_sub_co_i32 s13, s3, s20
	s_cmp_ge_u32 s3, s20
	s_cselect_b32 s2, s12, s2
	s_cselect_b32 s3, s13, s3
	s_add_co_i32 s12, s2, 1
	s_cmp_ge_u32 s3, s20
	s_cselect_b32 s54, s12, s2
.LBB137_11:
	s_wait_kmcnt 0x0
	v_cmp_lt_u64_e64 s2, s[44:45], s[26:27]
	s_mov_b64 s[56:57], 0
	s_mov_b64 s[58:59], 0
	s_and_b32 vcc_lo, exec_lo, s2
	s_cbranch_vccnz .LBB137_13
; %bb.12:
	v_cvt_f32_u32_e32 v1, s26
	s_sub_co_i32 s3, 0, s26
	s_mov_b32 s59, 0
	s_delay_alu instid0(VALU_DEP_1) | instskip(SKIP_1) | instid1(TRANS32_DEP_1)
	v_rcp_iflag_f32_e32 v1, v1
	v_nop
	v_mul_f32_e32 v1, 0x4f7ffffe, v1
	s_delay_alu instid0(VALU_DEP_1) | instskip(NEXT) | instid1(VALU_DEP_1)
	v_cvt_u32_f32_e32 v1, v1
	v_readfirstlane_b32 s2, v1
	s_mul_i32 s3, s3, s2
	s_delay_alu instid0(SALU_CYCLE_1) | instskip(NEXT) | instid1(SALU_CYCLE_1)
	s_mul_hi_u32 s3, s2, s3
	s_add_co_i32 s2, s2, s3
	s_delay_alu instid0(SALU_CYCLE_1) | instskip(NEXT) | instid1(SALU_CYCLE_1)
	s_mul_hi_u32 s2, s44, s2
	s_mul_i32 s3, s2, s26
	s_add_co_i32 s12, s2, 1
	s_sub_co_i32 s3, s44, s3
	s_delay_alu instid0(SALU_CYCLE_1)
	s_sub_co_i32 s13, s3, s26
	s_cmp_ge_u32 s3, s26
	s_cselect_b32 s2, s12, s2
	s_cselect_b32 s3, s13, s3
	s_add_co_i32 s12, s2, 1
	s_cmp_ge_u32 s3, s26
	s_cselect_b32 s58, s12, s2
.LBB137_13:
	s_clause 0x5
	s_load_b64 s[60:61], s[0:1], 0xe0
	s_load_b128 s[36:39], s[0:1], 0xd0
	s_load_b64 s[62:63], s[0:1], 0x2a0
	s_load_b128 s[40:43], s[0:1], 0x290
	;; [unrolled: 2-line block ×3, first 2 shown]
	v_cmp_lt_u64_e64 s2, s[58:59], s[24:25]
	s_and_b32 vcc_lo, exec_lo, s2
	s_cbranch_vccnz .LBB137_15
; %bb.14:
	v_cvt_f32_u32_e32 v1, s24
	s_sub_co_i32 s3, 0, s24
	s_mov_b32 s57, 0
	s_delay_alu instid0(VALU_DEP_1) | instskip(SKIP_1) | instid1(TRANS32_DEP_1)
	v_rcp_iflag_f32_e32 v1, v1
	v_nop
	v_mul_f32_e32 v1, 0x4f7ffffe, v1
	s_delay_alu instid0(VALU_DEP_1) | instskip(NEXT) | instid1(VALU_DEP_1)
	v_cvt_u32_f32_e32 v1, v1
	v_readfirstlane_b32 s2, v1
	s_mul_i32 s3, s3, s2
	s_delay_alu instid0(SALU_CYCLE_1) | instskip(NEXT) | instid1(SALU_CYCLE_1)
	s_mul_hi_u32 s3, s2, s3
	s_add_co_i32 s2, s2, s3
	s_delay_alu instid0(SALU_CYCLE_1) | instskip(NEXT) | instid1(SALU_CYCLE_1)
	s_mul_hi_u32 s2, s58, s2
	s_mul_i32 s3, s2, s24
	s_add_co_i32 s12, s2, 1
	s_sub_co_i32 s3, s58, s3
	s_delay_alu instid0(SALU_CYCLE_1)
	s_sub_co_i32 s13, s3, s24
	s_cmp_ge_u32 s3, s24
	s_cselect_b32 s2, s12, s2
	s_cselect_b32 s3, s13, s3
	s_add_co_i32 s12, s2, 1
	s_cmp_ge_u32 s3, s24
	s_cselect_b32 s56, s12, s2
.LBB137_15:
	s_load_b128 s[12:15], s[0:1], 0x518
	v_mov_b32_e32 v1, 0
	s_mov_b32 s51, 0
	s_wait_kmcnt 0x0
	s_add_nc_u64 s[2:3], s[12:13], s[44:45]
	global_load_u8 v6, v1, s[2:3]
	s_wait_xcnt 0x0
	v_cmp_ne_u32_e64 s2, 0, v0
	v_cmp_eq_u32_e64 s3, 0, v0
	s_and_saveexec_b32 s73, s3
	s_cbranch_execz .LBB137_31
; %bb.16:
	s_load_b64 s[66:67], s[0:1], 0x528
	s_lshl_b64 s[68:69], s[50:51], 2
	s_cmp_lt_u32 s35, 4
	s_cbranch_scc1 .LBB137_28
; %bb.17:
	s_mov_b64 s[12:13], 0
	s_mov_b32 s50, 0
.LBB137_18:                             ; =>This Inner Loop Header: Depth=1
	s_add_nc_u64 s[70:71], s[14:15], s[68:69]
	s_cmp_ge_u32 s50, s72
	s_load_b128 s[16:19], s[70:71], 0x0
	s_wait_kmcnt 0x0
	s_add_nc_u64 s[70:71], s[66:67], s[68:69]
	s_cbranch_scc0 .LBB137_25
; %bb.19:                               ;   in Loop: Header=BB137_18 Depth=1
	s_add_co_i32 s74, s50, 1
	s_delay_alu instid0(SALU_CYCLE_1)
	s_cmp_ge_u32 s74, s72
	s_cbranch_scc0 .LBB137_26
.LBB137_20:                             ;   in Loop: Header=BB137_18 Depth=1
	s_add_co_i32 s74, s74, 1
	s_delay_alu instid0(SALU_CYCLE_1)
	s_cmp_ge_u32 s74, s72
	s_cbranch_scc0 .LBB137_27
.LBB137_21:                             ;   in Loop: Header=BB137_18 Depth=1
	s_add_co_i32 s74, s74, 1
	s_delay_alu instid0(SALU_CYCLE_1)
	s_cmp_ge_u32 s74, s72
	s_cbranch_scc1 .LBB137_23
.LBB137_22:                             ;   in Loop: Header=BB137_18 Depth=1
	s_load_b32 s70, s[70:71], 0xc
	s_add_co_i32 s13, s19, s13
	s_wait_kmcnt 0x0
	s_add_co_i32 s12, s70, s12
.LBB137_23:                             ;   in Loop: Header=BB137_18 Depth=1
	s_add_co_i32 s16, s16, s51
	s_add_nc_u64 s[14:15], s[14:15], 16
	s_add_co_i32 s16, s16, s17
	s_add_co_i32 s17, s74, 4
	s_add_co_i32 s16, s16, s18
	s_add_nc_u64 s[66:67], s[66:67], 16
	s_add_co_i32 s51, s16, s19
	s_add_co_i32 s16, s74, 1
	s_cmp_ge_u32 s17, s35
	s_cbranch_scc1 .LBB137_29
; %bb.24:                               ;   in Loop: Header=BB137_18 Depth=1
	s_mov_b32 s50, s16
	s_branch .LBB137_18
.LBB137_25:                             ;   in Loop: Header=BB137_18 Depth=1
	s_load_b32 s74, s[70:71], 0x0
	s_add_co_i32 s13, s16, s13
	s_wait_kmcnt 0x0
	s_add_co_i32 s12, s74, s12
	s_add_co_i32 s74, s50, 1
	s_delay_alu instid0(SALU_CYCLE_1)
	s_cmp_ge_u32 s74, s72
	s_cbranch_scc1 .LBB137_20
.LBB137_26:                             ;   in Loop: Header=BB137_18 Depth=1
	s_load_b32 s75, s[70:71], 0x4
	s_add_co_i32 s13, s17, s13
	s_wait_kmcnt 0x0
	s_add_co_i32 s12, s75, s12
	s_add_co_i32 s74, s74, 1
	s_delay_alu instid0(SALU_CYCLE_1)
	s_cmp_ge_u32 s74, s72
	s_cbranch_scc1 .LBB137_21
.LBB137_27:                             ;   in Loop: Header=BB137_18 Depth=1
	s_load_b32 s75, s[70:71], 0x8
	s_add_co_i32 s13, s18, s13
	s_wait_kmcnt 0x0
	s_add_co_i32 s12, s75, s12
	s_add_co_i32 s74, s74, 1
	s_delay_alu instid0(SALU_CYCLE_1)
	s_cmp_ge_u32 s74, s72
	s_cbranch_scc0 .LBB137_22
	s_branch .LBB137_23
.LBB137_28:
	s_mov_b64 s[12:13], 0
	s_add_nc_u64 s[14:15], s[14:15], s[68:69]
	s_wait_kmcnt 0x0
	s_add_nc_u64 s[16:17], s[66:67], s[68:69]
	s_mov_b32 s18, 0
	s_delay_alu instid0(SALU_CYCLE_1)
	s_cmp_ge_u32 s18, s35
	s_cbranch_scc0 .LBB137_52
	s_branch .LBB137_30
.LBB137_29:
	s_add_co_i32 s18, s50, 4
	s_add_nc_u64 s[16:17], s[66:67], s[68:69]
	s_add_nc_u64 s[14:15], s[14:15], s[68:69]
	s_cmp_ge_u32 s18, s35
	s_cbranch_scc0 .LBB137_52
.LBB137_30:
	v_dual_mov_b32 v2, s12 :: v_dual_mov_b32 v3, s51
	v_dual_mov_b32 v4, s13 :: v_dual_mov_b32 v1, 0
	ds_store_b96 v1, v[2:4] offset:1056
.LBB137_31:
	s_or_b32 exec_lo, exec_lo, s73
	s_clause 0x2
	s_load_b128 s[12:15], s[0:1], 0x360
	s_load_b128 s[16:19], s[0:1], 0x1b8
	s_load_b64 s[50:51], s[0:1], 0x0
	s_cmp_eq_u32 s34, 0
	s_wait_loadcnt_dscnt 0x0
	s_barrier_signal -1
	s_barrier_wait -1
	s_cbranch_scc1 .LBB137_54
; %bb.32:
	s_mul_u64 s[8:9], s[46:47], s[8:9]
	s_mul_u64 s[24:25], s[56:57], s[24:25]
	v_dual_mov_b32 v1, 0 :: v_dual_lshrrev_b32 v5, 3, v0
	s_sub_nc_u64 s[8:9], s[48:49], s[8:9]
	s_mul_u64 s[10:11], s[48:49], s[10:11]
	s_mul_u64 s[36:37], s[46:47], s[36:37]
	s_sub_nc_u64 s[24:25], s[58:59], s[24:25]
	s_mul_u64 s[20:21], s[54:55], s[20:21]
	s_mul_u64 s[8:9], s[8:9], s[38:39]
	s_sub_nc_u64 s[10:11], s[44:45], s[10:11]
	s_mul_u64 s[24:25], s[24:25], s[30:31]
	s_wait_kmcnt 0x0
	s_add_nc_u64 s[30:31], s[50:51], s[36:37]
	ds_load_b96 v[2:4], v1 offset:1056
	s_sub_nc_u64 s[20:21], s[52:53], s[20:21]
	s_mul_u64 s[40:41], s[54:55], s[40:41]
	s_mul_u64 s[22:23], s[52:53], s[22:23]
	;; [unrolled: 1-line block ×3, first 2 shown]
	s_add_nc_u64 s[8:9], s[30:31], s[8:9]
	s_mul_u64 s[20:21], s[20:21], s[42:43]
	s_sub_nc_u64 s[22:23], s[44:45], s[22:23]
	s_add_nc_u64 s[8:9], s[8:9], s[10:11]
	s_add_nc_u64 s[10:11], s[18:19], s[40:41]
	s_mul_u64 s[22:23], s[22:23], s[62:63]
	s_mul_u64 s[28:29], s[56:57], s[28:29]
	s_add_nc_u64 s[10:11], s[10:11], s[20:21]
	s_lshl_b64 s[18:19], s[28:29], 3
	s_add_nc_u64 s[10:11], s[10:11], s[22:23]
	s_load_b32 s22, s[0:1], 0x1b0
	s_add_nc_u64 s[14:15], s[14:15], s[18:19]
	s_lshl_b64 s[18:19], s[24:25], 3
	v_dual_add_nc_u32 v10, -1, v0 :: v_dual_bitop2_b32 v8, 28, v5 bitop3:0x40
	s_add_nc_u64 s[18:19], s[14:15], s[18:19]
	s_load_b64 s[14:15], s[0:1], 0x508
	v_bfe_i32 v7, v6, 0, 8
	s_wait_dscnt 0x0
	v_dual_lshrrev_b32 v9, 3, v10 :: v_dual_add_nc_u32 v2, v2, v3
	s_mul_u64 s[26:27], s[58:59], s[26:27]
	v_lshl_add_u32 v8, v0, 2, v8
	v_add_nc_u32_e32 v5, 0x80, v7
	s_wait_xcnt 0x0
	v_cmp_gt_u32_e64 s0, 32, v0
	v_and_b32_e32 v3, 0x1ffffffc, v9
	v_and_b32_e32 v7, 0xfc, v0
	v_mbcnt_lo_u32_b32 v9, -1, 0
	v_lshlrev_b32_e32 v12, 5, v0
	v_mad_u32 v0, s72, s33, v0
	s_sub_nc_u64 s[26:27], s[44:45], s[26:27]
	v_lshl_add_u32 v10, v10, 2, v3
	s_mul_u64 s[26:27], s[26:27], s[64:65]
	v_and_b32_e32 v11, 0xff, v6
	s_lshl_b64 s[20:21], s[26:27], 3
	v_dual_add_nc_u32 v12, v7, v12 :: v_dual_bitop2_b32 v13, 15, v9 bitop3:0x40
	v_add_nc_u32_e32 v15, -1, v9
	v_bfe_i32 v14, v9, 4, 1
	s_wait_kmcnt 0x0
	s_bitcmp1_b32 s22, 0
	s_add_nc_u64 s[18:19], s[18:19], s[20:21]
	s_cselect_b32 s1, -1, 0
                                        ; implicit-def: $vgpr16
	s_branch .LBB137_35
.LBB137_33:                             ;   in Loop: Header=BB137_35 Depth=1
	s_wait_xcnt 0x0
	s_or_b32 exec_lo, exec_lo, s20
	v_add_nc_u32_e32 v2, v3, v2
.LBB137_34:                             ;   in Loop: Header=BB137_35 Depth=1
	v_add_nc_u32_e32 v4, v17, v4
	v_add_nc_u32_e32 v0, 0x100, v0
	s_add_co_i32 s34, s34, -1
	s_delay_alu instid0(SALU_CYCLE_1)
	s_cmp_lg_u32 s34, 0
	s_cbranch_scc0 .LBB137_54
.LBB137_35:                             ; =>This Inner Loop Header: Depth=1
	v_dual_mov_b32 v3, v1 :: v_dual_mov_b32 v6, v1
	s_mov_b32 s20, exec_lo
	v_cmpx_gt_u64_e64 s[4:5], v[0:1]
	s_cbranch_execz .LBB137_37
; %bb.36:                               ;   in Loop: Header=BB137_35 Depth=1
	v_mad_nc_u64_u32 v[6:7], s16, v0, s[8:9]
	s_delay_alu instid0(VALU_DEP_1) | instskip(SKIP_3) | instid1(VALU_DEP_1)
	v_mad_u32 v7, s17, v0, v7
	global_load_u8 v16, v[6:7], off
	s_wait_loadcnt 0x0
	v_bfe_i32 v3, v16, 0, 8
	v_add_nc_u32_e32 v3, 0x80, v3
	s_delay_alu instid0(VALU_DEP_1)
	v_cmp_gt_u32_e32 vcc_lo, v3, v5
	s_wait_xcnt 0x0
	v_cndmask_b32_e64 v6, 0, 1, vcc_lo
	v_cmp_lt_u32_e32 vcc_lo, v3, v5
	v_cndmask_b32_e64 v3, 0, 1, vcc_lo
	v_cmp_eq_u16_e32 vcc_lo, v16, v11
	s_delay_alu instid0(VALU_DEP_2) | instskip(SKIP_1) | instid1(VALU_DEP_2)
	v_cndmask_b32_e64 v3, v3, v6, s1
	v_cndmask_b32_e64 v6, 0, 1, vcc_lo
	v_and_b32_e32 v3, 1, v3
.LBB137_37:                             ;   in Loop: Header=BB137_35 Depth=1
	s_or_b32 exec_lo, exec_lo, s20
	ds_store_b32 v8, v3
	s_wait_dscnt 0x0
	s_barrier_signal -1
	s_barrier_wait -1
	s_and_saveexec_b32 s20, s0
	s_cbranch_execz .LBB137_39
; %bb.38:                               ;   in Loop: Header=BB137_35 Depth=1
	ds_load_2addr_b32 v[18:19], v12 offset1:1
	ds_load_2addr_b32 v[20:21], v12 offset0:2 offset1:3
	ds_load_2addr_b32 v[22:23], v12 offset0:4 offset1:5
	;; [unrolled: 1-line block ×3, first 2 shown]
	v_cmp_ne_u32_e32 vcc_lo, 0, v13
	; wave barrier
	s_wait_dscnt 0x3
	v_add_nc_u32_e32 v7, v19, v18
	s_wait_dscnt 0x2
	s_delay_alu instid0(VALU_DEP_1) | instskip(SKIP_1) | instid1(VALU_DEP_1)
	v_add3_u32 v7, v7, v20, v21
	s_wait_dscnt 0x1
	v_add3_u32 v7, v7, v22, v23
	s_wait_dscnt 0x0
	s_delay_alu instid0(VALU_DEP_1) | instskip(NEXT) | instid1(VALU_DEP_1)
	v_add3_u32 v7, v7, v24, v25
	v_mov_b32_dpp v17, v7 row_shr:1 row_mask:0xf bank_mask:0xf
	s_delay_alu instid0(VALU_DEP_1) | instskip(SKIP_1) | instid1(VALU_DEP_2)
	v_cndmask_b32_e32 v17, 0, v17, vcc_lo
	v_cmp_lt_u32_e32 vcc_lo, 1, v13
	v_add_nc_u32_e32 v7, v17, v7
	s_delay_alu instid0(VALU_DEP_1) | instskip(NEXT) | instid1(VALU_DEP_1)
	v_mov_b32_dpp v17, v7 row_shr:2 row_mask:0xf bank_mask:0xf
	v_cndmask_b32_e32 v17, 0, v17, vcc_lo
	v_cmp_lt_u32_e32 vcc_lo, 3, v13
	s_delay_alu instid0(VALU_DEP_2) | instskip(NEXT) | instid1(VALU_DEP_1)
	v_add_nc_u32_e32 v7, v7, v17
	v_mov_b32_dpp v17, v7 row_shr:4 row_mask:0xf bank_mask:0xf
	s_delay_alu instid0(VALU_DEP_1) | instskip(SKIP_1) | instid1(VALU_DEP_2)
	v_cndmask_b32_e32 v17, 0, v17, vcc_lo
	v_cmp_lt_u32_e32 vcc_lo, 7, v13
	v_add_nc_u32_e32 v7, v7, v17
	s_delay_alu instid0(VALU_DEP_1) | instskip(NEXT) | instid1(VALU_DEP_1)
	v_mov_b32_dpp v17, v7 row_shr:8 row_mask:0xf bank_mask:0xf
	v_cndmask_b32_e32 v17, 0, v17, vcc_lo
	v_cmp_gt_i32_e32 vcc_lo, 0, v15
	s_delay_alu instid0(VALU_DEP_2) | instskip(SKIP_4) | instid1(VALU_DEP_1)
	v_add_nc_u32_e32 v7, v7, v17
	v_cndmask_b32_e32 v19, v15, v9, vcc_lo
	ds_swizzle_b32 v17, v7 offset:swizzle(BROADCAST,32,15)
	s_wait_dscnt 0x0
	v_dual_lshlrev_b32 v19, 2, v19 :: v_dual_bitop2_b32 v17, v14, v17 bitop3:0x40
	v_add_nc_u32_e32 v7, v7, v17
	ds_bpermute_b32 v7, v19, v7
	s_wait_dscnt 0x0
	v_add_nc_u32_e32 v7, v7, v18
	s_delay_alu instid0(VALU_DEP_1)
	v_cndmask_b32_e64 v7, v7, v3, s3
	ds_store_b32 v12, v7
	; wave barrier
	ds_load_2addr_b32 v[18:19], v12 offset0:1 offset1:2
	ds_load_2addr_b32 v[20:21], v12 offset0:3 offset1:4
	ds_load_2addr_b32 v[22:23], v12 offset0:5 offset1:6
	ds_load_b32 v17, v12 offset:28
	s_wait_dscnt 0x3
	v_add_nc_u32_e32 v7, v18, v7
	s_delay_alu instid0(VALU_DEP_1) | instskip(SKIP_1) | instid1(VALU_DEP_1)
	v_add_nc_u32_e32 v18, v19, v7
	s_wait_dscnt 0x2
	v_add_nc_u32_e32 v19, v20, v18
	s_delay_alu instid0(VALU_DEP_1) | instskip(SKIP_1) | instid1(VALU_DEP_1)
	v_add_nc_u32_e32 v20, v21, v19
	;; [unrolled: 4-line block ×3, first 2 shown]
	s_wait_dscnt 0x0
	v_add_nc_u32_e32 v17, v17, v22
	ds_store_2addr_b32 v12, v7, v18 offset0:1 offset1:2
	ds_store_2addr_b32 v12, v19, v20 offset0:3 offset1:4
	;; [unrolled: 1-line block ×3, first 2 shown]
	ds_store_b32 v12, v17 offset:28
.LBB137_39:                             ;   in Loop: Header=BB137_35 Depth=1
	s_or_b32 exec_lo, exec_lo, s20
	v_mov_b32_e32 v7, 0
	s_wait_dscnt 0x0
	s_barrier_signal -1
	s_barrier_wait -1
	s_and_saveexec_b32 s20, s2
; %bb.40:                               ;   in Loop: Header=BB137_35 Depth=1
	ds_load_b32 v7, v10
; %bb.41:                               ;   in Loop: Header=BB137_35 Depth=1
	s_or_b32 exec_lo, exec_lo, s20
	ds_load_b32 v17, v1 offset:1048
	s_mov_b32 s20, exec_lo
	s_wait_dscnt 0x0
	s_barrier_signal -1
	s_barrier_wait -1
	v_cmpx_ne_u32_e32 0, v3
	s_cbranch_execz .LBB137_43
; %bb.42:                               ;   in Loop: Header=BB137_35 Depth=1
	v_dual_mov_b32 v19, v1 :: v_dual_add_nc_u32 v18, v7, v4
	s_delay_alu instid0(VALU_DEP_1) | instskip(NEXT) | instid1(VALU_DEP_2)
	v_mad_nc_u64_u32 v[22:23], s12, v18, s[10:11]
	v_mul_u64_e32 v[20:21], s[14:15], v[18:19]
	s_delay_alu instid0(VALU_DEP_2) | instskip(NEXT) | instid1(VALU_DEP_2)
	v_mad_u32 v23, s13, v18, v23
	v_lshl_add_u64 v[18:19], v[20:21], 3, s[18:19]
	global_store_b8 v[22:23], v16, off
	global_store_b64 v[18:19], v[0:1], off
.LBB137_43:                             ;   in Loop: Header=BB137_35 Depth=1
	s_wait_xcnt 0x0
	s_or_b32 exec_lo, exec_lo, s20
	v_mov_b32_e32 v3, v1
	s_delay_alu instid0(VALU_DEP_1)
	v_cmp_le_u64_e32 vcc_lo, s[6:7], v[2:3]
	s_cbranch_vccnz .LBB137_34
; %bb.44:                               ;   in Loop: Header=BB137_35 Depth=1
	ds_store_b32 v8, v6
	s_wait_storecnt_dscnt 0x0
	s_barrier_signal -1
	s_barrier_wait -1
	s_and_saveexec_b32 s20, s0
	s_cbranch_execz .LBB137_46
; %bb.45:                               ;   in Loop: Header=BB137_35 Depth=1
	ds_load_2addr_b32 v[18:19], v12 offset1:1
	ds_load_2addr_b32 v[20:21], v12 offset0:2 offset1:3
	ds_load_2addr_b32 v[22:23], v12 offset0:4 offset1:5
	;; [unrolled: 1-line block ×3, first 2 shown]
	v_cmp_ne_u32_e32 vcc_lo, 0, v13
	; wave barrier
	s_wait_dscnt 0x3
	v_add_nc_u32_e32 v3, v19, v18
	s_wait_dscnt 0x2
	s_delay_alu instid0(VALU_DEP_1) | instskip(SKIP_1) | instid1(VALU_DEP_1)
	v_add3_u32 v3, v3, v20, v21
	s_wait_dscnt 0x1
	v_add3_u32 v3, v3, v22, v23
	s_wait_dscnt 0x0
	s_delay_alu instid0(VALU_DEP_1) | instskip(NEXT) | instid1(VALU_DEP_1)
	v_add3_u32 v3, v3, v24, v25
	v_mov_b32_dpp v7, v3 row_shr:1 row_mask:0xf bank_mask:0xf
	s_delay_alu instid0(VALU_DEP_1) | instskip(SKIP_1) | instid1(VALU_DEP_2)
	v_cndmask_b32_e32 v7, 0, v7, vcc_lo
	v_cmp_lt_u32_e32 vcc_lo, 1, v13
	v_add_nc_u32_e32 v3, v7, v3
	s_delay_alu instid0(VALU_DEP_1) | instskip(NEXT) | instid1(VALU_DEP_1)
	v_mov_b32_dpp v7, v3 row_shr:2 row_mask:0xf bank_mask:0xf
	v_cndmask_b32_e32 v7, 0, v7, vcc_lo
	v_cmp_lt_u32_e32 vcc_lo, 3, v13
	s_delay_alu instid0(VALU_DEP_2) | instskip(NEXT) | instid1(VALU_DEP_1)
	v_add_nc_u32_e32 v3, v3, v7
	v_mov_b32_dpp v7, v3 row_shr:4 row_mask:0xf bank_mask:0xf
	s_delay_alu instid0(VALU_DEP_1) | instskip(SKIP_1) | instid1(VALU_DEP_2)
	v_cndmask_b32_e32 v7, 0, v7, vcc_lo
	v_cmp_lt_u32_e32 vcc_lo, 7, v13
	v_add_nc_u32_e32 v3, v3, v7
	s_delay_alu instid0(VALU_DEP_1) | instskip(NEXT) | instid1(VALU_DEP_1)
	v_mov_b32_dpp v7, v3 row_shr:8 row_mask:0xf bank_mask:0xf
	v_cndmask_b32_e32 v7, 0, v7, vcc_lo
	v_cmp_gt_i32_e32 vcc_lo, 0, v15
	s_delay_alu instid0(VALU_DEP_2)
	v_add_nc_u32_e32 v3, v3, v7
	v_cndmask_b32_e32 v19, v15, v9, vcc_lo
	ds_swizzle_b32 v7, v3 offset:swizzle(BROADCAST,32,15)
	v_lshlrev_b32_e32 v19, 2, v19
	s_wait_dscnt 0x0
	v_and_b32_e32 v7, v14, v7
	s_delay_alu instid0(VALU_DEP_1) | instskip(SKIP_3) | instid1(VALU_DEP_1)
	v_add_nc_u32_e32 v3, v3, v7
	ds_bpermute_b32 v3, v19, v3
	s_wait_dscnt 0x0
	v_add_nc_u32_e32 v3, v3, v18
	v_cndmask_b32_e64 v3, v3, v6, s3
	ds_store_b32 v12, v3
	; wave barrier
	ds_load_2addr_b32 v[18:19], v12 offset0:1 offset1:2
	ds_load_2addr_b32 v[20:21], v12 offset0:3 offset1:4
	;; [unrolled: 1-line block ×3, first 2 shown]
	ds_load_b32 v7, v12 offset:28
	s_wait_dscnt 0x3
	v_add_nc_u32_e32 v3, v18, v3
	s_delay_alu instid0(VALU_DEP_1) | instskip(SKIP_1) | instid1(VALU_DEP_1)
	v_add_nc_u32_e32 v18, v19, v3
	s_wait_dscnt 0x2
	v_add_nc_u32_e32 v19, v20, v18
	s_delay_alu instid0(VALU_DEP_1) | instskip(SKIP_1) | instid1(VALU_DEP_1)
	v_add_nc_u32_e32 v20, v21, v19
	;; [unrolled: 4-line block ×3, first 2 shown]
	s_wait_dscnt 0x0
	v_add_nc_u32_e32 v7, v7, v22
	ds_store_2addr_b32 v12, v3, v18 offset0:1 offset1:2
	ds_store_2addr_b32 v12, v19, v20 offset0:3 offset1:4
	;; [unrolled: 1-line block ×3, first 2 shown]
	ds_store_b32 v12, v7 offset:28
.LBB137_46:                             ;   in Loop: Header=BB137_35 Depth=1
	s_or_b32 exec_lo, exec_lo, s20
	v_mov_b32_e32 v7, 0
	s_wait_dscnt 0x0
	s_barrier_signal -1
	s_barrier_wait -1
	s_and_saveexec_b32 s20, s2
; %bb.47:                               ;   in Loop: Header=BB137_35 Depth=1
	ds_load_b32 v7, v10
; %bb.48:                               ;   in Loop: Header=BB137_35 Depth=1
	s_or_b32 exec_lo, exec_lo, s20
	ds_load_b32 v3, v1 offset:1048
	s_mov_b32 s20, exec_lo
	s_wait_dscnt 0x0
	s_barrier_signal -1
	s_barrier_wait -1
	v_cmpx_ne_u32_e32 0, v6
	s_cbranch_execz .LBB137_33
; %bb.49:                               ;   in Loop: Header=BB137_35 Depth=1
	v_dual_mov_b32 v7, v1 :: v_dual_add_nc_u32 v6, v7, v2
	s_delay_alu instid0(VALU_DEP_1)
	v_cmp_gt_u64_e32 vcc_lo, s[6:7], v[6:7]
	s_and_b32 exec_lo, exec_lo, vcc_lo
	s_cbranch_execz .LBB137_33
; %bb.50:                               ;   in Loop: Header=BB137_35 Depth=1
	v_mul_u64_e32 v[18:19], s[14:15], v[6:7]
	v_mad_nc_u64_u32 v[20:21], s12, v6, s[10:11]
	s_delay_alu instid0(VALU_DEP_1) | instskip(NEXT) | instid1(VALU_DEP_3)
	v_mad_u32 v21, s13, v6, v21
	v_lshl_add_u64 v[6:7], v[18:19], 3, s[18:19]
	global_store_b8 v[20:21], v16, off
	global_store_b64 v[6:7], v[0:1], off
	s_branch .LBB137_33
.LBB137_51:                             ;   in Loop: Header=BB137_52 Depth=1
	s_add_co_i32 s18, s18, 1
	s_wait_kmcnt 0x0
	s_add_co_i32 s51, s19, s51
	s_add_nc_u64 s[14:15], s[14:15], 4
	s_cmp_lt_u32 s18, s35
	s_add_nc_u64 s[16:17], s[16:17], 4
	s_cbranch_scc0 .LBB137_30
.LBB137_52:                             ; =>This Inner Loop Header: Depth=1
	s_load_b32 s19, s[14:15], 0x0
	s_cmp_ge_u32 s18, s72
	s_cbranch_scc1 .LBB137_51
; %bb.53:                               ;   in Loop: Header=BB137_52 Depth=1
	s_load_b32 s50, s[16:17], 0x0
	s_wait_kmcnt 0x0
	s_add_co_i32 s13, s19, s13
	s_add_co_i32 s12, s50, s12
	s_branch .LBB137_51
.LBB137_54:
	s_endpgm
	.section	.rodata,"a",@progbits
	.p2align	6, 0x0
	.amdhsa_kernel _ZN2at6native6mbtopk10gatherTopKIamLi3EEEvNS_4cuda6detail10TensorInfoIKT_T0_EES8_S8_bjS8_NS5_IS6_S8_EES8_NS5_IlS8_EES8_jjPS6_PjSD_j
		.amdhsa_group_segment_fixed_size 1068
		.amdhsa_private_segment_fixed_size 0
		.amdhsa_kernarg_size 1592
		.amdhsa_user_sgpr_count 2
		.amdhsa_user_sgpr_dispatch_ptr 0
		.amdhsa_user_sgpr_queue_ptr 0
		.amdhsa_user_sgpr_kernarg_segment_ptr 1
		.amdhsa_user_sgpr_dispatch_id 0
		.amdhsa_user_sgpr_kernarg_preload_length 0
		.amdhsa_user_sgpr_kernarg_preload_offset 0
		.amdhsa_user_sgpr_private_segment_size 0
		.amdhsa_wavefront_size32 1
		.amdhsa_uses_dynamic_stack 0
		.amdhsa_enable_private_segment 0
		.amdhsa_system_sgpr_workgroup_id_x 1
		.amdhsa_system_sgpr_workgroup_id_y 1
		.amdhsa_system_sgpr_workgroup_id_z 1
		.amdhsa_system_sgpr_workgroup_info 0
		.amdhsa_system_vgpr_workitem_id 0
		.amdhsa_next_free_vgpr 26
		.amdhsa_next_free_sgpr 76
		.amdhsa_named_barrier_count 0
		.amdhsa_reserve_vcc 1
		.amdhsa_float_round_mode_32 0
		.amdhsa_float_round_mode_16_64 0
		.amdhsa_float_denorm_mode_32 3
		.amdhsa_float_denorm_mode_16_64 3
		.amdhsa_fp16_overflow 0
		.amdhsa_memory_ordered 1
		.amdhsa_forward_progress 1
		.amdhsa_inst_pref_size 27
		.amdhsa_round_robin_scheduling 0
		.amdhsa_exception_fp_ieee_invalid_op 0
		.amdhsa_exception_fp_denorm_src 0
		.amdhsa_exception_fp_ieee_div_zero 0
		.amdhsa_exception_fp_ieee_overflow 0
		.amdhsa_exception_fp_ieee_underflow 0
		.amdhsa_exception_fp_ieee_inexact 0
		.amdhsa_exception_int_div_zero 0
	.end_amdhsa_kernel
	.section	.text._ZN2at6native6mbtopk10gatherTopKIamLi3EEEvNS_4cuda6detail10TensorInfoIKT_T0_EES8_S8_bjS8_NS5_IS6_S8_EES8_NS5_IlS8_EES8_jjPS6_PjSD_j,"axG",@progbits,_ZN2at6native6mbtopk10gatherTopKIamLi3EEEvNS_4cuda6detail10TensorInfoIKT_T0_EES8_S8_bjS8_NS5_IS6_S8_EES8_NS5_IlS8_EES8_jjPS6_PjSD_j,comdat
.Lfunc_end137:
	.size	_ZN2at6native6mbtopk10gatherTopKIamLi3EEEvNS_4cuda6detail10TensorInfoIKT_T0_EES8_S8_bjS8_NS5_IS6_S8_EES8_NS5_IlS8_EES8_jjPS6_PjSD_j, .Lfunc_end137-_ZN2at6native6mbtopk10gatherTopKIamLi3EEEvNS_4cuda6detail10TensorInfoIKT_T0_EES8_S8_bjS8_NS5_IS6_S8_EES8_NS5_IlS8_EES8_jjPS6_PjSD_j
                                        ; -- End function
	.set _ZN2at6native6mbtopk10gatherTopKIamLi3EEEvNS_4cuda6detail10TensorInfoIKT_T0_EES8_S8_bjS8_NS5_IS6_S8_EES8_NS5_IlS8_EES8_jjPS6_PjSD_j.num_vgpr, 26
	.set _ZN2at6native6mbtopk10gatherTopKIamLi3EEEvNS_4cuda6detail10TensorInfoIKT_T0_EES8_S8_bjS8_NS5_IS6_S8_EES8_NS5_IlS8_EES8_jjPS6_PjSD_j.num_agpr, 0
	.set _ZN2at6native6mbtopk10gatherTopKIamLi3EEEvNS_4cuda6detail10TensorInfoIKT_T0_EES8_S8_bjS8_NS5_IS6_S8_EES8_NS5_IlS8_EES8_jjPS6_PjSD_j.numbered_sgpr, 76
	.set _ZN2at6native6mbtopk10gatherTopKIamLi3EEEvNS_4cuda6detail10TensorInfoIKT_T0_EES8_S8_bjS8_NS5_IS6_S8_EES8_NS5_IlS8_EES8_jjPS6_PjSD_j.num_named_barrier, 0
	.set _ZN2at6native6mbtopk10gatherTopKIamLi3EEEvNS_4cuda6detail10TensorInfoIKT_T0_EES8_S8_bjS8_NS5_IS6_S8_EES8_NS5_IlS8_EES8_jjPS6_PjSD_j.private_seg_size, 0
	.set _ZN2at6native6mbtopk10gatherTopKIamLi3EEEvNS_4cuda6detail10TensorInfoIKT_T0_EES8_S8_bjS8_NS5_IS6_S8_EES8_NS5_IlS8_EES8_jjPS6_PjSD_j.uses_vcc, 1
	.set _ZN2at6native6mbtopk10gatherTopKIamLi3EEEvNS_4cuda6detail10TensorInfoIKT_T0_EES8_S8_bjS8_NS5_IS6_S8_EES8_NS5_IlS8_EES8_jjPS6_PjSD_j.uses_flat_scratch, 0
	.set _ZN2at6native6mbtopk10gatherTopKIamLi3EEEvNS_4cuda6detail10TensorInfoIKT_T0_EES8_S8_bjS8_NS5_IS6_S8_EES8_NS5_IlS8_EES8_jjPS6_PjSD_j.has_dyn_sized_stack, 0
	.set _ZN2at6native6mbtopk10gatherTopKIamLi3EEEvNS_4cuda6detail10TensorInfoIKT_T0_EES8_S8_bjS8_NS5_IS6_S8_EES8_NS5_IlS8_EES8_jjPS6_PjSD_j.has_recursion, 0
	.set _ZN2at6native6mbtopk10gatherTopKIamLi3EEEvNS_4cuda6detail10TensorInfoIKT_T0_EES8_S8_bjS8_NS5_IS6_S8_EES8_NS5_IlS8_EES8_jjPS6_PjSD_j.has_indirect_call, 0
	.section	.AMDGPU.csdata,"",@progbits
; Kernel info:
; codeLenInByte = 3452
; TotalNumSgprs: 78
; NumVgprs: 26
; ScratchSize: 0
; MemoryBound: 0
; FloatMode: 240
; IeeeMode: 1
; LDSByteSize: 1068 bytes/workgroup (compile time only)
; SGPRBlocks: 0
; VGPRBlocks: 1
; NumSGPRsForWavesPerEU: 78
; NumVGPRsForWavesPerEU: 26
; NamedBarCnt: 0
; Occupancy: 16
; WaveLimiterHint : 1
; COMPUTE_PGM_RSRC2:SCRATCH_EN: 0
; COMPUTE_PGM_RSRC2:USER_SGPR: 2
; COMPUTE_PGM_RSRC2:TRAP_HANDLER: 0
; COMPUTE_PGM_RSRC2:TGID_X_EN: 1
; COMPUTE_PGM_RSRC2:TGID_Y_EN: 1
; COMPUTE_PGM_RSRC2:TGID_Z_EN: 1
; COMPUTE_PGM_RSRC2:TIDIG_COMP_CNT: 0
	.section	.text._ZN2at6native6sbtopk10gatherTopKIamLi3ELb0EEEvNS_4cuda6detail10TensorInfoIKT_T0_EES8_S8_bS8_S8_NS5_IS6_S8_EES8_NS5_IlS8_EES8_PS6_,"axG",@progbits,_ZN2at6native6sbtopk10gatherTopKIamLi3ELb0EEEvNS_4cuda6detail10TensorInfoIKT_T0_EES8_S8_bS8_S8_NS5_IS6_S8_EES8_NS5_IlS8_EES8_PS6_,comdat
	.protected	_ZN2at6native6sbtopk10gatherTopKIamLi3ELb0EEEvNS_4cuda6detail10TensorInfoIKT_T0_EES8_S8_bS8_S8_NS5_IS6_S8_EES8_NS5_IlS8_EES8_PS6_ ; -- Begin function _ZN2at6native6sbtopk10gatherTopKIamLi3ELb0EEEvNS_4cuda6detail10TensorInfoIKT_T0_EES8_S8_bS8_S8_NS5_IS6_S8_EES8_NS5_IlS8_EES8_PS6_
	.globl	_ZN2at6native6sbtopk10gatherTopKIamLi3ELb0EEEvNS_4cuda6detail10TensorInfoIKT_T0_EES8_S8_bS8_S8_NS5_IS6_S8_EES8_NS5_IlS8_EES8_PS6_
	.p2align	8
	.type	_ZN2at6native6sbtopk10gatherTopKIamLi3ELb0EEEvNS_4cuda6detail10TensorInfoIKT_T0_EES8_S8_bS8_S8_NS5_IS6_S8_EES8_NS5_IlS8_EES8_PS6_,@function
_ZN2at6native6sbtopk10gatherTopKIamLi3ELb0EEEvNS_4cuda6detail10TensorInfoIKT_T0_EES8_S8_bS8_S8_NS5_IS6_S8_EES8_NS5_IlS8_EES8_PS6_: ; @_ZN2at6native6sbtopk10gatherTopKIamLi3ELb0EEEvNS_4cuda6detail10TensorInfoIKT_T0_EES8_S8_bS8_S8_NS5_IS6_S8_EES8_NS5_IlS8_EES8_PS6_
; %bb.0:
	s_clause 0x1
	s_load_b128 s[28:31], s[0:1], 0x1b8
	s_load_b64 s[16:17], s[0:1], 0x520
	s_bfe_u32 s2, ttmp6, 0x40010
	s_and_b32 s3, ttmp7, 0xffff
	s_add_co_i32 s2, s2, 1
	s_bfe_u32 s5, ttmp6, 0x4000c
	s_mul_i32 s2, s3, s2
	s_bfe_u32 s4, ttmp6, 0x40004
	s_add_co_i32 s5, s5, 1
	s_bfe_u32 s6, ttmp6, 0x40014
	s_add_co_i32 s4, s4, s2
	s_and_b32 s2, ttmp6, 15
	s_mul_i32 s5, ttmp9, s5
	s_lshr_b32 s7, ttmp7, 16
	s_add_co_i32 s6, s6, 1
	s_add_co_i32 s2, s2, s5
	s_mul_i32 s5, s7, s6
	s_bfe_u32 s6, ttmp6, 0x40008
	s_getreg_b32 s8, hwreg(HW_REG_IB_STS2, 6, 4)
	s_add_co_i32 s6, s6, s5
	s_cmp_eq_u32 s8, 0
	s_mov_b32 s59, 0
	s_cselect_b32 s5, s7, s6
	s_cselect_b32 s3, s3, s4
	s_wait_kmcnt 0x0
	s_mul_i32 s5, s17, s5
	s_cselect_b32 s17, ttmp9, s2
	s_add_co_i32 s2, s5, s3
	s_delay_alu instid0(SALU_CYCLE_1) | instskip(NEXT) | instid1(SALU_CYCLE_1)
	s_mul_i32 s2, s2, s16
	s_add_co_i32 s58, s2, s17
	s_delay_alu instid0(SALU_CYCLE_1)
	v_cmp_le_u64_e64 s2, s[28:29], s[58:59]
	s_and_b32 vcc_lo, exec_lo, s2
	s_cbranch_vccnz .LBB138_484
; %bb.1:
	s_load_b128 s[8:11], s[0:1], 0x10
	s_mov_b64 s[6:7], 0
	s_wait_kmcnt 0x0
	v_cmp_lt_u64_e64 s2, s[58:59], s[10:11]
	s_and_b32 vcc_lo, exec_lo, s2
	s_mov_b64 s[2:3], 0
	s_cbranch_vccnz .LBB138_3
; %bb.2:
	v_cvt_f32_u32_e32 v1, s10
	s_sub_co_i32 s3, 0, s10
	s_delay_alu instid0(VALU_DEP_1) | instskip(SKIP_1) | instid1(TRANS32_DEP_1)
	v_rcp_iflag_f32_e32 v1, v1
	v_nop
	v_mul_f32_e32 v1, 0x4f7ffffe, v1
	s_delay_alu instid0(VALU_DEP_1) | instskip(NEXT) | instid1(VALU_DEP_1)
	v_cvt_u32_f32_e32 v1, v1
	v_readfirstlane_b32 s2, v1
	s_mul_i32 s3, s3, s2
	s_delay_alu instid0(SALU_CYCLE_1) | instskip(NEXT) | instid1(SALU_CYCLE_1)
	s_mul_hi_u32 s3, s2, s3
	s_add_co_i32 s2, s2, s3
	s_delay_alu instid0(SALU_CYCLE_1) | instskip(NEXT) | instid1(SALU_CYCLE_1)
	s_mul_hi_u32 s2, s58, s2
	s_mul_i32 s3, s2, s10
	s_add_co_i32 s4, s2, 1
	s_sub_co_i32 s3, s58, s3
	s_delay_alu instid0(SALU_CYCLE_1)
	s_sub_co_i32 s5, s3, s10
	s_cmp_ge_u32 s3, s10
	s_cselect_b32 s2, s4, s2
	s_cselect_b32 s3, s5, s3
	s_add_co_i32 s4, s2, 1
	s_cmp_ge_u32 s3, s10
	s_mov_b32 s3, 0
	s_cselect_b32 s2, s4, s2
.LBB138_3:
	s_load_b128 s[20:23], s[0:1], 0x1d8
	v_cmp_lt_u64_e64 s4, s[2:3], s[8:9]
	s_and_b32 vcc_lo, exec_lo, s4
	s_cbranch_vccnz .LBB138_5
; %bb.4:
	v_cvt_f32_u32_e32 v1, s8
	s_sub_co_i32 s5, 0, s8
	s_delay_alu instid0(VALU_DEP_1) | instskip(SKIP_1) | instid1(TRANS32_DEP_1)
	v_rcp_iflag_f32_e32 v1, v1
	v_nop
	v_mul_f32_e32 v1, 0x4f7ffffe, v1
	s_delay_alu instid0(VALU_DEP_1) | instskip(NEXT) | instid1(VALU_DEP_1)
	v_cvt_u32_f32_e32 v1, v1
	v_readfirstlane_b32 s4, v1
	s_mul_i32 s5, s5, s4
	s_delay_alu instid0(SALU_CYCLE_1) | instskip(NEXT) | instid1(SALU_CYCLE_1)
	s_mul_hi_u32 s5, s4, s5
	s_add_co_i32 s4, s4, s5
	s_delay_alu instid0(SALU_CYCLE_1) | instskip(NEXT) | instid1(SALU_CYCLE_1)
	s_mul_hi_u32 s4, s2, s4
	s_mul_i32 s5, s4, s8
	s_add_co_i32 s6, s4, 1
	s_sub_co_i32 s5, s2, s5
	s_delay_alu instid0(SALU_CYCLE_1)
	s_sub_co_i32 s7, s5, s8
	s_cmp_ge_u32 s5, s8
	s_cselect_b32 s4, s6, s4
	s_cselect_b32 s5, s7, s5
	s_add_co_i32 s6, s4, 1
	s_cmp_ge_u32 s5, s8
	s_mov_b32 s7, 0
	s_cselect_b32 s6, s6, s4
.LBB138_5:
	s_wait_kmcnt 0x0
	v_cmp_lt_u64_e64 s4, s[58:59], s[22:23]
	s_mov_b64 s[18:19], 0
	s_mov_b64 s[14:15], 0
	s_and_b32 vcc_lo, exec_lo, s4
	s_cbranch_vccnz .LBB138_7
; %bb.6:
	v_cvt_f32_u32_e32 v1, s22
	s_sub_co_i32 s5, 0, s22
	s_mov_b32 s15, 0
	s_delay_alu instid0(VALU_DEP_1) | instskip(SKIP_1) | instid1(TRANS32_DEP_1)
	v_rcp_iflag_f32_e32 v1, v1
	v_nop
	v_mul_f32_e32 v1, 0x4f7ffffe, v1
	s_delay_alu instid0(VALU_DEP_1) | instskip(NEXT) | instid1(VALU_DEP_1)
	v_cvt_u32_f32_e32 v1, v1
	v_readfirstlane_b32 s4, v1
	s_mul_i32 s5, s5, s4
	s_delay_alu instid0(SALU_CYCLE_1) | instskip(NEXT) | instid1(SALU_CYCLE_1)
	s_mul_hi_u32 s5, s4, s5
	s_add_co_i32 s4, s4, s5
	s_delay_alu instid0(SALU_CYCLE_1) | instskip(NEXT) | instid1(SALU_CYCLE_1)
	s_mul_hi_u32 s4, s58, s4
	s_mul_i32 s5, s4, s22
	s_add_co_i32 s12, s4, 1
	s_sub_co_i32 s5, s58, s5
	s_delay_alu instid0(SALU_CYCLE_1)
	s_sub_co_i32 s13, s5, s22
	s_cmp_ge_u32 s5, s22
	s_cselect_b32 s4, s12, s4
	s_cselect_b32 s5, s13, s5
	s_add_co_i32 s12, s4, 1
	s_cmp_ge_u32 s5, s22
	s_cselect_b32 s14, s12, s4
.LBB138_7:
	s_load_b128 s[44:47], s[0:1], 0x380
	v_cmp_lt_u64_e64 s4, s[14:15], s[20:21]
	s_and_b32 vcc_lo, exec_lo, s4
	s_cbranch_vccnz .LBB138_9
; %bb.8:
	v_cvt_f32_u32_e32 v1, s20
	s_sub_co_i32 s5, 0, s20
	s_mov_b32 s19, 0
	s_delay_alu instid0(VALU_DEP_1) | instskip(SKIP_1) | instid1(TRANS32_DEP_1)
	v_rcp_iflag_f32_e32 v1, v1
	v_nop
	v_mul_f32_e32 v1, 0x4f7ffffe, v1
	s_delay_alu instid0(VALU_DEP_1) | instskip(NEXT) | instid1(VALU_DEP_1)
	v_cvt_u32_f32_e32 v1, v1
	v_readfirstlane_b32 s4, v1
	s_mul_i32 s5, s5, s4
	s_delay_alu instid0(SALU_CYCLE_1) | instskip(NEXT) | instid1(SALU_CYCLE_1)
	s_mul_hi_u32 s5, s4, s5
	s_add_co_i32 s4, s4, s5
	s_delay_alu instid0(SALU_CYCLE_1) | instskip(NEXT) | instid1(SALU_CYCLE_1)
	s_mul_hi_u32 s4, s14, s4
	s_mul_i32 s5, s4, s20
	s_add_co_i32 s12, s4, 1
	s_sub_co_i32 s5, s14, s5
	s_delay_alu instid0(SALU_CYCLE_1)
	s_sub_co_i32 s13, s5, s20
	s_cmp_ge_u32 s5, s20
	s_cselect_b32 s4, s12, s4
	s_cselect_b32 s5, s13, s5
	s_add_co_i32 s12, s4, 1
	s_cmp_ge_u32 s5, s20
	s_cselect_b32 s18, s12, s4
.LBB138_9:
                                        ; implicit-def: $vgpr42 : SGPR spill to VGPR lane
	s_wait_kmcnt 0x0
	v_cmp_lt_u64_e64 s4, s[58:59], s[46:47]
	v_writelane_b32 v42, s18, 0
	s_mov_b64 s[22:23], 0
	s_mov_b64 s[64:65], 0
	v_writelane_b32 v42, s19, 1
	s_and_b32 vcc_lo, exec_lo, s4
	v_writelane_b32 v42, s14, 2
	v_writelane_b32 v42, s15, 3
	s_clause 0x1
	s_load_b64 s[20:21], s[0:1], 0xe0
	s_load_b128 s[12:15], s[0:1], 0xd0
	s_cbranch_vccnz .LBB138_11
; %bb.10:
	v_cvt_f32_u32_e32 v1, s46
	s_sub_co_i32 s5, 0, s46
	s_mov_b32 s65, 0
	s_delay_alu instid0(VALU_DEP_1) | instskip(SKIP_1) | instid1(TRANS32_DEP_1)
	v_rcp_iflag_f32_e32 v1, v1
	v_nop
	v_mul_f32_e32 v1, 0x4f7ffffe, v1
	s_delay_alu instid0(VALU_DEP_1) | instskip(NEXT) | instid1(VALU_DEP_1)
	v_cvt_u32_f32_e32 v1, v1
	v_readfirstlane_b32 s4, v1
	s_mul_i32 s5, s5, s4
	s_delay_alu instid0(SALU_CYCLE_1) | instskip(NEXT) | instid1(SALU_CYCLE_1)
	s_mul_hi_u32 s5, s4, s5
	s_add_co_i32 s4, s4, s5
	s_delay_alu instid0(SALU_CYCLE_1) | instskip(NEXT) | instid1(SALU_CYCLE_1)
	s_mul_hi_u32 s4, s58, s4
	s_mul_i32 s5, s4, s46
	s_add_co_i32 s18, s4, 1
	s_sub_co_i32 s5, s58, s5
	s_delay_alu instid0(SALU_CYCLE_1)
	s_sub_co_i32 s19, s5, s46
	s_cmp_ge_u32 s5, s46
	s_cselect_b32 s4, s18, s4
	s_cselect_b32 s5, s19, s5
	s_add_co_i32 s18, s4, 1
	s_cmp_ge_u32 s5, s46
	s_cselect_b32 s64, s18, s4
.LBB138_11:
	s_clause 0x1
	s_load_b128 s[24:27], s[0:1], 0x440
	s_load_b64 s[4:5], s[0:1], 0x2a8
	s_wait_kmcnt 0x0
	v_writelane_b32 v42, s24, 4
	v_writelane_b32 v42, s25, 5
	;; [unrolled: 1-line block ×6, first 2 shown]
	v_cmp_lt_u64_e64 s4, s[64:65], s[44:45]
	s_and_b32 vcc_lo, exec_lo, s4
	s_cbranch_vccnz .LBB138_13
; %bb.12:
	v_cvt_f32_u32_e32 v1, s44
	s_sub_co_i32 s5, 0, s44
	s_mov_b32 s23, 0
	s_delay_alu instid0(VALU_DEP_1) | instskip(SKIP_1) | instid1(TRANS32_DEP_1)
	v_rcp_iflag_f32_e32 v1, v1
	v_nop
	v_mul_f32_e32 v1, 0x4f7ffffe, v1
	s_delay_alu instid0(VALU_DEP_1) | instskip(NEXT) | instid1(VALU_DEP_1)
	v_cvt_u32_f32_e32 v1, v1
	v_readfirstlane_b32 s4, v1
	s_mul_i32 s5, s5, s4
	s_delay_alu instid0(SALU_CYCLE_1) | instskip(NEXT) | instid1(SALU_CYCLE_1)
	s_mul_hi_u32 s5, s4, s5
	s_add_co_i32 s4, s4, s5
	s_delay_alu instid0(SALU_CYCLE_1) | instskip(NEXT) | instid1(SALU_CYCLE_1)
	s_mul_hi_u32 s4, s64, s4
	s_mul_i32 s5, s4, s44
	s_add_co_i32 s18, s4, 1
	s_sub_co_i32 s5, s64, s5
	s_delay_alu instid0(SALU_CYCLE_1)
	s_sub_co_i32 s19, s5, s44
	s_cmp_ge_u32 s5, s44
	s_cselect_b32 s4, s18, s4
	s_cselect_b32 s5, s19, s5
	s_add_co_i32 s18, s4, 1
	s_cmp_ge_u32 s5, s44
	s_cselect_b32 s22, s18, s4
.LBB138_13:
	s_delay_alu instid0(SALU_CYCLE_1)
	v_writelane_b32 v42, s22, 10
	v_cmp_eq_u32_e64 s5, 0, v0
	s_add_nc_u64 s[18:19], s[0:1], 0x520
	s_mov_b32 s29, 0
	v_writelane_b32 v42, s23, 11
	s_clause 0x1
	s_load_b64 s[22:23], s[0:1], 0x0
	s_load_b128 s[36:39], s[0:1], 0x1a0
	s_and_saveexec_b32 s4, s5
	s_cbranch_execz .LBB138_15
; %bb.14:
	s_wait_kmcnt 0x0
	v_dual_mov_b32 v2, 0 :: v_dual_mov_b32 v4, s36
	s_delay_alu instid0(VALU_DEP_1)
	v_dual_mov_b32 v5, s37 :: v_dual_mov_b32 v3, v2
	ds_store_b32 v2, v2 offset:5144
	ds_store_b128 v2, v[2:5] offset:5120
.LBB138_15:
	s_or_b32 exec_lo, exec_lo, s4
	s_mul_u64 s[8:9], s[6:7], s[8:9]
	s_mul_u64 s[6:7], s[6:7], s[12:13]
	;; [unrolled: 1-line block ×3, first 2 shown]
	v_dual_mov_b32 v3, 0 :: v_dual_add_nc_u32 v2, 2, v0
	s_sub_nc_u64 s[2:3], s[2:3], s[8:9]
	s_sub_nc_u64 s[8:9], s[58:59], s[10:11]
	s_wait_kmcnt 0x0
	s_add_nc_u64 s[6:7], s[22:23], s[6:7]
	s_mul_u64 s[2:3], s[2:3], s[14:15]
	s_mul_u64 s[8:9], s[8:9], s[20:21]
	s_add_nc_u64 s[2:3], s[6:7], s[2:3]
	v_max_u64 v[4:5], s[36:37], v[2:3]
	s_load_b32 s4, s[0:1], 0x1b0
	s_add_nc_u64 s[34:35], s[2:3], s[8:9]
	s_clause 0x1
	s_load_b64 s[2:3], s[0:1], 0x1c8
	s_load_b64 s[8:9], s[0:1], 0x370
	s_wait_dscnt 0x0
	s_barrier_signal -1
	s_barrier_wait -1
	s_load_b32 s7, s[18:19], 0xc
	v_dual_mov_b32 v17, v3 :: v_dual_mov_b32 v9, -1
	v_not_b32_e32 v8, v0
	v_mbcnt_lo_u32_b32 v13, -1, 0
	v_mad_nc_u64_u32 v[14:15], s30, v0, s[34:35]
	v_cmp_gt_u32_e32 vcc_lo, 32, v0
	v_dual_mov_b32 v1, v3 :: v_dual_lshlrev_b32 v16, 2, v0
	s_delay_alu instid0(VALU_DEP_4)
	v_lshlrev_b64_e64 v[6:7], v13, -1
	v_cmp_lt_u64_e64 s97, 0xc00, s[36:37]
	v_mov_b64_e32 v[22:23], s[38:39]
	s_wait_kmcnt 0x0
	s_bitcmp1_b32 s4, 0
	s_mov_b32 s57, s29
	v_writelane_b32 v42, s2, 12
	v_cmp_gt_u32_e64 s6, 2, v0
	v_mad_u32 v15, s31, v0, v15
	v_not_b32_e32 v12, v6
	v_lshl_or_b32 v30, v13, 3, 0xc00
	v_writelane_b32 v42, s3, 13
	v_cmp_gt_i32_e64 s3, 4, v13
	s_cselect_b32 s2, -1, 0
	s_and_b32 s56, s7, 0xffff
	v_add_nc_u64_e32 v[4:5], v[4:5], v[8:9]
	v_writelane_b32 v42, s8, 14
	s_bfe_u32 s4, s7, 0xb0005
	s_movk_i32 s7, 0x3e0
	s_xor_b32 s33, s2, -1
	v_and_or_b32 v28, v0, s7, 0xc00
	v_writelane_b32 v42, s9, 15
	v_cmp_lt_u64_e64 s7, 3, v[4:5]
	s_and_b32 s96, vcc_lo, s3
	s_cmp_gt_u32 s56, 31
	v_dual_mov_b32 v19, v5 :: v_dual_bitop2_b32 v18, -4, v4 bitop3:0x40
	v_writelane_b32 v42, s2, 16
	s_cselect_b32 s98, -1, 0
	s_cmp_lt_u32 s17, s16
	v_cmp_gt_u64_e64 s3, s[36:37], v[0:1]
	s_cselect_b32 s28, 12, 18
	v_writelane_b32 v42, s7, 17
	s_add_co_i32 s7, s4, -1
	s_bfe_u32 vcc_hi, s56, 0x30005
	s_and_b32 s7, s7, 0xffff
	v_add_nc_u64_e32 v[20:21], v[18:19], v[0:1]
	s_cmp_gt_u32 s7, 6
	v_cmp_ne_u64_e64 s7, v[4:5], v[18:19]
	v_cmp_eq_u32_e64 s2, 0, v13
	s_cselect_b32 s68, -1, 0
	s_and_b32 s69, s4, 0x7f8
	v_dual_mov_b32 v32, 0 :: v_dual_mov_b32 v29, 0
	v_mov_b32_e32 v31, 0
	s_add_nc_u64 s[74:75], s[56:57], -1
	s_cmp_lg_u32 vcc_hi, 0
	s_add_nc_u64 s[76:77], s[74:75], s[36:37]
	s_mov_b32 s99, s30
	s_mov_b32 s100, s31
	;; [unrolled: 1-line block ×7, first 2 shown]
	s_cselect_b32 s70, -1, 0
	s_and_b64 s[78:79], s[36:37], 0xffffffff00000000
	s_mov_b32 s71, 0x4f800000
	s_add_nc_u64 s[80:81], s[18:19], s[28:29]
	s_mov_b32 s73, 0
	s_mov_b32 s49, 0
	v_writelane_b32 v42, s7, 18
                                        ; implicit-def: $sgpr48
                                        ; implicit-def: $sgpr52
                                        ; implicit-def: $sgpr51
                                        ; implicit-def: $sgpr53
                                        ; implicit-def: $sgpr50
                                        ; implicit-def: $sgpr7
                                        ; implicit-def: $sgpr62
                                        ; implicit-def: $sgpr54
                                        ; implicit-def: $sgpr8
                                        ; implicit-def: $sgpr55
	s_branch .LBB138_18
.LBB138_16:                             ;   in Loop: Header=BB138_18 Depth=1
	s_or_b32 exec_lo, exec_lo, s4
	v_mov_b64_e32 v[22:23], v[4:5]
	s_and_not1_b32 s4, s55, exec_lo
	s_and_b32 s11, s11, exec_lo
	s_and_not1_b32 s8, s8, exec_lo
	s_or_b32 s55, s4, s11
	s_and_not1_b32 s54, s54, exec_lo
	s_and_not1_b32 s62, s62, exec_lo
	;; [unrolled: 1-line block ×3, first 2 shown]
	s_or_not1_b32 s10, s10, exec_lo
.LBB138_17:                             ;   in Loop: Header=BB138_18 Depth=1
	s_or_b32 exec_lo, exec_lo, s9
	s_delay_alu instid0(SALU_CYCLE_1) | instskip(NEXT) | instid1(SALU_CYCLE_1)
	s_and_b32 s4, exec_lo, s10
	s_or_b32 s73, s4, s73
	s_and_not1_b32 s4, s50, exec_lo
	s_and_b32 s9, s55, exec_lo
	s_and_not1_b32 s10, s53, exec_lo
	s_or_b32 s50, s4, s9
	s_and_b32 s4, s8, exec_lo
	s_and_not1_b32 s9, s51, exec_lo
	s_and_b32 s11, s54, exec_lo
	s_or_b32 s53, s10, s4
	s_or_b32 s51, s9, s11
	s_and_not1_b32 s4, s52, exec_lo
	s_and_b32 s9, s62, exec_lo
	s_and_not1_b32 s10, s48, exec_lo
	s_and_b32 s11, s7, exec_lo
	s_or_b32 s52, s4, s9
	s_or_b32 s48, s10, s11
	s_and_not1_b32 exec_lo, exec_lo, s73
	s_cbranch_execz .LBB138_480
.LBB138_18:                             ; =>This Loop Header: Depth=1
                                        ;     Child Loop BB138_23 Depth 2
                                        ;     Child Loop BB138_37 Depth 2
                                        ;     Child Loop BB138_41 Depth 2
                                        ;     Child Loop BB138_76 Depth 2
                                        ;     Child Loop BB138_80 Depth 2
                                        ;     Child Loop BB138_65 Depth 2
                                        ;     Child Loop BB138_70 Depth 2
                                        ;     Child Loop BB138_58 Depth 2
                                        ;     Child Loop BB138_86 Depth 2
                                        ;     Child Loop BB138_100 Depth 2
                                        ;     Child Loop BB138_117 Depth 2
                                        ;     Child Loop BB138_146 Depth 2
                                        ;     Child Loop BB138_162 Depth 2
                                        ;     Child Loop BB138_191 Depth 2
                                        ;     Child Loop BB138_207 Depth 2
                                        ;     Child Loop BB138_240 Depth 2
                                        ;     Child Loop BB138_256 Depth 2
                                        ;     Child Loop BB138_295 Depth 2
                                        ;     Child Loop BB138_310 Depth 2
                                        ;     Child Loop BB138_336 Depth 2
                                        ;     Child Loop BB138_355 Depth 2
                                        ;     Child Loop BB138_384 Depth 2
                                        ;     Child Loop BB138_400 Depth 2
                                        ;     Child Loop BB138_433 Depth 2
                                        ;     Child Loop BB138_449 Depth 2
	ds_load_b128 v[4:7], v3 offset:5120
	s_wait_dscnt 0x0
	v_readfirstlane_b32 s83, v5
	v_readfirstlane_b32 s82, v4
	s_cmp_lg_u64 s[82:83], 0
	s_cbranch_scc1 .LBB138_50
; %bb.19:                               ;   in Loop: Header=BB138_18 Depth=1
	s_and_b32 vcc_lo, exec_lo, s97
	s_cbranch_vccz .LBB138_31
; %bb.20:                               ;   in Loop: Header=BB138_18 Depth=1
	v_cmp_gt_u64_e32 vcc_lo, 0xc01, v[6:7]
	s_mov_b32 s11, 0
	s_mov_b32 s9, 0
	s_cbranch_vccz .LBB138_32
; %bb.21:                               ;   in Loop: Header=BB138_18 Depth=1
	global_load_u16 v2, v3, s[80:81]
	global_load_u8 v6, v[14:15], off
	v_mov_b64_e32 v[4:5], v[0:1]
	s_mov_b32 s12, 0
	s_wait_loadcnt 0x1
	v_and_b32_e32 v2, 0xffff, v2
	s_branch .LBB138_23
.LBB138_22:                             ;   in Loop: Header=BB138_23 Depth=2
	s_or_b32 exec_lo, exec_lo, s4
	v_mov_b32_e32 v6, v7
	s_and_not1_b32 exec_lo, exec_lo, s12
	s_cbranch_execz .LBB138_104
.LBB138_23:                             ;   Parent Loop BB138_18 Depth=1
                                        ; =>  This Inner Loop Header: Depth=2
	s_delay_alu instid0(VALU_DEP_1) | instskip(SKIP_3) | instid1(VALU_DEP_2)
	v_add_nc_u64_e32 v[4:5], v[4:5], v[2:3]
	s_wait_dscnt 0x0
	v_dual_mov_b32 v8, 0 :: v_dual_mov_b32 v7, 0
	s_mov_b32 s4, exec_lo
	v_cmp_le_u64_e32 vcc_lo, s[36:37], v[4:5]
	s_wait_xcnt 0x0
	v_cmpx_gt_u64_e64 s[36:37], v[4:5]
	s_cbranch_execz .LBB138_25
; %bb.24:                               ;   in Loop: Header=BB138_23 Depth=2
	v_mad_nc_u64_u32 v[10:11], v4, s30, s[34:35]
	s_delay_alu instid0(VALU_DEP_1) | instskip(NEXT) | instid1(VALU_DEP_1)
	v_mad_u32 v7, v5, s30, v11
	v_mad_u32 v11, v4, s31, v7
	global_load_u8 v7, v[10:11], off
.LBB138_25:                             ;   in Loop: Header=BB138_23 Depth=2
	s_wait_xcnt 0x0
	s_or_b32 exec_lo, exec_lo, s4
	s_wait_loadcnt 0x0
	v_bfe_i32 v9, v6, 0, 8
	s_delay_alu instid0(VALU_DEP_1) | instskip(NEXT) | instid1(VALU_DEP_1)
	v_add_nc_u32_e32 v9, 0x80, v9
	v_and_b32_e32 v9, v9, v31
	s_delay_alu instid0(VALU_DEP_1) | instskip(SKIP_2) | instid1(SALU_CYCLE_1)
	v_cmp_eq_u32_e64 s9, v9, v29
	s_cmp_lg_u32 s9, 0
	s_cselect_b32 s4, -1, 0
	s_and_b32 s4, s2, s4
	s_delay_alu instid0(SALU_CYCLE_1)
	s_and_saveexec_b32 s13, s4
	s_cbranch_execz .LBB138_29
; %bb.26:                               ;   in Loop: Header=BB138_23 Depth=2
	s_mov_b32 s15, exec_lo
	s_bcnt1_i32_b32 s4, s9
	v_mbcnt_lo_u32_b32 v8, s15, 0
	s_mov_b32 s14, exec_lo
                                        ; implicit-def: $vgpr9
	s_delay_alu instid0(VALU_DEP_1)
	v_cmpx_eq_u32_e32 0, v8
; %bb.27:                               ;   in Loop: Header=BB138_23 Depth=2
	s_bcnt1_i32_b32 s10, s15
	s_delay_alu instid0(SALU_CYCLE_1) | instskip(NEXT) | instid1(SALU_CYCLE_1)
	s_mul_i32 s10, s4, s10
	v_mov_b32_e32 v9, s10
	ds_add_rtn_u32 v9, v3, v9 offset:5144
; %bb.28:                               ;   in Loop: Header=BB138_23 Depth=2
	s_or_b32 exec_lo, exec_lo, s14
	s_wait_dscnt 0x0
	v_readfirstlane_b32 s10, v9
	s_delay_alu instid0(VALU_DEP_1)
	v_mad_u32_u24 v8, s4, v8, s10
.LBB138_29:                             ;   in Loop: Header=BB138_23 Depth=2
	s_or_b32 exec_lo, exec_lo, s13
	ds_bpermute_b32 v8, v3, v8
	s_and_b32 s4, exec_lo, vcc_lo
	s_delay_alu instid0(SALU_CYCLE_1)
	s_or_b32 s12, s4, s12
	s_and_saveexec_b32 s4, s9
	s_cbranch_execz .LBB138_22
; %bb.30:                               ;   in Loop: Header=BB138_23 Depth=2
	v_and_b32_e32 v9, s9, v12
	s_wait_dscnt 0x0
	s_delay_alu instid0(VALU_DEP_1)
	v_bcnt_u32_b32 v8, v9, v8
	ds_store_b8 v8, v6
	s_branch .LBB138_22
.LBB138_31:                             ;   in Loop: Header=BB138_18 Depth=1
	s_mov_b32 s11, -1
	s_mov_b32 s9, 0
.LBB138_32:                             ;   in Loop: Header=BB138_18 Depth=1
	s_and_b32 vcc_lo, exec_lo, s11
	s_cbranch_vccz .LBB138_48
.LBB138_33:                             ;   in Loop: Header=BB138_18 Depth=1
	s_and_saveexec_b32 s9, s3
	s_cbranch_execz .LBB138_45
; %bb.34:                               ;   in Loop: Header=BB138_18 Depth=1
	global_load_u16 v4, v3, s[80:81]
	global_load_u8 v26, v[14:15], off
	s_mov_b32 s12, exec_lo
	v_mov_b32_e32 v8, v0
	s_wait_loadcnt 0x1
	v_and_b32_e32 v2, 0xffff, v4
	v_readfirstlane_b32 s4, v4
	s_delay_alu instid0(VALU_DEP_2) | instskip(SKIP_1) | instid1(VALU_DEP_1)
	v_add_nc_u32_e32 v2, v2, v0
	s_wait_xcnt 0x0
	v_cmpx_gt_u64_e64 s[36:37], v[2:3]
	s_cbranch_execz .LBB138_44
; %bb.35:                               ;   in Loop: Header=BB138_18 Depth=1
	s_and_b32 s28, s4, 0xffff
	v_mov_b64_e32 v[6:7], v[0:1]
	v_mov_b64_e32 v[4:5], v[2:3]
	v_readlane_b32 s10, v42, 17
	s_cmp_eq_u32 s28, 1
                                        ; implicit-def: $vgpr8_vgpr9
	s_cselect_b32 s4, -1, 0
	s_delay_alu instid0(SALU_CYCLE_1)
	s_and_b32 s11, s10, s4
	s_mov_b32 s4, -1
	s_and_saveexec_b32 s10, s11
	s_cbranch_execz .LBB138_39
; %bb.36:                               ;   in Loop: Header=BB138_18 Depth=1
	v_add_nc_u64_e32 v[8:9], 3, v[2:3]
	v_add_nc_u64_e32 v[6:7], 2, v[2:3]
	;; [unrolled: 1-line block ×3, first 2 shown]
	v_mov_b64_e32 v[24:25], v[18:19]
	s_wait_loadcnt 0x0
	v_dual_lshlrev_b32 v33, 24, v26 :: v_dual_mov_b32 v27, v0
	s_mov_b32 s11, 0
	v_mov_b64_e32 v[10:11], v[8:9]
	v_mov_b64_e32 v[8:9], v[6:7]
	;; [unrolled: 1-line block ×4, first 2 shown]
.LBB138_37:                             ;   Parent Loop BB138_18 Depth=1
                                        ; =>  This Inner Loop Header: Depth=2
	s_delay_alu instid0(VALU_DEP_2) | instskip(NEXT) | instid1(VALU_DEP_2)
	v_mad_nc_u64_u32 v[34:35], v6, s30, s[34:35]
	v_mad_nc_u64_u32 v[36:37], v4, s99, s[34:35]
	;; [unrolled: 1-line block ×4, first 2 shown]
	v_add_nc_u64_e32 v[24:25], -4, v[24:25]
	s_delay_alu instid0(VALU_DEP_1)
	v_cmp_eq_u64_e32 vcc_lo, 0, v[24:25]
	v_mad_u32 v26, v7, s30, v35
	v_mad_u32 v37, v5, s99, v37
	;; [unrolled: 1-line block ×4, first 2 shown]
	s_or_b32 s11, vcc_lo, s11
	s_delay_alu instid0(VALU_DEP_4) | instskip(NEXT) | instid1(VALU_DEP_4)
	v_mad_u32 v35, v6, s31, v26
	v_mad_u32 v37, v4, s100, v37
	s_delay_alu instid0(VALU_DEP_4) | instskip(NEXT) | instid1(VALU_DEP_4)
	v_mad_u32 v39, v8, s102, v39
	v_mad_u32 v41, v10, s104, v41
	v_add_nc_u64_e32 v[10:11], 4, v[10:11]
	v_add_nc_u64_e32 v[8:9], 4, v[8:9]
	v_add_nc_u64_e32 v[6:7], 4, v[6:7]
	v_add_nc_u64_e32 v[4:5], 4, v[4:5]
	s_clause 0x3
	global_load_u8 v34, v[34:35], off
	global_load_u8 v35, v[36:37], off
	;; [unrolled: 1-line block ×4, first 2 shown]
	s_wait_loadcnt 0x2
	v_perm_b32 v33, v33, v35, 0xc0c0007
	s_wait_loadcnt 0x1
	v_perm_b32 v37, v34, v36, 0xc0c0004
	v_perm_b32 v34, v35, v34, 0xc0c0004
	s_wait_loadcnt 0x0
	v_perm_b32 v35, v36, v26, 0xc0c0004
	s_delay_alu instid0(VALU_DEP_3) | instskip(NEXT) | instid1(VALU_DEP_2)
	v_lshl_or_b32 v33, v37, 16, v33
	v_lshl_or_b32 v34, v35, 16, v34
	ds_store_b32 v27, v33
	v_dual_add_nc_u32 v27, 4, v27 :: v_dual_mov_b32 v33, v34
	s_wait_xcnt 0x0
	s_and_not1_b32 exec_lo, exec_lo, s11
	s_cbranch_execnz .LBB138_37
; %bb.38:                               ;   in Loop: Header=BB138_18 Depth=1
	s_or_b32 exec_lo, exec_lo, s11
	v_add_nc_u64_e32 v[4:5], v[2:3], v[18:19]
	v_mov_b64_e32 v[6:7], v[20:21]
	v_readlane_b32 s4, v42, 18
	s_or_not1_b32 s4, s4, exec_lo
	v_add_nc_u64_e32 v[8:9], -1, v[4:5]
.LBB138_39:                             ;   in Loop: Header=BB138_18 Depth=1
	s_or_b32 exec_lo, exec_lo, s10
	s_and_saveexec_b32 s13, s4
	s_cbranch_execz .LBB138_43
; %bb.40:                               ;   in Loop: Header=BB138_18 Depth=1
	s_sub_nc_u64 s[10:11], 0, s[28:29]
	s_mov_b32 s14, 0
.LBB138_41:                             ;   Parent Loop BB138_18 Depth=1
                                        ; =>  This Inner Loop Header: Depth=2
	v_mov_b64_e32 v[8:9], v[4:5]
	s_wait_loadcnt 0x0
	ds_store_b8 v6, v26
	v_mad_nc_u64_u32 v[4:5], v8, s30, s[34:35]
	v_mov_b64_e32 v[6:7], v[8:9]
	s_delay_alu instid0(VALU_DEP_2) | instskip(NEXT) | instid1(VALU_DEP_1)
	v_mad_u32 v2, v9, s30, v5
	v_mad_u32 v5, v8, s31, v2
	global_load_u8 v2, v[4:5], off
	s_wait_xcnt 0x0
	v_add_nc_u64_e32 v[4:5], s[28:29], v[8:9]
	s_delay_alu instid0(VALU_DEP_1)
	v_cmp_le_u64_e32 vcc_lo, s[36:37], v[4:5]
	s_or_b32 s14, vcc_lo, s14
	s_wait_loadcnt 0x0
	v_mov_b32_e32 v26, v2
	s_and_not1_b32 exec_lo, exec_lo, s14
	s_cbranch_execnz .LBB138_41
; %bb.42:                               ;   in Loop: Header=BB138_18 Depth=1
	s_or_b32 exec_lo, exec_lo, s14
	v_add_nc_u64_e32 v[8:9], s[10:11], v[4:5]
	v_mov_b32_e32 v26, v2
.LBB138_43:                             ;   in Loop: Header=BB138_18 Depth=1
	s_or_b32 exec_lo, exec_lo, s13
.LBB138_44:                             ;   in Loop: Header=BB138_18 Depth=1
	s_delay_alu instid0(SALU_CYCLE_1)
	s_or_b32 exec_lo, exec_lo, s12
	s_wait_loadcnt 0x0
	ds_store_b8 v8, v26
.LBB138_45:                             ;   in Loop: Header=BB138_18 Depth=1
	s_or_b32 exec_lo, exec_lo, s9
	s_wait_dscnt 0x0
	s_barrier_signal -1
	s_barrier_wait -1
	s_and_saveexec_b32 s4, s5
; %bb.46:                               ;   in Loop: Header=BB138_18 Depth=1
	v_mov_b64_e32 v[4:5], s[36:37]
	ds_store_b64 v3, v[4:5] offset:5120
; %bb.47:                               ;   in Loop: Header=BB138_18 Depth=1
	s_or_b32 exec_lo, exec_lo, s4
	s_mov_b32 s9, -1
	s_wait_dscnt 0x0
	s_barrier_signal -1
	s_barrier_wait -1
.LBB138_48:                             ;   in Loop: Header=BB138_18 Depth=1
	s_and_b32 vcc_lo, exec_lo, s9
	s_mov_b64 s[82:83], 0
	s_cbranch_vccz .LBB138_50
; %bb.49:                               ;   in Loop: Header=BB138_18 Depth=1
	ds_load_b64 v[4:5], v3 offset:5120
	s_wait_dscnt 0x0
	v_readfirstlane_b32 s82, v4
	v_readfirstlane_b32 s83, v5
.LBB138_50:                             ;   in Loop: Header=BB138_18 Depth=1
	s_delay_alu instid0(VALU_DEP_2)
	s_cmp_lt_i32 s82, 1
	s_mov_b32 s4, -1
                                        ; implicit-def: $vgpr10_vgpr11
                                        ; implicit-def: $vgpr6_vgpr7
	s_cbranch_scc1 .LBB138_60
; %bb.51:                               ;   in Loop: Header=BB138_18 Depth=1
	s_and_b32 vcc_lo, exec_lo, s4
	s_cbranch_vccnz .LBB138_74
.LBB138_52:                             ;   in Loop: Header=BB138_18 Depth=1
	s_lshl_b32 s9, s49, 7
	s_and_saveexec_b32 s4, s2
	s_cbranch_execz .LBB138_54
.LBB138_53:                             ;   in Loop: Header=BB138_18 Depth=1
	v_lshl_add_u32 v2, s9, 3, v28
	ds_store_b128 v2, v[4:7]
	ds_store_b128 v2, v[8:11] offset:16
.LBB138_54:                             ;   in Loop: Header=BB138_18 Depth=1
	s_or_b32 exec_lo, exec_lo, s4
	s_wait_dscnt 0x0
	s_barrier_signal -1
	s_barrier_wait -1
	s_and_saveexec_b32 s10, s96
	s_cbranch_execz .LBB138_88
; %bb.55:                               ;   in Loop: Header=BB138_18 Depth=1
	v_mov_b64_e32 v[4:5], 0
	s_and_not1_b32 vcc_lo, exec_lo, s98
	s_cbranch_vccnz .LBB138_87
; %bb.56:                               ;   in Loop: Header=BB138_18 Depth=1
	v_mov_b64_e32 v[4:5], 0
	s_and_not1_b32 vcc_lo, exec_lo, s68
	s_cbranch_vccnz .LBB138_84
; %bb.57:                               ;   in Loop: Header=BB138_18 Depth=1
	v_lshl_add_u32 v2, s49, 10, v30
	s_mov_b32 s11, 0
.LBB138_58:                             ;   Parent Loop BB138_18 Depth=1
                                        ; =>  This Inner Loop Header: Depth=2
	ds_load_2addr_b64 v[6:9], v2 offset1:4
	ds_load_2addr_b64 v[24:27], v2 offset0:8 offset1:12
	s_add_co_i32 s11, s11, 8
	s_delay_alu instid0(SALU_CYCLE_1) | instskip(SKIP_2) | instid1(VALU_DEP_1)
	s_cmp_eq_u32 s69, s11
	s_wait_dscnt 0x1
	v_add_nc_u64_e32 v[4:5], v[6:7], v[4:5]
	v_add_nc_u64_e32 v[8:9], v[8:9], v[4:5]
	ds_load_2addr_b64 v[4:7], v2 offset0:16 offset1:20
	s_wait_dscnt 0x1
	v_add_nc_u64_e32 v[8:9], v[24:25], v[8:9]
	s_delay_alu instid0(VALU_DEP_1) | instskip(SKIP_4) | instid1(VALU_DEP_1)
	v_add_nc_u64_e32 v[24:25], v[26:27], v[8:9]
	ds_load_2addr_b64 v[8:11], v2 offset0:24 offset1:28
	v_add_nc_u32_e32 v2, 0x100, v2
	s_wait_dscnt 0x1
	v_add_nc_u64_e32 v[4:5], v[4:5], v[24:25]
	v_add_nc_u64_e32 v[4:5], v[6:7], v[4:5]
	s_wait_dscnt 0x0
	s_delay_alu instid0(VALU_DEP_1) | instskip(NEXT) | instid1(VALU_DEP_1)
	v_add_nc_u64_e32 v[4:5], v[8:9], v[4:5]
	v_add_nc_u64_e32 v[4:5], v[10:11], v[4:5]
	s_cbranch_scc0 .LBB138_58
; %bb.59:                               ;   in Loop: Header=BB138_18 Depth=1
	s_mov_b32 s11, s69
	s_and_not1_b32 vcc_lo, exec_lo, s70
	s_cbranch_vccz .LBB138_85
	s_branch .LBB138_87
.LBB138_60:                             ;   in Loop: Header=BB138_18 Depth=1
	global_load_u16 v2, v3, s[80:81]
	s_mov_b32 s19, s29
	s_wait_loadcnt 0x0
	v_readfirstlane_b32 s4, v2
	s_and_b32 s4, 0xffff, s4
	s_delay_alu instid0(SALU_CYCLE_1)
	s_lshl_b32 s18, s4, 2
	s_cmp_lg_u64 s[78:79], 0
	s_cbranch_scc0 .LBB138_83
; %bb.61:                               ;   in Loop: Header=BB138_18 Depth=1
	s_cvt_f32_u32 s4, s18
	s_sub_nc_u64 s[12:13], 0, s[18:19]
	s_delay_alu instid0(SALU_CYCLE_2) | instskip(NEXT) | instid1(SALU_CYCLE_3)
	s_fmamk_f32 s4, s71, 0x0, s4
	v_s_rcp_f32 s4, s4
	s_delay_alu instid0(TRANS32_DEP_1) | instskip(NEXT) | instid1(SALU_CYCLE_3)
	s_mul_f32 s4, s4, 0x5f7ffffc
	s_mul_f32 s9, s4, 0x2f800000
	s_delay_alu instid0(SALU_CYCLE_3) | instskip(NEXT) | instid1(SALU_CYCLE_3)
	s_trunc_f32 s9, s9
	s_fmamk_f32 s4, s9, 0xcf800000, s4
	s_cvt_u32_f32 s11, s9
	s_delay_alu instid0(SALU_CYCLE_2) | instskip(NEXT) | instid1(SALU_CYCLE_3)
	s_cvt_u32_f32 s10, s4
	s_mul_u64 s[14:15], s[12:13], s[10:11]
	s_delay_alu instid0(SALU_CYCLE_1)
	s_mul_hi_u32 s17, s10, s15
	s_mul_i32 s16, s10, s15
	s_mul_hi_u32 s28, s10, s14
	s_mul_i32 s9, s11, s14
	s_add_nc_u64 s[16:17], s[28:29], s[16:17]
	s_mul_hi_u32 s4, s11, s14
	s_mul_hi_u32 s20, s11, s15
	s_add_co_u32 s9, s16, s9
	s_add_co_ci_u32 s28, s17, s4
	s_mul_i32 s14, s11, s15
	s_add_co_ci_u32 s15, s20, 0
	s_delay_alu instid0(SALU_CYCLE_1) | instskip(NEXT) | instid1(SALU_CYCLE_1)
	s_add_nc_u64 s[14:15], s[28:29], s[14:15]
	s_add_co_u32 s10, s10, s14
	s_cselect_b32 s4, -1, 0
	s_delay_alu instid0(SALU_CYCLE_1) | instskip(SKIP_1) | instid1(SALU_CYCLE_1)
	s_cmp_lg_u32 s4, 0
	s_add_co_ci_u32 s11, s11, s15
	s_mul_u64 s[12:13], s[12:13], s[10:11]
	s_delay_alu instid0(SALU_CYCLE_1)
	s_mul_hi_u32 s15, s10, s13
	s_mul_i32 s14, s10, s13
	s_mul_hi_u32 s28, s10, s12
	s_mul_i32 s9, s11, s12
	s_add_nc_u64 s[14:15], s[28:29], s[14:15]
	s_mul_hi_u32 s4, s11, s12
	s_mul_hi_u32 s16, s11, s13
	s_add_co_u32 s9, s14, s9
	s_add_co_ci_u32 s28, s15, s4
	s_mul_i32 s12, s11, s13
	s_add_co_ci_u32 s13, s16, 0
	s_delay_alu instid0(SALU_CYCLE_1) | instskip(NEXT) | instid1(SALU_CYCLE_1)
	s_add_nc_u64 s[12:13], s[28:29], s[12:13]
	s_add_co_u32 s4, s10, s12
	s_cselect_b32 s9, -1, 0
	s_mul_hi_u32 s28, s36, s4
	s_cmp_lg_u32 s9, 0
	s_mul_hi_u32 s9, s37, s4
	s_add_co_ci_u32 s12, s11, s13
	s_mul_i32 s4, s37, s4
	s_mul_hi_u32 s11, s36, s12
	s_mul_i32 s10, s36, s12
	s_mul_hi_u32 s13, s37, s12
	s_add_nc_u64 s[10:11], s[28:29], s[10:11]
	s_mul_i32 s12, s37, s12
	s_add_co_u32 s4, s10, s4
	s_add_co_ci_u32 s28, s11, s9
	s_add_co_ci_u32 s13, s13, 0
	s_delay_alu instid0(SALU_CYCLE_1) | instskip(NEXT) | instid1(SALU_CYCLE_1)
	s_add_nc_u64 s[10:11], s[28:29], s[12:13]
	s_and_b64 s[12:13], s[10:11], 0xffffffff00000000
	s_delay_alu instid0(SALU_CYCLE_1) | instskip(NEXT) | instid1(SALU_CYCLE_1)
	s_or_b32 s12, s12, s10
	s_mul_u64 s[10:11], s[18:19], s[12:13]
	s_delay_alu instid0(SALU_CYCLE_1) | instskip(SKIP_1) | instid1(SALU_CYCLE_1)
	s_sub_co_u32 s4, s36, s10
	s_cselect_b32 s9, -1, 0
	s_cmp_lg_u32 s9, 0
	s_sub_co_ci_u32 s9, s37, s11
	s_sub_co_u32 s10, s4, s18
	s_cselect_b32 s11, -1, 0
	s_delay_alu instid0(SALU_CYCLE_1) | instskip(SKIP_3) | instid1(SALU_CYCLE_1)
	s_cmp_lg_u32 s11, 0
	s_sub_co_ci_u32 s11, s9, 0
	s_sub_co_u32 s12, s10, s18
	s_cselect_b32 s13, -1, 0
	s_cmp_lg_u32 s13, 0
	s_sub_co_ci_u32 s13, s11, 0
	s_cmp_ge_u32 s10, s18
	s_cselect_b32 s14, -1, 0
	s_cmp_eq_u32 s11, 0
	s_cselect_b32 s14, s14, -1
	s_delay_alu instid0(SALU_CYCLE_1)
	s_cmp_lg_u32 s14, 0
	s_cselect_b32 s11, s13, s11
	s_cselect_b32 s10, s12, s10
	s_cmp_ge_u32 s4, s18
	s_cselect_b32 s12, -1, 0
	s_cmp_eq_u32 s9, 0
	s_cselect_b32 s12, s12, -1
	s_delay_alu instid0(SALU_CYCLE_1)
	s_cmp_lg_u32 s12, 0
	s_cselect_b32 s11, s11, s9
	s_cselect_b32 s10, s10, s4
	s_cbranch_execnz .LBB138_63
.LBB138_62:                             ;   in Loop: Header=BB138_18 Depth=1
	v_cvt_f32_u32_e32 v4, s18
	s_sub_co_i32 s9, 0, s18
	s_delay_alu instid0(VALU_DEP_1) | instskip(SKIP_1) | instid1(TRANS32_DEP_1)
	v_rcp_iflag_f32_e32 v4, v4
	v_nop
	v_mul_f32_e32 v4, 0x4f7ffffe, v4
	s_delay_alu instid0(VALU_DEP_1) | instskip(NEXT) | instid1(VALU_DEP_1)
	v_cvt_u32_f32_e32 v4, v4
	v_readfirstlane_b32 s4, v4
	s_mul_i32 s9, s9, s4
	s_delay_alu instid0(SALU_CYCLE_1) | instskip(NEXT) | instid1(SALU_CYCLE_1)
	s_mul_hi_u32 s9, s4, s9
	s_add_co_i32 s4, s4, s9
	s_delay_alu instid0(SALU_CYCLE_1) | instskip(NEXT) | instid1(SALU_CYCLE_1)
	s_mul_hi_u32 s4, s36, s4
	s_mul_i32 s4, s4, s18
	s_delay_alu instid0(SALU_CYCLE_1) | instskip(NEXT) | instid1(SALU_CYCLE_1)
	s_sub_co_i32 s4, s36, s4
	s_sub_co_i32 s9, s4, s18
	s_cmp_ge_u32 s4, s18
	s_cselect_b32 s4, s9, s4
	s_delay_alu instid0(SALU_CYCLE_1) | instskip(SKIP_2) | instid1(SALU_CYCLE_1)
	s_sub_co_i32 s9, s4, s18
	s_cmp_ge_u32 s4, s18
	s_cselect_b32 s28, s9, s4
	s_mov_b64 s[10:11], s[28:29]
.LBB138_63:                             ;   in Loop: Header=BB138_18 Depth=1
	v_mov_b64_e32 v[4:5], 0
	v_mov_b64_e32 v[6:7], 0
	;; [unrolled: 1-line block ×4, first 2 shown]
	s_sub_nc_u64 s[20:21], s[36:37], s[10:11]
	s_mov_b32 s63, exec_lo
	v_cmpx_gt_u64_e64 s[20:21], v[16:17]
	s_cbranch_execz .LBB138_67
; %bb.64:                               ;   in Loop: Header=BB138_18 Depth=1
	v_mov_b64_e32 v[24:25], v[16:17]
	s_mov_b64 s[22:23], 0
	s_mov_b32 s66, 0
	s_mov_b64 s[24:25], 0
	s_mov_b64 s[26:27], 0
	;; [unrolled: 1-line block ×3, first 2 shown]
.LBB138_65:                             ;   Parent Loop BB138_18 Depth=1
                                        ; =>  This Inner Loop Header: Depth=2
	s_delay_alu instid0(VALU_DEP_1) | instskip(NEXT) | instid1(VALU_DEP_1)
	v_mad_nc_u64_u32 v[4:5], v24, s30, s[34:35]
	v_mad_u32 v5, v25, s30, v5
	s_delay_alu instid0(VALU_DEP_1) | instskip(SKIP_1) | instid1(VALU_DEP_1)
	v_mad_u32 v5, v24, s31, v5
	v_add_nc_u64_e32 v[24:25], s[18:19], v[24:25]
	v_cmp_le_u64_e32 vcc_lo, s[20:21], v[24:25]
	global_load_i8 v6, v[4:5], off
	s_wait_xcnt 0x0
	v_add_nc_u64_e32 v[4:5], s[30:31], v[4:5]
	global_load_i8 v7, v[4:5], off
	s_wait_xcnt 0x0
	v_add_nc_u64_e32 v[4:5], s[30:31], v[4:5]
	;; [unrolled: 3-line block ×3, first 2 shown]
	global_load_i8 v4, v[4:5], off
	s_wait_loadcnt 0x3
	s_wait_xcnt 0x0
	v_add_nc_u32_e32 v5, 0x80, v6
	s_delay_alu instid0(VALU_DEP_1) | instskip(SKIP_3) | instid1(VALU_DEP_3)
	v_and_b32_e32 v6, v5, v31
	v_bfe_u32 v5, v5, s72, 2
	s_wait_loadcnt 0x2
	v_add_nc_u32_e32 v7, 0x80, v7
	v_cmp_eq_u32_e64 s9, v6, v29
	s_delay_alu instid0(VALU_DEP_3)
	v_cmp_eq_u32_e64 s10, 0, v5
	v_cmp_eq_u32_e64 s11, 1, v5
	;; [unrolled: 1-line block ×4, first 2 shown]
	v_and_b32_e32 v5, v7, v31
	s_and_b32 s4, s9, s10
	v_bfe_u32 v6, v7, s72, 2
	s_wait_loadcnt 0x1
	v_add_nc_u32_e32 v7, 0x80, v8
	v_cndmask_b32_e64 v8, 0, 1, s4
	s_and_b32 s4, s9, s11
	s_delay_alu instid0(SALU_CYCLE_1)
	v_cndmask_b32_e64 v9, 0, 1, s4
	s_and_b32 s4, s9, s12
	v_cmp_eq_u32_e64 s10, 0, v6
	v_cndmask_b32_e64 v10, 0, 1, s4
	s_and_b32 s4, s9, s13
	v_cmp_eq_u32_e64 s9, v5, v29
	v_cmp_eq_u32_e64 s11, 1, v6
	;; [unrolled: 1-line block ×3, first 2 shown]
	v_cndmask_b32_e64 v11, 0, 1, s4
	v_cmp_eq_u32_e64 s13, 3, v6
	s_and_b32 s4, s9, s10
	v_and_b32_e32 v5, v7, v31
	v_bfe_u32 v6, v7, s72, 2
	v_cndmask_b32_e64 v7, 0, 1, s4
	s_and_b32 s4, s9, s11
	v_cmp_ne_u32_e64 s14, 0, v8
	v_cndmask_b32_e64 v8, 0, 1, s4
	s_and_b32 s4, s9, s12
	v_cmp_ne_u32_e64 s15, 0, v9
	v_cndmask_b32_e64 v9, 0, 1, s4
	s_and_b32 s4, s9, s13
	v_cmp_eq_u32_e64 s9, v5, v29
	v_cmp_eq_u32_e64 s10, 0, v6
	s_wait_loadcnt 0x0
	v_add_nc_u32_e32 v4, 0x80, v4
	v_cmp_eq_u32_e64 s11, 1, v6
	v_cmp_eq_u32_e64 s12, 2, v6
	;; [unrolled: 1-line block ×3, first 2 shown]
	s_and_b32 s10, s9, s10
	v_cmp_ne_u32_e64 s16, 0, v10
	v_and_b32_e32 v5, v4, v31
	v_bfe_u32 v4, v4, s72, 2
	v_cndmask_b32_e64 v6, 0, 1, s10
	s_and_b32 s10, s9, s11
	v_cndmask_b32_e64 v10, 0, 1, s4
	s_bcnt1_i32_b32 s4, s14
	v_cmp_ne_u32_e64 s14, 0, v7
	v_cndmask_b32_e64 v7, 0, 1, s10
	s_and_b32 s10, s9, s12
	s_and_b32 s9, s9, s13
	s_bcnt1_i32_b32 s28, s15
	s_bcnt1_i32_b32 s40, s16
	v_cmp_ne_u32_e64 s15, 0, v8
	v_cmp_ne_u32_e64 s16, 0, v9
	v_cndmask_b32_e64 v8, 0, 1, s10
	v_cndmask_b32_e64 v9, 0, 1, s9
	v_cmp_eq_u32_e64 s9, v5, v29
	v_cmp_eq_u32_e64 s10, 0, v4
	;; [unrolled: 1-line block ×5, first 2 shown]
	s_bcnt1_i32_b32 s14, s14
	v_cmp_ne_u32_e64 s17, 0, v11
	s_and_b32 s10, s9, s10
	s_bcnt1_i32_b32 s15, s15
	s_add_co_i32 s4, s14, s4
	v_cmp_ne_u32_e64 s14, 0, v6
	v_cndmask_b32_e64 v4, 0, 1, s10
	s_and_b32 s10, s9, s11
	s_bcnt1_i32_b32 s16, s16
	s_add_co_i32 s28, s15, s28
	v_cmp_ne_u32_e64 s15, 0, v7
	v_cndmask_b32_e64 v5, 0, 1, s10
	s_and_b32 s10, s9, s12
	s_and_b32 s9, s9, s13
	s_bcnt1_i32_b32 s41, s17
	v_cmp_ne_u32_e64 s17, 0, v10
	s_add_co_i32 s40, s16, s40
	v_cmp_ne_u32_e64 s16, 0, v8
	v_cndmask_b32_e64 v7, 0, 1, s9
	s_bcnt1_i32_b32 s9, s14
	v_cndmask_b32_e64 v6, 0, 1, s10
	s_bcnt1_i32_b32 s10, s15
	s_add_co_i32 s4, s4, s9
	v_cmp_ne_u32_e64 s9, 0, v4
	s_bcnt1_i32_b32 s17, s17
	s_bcnt1_i32_b32 s11, s16
	s_add_co_i32 s14, s28, s10
	v_cmp_ne_u32_e64 s10, 0, v5
	s_add_co_i32 s41, s17, s41
	v_cmp_ne_u32_e64 s17, 0, v9
	;; [unrolled: 2-line block ×3, first 2 shown]
	s_bcnt1_i32_b32 s9, s9
	v_cmp_ne_u32_e64 s12, 0, v7
	s_bcnt1_i32_b32 s10, s10
	s_add_co_i32 s28, s4, s9
	s_bcnt1_i32_b32 s13, s17
	s_bcnt1_i32_b32 s11, s11
	s_add_nc_u64 s[84:85], s[84:85], s[28:29]
	s_add_co_i32 s28, s14, s10
	s_add_co_i32 s13, s41, s13
	s_bcnt1_i32_b32 s12, s12
	s_add_nc_u64 s[26:27], s[26:27], s[28:29]
	s_add_co_i32 s28, s15, s11
	v_mov_b64_e32 v[4:5], s[84:85]
	s_add_nc_u64 s[24:25], s[24:25], s[28:29]
	s_add_co_i32 s28, s13, s12
	v_mov_b64_e32 v[6:7], s[26:27]
	s_add_nc_u64 s[22:23], s[22:23], s[28:29]
	v_mov_b64_e32 v[8:9], s[24:25]
	v_mov_b64_e32 v[10:11], s[22:23]
	s_or_b32 s66, vcc_lo, s66
	s_delay_alu instid0(SALU_CYCLE_1)
	s_and_not1_b32 exec_lo, exec_lo, s66
	s_cbranch_execnz .LBB138_65
; %bb.66:                               ;   in Loop: Header=BB138_18 Depth=1
	s_or_b32 exec_lo, exec_lo, s66
.LBB138_67:                             ;   in Loop: Header=BB138_18 Depth=1
	s_delay_alu instid0(SALU_CYCLE_1) | instskip(SKIP_3) | instid1(VALU_DEP_2)
	s_or_b32 exec_lo, exec_lo, s63
	v_add_nc_u64_e32 v[24:25], s[20:21], v[0:1]
	v_and_b32_e32 v2, 0xffff, v2
	s_mov_b32 s12, exec_lo
	v_cmpx_gt_u64_e64 s[36:37], v[24:25]
	s_cbranch_execz .LBB138_73
; %bb.68:                               ;   in Loop: Header=BB138_18 Depth=1
	v_mad_nc_u64_u32 v[26:27], v24, s30, s[34:35]
	s_mov_b32 s13, 0
	s_delay_alu instid0(VALU_DEP_1) | instskip(NEXT) | instid1(VALU_DEP_1)
	v_mad_u32 v27, v25, s30, v27
	v_mad_u32 v27, v24, s31, v27
	global_load_u8 v27, v[26:27], off
	s_branch .LBB138_70
.LBB138_69:                             ;   in Loop: Header=BB138_70 Depth=2
	s_wait_xcnt 0x0
	s_or_b32 exec_lo, exec_lo, s4
	s_wait_loadcnt 0x0
	v_bfe_i32 v27, v27, 0, 8
	s_and_b32 s4, exec_lo, vcc_lo
	s_delay_alu instid0(SALU_CYCLE_1) | instskip(NEXT) | instid1(VALU_DEP_1)
	s_or_b32 s13, s4, s13
	v_add_nc_u32_e32 v27, 0x80, v27
	s_delay_alu instid0(VALU_DEP_1) | instskip(SKIP_1) | instid1(VALU_DEP_2)
	v_and_b32_e32 v33, v27, v31
	v_bfe_u32 v27, v27, s72, 2
	v_cmp_eq_u32_e64 s9, v33, v29
	s_delay_alu instid0(VALU_DEP_2)
	v_cmp_eq_u32_e64 s10, 0, v27
	v_cmp_eq_u32_e32 vcc_lo, 1, v27
	s_and_b32 s4, s9, s10
	v_cmp_eq_u32_e64 s10, 2, v27
	v_cndmask_b32_e64 v33, 0, 1, s4
	s_and_b32 s4, s9, vcc_lo
	v_cmp_eq_u32_e32 vcc_lo, 3, v27
	v_cndmask_b32_e64 v34, 0, 1, s4
	s_and_b32 s4, s9, s10
	v_cmp_ne_u32_e64 s11, 0, v33
	v_cndmask_b32_e64 v27, 0, 1, s4
	s_and_b32 s4, s9, vcc_lo
	v_cmp_ne_u32_e64 s10, 0, v34
	v_cndmask_b32_e64 v33, 0, 1, s4
	s_bcnt1_i32_b32 s28, s11
	v_cmp_ne_u32_e32 vcc_lo, 0, v27
	v_add_nc_u64_e32 v[4:5], s[28:29], v[4:5]
	s_bcnt1_i32_b32 s28, s10
	v_cmp_ne_u32_e64 s9, 0, v33
	v_add_nc_u64_e32 v[6:7], s[28:29], v[6:7]
	s_bcnt1_i32_b32 s28, vcc_lo
	v_mov_b32_e32 v27, v26
	v_add_nc_u64_e32 v[8:9], s[28:29], v[8:9]
	s_bcnt1_i32_b32 s28, s9
	s_delay_alu instid0(SALU_CYCLE_1)
	v_add_nc_u64_e32 v[10:11], s[28:29], v[10:11]
	s_and_not1_b32 exec_lo, exec_lo, s13
	s_cbranch_execz .LBB138_72
.LBB138_70:                             ;   Parent Loop BB138_18 Depth=1
                                        ; =>  This Inner Loop Header: Depth=2
	v_add_nc_u64_e32 v[24:25], v[24:25], v[2:3]
	s_wait_xcnt 0x0
	v_mov_b32_e32 v26, 0
	s_mov_b32 s4, exec_lo
	s_delay_alu instid0(VALU_DEP_2)
	v_cmp_le_u64_e32 vcc_lo, s[36:37], v[24:25]
	v_cmpx_gt_u64_e64 s[36:37], v[24:25]
	s_cbranch_execz .LBB138_69
; %bb.71:                               ;   in Loop: Header=BB138_70 Depth=2
	v_mad_nc_u64_u32 v[34:35], v24, s30, s[34:35]
	s_delay_alu instid0(VALU_DEP_1) | instskip(NEXT) | instid1(VALU_DEP_1)
	v_mad_u32 v26, v25, s30, v35
	v_mad_u32 v35, v24, s31, v26
	global_load_u8 v26, v[34:35], off
	s_branch .LBB138_69
.LBB138_72:                             ;   in Loop: Header=BB138_18 Depth=1
	s_or_b32 exec_lo, exec_lo, s13
.LBB138_73:                             ;   in Loop: Header=BB138_18 Depth=1
	s_delay_alu instid0(SALU_CYCLE_1)
	s_or_b32 exec_lo, exec_lo, s12
	s_branch .LBB138_52
.LBB138_74:                             ;   in Loop: Header=BB138_18 Depth=1
	global_load_u16 v2, v3, s[80:81]
	s_mov_b32 s85, s29
	v_mov_b64_e32 v[6:7], 0
	v_mov_b64_e32 v[8:9], 0
	;; [unrolled: 1-line block ×3, first 2 shown]
	s_mov_b32 s66, exec_lo
	s_wait_loadcnt 0x0
	v_readfirstlane_b32 s4, v2
	v_and_b32_e32 v2, 0xffff, v2
	s_and_b32 s63, 0xffff, s4
	s_delay_alu instid0(SALU_CYCLE_1) | instskip(NEXT) | instid1(SALU_CYCLE_1)
	s_lshl_b32 s86, s63, 2
	s_cvt_f32_u32 s4, s86
	s_sub_co_i32 s9, 0, s86
	s_delay_alu instid0(SALU_CYCLE_2) | instskip(SKIP_1) | instid1(TRANS32_DEP_1)
	v_rcp_iflag_f32_e32 v4, s4
	v_nop
	v_readfirstlane_b32 s4, v4
	s_mul_f32 s4, s4, 0x4f7ffffe
	s_delay_alu instid0(SALU_CYCLE_3) | instskip(NEXT) | instid1(SALU_CYCLE_3)
	s_cvt_u32_f32 s4, s4
	s_mul_i32 s9, s9, s4
	s_delay_alu instid0(SALU_CYCLE_1) | instskip(NEXT) | instid1(SALU_CYCLE_1)
	s_mul_hi_u32 s9, s4, s9
	s_add_co_i32 s4, s4, s9
	s_delay_alu instid0(SALU_CYCLE_1) | instskip(NEXT) | instid1(SALU_CYCLE_1)
	s_mul_hi_u32 s4, s82, s4
	s_mul_i32 s9, s4, s86
	s_add_co_i32 s10, s4, 1
	s_sub_co_i32 s9, s82, s9
	s_delay_alu instid0(SALU_CYCLE_1)
	s_sub_co_i32 s11, s9, s86
	s_cmp_ge_u32 s9, s86
	s_cselect_b32 s4, s10, s4
	s_cselect_b32 s9, s11, s9
	s_add_co_i32 s10, s4, 1
	s_cmp_ge_u32 s9, s86
	s_cselect_b32 s84, s10, s4
	s_delay_alu instid0(SALU_CYCLE_1) | instskip(NEXT) | instid1(VALU_DEP_1)
	v_mul_u64_e32 v[4:5], s[84:85], v[2:3]
	v_lshlrev_b64_e32 v[24:25], 2, v[4:5]
	v_mov_b64_e32 v[4:5], 0
	s_delay_alu instid0(VALU_DEP_2)
	v_cmpx_gt_u64_e64 v[24:25], v[16:17]
	s_cbranch_execz .LBB138_78
; %bb.75:                               ;   in Loop: Header=BB138_18 Depth=1
	v_mov_b64_e32 v[26:27], v[16:17]
	v_mov_b32_e32 v33, v16
	s_mov_b32 s87, s29
	s_mov_b64 s[88:89], 0
	s_mov_b32 s67, 0
	s_mov_b64 s[90:91], 0
	s_mov_b64 s[92:93], 0
	;; [unrolled: 1-line block ×3, first 2 shown]
.LBB138_76:                             ;   Parent Loop BB138_18 Depth=1
                                        ; =>  This Inner Loop Header: Depth=2
	ds_load_b32 v4, v33
	v_add_nc_u32_e32 v33, s86, v33
	v_add_nc_u64_e32 v[26:27], s[86:87], v[26:27]
	s_delay_alu instid0(VALU_DEP_1)
	v_cmp_ge_u64_e32 vcc_lo, v[26:27], v[24:25]
	s_wait_dscnt 0x0
	v_bfe_i32 v5, v4, 0, 8
	v_bfe_i32 v6, v4, 8, 8
	v_bfe_i32 v7, v4, 16, 8
	v_ashrrev_i32_e32 v4, 24, v4
	s_delay_alu instid0(VALU_DEP_4) | instskip(NEXT) | instid1(VALU_DEP_4)
	v_add_nc_u32_e32 v5, 0x80, v5
	v_add_nc_u32_e32 v6, 0x80, v6
	s_delay_alu instid0(VALU_DEP_4) | instskip(NEXT) | instid1(VALU_DEP_4)
	v_add_nc_u32_e32 v7, 0x80, v7
	v_add_nc_u32_e32 v4, 0x80, v4
	s_delay_alu instid0(VALU_DEP_4)
	v_and_b32_e32 v8, v5, v31
	v_bfe_u32 v5, v5, s72, 2
	v_and_b32_e32 v9, v6, v31
	v_bfe_u32 v6, v6, s72, 2
	;; [unrolled: 2-line block ×3, first 2 shown]
	v_cmp_eq_u32_e64 s9, v8, v29
	v_cmp_eq_u32_e64 s13, 0, v5
	v_and_b32_e32 v11, v4, v31
	v_bfe_u32 v4, v4, s72, 2
	v_cmp_eq_u32_e64 s10, v9, v29
	v_cmp_eq_u32_e64 s14, 0, v6
	;; [unrolled: 1-line block ×4, first 2 shown]
	s_and_b32 s4, s9, s13
	v_cmp_eq_u32_e64 s12, v11, v29
	v_cmp_eq_u32_e64 s16, 0, v4
	;; [unrolled: 1-line block ×5, first 2 shown]
	v_cndmask_b32_e64 v4, 0, 1, s4
	s_and_b32 s4, s10, s14
	v_cmp_eq_u32_e64 s17, 1, v5
	v_cmp_eq_u32_e64 s21, 2, v5
	v_cmp_eq_u32_e64 s25, 3, v5
	v_cndmask_b32_e64 v5, 0, 1, s4
	s_and_b32 s4, s11, s15
	v_cmp_eq_u32_e64 s18, 1, v6
	v_cmp_eq_u32_e64 s22, 2, v6
	v_cmp_eq_u32_e64 s26, 3, v6
	;; [unrolled: 5-line block ×3, first 2 shown]
	v_cndmask_b32_e64 v7, 0, 1, s4
	s_and_b32 s4, s9, s17
	s_delay_alu instid0(SALU_CYCLE_1) | instskip(SKIP_1) | instid1(SALU_CYCLE_1)
	v_cndmask_b32_e64 v8, 0, 1, s4
	s_and_b32 s4, s10, s18
	v_cndmask_b32_e64 v9, 0, 1, s4
	s_and_b32 s4, s11, s19
	s_delay_alu instid0(VALU_DEP_2)
	v_cmp_ne_u32_e64 s13, 0, v8
	v_cndmask_b32_e64 v10, 0, 1, s4
	s_and_b32 s4, s12, s20
	v_cmp_ne_u32_e64 s14, 0, v9
	v_cndmask_b32_e64 v11, 0, 1, s4
	s_and_b32 s4, s9, s21
	;; [unrolled: 3-line block ×9, first 2 shown]
	v_cmp_ne_u32_e64 s12, 0, v7
	v_cndmask_b32_e64 v41, 0, 1, s4
	s_bcnt1_i32_b32 s4, s9
	s_bcnt1_i32_b32 s9, s10
	v_cmp_ne_u32_e64 s19, 0, v36
	v_cmp_ne_u32_e64 s20, 0, v37
	;; [unrolled: 1-line block ×4, first 2 shown]
	s_bcnt1_i32_b32 s10, s11
	s_bcnt1_i32_b32 s11, s12
	;; [unrolled: 1-line block ×4, first 2 shown]
	s_add_co_i32 s4, s9, s4
	v_cmp_ne_u32_e64 s23, 0, v40
	s_bcnt1_i32_b32 s14, s15
	s_bcnt1_i32_b32 s15, s16
	;; [unrolled: 1-line block ×4, first 2 shown]
	s_add_co_i32 s9, s13, s12
	s_add_co_i32 s4, s4, s10
	v_cmp_ne_u32_e64 s24, 0, v41
	s_bcnt1_i32_b32 s18, s19
	s_bcnt1_i32_b32 s19, s20
	s_bcnt1_i32_b32 s20, s21
	s_bcnt1_i32_b32 s21, s22
	s_add_co_i32 s12, s17, s16
	s_add_co_i32 s9, s9, s14
	;; [unrolled: 1-line block ×3, first 2 shown]
	s_bcnt1_i32_b32 s22, s23
	s_add_co_i32 s13, s21, s20
	s_add_co_i32 s10, s12, s18
	s_add_nc_u64 s[94:95], s[94:95], s[28:29]
	s_add_co_i32 s28, s9, s15
	s_bcnt1_i32_b32 s23, s24
	s_add_co_i32 s12, s13, s22
	s_add_nc_u64 s[92:93], s[92:93], s[28:29]
	s_add_co_i32 s28, s10, s19
	v_mov_b64_e32 v[4:5], s[94:95]
	s_add_nc_u64 s[90:91], s[90:91], s[28:29]
	s_add_co_i32 s28, s12, s23
	v_mov_b64_e32 v[6:7], s[92:93]
	s_add_nc_u64 s[88:89], s[88:89], s[28:29]
	v_mov_b64_e32 v[8:9], s[90:91]
	v_mov_b64_e32 v[10:11], s[88:89]
	s_or_b32 s67, vcc_lo, s67
	s_delay_alu instid0(SALU_CYCLE_1)
	s_and_not1_b32 exec_lo, exec_lo, s67
	s_cbranch_execnz .LBB138_76
; %bb.77:                               ;   in Loop: Header=BB138_18 Depth=1
	s_or_b32 exec_lo, exec_lo, s67
.LBB138_78:                             ;   in Loop: Header=BB138_18 Depth=1
	s_delay_alu instid0(SALU_CYCLE_1) | instskip(SKIP_3) | instid1(VALU_DEP_1)
	s_or_b32 exec_lo, exec_lo, s66
	v_add_nc_u64_e32 v[24:25], v[24:25], v[0:1]
	s_and_b64 s[14:15], s[82:83], 0x7fffffff
	s_mov_b32 s16, exec_lo
	v_cmpx_gt_u64_e64 s[14:15], v[24:25]
	s_cbranch_execz .LBB138_82
; %bb.79:                               ;   in Loop: Header=BB138_18 Depth=1
	s_mul_i32 s4, s84, s63
	s_mov_b32 s17, 0
	v_lshl_add_u32 v26, s4, 2, v0
.LBB138_80:                             ;   Parent Loop BB138_18 Depth=1
                                        ; =>  This Inner Loop Header: Depth=2
	ds_load_i8 v27, v26
	v_add_nc_u64_e32 v[24:25], v[24:25], v[2:3]
	v_add_nc_u32_e32 v26, s63, v26
	s_delay_alu instid0(VALU_DEP_2) | instskip(SKIP_2) | instid1(VALU_DEP_1)
	v_cmp_le_u64_e32 vcc_lo, s[14:15], v[24:25]
	s_wait_dscnt 0x0
	v_add_nc_u32_e32 v27, 0x80, v27
	v_and_b32_e32 v33, v27, v31
	v_bfe_u32 v27, v27, s72, 2
	s_delay_alu instid0(VALU_DEP_2) | instskip(NEXT) | instid1(VALU_DEP_2)
	v_cmp_eq_u32_e64 s9, v33, v29
	v_cmp_eq_u32_e64 s10, 0, v27
	;; [unrolled: 1-line block ×5, first 2 shown]
	s_and_b32 s4, s9, s10
	s_delay_alu instid0(SALU_CYCLE_1) | instskip(SKIP_1) | instid1(SALU_CYCLE_1)
	v_cndmask_b32_e64 v27, 0, 1, s4
	s_and_b32 s4, s9, s11
	v_cndmask_b32_e64 v33, 0, 1, s4
	s_and_b32 s4, s9, s12
	s_delay_alu instid0(SALU_CYCLE_1)
	v_cndmask_b32_e64 v34, 0, 1, s4
	s_and_b32 s4, s9, s13
	v_cmp_ne_u32_e64 s9, 0, v27
	v_cndmask_b32_e64 v35, 0, 1, s4
	v_cmp_ne_u32_e64 s10, 0, v33
	v_cmp_ne_u32_e64 s11, 0, v34
	s_bcnt1_i32_b32 s28, s9
	v_cmp_ne_u32_e64 s12, 0, v35
	v_add_nc_u64_e32 v[4:5], s[28:29], v[4:5]
	s_bcnt1_i32_b32 s28, s10
	s_delay_alu instid0(SALU_CYCLE_1) | instskip(SKIP_1) | instid1(SALU_CYCLE_1)
	v_add_nc_u64_e32 v[6:7], s[28:29], v[6:7]
	s_bcnt1_i32_b32 s28, s11
	v_add_nc_u64_e32 v[8:9], s[28:29], v[8:9]
	s_bcnt1_i32_b32 s28, s12
	s_or_b32 s17, vcc_lo, s17
	v_add_nc_u64_e32 v[10:11], s[28:29], v[10:11]
	s_and_not1_b32 exec_lo, exec_lo, s17
	s_cbranch_execnz .LBB138_80
; %bb.81:                               ;   in Loop: Header=BB138_18 Depth=1
	s_or_b32 exec_lo, exec_lo, s17
.LBB138_82:                             ;   in Loop: Header=BB138_18 Depth=1
	s_delay_alu instid0(SALU_CYCLE_1)
	s_or_b32 exec_lo, exec_lo, s16
	s_lshl_b32 s9, s49, 7
	s_and_saveexec_b32 s4, s2
	s_cbranch_execnz .LBB138_53
	s_branch .LBB138_54
.LBB138_83:                             ;   in Loop: Header=BB138_18 Depth=1
                                        ; implicit-def: $sgpr10_sgpr11
	s_branch .LBB138_62
.LBB138_84:                             ;   in Loop: Header=BB138_18 Depth=1
	s_mov_b32 s11, 0
	s_and_not1_b32 vcc_lo, exec_lo, s70
	s_cbranch_vccnz .LBB138_87
.LBB138_85:                             ;   in Loop: Header=BB138_18 Depth=1
	s_lshl_b32 s4, s49, 10
	s_lshl_b32 s11, s11, 5
	s_delay_alu instid0(SALU_CYCLE_1)
	v_add3_u32 v2, s4, s11, v30
	s_mov_b32 s4, vcc_hi
.LBB138_86:                             ;   Parent Loop BB138_18 Depth=1
                                        ; =>  This Inner Loop Header: Depth=2
	ds_load_b64 v[6:7], v2
	v_add_nc_u32_e32 v2, 32, v2
	s_add_co_i32 s4, s4, -1
	s_delay_alu instid0(SALU_CYCLE_1)
	s_cmp_lg_u32 s4, 0
	s_wait_dscnt 0x0
	v_add_nc_u64_e32 v[4:5], v[6:7], v[4:5]
	s_cbranch_scc1 .LBB138_86
.LBB138_87:                             ;   in Loop: Header=BB138_18 Depth=1
	v_add_lshl_u32 v2, s9, v13, 3
	ds_store_b64 v2, v[4:5] offset:3072
.LBB138_88:                             ;   in Loop: Header=BB138_18 Depth=1
	s_or_b32 exec_lo, exec_lo, s10
	s_lshl_b32 s4, s9, 3
	s_wait_dscnt 0x0
	v_mov_b32_e32 v2, s4
	s_barrier_signal -1
	s_barrier_wait -1
	v_cmp_eq_u64_e64 s9, 1, v[22:23]
	ds_load_b128 v[4:7], v2 offset:3072
	ds_load_b128 v[8:11], v2 offset:3088
	s_lshl_b32 s24, 3, s72
	s_mov_b32 s84, -1
	s_not_b32 s25, s24
	s_mov_b32 s26, 0
	s_and_not1_b32 vcc_lo, exec_lo, s33
	s_mov_b32 s63, 0
	s_mov_b32 s27, 0
                                        ; implicit-def: $sgpr82
                                        ; implicit-def: $sgpr83
                                        ; implicit-def: $vgpr2
	s_wait_dscnt 0x1
	v_readfirstlane_b32 s13, v5
	v_readfirstlane_b32 s12, v4
	;; [unrolled: 1-line block ×4, first 2 shown]
	s_wait_dscnt 0x0
	v_readfirstlane_b32 s17, v9
	v_readfirstlane_b32 s16, v8
	;; [unrolled: 1-line block ×4, first 2 shown]
                                        ; implicit-def: $vgpr4_vgpr5
                                        ; implicit-def: $vgpr8
                                        ; implicit-def: $vgpr9
                                        ; implicit-def: $vgpr10
	s_cbranch_vccnz .LBB138_283
; %bb.89:                               ;   in Loop: Header=BB138_18 Depth=1
	s_cmp_eq_u64 s[12:13], 1
	v_dual_mov_b32 v8, v29 :: v_dual_mov_b32 v9, v31
	v_mov_b32_e32 v10, v32
	s_cselect_b32 s4, -1, 0
	s_mov_b32 s10, -1
	s_and_b32 s86, s4, s9
                                        ; implicit-def: $sgpr83
                                        ; implicit-def: $sgpr82
	s_delay_alu instid0(SALU_CYCLE_1)
	s_and_saveexec_b32 s27, s86
	s_cbranch_execz .LBB138_124
; %bb.90:                               ;   in Loop: Header=BB138_18 Depth=1
	ds_load_b64 v[4:5], v3 offset:5120
	s_wait_dscnt 0x0
	s_barrier_signal -1
	s_barrier_wait -1
	v_readfirstlane_b32 s10, v4
	v_readfirstlane_b32 s11, v5
	s_and_saveexec_b32 s4, s6
; %bb.91:                               ;   in Loop: Header=BB138_18 Depth=1
	ds_store_b8 v0, v3 offset:3072
; %bb.92:                               ;   in Loop: Header=BB138_18 Depth=1
	s_or_b32 exec_lo, exec_lo, s4
	v_and_b32_e32 v8, s25, v29
	v_or_b32_e32 v9, s24, v31
	s_mov_b32 s82, -1
	s_mov_b32 s83, 0
	s_cmp_eq_u64 s[10:11], 0
	s_mov_b32 s22, 0
	s_mov_b32 s23, -1
	s_wait_dscnt 0x0
	s_barrier_signal -1
	s_barrier_wait -1
                                        ; implicit-def: $vgpr10
	s_cbranch_scc1 .LBB138_109
; %bb.93:                               ;   in Loop: Header=BB138_18 Depth=1
	s_add_nc_u64 s[20:21], s[10:11], s[74:75]
	s_delay_alu instid0(SALU_CYCLE_1) | instskip(NEXT) | instid1(SALU_CYCLE_1)
	s_and_b64 s[22:23], s[20:21], 0xffffffff00000000
	s_cmp_lg_u64 s[22:23], 0
	s_cbranch_scc0 .LBB138_150
; %bb.94:                               ;   in Loop: Header=BB138_18 Depth=1
	s_cvt_f32_u32 s4, s56
	s_sub_nc_u64 s[40:41], 0, s[56:57]
	s_delay_alu instid0(SALU_CYCLE_2) | instskip(NEXT) | instid1(SALU_CYCLE_3)
	s_fmamk_f32 s4, s71, 0x0, s4
	v_s_rcp_f32 s4, s4
	s_delay_alu instid0(TRANS32_DEP_1) | instskip(NEXT) | instid1(SALU_CYCLE_3)
	s_mul_f32 s4, s4, 0x5f7ffffc
	s_mul_f32 s22, s4, 0x2f800000
	s_delay_alu instid0(SALU_CYCLE_3) | instskip(NEXT) | instid1(SALU_CYCLE_3)
	s_trunc_f32 s22, s22
	s_fmamk_f32 s4, s22, 0xcf800000, s4
	s_cvt_u32_f32 s23, s22
	s_delay_alu instid0(SALU_CYCLE_2) | instskip(NEXT) | instid1(SALU_CYCLE_3)
	s_cvt_u32_f32 s22, s4
	s_mul_u64 s[42:43], s[40:41], s[22:23]
	s_delay_alu instid0(SALU_CYCLE_1)
	s_mul_hi_u32 s61, s22, s43
	s_mul_i32 s60, s22, s43
	s_mul_hi_u32 s28, s22, s42
	s_mul_i32 s63, s23, s42
	s_add_nc_u64 s[60:61], s[28:29], s[60:61]
	s_mul_hi_u32 s4, s23, s42
	s_mul_hi_u32 s66, s23, s43
	s_add_co_u32 s28, s60, s63
	s_add_co_ci_u32 s28, s61, s4
	s_mul_i32 s42, s23, s43
	s_add_co_ci_u32 s43, s66, 0
	s_delay_alu instid0(SALU_CYCLE_1) | instskip(NEXT) | instid1(SALU_CYCLE_1)
	s_add_nc_u64 s[42:43], s[28:29], s[42:43]
	s_add_co_u32 s22, s22, s42
	s_cselect_b32 s4, -1, 0
	s_delay_alu instid0(SALU_CYCLE_1) | instskip(SKIP_1) | instid1(SALU_CYCLE_1)
	s_cmp_lg_u32 s4, 0
	s_add_co_ci_u32 s23, s23, s43
	s_mul_u64 s[40:41], s[40:41], s[22:23]
	s_delay_alu instid0(SALU_CYCLE_1)
	s_mul_hi_u32 s43, s22, s41
	s_mul_i32 s42, s22, s41
	s_mul_hi_u32 s28, s22, s40
	s_mul_i32 s60, s23, s40
	s_add_nc_u64 s[42:43], s[28:29], s[42:43]
	s_mul_hi_u32 s4, s23, s40
	s_mul_hi_u32 s61, s23, s41
	s_add_co_u32 s28, s42, s60
	s_add_co_ci_u32 s28, s43, s4
	s_mul_i32 s40, s23, s41
	s_add_co_ci_u32 s41, s61, 0
	s_delay_alu instid0(SALU_CYCLE_1) | instskip(NEXT) | instid1(SALU_CYCLE_1)
	s_add_nc_u64 s[40:41], s[28:29], s[40:41]
	s_add_co_u32 s4, s22, s40
	s_cselect_b32 s22, -1, 0
	s_mul_hi_u32 s28, s20, s4
	s_cmp_lg_u32 s22, 0
	s_mul_hi_u32 s42, s21, s4
	s_add_co_ci_u32 s40, s23, s41
	s_mul_i32 s4, s21, s4
	s_mul_hi_u32 s23, s20, s40
	s_mul_i32 s22, s20, s40
	s_mul_hi_u32 s41, s21, s40
	s_add_nc_u64 s[22:23], s[28:29], s[22:23]
	s_mul_i32 s40, s21, s40
	s_add_co_u32 s4, s22, s4
	s_add_co_ci_u32 s28, s23, s42
	s_add_co_ci_u32 s41, s41, 0
	s_delay_alu instid0(SALU_CYCLE_1) | instskip(NEXT) | instid1(SALU_CYCLE_1)
	s_add_nc_u64 s[22:23], s[28:29], s[40:41]
	s_and_b64 s[40:41], s[22:23], 0xffffffff00000000
	s_delay_alu instid0(SALU_CYCLE_1) | instskip(NEXT) | instid1(SALU_CYCLE_1)
	s_or_b32 s40, s40, s22
	s_mul_u64 s[22:23], s[56:57], s[40:41]
	s_delay_alu instid0(SALU_CYCLE_1) | instskip(SKIP_1) | instid1(SALU_CYCLE_1)
	s_sub_co_u32 s4, s20, s22
	s_cselect_b32 s22, -1, 0
	s_cmp_lg_u32 s22, 0
	s_sub_co_ci_u32 s22, s21, s23
	s_sub_co_u32 s23, s4, s56
	s_cselect_b32 s28, -1, 0
	s_delay_alu instid0(SALU_CYCLE_1) | instskip(SKIP_3) | instid1(SALU_CYCLE_1)
	s_cmp_lg_u32 s28, 0
	s_sub_co_ci_u32 s28, s22, 0
	s_sub_co_u32 s40, s23, s56
	s_cselect_b32 s41, -1, 0
	s_cmp_lg_u32 s41, 0
	s_sub_co_ci_u32 s41, s28, 0
	s_cmp_ge_u32 s23, s56
	s_cselect_b32 s42, -1, 0
	s_cmp_eq_u32 s28, 0
	s_cselect_b32 s42, s42, -1
	s_delay_alu instid0(SALU_CYCLE_1)
	s_cmp_lg_u32 s42, 0
	s_cselect_b32 s28, s41, s28
	s_cselect_b32 s40, s40, s23
	s_cmp_ge_u32 s4, s56
	s_cselect_b32 s23, -1, 0
	s_cmp_eq_u32 s22, 0
	s_cselect_b32 s23, s23, -1
	s_delay_alu instid0(SALU_CYCLE_1)
	s_cmp_lg_u32 s23, 0
	s_cselect_b32 s23, s28, s22
	s_cselect_b32 s22, s40, s4
	s_cbranch_execnz .LBB138_96
.LBB138_95:                             ;   in Loop: Header=BB138_18 Depth=1
	v_cvt_f32_u32_e32 v2, s56
	s_sub_co_i32 s22, 0, s56
	s_delay_alu instid0(VALU_DEP_1) | instskip(SKIP_1) | instid1(TRANS32_DEP_1)
	v_rcp_iflag_f32_e32 v2, v2
	v_nop
	v_mul_f32_e32 v2, 0x4f7ffffe, v2
	s_delay_alu instid0(VALU_DEP_1) | instskip(NEXT) | instid1(VALU_DEP_1)
	v_cvt_u32_f32_e32 v2, v2
	v_readfirstlane_b32 s4, v2
	s_mul_i32 s22, s22, s4
	s_delay_alu instid0(SALU_CYCLE_1) | instskip(NEXT) | instid1(SALU_CYCLE_1)
	s_mul_hi_u32 s22, s4, s22
	s_add_co_i32 s4, s4, s22
	s_delay_alu instid0(SALU_CYCLE_1) | instskip(NEXT) | instid1(SALU_CYCLE_1)
	s_mul_hi_u32 s4, s20, s4
	s_mul_i32 s4, s4, s56
	s_delay_alu instid0(SALU_CYCLE_1) | instskip(NEXT) | instid1(SALU_CYCLE_1)
	s_sub_co_i32 s4, s20, s4
	s_sub_co_i32 s22, s4, s56
	s_cmp_ge_u32 s4, s56
	s_cselect_b32 s4, s22, s4
	s_delay_alu instid0(SALU_CYCLE_1) | instskip(SKIP_2) | instid1(SALU_CYCLE_1)
	s_sub_co_i32 s22, s4, s56
	s_cmp_ge_u32 s4, s56
	s_cselect_b32 s28, s22, s4
	s_mov_b64 s[22:23], s[28:29]
.LBB138_96:                             ;   in Loop: Header=BB138_18 Depth=1
	s_delay_alu instid0(SALU_CYCLE_1)
	s_sub_nc_u64 s[20:21], s[20:21], s[22:23]
	s_mov_b32 s23, 0
	s_mov_b32 s22, 0
	s_mov_b32 s28, exec_lo
                                        ; implicit-def: $vgpr10
	v_cmpx_gt_u64_e64 s[20:21], v[0:1]
	s_cbranch_execz .LBB138_108
; %bb.97:                               ;   in Loop: Header=BB138_18 Depth=1
	v_mov_b64_e32 v[4:5], v[0:1]
	v_mov_b32_e32 v2, v0
                                        ; implicit-def: $sgpr63
	s_branch .LBB138_100
.LBB138_98:                             ;   in Loop: Header=BB138_100 Depth=2
	s_or_b32 exec_lo, exec_lo, s4
	s_wait_dscnt 0x0
	s_barrier_signal -1
	s_barrier_wait -1
	ds_load_u16 v6, v3 offset:3072
	s_mov_b32 s4, -1
	s_mov_b32 s66, -1
	s_wait_dscnt 0x0
	s_barrier_signal -1
	s_barrier_wait -1
	v_and_b32_e32 v7, 0xff, v6
	s_delay_alu instid0(VALU_DEP_1)
	v_cmp_ne_u32_e32 vcc_lo, 0, v7
	s_cbranch_vccz .LBB138_103
.LBB138_99:                             ;   in Loop: Header=BB138_100 Depth=2
	s_and_b32 s4, exec_lo, s4
	s_delay_alu instid0(SALU_CYCLE_1) | instskip(SKIP_2) | instid1(SALU_CYCLE_1)
	s_or_b32 s22, s4, s22
	s_and_not1_b32 s4, s63, exec_lo
	s_and_b32 s40, s66, exec_lo
	s_or_b32 s63, s4, s40
	s_and_not1_b32 exec_lo, exec_lo, s22
	s_cbranch_execz .LBB138_107
.LBB138_100:                            ;   Parent Loop BB138_18 Depth=1
                                        ; =>  This Inner Loop Header: Depth=2
	s_mov_b32 s4, exec_lo
	s_delay_alu instid0(VALU_DEP_2)
	v_cmpx_gt_u64_e64 s[10:11], v[4:5]
	s_cbranch_execz .LBB138_98
; %bb.101:                              ;   in Loop: Header=BB138_100 Depth=2
	ds_load_u8 v6, v2
	s_wait_dscnt 0x0
	v_bfe_i32 v7, v6, 0, 8
	s_delay_alu instid0(VALU_DEP_1) | instskip(NEXT) | instid1(VALU_DEP_1)
	v_add_nc_u32_e32 v7, 0x80, v7
	v_and_b32_e32 v7, v7, v9
	s_delay_alu instid0(VALU_DEP_1)
	v_cmp_eq_u32_e32 vcc_lo, v7, v8
	s_and_b32 exec_lo, exec_lo, vcc_lo
	s_cbranch_execz .LBB138_98
; %bb.102:                              ;   in Loop: Header=BB138_100 Depth=2
	v_lshlrev_b16 v6, 8, v6
	s_delay_alu instid0(VALU_DEP_1)
	v_or_b32_e32 v6, 1, v6
	ds_store_b16 v3, v6 offset:3072
	s_branch .LBB138_98
.LBB138_103:                            ;   in Loop: Header=BB138_100 Depth=2
	v_add_nc_u64_e32 v[4:5], s[56:57], v[4:5]
	v_add_nc_u32_e32 v2, s56, v2
	s_mov_b32 s66, 0
	s_delay_alu instid0(VALU_DEP_2)
	v_cmp_le_u64_e32 vcc_lo, s[20:21], v[4:5]
	s_or_not1_b32 s4, vcc_lo, exec_lo
	s_branch .LBB138_99
.LBB138_104:                            ;   in Loop: Header=BB138_18 Depth=1
	s_or_b32 exec_lo, exec_lo, s12
	s_wait_dscnt 0x0
	s_barrier_signal -1
	s_barrier_wait -1
	s_and_saveexec_b32 s4, s5
	s_cbranch_execz .LBB138_106
; %bb.105:                              ;   in Loop: Header=BB138_18 Depth=1
	ds_load_b32 v4, v3 offset:5144
	s_wait_dscnt 0x0
	v_ashrrev_i32_e32 v5, 31, v4
	ds_store_b64 v3, v[4:5] offset:5120
.LBB138_106:                            ;   in Loop: Header=BB138_18 Depth=1
	s_or_b32 exec_lo, exec_lo, s4
	s_wait_dscnt 0x0
	s_barrier_signal -1
	s_mov_b32 s9, -1
	s_barrier_wait -1
	s_and_b32 vcc_lo, exec_lo, s11
	s_cbranch_vccnz .LBB138_33
	s_branch .LBB138_48
.LBB138_107:                            ;   in Loop: Header=BB138_18 Depth=1
	s_or_b32 exec_lo, exec_lo, s22
	v_and_b32_e32 v2, 0xffff, v6
	s_and_b32 s22, s63, exec_lo
	s_delay_alu instid0(VALU_DEP_1)
	v_lshrrev_b32_e32 v10, 8, v2
.LBB138_108:                            ;   in Loop: Header=BB138_18 Depth=1
	s_or_b32 exec_lo, exec_lo, s28
.LBB138_109:                            ;   in Loop: Header=BB138_18 Depth=1
	s_delay_alu instid0(SALU_CYCLE_1)
	s_and_b32 vcc_lo, exec_lo, s23
	s_cbranch_vccz .LBB138_123
; %bb.110:                              ;   in Loop: Header=BB138_18 Depth=1
	s_and_b64 s[10:11], s[76:77], 0xffffffff00000000
	s_delay_alu instid0(SALU_CYCLE_1)
	s_cmp_lg_u64 s[10:11], 0
	s_cbranch_scc0 .LBB138_151
; %bb.111:                              ;   in Loop: Header=BB138_18 Depth=1
	s_cvt_f32_u32 s4, s56
	s_sub_nc_u64 s[20:21], 0, s[56:57]
	s_delay_alu instid0(SALU_CYCLE_2) | instskip(NEXT) | instid1(SALU_CYCLE_3)
	s_fmamk_f32 s4, s71, 0x0, s4
	v_s_rcp_f32 s4, s4
	s_delay_alu instid0(TRANS32_DEP_1) | instskip(NEXT) | instid1(SALU_CYCLE_3)
	s_mul_f32 s4, s4, 0x5f7ffffc
	s_mul_f32 s10, s4, 0x2f800000
	s_delay_alu instid0(SALU_CYCLE_3) | instskip(NEXT) | instid1(SALU_CYCLE_3)
	s_trunc_f32 s10, s10
	s_fmamk_f32 s4, s10, 0xcf800000, s4
	s_cvt_u32_f32 s11, s10
	s_delay_alu instid0(SALU_CYCLE_2) | instskip(NEXT) | instid1(SALU_CYCLE_3)
	s_cvt_u32_f32 s10, s4
	s_mul_u64 s[40:41], s[20:21], s[10:11]
	s_delay_alu instid0(SALU_CYCLE_1)
	s_mul_hi_u32 s43, s10, s41
	s_mul_i32 s42, s10, s41
	s_mul_hi_u32 s28, s10, s40
	s_mul_i32 s23, s11, s40
	s_add_nc_u64 s[42:43], s[28:29], s[42:43]
	s_mul_hi_u32 s4, s11, s40
	s_mul_hi_u32 s60, s11, s41
	s_add_co_u32 s23, s42, s23
	s_add_co_ci_u32 s28, s43, s4
	s_mul_i32 s40, s11, s41
	s_add_co_ci_u32 s41, s60, 0
	s_delay_alu instid0(SALU_CYCLE_1) | instskip(NEXT) | instid1(SALU_CYCLE_1)
	s_add_nc_u64 s[40:41], s[28:29], s[40:41]
	s_add_co_u32 s10, s10, s40
	s_cselect_b32 s4, -1, 0
	s_delay_alu instid0(SALU_CYCLE_1) | instskip(SKIP_1) | instid1(SALU_CYCLE_1)
	s_cmp_lg_u32 s4, 0
	s_add_co_ci_u32 s11, s11, s41
	s_mul_u64 s[20:21], s[20:21], s[10:11]
	s_delay_alu instid0(SALU_CYCLE_1)
	s_mul_hi_u32 s41, s10, s21
	s_mul_i32 s40, s10, s21
	s_mul_hi_u32 s28, s10, s20
	s_mul_i32 s23, s11, s20
	s_add_nc_u64 s[40:41], s[28:29], s[40:41]
	s_mul_hi_u32 s4, s11, s20
	s_mul_hi_u32 s42, s11, s21
	s_mul_i32 s20, s11, s21
	s_add_co_u32 s21, s40, s23
	s_add_co_ci_u32 s28, s41, s4
	s_add_co_ci_u32 s21, s42, 0
	s_delay_alu instid0(SALU_CYCLE_1) | instskip(NEXT) | instid1(SALU_CYCLE_1)
	s_add_nc_u64 s[20:21], s[28:29], s[20:21]
	s_add_co_u32 s4, s10, s20
	s_cselect_b32 s10, -1, 0
	s_mul_hi_u32 s28, s76, s4
	s_cmp_lg_u32 s10, 0
	s_mul_hi_u32 s23, s77, s4
	s_add_co_ci_u32 s20, s11, s21
	s_mul_i32 s4, s77, s4
	s_mul_hi_u32 s11, s76, s20
	s_mul_i32 s10, s76, s20
	s_mul_hi_u32 s21, s77, s20
	s_add_nc_u64 s[10:11], s[28:29], s[10:11]
	s_mul_i32 s20, s77, s20
	s_add_co_u32 s4, s10, s4
	s_add_co_ci_u32 s28, s11, s23
	s_add_co_ci_u32 s21, s21, 0
	s_delay_alu instid0(SALU_CYCLE_1) | instskip(NEXT) | instid1(SALU_CYCLE_1)
	s_add_nc_u64 s[10:11], s[28:29], s[20:21]
	s_and_b64 s[20:21], s[10:11], 0xffffffff00000000
	s_delay_alu instid0(SALU_CYCLE_1) | instskip(NEXT) | instid1(SALU_CYCLE_1)
	s_or_b32 s20, s20, s10
	s_mul_u64 s[10:11], s[56:57], s[20:21]
	s_delay_alu instid0(SALU_CYCLE_1) | instskip(SKIP_1) | instid1(SALU_CYCLE_1)
	s_sub_co_u32 s4, s76, s10
	s_cselect_b32 s10, -1, 0
	s_cmp_lg_u32 s10, 0
	s_sub_co_ci_u32 s10, s77, s11
	s_sub_co_u32 s11, s4, s56
	s_cselect_b32 s20, -1, 0
	s_delay_alu instid0(SALU_CYCLE_1) | instskip(SKIP_3) | instid1(SALU_CYCLE_1)
	s_cmp_lg_u32 s20, 0
	s_sub_co_ci_u32 s20, s10, 0
	s_sub_co_u32 s21, s11, s56
	s_cselect_b32 s23, -1, 0
	s_cmp_lg_u32 s23, 0
	s_sub_co_ci_u32 s23, s20, 0
	s_cmp_ge_u32 s11, s56
	s_cselect_b32 s28, -1, 0
	s_cmp_eq_u32 s20, 0
	s_cselect_b32 s28, s28, -1
	s_delay_alu instid0(SALU_CYCLE_1)
	s_cmp_lg_u32 s28, 0
	s_cselect_b32 s20, s23, s20
	s_cselect_b32 s21, s21, s11
	s_cmp_ge_u32 s4, s56
	s_cselect_b32 s11, -1, 0
	s_cmp_eq_u32 s10, 0
	s_cselect_b32 s11, s11, -1
	s_delay_alu instid0(SALU_CYCLE_1)
	s_cmp_lg_u32 s11, 0
	s_cselect_b32 s11, s20, s10
	s_cselect_b32 s10, s21, s4
	s_cbranch_execnz .LBB138_113
.LBB138_112:                            ;   in Loop: Header=BB138_18 Depth=1
	v_cvt_f32_u32_e32 v2, s56
	s_sub_co_i32 s10, 0, s56
	s_delay_alu instid0(VALU_DEP_1) | instskip(SKIP_1) | instid1(TRANS32_DEP_1)
	v_rcp_iflag_f32_e32 v2, v2
	v_nop
	v_mul_f32_e32 v2, 0x4f7ffffe, v2
	s_delay_alu instid0(VALU_DEP_1) | instskip(NEXT) | instid1(VALU_DEP_1)
	v_cvt_u32_f32_e32 v2, v2
	v_readfirstlane_b32 s4, v2
	s_mul_i32 s10, s10, s4
	s_delay_alu instid0(SALU_CYCLE_1) | instskip(NEXT) | instid1(SALU_CYCLE_1)
	s_mul_hi_u32 s10, s4, s10
	s_add_co_i32 s4, s4, s10
	s_delay_alu instid0(SALU_CYCLE_1) | instskip(NEXT) | instid1(SALU_CYCLE_1)
	s_mul_hi_u32 s4, s76, s4
	s_mul_i32 s4, s4, s56
	s_delay_alu instid0(SALU_CYCLE_1) | instskip(NEXT) | instid1(SALU_CYCLE_1)
	s_sub_co_i32 s4, s76, s4
	s_sub_co_i32 s10, s4, s56
	s_cmp_ge_u32 s4, s56
	s_cselect_b32 s4, s10, s4
	s_delay_alu instid0(SALU_CYCLE_1) | instskip(SKIP_2) | instid1(SALU_CYCLE_1)
	s_sub_co_i32 s10, s4, s56
	s_cmp_ge_u32 s4, s56
	s_cselect_b32 s28, s10, s4
	s_mov_b64 s[10:11], s[28:29]
.LBB138_113:                            ;   in Loop: Header=BB138_18 Depth=1
	s_delay_alu instid0(SALU_CYCLE_1)
	s_sub_nc_u64 s[10:11], s[76:77], s[10:11]
	s_mov_b32 s20, exec_lo
                                        ; implicit-def: $vgpr10
	v_cmpx_gt_u64_e64 s[10:11], v[0:1]
	s_cbranch_execz .LBB138_122
; %bb.114:                              ;   in Loop: Header=BB138_18 Depth=1
	v_mov_b64_e32 v[4:5], v[0:1]
	s_mov_b32 s23, 0
                                        ; implicit-def: $sgpr21
	s_branch .LBB138_117
.LBB138_115:                            ;   in Loop: Header=BB138_117 Depth=2
	s_or_b32 exec_lo, exec_lo, s28
	s_wait_dscnt 0x0
	s_barrier_signal -1
	s_barrier_wait -1
	ds_load_u16 v2, v3 offset:3072
	s_mov_b32 s28, -1
	s_mov_b32 s4, -1
	s_wait_dscnt 0x0
	s_barrier_signal -1
	s_barrier_wait -1
	v_and_b32_e32 v6, 0xff, v2
	s_delay_alu instid0(VALU_DEP_1)
	v_cmp_ne_u32_e32 vcc_lo, 0, v6
	s_cbranch_vccz .LBB138_120
.LBB138_116:                            ;   in Loop: Header=BB138_117 Depth=2
	s_and_b32 s28, exec_lo, s28
	s_delay_alu instid0(SALU_CYCLE_1) | instskip(SKIP_2) | instid1(SALU_CYCLE_1)
	s_or_b32 s23, s28, s23
	s_and_not1_b32 s21, s21, exec_lo
	s_and_b32 s4, s4, exec_lo
	s_or_b32 s21, s21, s4
	s_and_not1_b32 exec_lo, exec_lo, s23
	s_cbranch_execz .LBB138_121
.LBB138_117:                            ;   Parent Loop BB138_18 Depth=1
                                        ; =>  This Inner Loop Header: Depth=2
	s_mov_b32 s28, exec_lo
	s_delay_alu instid0(VALU_DEP_1)
	v_cmpx_gt_u64_e64 s[36:37], v[4:5]
	s_cbranch_execz .LBB138_115
; %bb.118:                              ;   in Loop: Header=BB138_117 Depth=2
	v_mad_nc_u64_u32 v[6:7], v4, s30, s[34:35]
	s_delay_alu instid0(VALU_DEP_1) | instskip(NEXT) | instid1(VALU_DEP_1)
	v_mad_u32 v2, v5, s30, v7
	v_mad_u32 v7, v4, s31, v2
	global_load_u8 v2, v[6:7], off
	s_wait_loadcnt 0x0
	v_bfe_i32 v6, v2, 0, 8
	s_delay_alu instid0(VALU_DEP_1) | instskip(NEXT) | instid1(VALU_DEP_1)
	v_add_nc_u32_e32 v6, 0x80, v6
	v_and_b32_e32 v6, v6, v9
	s_delay_alu instid0(VALU_DEP_1)
	v_cmp_eq_u32_e32 vcc_lo, v6, v8
	s_and_b32 exec_lo, exec_lo, vcc_lo
	s_cbranch_execz .LBB138_115
; %bb.119:                              ;   in Loop: Header=BB138_117 Depth=2
	v_lshlrev_b16 v2, 8, v2
	s_delay_alu instid0(VALU_DEP_1)
	v_or_b32_e32 v2, 1, v2
	ds_store_b16 v3, v2 offset:3072
	s_branch .LBB138_115
.LBB138_120:                            ;   in Loop: Header=BB138_117 Depth=2
	v_add_nc_u64_e32 v[4:5], s[56:57], v[4:5]
	s_mov_b32 s4, 0
	s_delay_alu instid0(VALU_DEP_1)
	v_cmp_le_u64_e32 vcc_lo, s[10:11], v[4:5]
	s_or_not1_b32 s28, vcc_lo, exec_lo
	s_branch .LBB138_116
.LBB138_121:                            ;   in Loop: Header=BB138_18 Depth=1
	s_or_b32 exec_lo, exec_lo, s23
	v_and_b32_e32 v2, 0xffff, v2
	s_and_not1_b32 s4, s22, exec_lo
	s_and_b32 s10, s21, exec_lo
	s_delay_alu instid0(SALU_CYCLE_1) | instskip(NEXT) | instid1(VALU_DEP_1)
	s_or_b32 s22, s4, s10
	v_lshrrev_b32_e32 v10, 8, v2
.LBB138_122:                            ;   in Loop: Header=BB138_18 Depth=1
	s_or_b32 exec_lo, exec_lo, s20
	s_mov_b32 s82, 0
	s_mov_b32 s83, -1
.LBB138_123:                            ;   in Loop: Header=BB138_18 Depth=1
	s_or_not1_b32 s10, s22, exec_lo
.LBB138_124:                            ;   in Loop: Header=BB138_18 Depth=1
	s_or_b32 exec_lo, exec_lo, s27
	s_mov_b32 s84, 0
	s_mov_b32 s63, 0
	;; [unrolled: 1-line block ×3, first 2 shown]
                                        ; implicit-def: $vgpr4_vgpr5
                                        ; implicit-def: $vgpr2
	s_and_saveexec_b32 s85, s10
	s_cbranch_execz .LBB138_282
; %bb.125:                              ;   in Loop: Header=BB138_18 Depth=1
	v_mov_b64_e32 v[4:5], 1
	v_mov_b32_e32 v2, 1
	s_xor_b32 s4, s86, -1
	s_mov_b32 s11, 0
	s_and_saveexec_b32 s10, s4
	s_cbranch_execz .LBB138_134
; %bb.126:                              ;   in Loop: Header=BB138_18 Depth=1
	s_mov_b32 s4, exec_lo
	v_cmpx_ge_u64_e64 s[12:13], v[22:23]
	s_xor_b32 s11, exec_lo, s4
	s_cbranch_execz .LBB138_131
; %bb.127:                              ;   in Loop: Header=BB138_18 Depth=1
	ds_load_b64 v[4:5], v3 offset:5120
	v_and_b32_e32 v8, s25, v8
	v_or_b32_e32 v9, s24, v9
	s_wait_dscnt 0x0
	v_cmp_ne_u64_e32 vcc_lo, 0, v[4:5]
	s_cbranch_vccnz .LBB138_131
; %bb.128:                              ;   in Loop: Header=BB138_18 Depth=1
	s_and_saveexec_b32 s4, s5
; %bb.129:                              ;   in Loop: Header=BB138_18 Depth=1
	v_mov_b64_e32 v[4:5], s[12:13]
	ds_store_b64 v3, v[4:5] offset:5128
; %bb.130:                              ;   in Loop: Header=BB138_18 Depth=1
	s_or_b32 exec_lo, exec_lo, s4
	s_wait_dscnt 0x0
	s_barrier_signal -1
	s_barrier_wait -1
.LBB138_131:                            ;   in Loop: Header=BB138_18 Depth=1
	s_or_saveexec_b32 s11, s11
	v_mov_b64_e32 v[4:5], v[22:23]
	v_mov_b32_e32 v2, 8
	s_mov_b32 s4, 0
	s_xor_b32 exec_lo, exec_lo, s11
; %bb.132:                              ;   in Loop: Header=BB138_18 Depth=1
	v_sub_nc_u64_e64 v[4:5], v[22:23], s[12:13]
	v_mov_b32_e32 v2, 0
	s_mov_b32 s4, exec_lo
; %bb.133:                              ;   in Loop: Header=BB138_18 Depth=1
	s_or_b32 exec_lo, exec_lo, s11
	s_delay_alu instid0(SALU_CYCLE_1)
	s_and_b32 s11, s4, exec_lo
.LBB138_134:                            ;   in Loop: Header=BB138_18 Depth=1
	s_or_b32 exec_lo, exec_lo, s10
	s_mov_b32 s10, -1
                                        ; implicit-def: $sgpr63
                                        ; implicit-def: $sgpr86
	s_and_saveexec_b32 s4, s11
	s_delay_alu instid0(SALU_CYCLE_1)
	s_xor_b32 s27, exec_lo, s4
	s_cbranch_execz .LBB138_279
; %bb.135:                              ;   in Loop: Header=BB138_18 Depth=1
	v_cmp_eq_u64_e32 vcc_lo, 1, v[4:5]
	s_cmp_eq_u64 s[14:15], 1
                                        ; implicit-def: $sgpr86
                                        ; implicit-def: $sgpr63
	s_cselect_b32 s4, -1, 0
	s_delay_alu instid0(SALU_CYCLE_1) | instskip(NEXT) | instid1(SALU_CYCLE_1)
	s_and_b32 s88, s4, vcc_lo
	s_and_saveexec_b32 s87, s88
	s_cbranch_execz .LBB138_169
; %bb.136:                              ;   in Loop: Header=BB138_18 Depth=1
	ds_load_b64 v[6:7], v3 offset:5120
	s_wait_dscnt 0x0
	s_barrier_signal -1
	s_barrier_wait -1
	v_readfirstlane_b32 s10, v6
	v_readfirstlane_b32 s11, v7
	s_and_saveexec_b32 s4, s6
; %bb.137:                              ;   in Loop: Header=BB138_18 Depth=1
	ds_store_b8 v0, v3 offset:3072
; %bb.138:                              ;   in Loop: Header=BB138_18 Depth=1
	s_or_b32 exec_lo, exec_lo, s4
	s_lshl_b32 s4, 1, s72
	v_or_b32_e32 v9, s24, v9
	v_and_or_b32 v8, v8, s25, s4
	s_mov_b32 s63, -1
	s_mov_b32 s86, 0
	s_cmp_eq_u64 s[10:11], 0
	s_mov_b32 s22, 0
	s_mov_b32 s23, -1
	s_wait_dscnt 0x0
	s_barrier_signal -1
	s_barrier_wait -1
                                        ; implicit-def: $vgpr10
	s_cbranch_scc1 .LBB138_154
; %bb.139:                              ;   in Loop: Header=BB138_18 Depth=1
	s_add_nc_u64 s[20:21], s[10:11], s[74:75]
	s_delay_alu instid0(SALU_CYCLE_1) | instskip(NEXT) | instid1(SALU_CYCLE_1)
	s_and_b64 s[22:23], s[20:21], 0xffffffff00000000
	s_cmp_lg_u64 s[22:23], 0
	s_cbranch_scc0 .LBB138_195
; %bb.140:                              ;   in Loop: Header=BB138_18 Depth=1
	s_cvt_f32_u32 s4, s56
	s_sub_nc_u64 s[40:41], 0, s[56:57]
	s_delay_alu instid0(SALU_CYCLE_2) | instskip(NEXT) | instid1(SALU_CYCLE_3)
	s_fmamk_f32 s4, s71, 0x0, s4
	v_s_rcp_f32 s4, s4
	s_delay_alu instid0(TRANS32_DEP_1) | instskip(NEXT) | instid1(SALU_CYCLE_3)
	s_mul_f32 s4, s4, 0x5f7ffffc
	s_mul_f32 s22, s4, 0x2f800000
	s_delay_alu instid0(SALU_CYCLE_3) | instskip(NEXT) | instid1(SALU_CYCLE_3)
	s_trunc_f32 s22, s22
	s_fmamk_f32 s4, s22, 0xcf800000, s4
	s_cvt_u32_f32 s23, s22
	s_delay_alu instid0(SALU_CYCLE_2) | instskip(NEXT) | instid1(SALU_CYCLE_3)
	s_cvt_u32_f32 s22, s4
	s_mul_u64 s[42:43], s[40:41], s[22:23]
	s_delay_alu instid0(SALU_CYCLE_1)
	s_mul_hi_u32 s67, s22, s43
	s_mul_i32 s66, s22, s43
	s_mul_hi_u32 s28, s22, s42
	s_mul_i32 s60, s23, s42
	s_add_nc_u64 s[66:67], s[28:29], s[66:67]
	s_mul_hi_u32 s4, s23, s42
	s_mul_hi_u32 s61, s23, s43
	s_add_co_u32 s28, s66, s60
	s_add_co_ci_u32 s28, s67, s4
	s_mul_i32 s42, s23, s43
	s_add_co_ci_u32 s43, s61, 0
	s_delay_alu instid0(SALU_CYCLE_1) | instskip(NEXT) | instid1(SALU_CYCLE_1)
	s_add_nc_u64 s[42:43], s[28:29], s[42:43]
	s_add_co_u32 s22, s22, s42
	s_cselect_b32 s4, -1, 0
	s_delay_alu instid0(SALU_CYCLE_1) | instskip(SKIP_1) | instid1(SALU_CYCLE_1)
	s_cmp_lg_u32 s4, 0
	s_add_co_ci_u32 s23, s23, s43
	s_mul_u64 s[40:41], s[40:41], s[22:23]
	s_delay_alu instid0(SALU_CYCLE_1)
	s_mul_hi_u32 s43, s22, s41
	s_mul_i32 s42, s22, s41
	s_mul_hi_u32 s28, s22, s40
	s_mul_i32 s60, s23, s40
	s_add_nc_u64 s[42:43], s[28:29], s[42:43]
	s_mul_hi_u32 s4, s23, s40
	s_mul_hi_u32 s61, s23, s41
	s_add_co_u32 s28, s42, s60
	s_add_co_ci_u32 s28, s43, s4
	s_mul_i32 s40, s23, s41
	s_add_co_ci_u32 s41, s61, 0
	s_delay_alu instid0(SALU_CYCLE_1) | instskip(NEXT) | instid1(SALU_CYCLE_1)
	s_add_nc_u64 s[40:41], s[28:29], s[40:41]
	s_add_co_u32 s4, s22, s40
	s_cselect_b32 s22, -1, 0
	s_mul_hi_u32 s28, s20, s4
	s_cmp_lg_u32 s22, 0
	s_mul_hi_u32 s42, s21, s4
	s_add_co_ci_u32 s40, s23, s41
	s_mul_i32 s4, s21, s4
	s_mul_hi_u32 s23, s20, s40
	s_mul_i32 s22, s20, s40
	s_mul_hi_u32 s41, s21, s40
	s_add_nc_u64 s[22:23], s[28:29], s[22:23]
	s_mul_i32 s40, s21, s40
	s_add_co_u32 s4, s22, s4
	s_add_co_ci_u32 s28, s23, s42
	s_add_co_ci_u32 s41, s41, 0
	s_delay_alu instid0(SALU_CYCLE_1) | instskip(NEXT) | instid1(SALU_CYCLE_1)
	s_add_nc_u64 s[22:23], s[28:29], s[40:41]
	s_and_b64 s[40:41], s[22:23], 0xffffffff00000000
	s_delay_alu instid0(SALU_CYCLE_1) | instskip(NEXT) | instid1(SALU_CYCLE_1)
	s_or_b32 s40, s40, s22
	s_mul_u64 s[22:23], s[56:57], s[40:41]
	s_delay_alu instid0(SALU_CYCLE_1) | instskip(SKIP_1) | instid1(SALU_CYCLE_1)
	s_sub_co_u32 s4, s20, s22
	s_cselect_b32 s22, -1, 0
	s_cmp_lg_u32 s22, 0
	s_sub_co_ci_u32 s22, s21, s23
	s_sub_co_u32 s23, s4, s56
	s_cselect_b32 s28, -1, 0
	s_delay_alu instid0(SALU_CYCLE_1) | instskip(SKIP_3) | instid1(SALU_CYCLE_1)
	s_cmp_lg_u32 s28, 0
	s_sub_co_ci_u32 s28, s22, 0
	s_sub_co_u32 s40, s23, s56
	s_cselect_b32 s41, -1, 0
	s_cmp_lg_u32 s41, 0
	s_sub_co_ci_u32 s41, s28, 0
	s_cmp_ge_u32 s23, s56
	s_cselect_b32 s42, -1, 0
	s_cmp_eq_u32 s28, 0
	s_cselect_b32 s42, s42, -1
	s_delay_alu instid0(SALU_CYCLE_1)
	s_cmp_lg_u32 s42, 0
	s_cselect_b32 s28, s41, s28
	s_cselect_b32 s40, s40, s23
	s_cmp_ge_u32 s4, s56
	s_cselect_b32 s23, -1, 0
	s_cmp_eq_u32 s22, 0
	s_cselect_b32 s23, s23, -1
	s_delay_alu instid0(SALU_CYCLE_1)
	s_cmp_lg_u32 s23, 0
	s_cselect_b32 s23, s28, s22
	s_cselect_b32 s22, s40, s4
	s_cbranch_execnz .LBB138_142
.LBB138_141:                            ;   in Loop: Header=BB138_18 Depth=1
	v_cvt_f32_u32_e32 v6, s56
	s_sub_co_i32 s22, 0, s56
	s_delay_alu instid0(VALU_DEP_1) | instskip(SKIP_1) | instid1(TRANS32_DEP_1)
	v_rcp_iflag_f32_e32 v6, v6
	v_nop
	v_mul_f32_e32 v6, 0x4f7ffffe, v6
	s_delay_alu instid0(VALU_DEP_1) | instskip(NEXT) | instid1(VALU_DEP_1)
	v_cvt_u32_f32_e32 v6, v6
	v_readfirstlane_b32 s4, v6
	s_mul_i32 s22, s22, s4
	s_delay_alu instid0(SALU_CYCLE_1) | instskip(NEXT) | instid1(SALU_CYCLE_1)
	s_mul_hi_u32 s22, s4, s22
	s_add_co_i32 s4, s4, s22
	s_delay_alu instid0(SALU_CYCLE_1) | instskip(NEXT) | instid1(SALU_CYCLE_1)
	s_mul_hi_u32 s4, s20, s4
	s_mul_i32 s4, s4, s56
	s_delay_alu instid0(SALU_CYCLE_1) | instskip(NEXT) | instid1(SALU_CYCLE_1)
	s_sub_co_i32 s4, s20, s4
	s_sub_co_i32 s22, s4, s56
	s_cmp_ge_u32 s4, s56
	s_cselect_b32 s4, s22, s4
	s_delay_alu instid0(SALU_CYCLE_1) | instskip(SKIP_2) | instid1(SALU_CYCLE_1)
	s_sub_co_i32 s22, s4, s56
	s_cmp_ge_u32 s4, s56
	s_cselect_b32 s28, s22, s4
	s_mov_b64 s[22:23], s[28:29]
.LBB138_142:                            ;   in Loop: Header=BB138_18 Depth=1
	s_delay_alu instid0(SALU_CYCLE_1)
	s_sub_nc_u64 s[20:21], s[20:21], s[22:23]
	s_mov_b32 s23, 0
	s_mov_b32 s22, 0
	s_mov_b32 s28, exec_lo
                                        ; implicit-def: $vgpr10
	v_cmpx_gt_u64_e64 s[20:21], v[0:1]
	s_cbranch_execz .LBB138_153
; %bb.143:                              ;   in Loop: Header=BB138_18 Depth=1
	v_mov_b64_e32 v[6:7], v[0:1]
	v_mov_b32_e32 v10, v0
                                        ; implicit-def: $sgpr66
	s_branch .LBB138_146
.LBB138_144:                            ;   in Loop: Header=BB138_146 Depth=2
	s_or_b32 exec_lo, exec_lo, s67
	s_wait_dscnt 0x0
	s_barrier_signal -1
	s_barrier_wait -1
	ds_load_u16 v11, v3 offset:3072
	s_mov_b32 s4, -1
	s_mov_b32 s67, -1
	s_wait_dscnt 0x0
	s_barrier_signal -1
	s_barrier_wait -1
	v_and_b32_e32 v24, 0xff, v11
	s_delay_alu instid0(VALU_DEP_1)
	v_cmp_ne_u32_e32 vcc_lo, 0, v24
	s_cbranch_vccz .LBB138_149
.LBB138_145:                            ;   in Loop: Header=BB138_146 Depth=2
	s_and_b32 s4, exec_lo, s4
	s_delay_alu instid0(SALU_CYCLE_1) | instskip(SKIP_2) | instid1(SALU_CYCLE_1)
	s_or_b32 s22, s4, s22
	s_and_not1_b32 s4, s66, exec_lo
	s_and_b32 s40, s67, exec_lo
	s_or_b32 s66, s4, s40
	s_and_not1_b32 exec_lo, exec_lo, s22
	s_cbranch_execz .LBB138_152
.LBB138_146:                            ;   Parent Loop BB138_18 Depth=1
                                        ; =>  This Inner Loop Header: Depth=2
	s_mov_b32 s67, exec_lo
	s_delay_alu instid0(VALU_DEP_2)
	v_cmpx_gt_u64_e64 s[10:11], v[6:7]
	s_cbranch_execz .LBB138_144
; %bb.147:                              ;   in Loop: Header=BB138_146 Depth=2
	ds_load_u8 v11, v10
	s_wait_dscnt 0x0
	v_bfe_i32 v24, v11, 0, 8
	s_delay_alu instid0(VALU_DEP_1) | instskip(NEXT) | instid1(VALU_DEP_1)
	v_add_nc_u32_e32 v24, 0x80, v24
	v_and_b32_e32 v24, v24, v9
	s_delay_alu instid0(VALU_DEP_1)
	v_cmp_eq_u32_e32 vcc_lo, v24, v8
	s_and_b32 exec_lo, exec_lo, vcc_lo
	s_cbranch_execz .LBB138_144
; %bb.148:                              ;   in Loop: Header=BB138_146 Depth=2
	v_lshlrev_b16 v11, 8, v11
	s_delay_alu instid0(VALU_DEP_1)
	v_or_b32_e32 v11, 1, v11
	ds_store_b16 v3, v11 offset:3072
	s_branch .LBB138_144
.LBB138_149:                            ;   in Loop: Header=BB138_146 Depth=2
	v_add_nc_u64_e32 v[6:7], s[56:57], v[6:7]
	v_add_nc_u32_e32 v10, s56, v10
	s_mov_b32 s67, 0
	s_delay_alu instid0(VALU_DEP_2)
	v_cmp_le_u64_e32 vcc_lo, s[20:21], v[6:7]
	s_or_not1_b32 s4, vcc_lo, exec_lo
	s_branch .LBB138_145
.LBB138_150:                            ;   in Loop: Header=BB138_18 Depth=1
                                        ; implicit-def: $sgpr22_sgpr23
	s_branch .LBB138_95
.LBB138_151:                            ;   in Loop: Header=BB138_18 Depth=1
                                        ; implicit-def: $sgpr10_sgpr11
	s_branch .LBB138_112
.LBB138_152:                            ;   in Loop: Header=BB138_18 Depth=1
	s_or_b32 exec_lo, exec_lo, s22
	v_and_b32_e32 v6, 0xffff, v11
	s_and_b32 s22, s66, exec_lo
	s_delay_alu instid0(VALU_DEP_1)
	v_lshrrev_b32_e32 v10, 8, v6
.LBB138_153:                            ;   in Loop: Header=BB138_18 Depth=1
	s_or_b32 exec_lo, exec_lo, s28
.LBB138_154:                            ;   in Loop: Header=BB138_18 Depth=1
	s_delay_alu instid0(SALU_CYCLE_1)
	s_and_b32 vcc_lo, exec_lo, s23
	s_cbranch_vccz .LBB138_168
; %bb.155:                              ;   in Loop: Header=BB138_18 Depth=1
	s_and_b64 s[10:11], s[76:77], 0xffffffff00000000
	s_delay_alu instid0(SALU_CYCLE_1)
	s_cmp_lg_u64 s[10:11], 0
	s_cbranch_scc0 .LBB138_196
; %bb.156:                              ;   in Loop: Header=BB138_18 Depth=1
	s_cvt_f32_u32 s4, s56
	s_sub_nc_u64 s[20:21], 0, s[56:57]
	s_delay_alu instid0(SALU_CYCLE_2) | instskip(NEXT) | instid1(SALU_CYCLE_3)
	s_fmamk_f32 s4, s71, 0x0, s4
	v_s_rcp_f32 s4, s4
	s_delay_alu instid0(TRANS32_DEP_1) | instskip(NEXT) | instid1(SALU_CYCLE_3)
	s_mul_f32 s4, s4, 0x5f7ffffc
	s_mul_f32 s10, s4, 0x2f800000
	s_delay_alu instid0(SALU_CYCLE_3) | instskip(NEXT) | instid1(SALU_CYCLE_3)
	s_trunc_f32 s10, s10
	s_fmamk_f32 s4, s10, 0xcf800000, s4
	s_cvt_u32_f32 s11, s10
	s_delay_alu instid0(SALU_CYCLE_2) | instskip(NEXT) | instid1(SALU_CYCLE_3)
	s_cvt_u32_f32 s10, s4
	s_mul_u64 s[40:41], s[20:21], s[10:11]
	s_delay_alu instid0(SALU_CYCLE_1)
	s_mul_hi_u32 s43, s10, s41
	s_mul_i32 s42, s10, s41
	s_mul_hi_u32 s28, s10, s40
	s_mul_i32 s23, s11, s40
	s_add_nc_u64 s[42:43], s[28:29], s[42:43]
	s_mul_hi_u32 s4, s11, s40
	s_mul_hi_u32 s60, s11, s41
	s_add_co_u32 s23, s42, s23
	s_add_co_ci_u32 s28, s43, s4
	s_mul_i32 s40, s11, s41
	s_add_co_ci_u32 s41, s60, 0
	s_delay_alu instid0(SALU_CYCLE_1) | instskip(NEXT) | instid1(SALU_CYCLE_1)
	s_add_nc_u64 s[40:41], s[28:29], s[40:41]
	s_add_co_u32 s10, s10, s40
	s_cselect_b32 s4, -1, 0
	s_delay_alu instid0(SALU_CYCLE_1) | instskip(SKIP_1) | instid1(SALU_CYCLE_1)
	s_cmp_lg_u32 s4, 0
	s_add_co_ci_u32 s11, s11, s41
	s_mul_u64 s[20:21], s[20:21], s[10:11]
	s_delay_alu instid0(SALU_CYCLE_1)
	s_mul_hi_u32 s41, s10, s21
	s_mul_i32 s40, s10, s21
	s_mul_hi_u32 s28, s10, s20
	s_mul_i32 s23, s11, s20
	s_add_nc_u64 s[40:41], s[28:29], s[40:41]
	s_mul_hi_u32 s4, s11, s20
	s_mul_hi_u32 s42, s11, s21
	s_mul_i32 s20, s11, s21
	s_add_co_u32 s21, s40, s23
	s_add_co_ci_u32 s28, s41, s4
	s_add_co_ci_u32 s21, s42, 0
	s_delay_alu instid0(SALU_CYCLE_1) | instskip(NEXT) | instid1(SALU_CYCLE_1)
	s_add_nc_u64 s[20:21], s[28:29], s[20:21]
	s_add_co_u32 s4, s10, s20
	s_cselect_b32 s10, -1, 0
	s_mul_hi_u32 s28, s76, s4
	s_cmp_lg_u32 s10, 0
	s_mul_hi_u32 s23, s77, s4
	s_add_co_ci_u32 s20, s11, s21
	s_mul_i32 s4, s77, s4
	s_mul_hi_u32 s11, s76, s20
	s_mul_i32 s10, s76, s20
	s_mul_hi_u32 s21, s77, s20
	s_add_nc_u64 s[10:11], s[28:29], s[10:11]
	s_mul_i32 s20, s77, s20
	s_add_co_u32 s4, s10, s4
	s_add_co_ci_u32 s28, s11, s23
	s_add_co_ci_u32 s21, s21, 0
	s_delay_alu instid0(SALU_CYCLE_1) | instskip(NEXT) | instid1(SALU_CYCLE_1)
	s_add_nc_u64 s[10:11], s[28:29], s[20:21]
	s_and_b64 s[20:21], s[10:11], 0xffffffff00000000
	s_delay_alu instid0(SALU_CYCLE_1) | instskip(NEXT) | instid1(SALU_CYCLE_1)
	s_or_b32 s20, s20, s10
	s_mul_u64 s[10:11], s[56:57], s[20:21]
	s_delay_alu instid0(SALU_CYCLE_1) | instskip(SKIP_1) | instid1(SALU_CYCLE_1)
	s_sub_co_u32 s4, s76, s10
	s_cselect_b32 s10, -1, 0
	s_cmp_lg_u32 s10, 0
	s_sub_co_ci_u32 s10, s77, s11
	s_sub_co_u32 s11, s4, s56
	s_cselect_b32 s20, -1, 0
	s_delay_alu instid0(SALU_CYCLE_1) | instskip(SKIP_3) | instid1(SALU_CYCLE_1)
	s_cmp_lg_u32 s20, 0
	s_sub_co_ci_u32 s20, s10, 0
	s_sub_co_u32 s21, s11, s56
	s_cselect_b32 s23, -1, 0
	s_cmp_lg_u32 s23, 0
	s_sub_co_ci_u32 s23, s20, 0
	s_cmp_ge_u32 s11, s56
	s_cselect_b32 s28, -1, 0
	s_cmp_eq_u32 s20, 0
	s_cselect_b32 s28, s28, -1
	s_delay_alu instid0(SALU_CYCLE_1)
	s_cmp_lg_u32 s28, 0
	s_cselect_b32 s20, s23, s20
	s_cselect_b32 s21, s21, s11
	s_cmp_ge_u32 s4, s56
	s_cselect_b32 s11, -1, 0
	s_cmp_eq_u32 s10, 0
	s_cselect_b32 s11, s11, -1
	s_delay_alu instid0(SALU_CYCLE_1)
	s_cmp_lg_u32 s11, 0
	s_cselect_b32 s11, s20, s10
	s_cselect_b32 s10, s21, s4
	s_cbranch_execnz .LBB138_158
.LBB138_157:                            ;   in Loop: Header=BB138_18 Depth=1
	v_cvt_f32_u32_e32 v6, s56
	s_sub_co_i32 s10, 0, s56
	s_delay_alu instid0(VALU_DEP_1) | instskip(SKIP_1) | instid1(TRANS32_DEP_1)
	v_rcp_iflag_f32_e32 v6, v6
	v_nop
	v_mul_f32_e32 v6, 0x4f7ffffe, v6
	s_delay_alu instid0(VALU_DEP_1) | instskip(NEXT) | instid1(VALU_DEP_1)
	v_cvt_u32_f32_e32 v6, v6
	v_readfirstlane_b32 s4, v6
	s_mul_i32 s10, s10, s4
	s_delay_alu instid0(SALU_CYCLE_1) | instskip(NEXT) | instid1(SALU_CYCLE_1)
	s_mul_hi_u32 s10, s4, s10
	s_add_co_i32 s4, s4, s10
	s_delay_alu instid0(SALU_CYCLE_1) | instskip(NEXT) | instid1(SALU_CYCLE_1)
	s_mul_hi_u32 s4, s76, s4
	s_mul_i32 s4, s4, s56
	s_delay_alu instid0(SALU_CYCLE_1) | instskip(NEXT) | instid1(SALU_CYCLE_1)
	s_sub_co_i32 s4, s76, s4
	s_sub_co_i32 s10, s4, s56
	s_cmp_ge_u32 s4, s56
	s_cselect_b32 s4, s10, s4
	s_delay_alu instid0(SALU_CYCLE_1) | instskip(SKIP_2) | instid1(SALU_CYCLE_1)
	s_sub_co_i32 s10, s4, s56
	s_cmp_ge_u32 s4, s56
	s_cselect_b32 s28, s10, s4
	s_mov_b64 s[10:11], s[28:29]
.LBB138_158:                            ;   in Loop: Header=BB138_18 Depth=1
	s_delay_alu instid0(SALU_CYCLE_1)
	s_sub_nc_u64 s[10:11], s[76:77], s[10:11]
	s_mov_b32 s20, exec_lo
                                        ; implicit-def: $vgpr10
	v_cmpx_gt_u64_e64 s[10:11], v[0:1]
	s_cbranch_execz .LBB138_167
; %bb.159:                              ;   in Loop: Header=BB138_18 Depth=1
	v_mov_b64_e32 v[6:7], v[0:1]
	s_mov_b32 s21, 0
                                        ; implicit-def: $sgpr23
	s_branch .LBB138_162
.LBB138_160:                            ;   in Loop: Header=BB138_162 Depth=2
	s_or_b32 exec_lo, exec_lo, s28
	s_wait_dscnt 0x0
	s_barrier_signal -1
	s_barrier_wait -1
	ds_load_u16 v10, v3 offset:3072
	s_mov_b32 s28, -1
	s_mov_b32 s4, -1
	s_wait_dscnt 0x0
	s_barrier_signal -1
	s_barrier_wait -1
	v_and_b32_e32 v11, 0xff, v10
	s_delay_alu instid0(VALU_DEP_1)
	v_cmp_eq_u32_e32 vcc_lo, 0, v11
	s_cbranch_vccnz .LBB138_165
.LBB138_161:                            ;   in Loop: Header=BB138_162 Depth=2
	s_and_b32 s28, exec_lo, s28
	s_delay_alu instid0(SALU_CYCLE_1) | instskip(SKIP_2) | instid1(SALU_CYCLE_1)
	s_or_b32 s21, s28, s21
	s_and_not1_b32 s23, s23, exec_lo
	s_and_b32 s4, s4, exec_lo
	s_or_b32 s23, s23, s4
	s_and_not1_b32 exec_lo, exec_lo, s21
	s_cbranch_execz .LBB138_166
.LBB138_162:                            ;   Parent Loop BB138_18 Depth=1
                                        ; =>  This Inner Loop Header: Depth=2
	s_mov_b32 s28, exec_lo
	s_delay_alu instid0(VALU_DEP_1)
	v_cmpx_gt_u64_e64 s[36:37], v[6:7]
	s_cbranch_execz .LBB138_160
; %bb.163:                              ;   in Loop: Header=BB138_162 Depth=2
	v_mad_nc_u64_u32 v[10:11], v6, s30, s[34:35]
	s_delay_alu instid0(VALU_DEP_1) | instskip(NEXT) | instid1(VALU_DEP_1)
	v_mad_u32 v11, v7, s30, v11
	v_mad_u32 v11, v6, s31, v11
	global_load_u8 v10, v[10:11], off
	s_wait_loadcnt 0x0
	v_bfe_i32 v11, v10, 0, 8
	s_delay_alu instid0(VALU_DEP_1) | instskip(NEXT) | instid1(VALU_DEP_1)
	v_add_nc_u32_e32 v11, 0x80, v11
	v_and_b32_e32 v11, v11, v9
	s_delay_alu instid0(VALU_DEP_1)
	v_cmp_eq_u32_e32 vcc_lo, v11, v8
	s_and_b32 exec_lo, exec_lo, vcc_lo
	s_cbranch_execz .LBB138_160
; %bb.164:                              ;   in Loop: Header=BB138_162 Depth=2
	v_lshlrev_b16 v10, 8, v10
	s_delay_alu instid0(VALU_DEP_1)
	v_or_b32_e32 v10, 1, v10
	ds_store_b16 v3, v10 offset:3072
	s_branch .LBB138_160
.LBB138_165:                            ;   in Loop: Header=BB138_162 Depth=2
	v_add_nc_u64_e32 v[6:7], s[56:57], v[6:7]
	s_mov_b32 s4, 0
	s_delay_alu instid0(VALU_DEP_1)
	v_cmp_le_u64_e32 vcc_lo, s[10:11], v[6:7]
	s_or_not1_b32 s28, vcc_lo, exec_lo
	s_branch .LBB138_161
.LBB138_166:                            ;   in Loop: Header=BB138_18 Depth=1
	s_or_b32 exec_lo, exec_lo, s21
	v_and_b32_e32 v6, 0xffff, v10
	s_and_not1_b32 s4, s22, exec_lo
	s_and_b32 s10, s23, exec_lo
	s_delay_alu instid0(SALU_CYCLE_1) | instskip(NEXT) | instid1(VALU_DEP_1)
	s_or_b32 s22, s4, s10
	v_lshrrev_b32_e32 v10, 8, v6
.LBB138_167:                            ;   in Loop: Header=BB138_18 Depth=1
	s_or_b32 exec_lo, exec_lo, s20
	s_mov_b32 s63, 0
	s_mov_b32 s86, -1
.LBB138_168:                            ;   in Loop: Header=BB138_18 Depth=1
	s_or_not1_b32 s10, s22, exec_lo
.LBB138_169:                            ;   in Loop: Header=BB138_18 Depth=1
	s_or_b32 exec_lo, exec_lo, s87
	s_mov_b32 s11, 0
	s_and_saveexec_b32 s87, s10
	s_cbranch_execz .LBB138_278
; %bb.170:                              ;   in Loop: Header=BB138_18 Depth=1
	v_mov_b64_e32 v[6:7], 1
	v_mov_b32_e32 v2, 1
	s_xor_b32 s4, s88, -1
	s_delay_alu instid0(SALU_CYCLE_1)
	s_and_saveexec_b32 s10, s4
	s_cbranch_execz .LBB138_179
; %bb.171:                              ;   in Loop: Header=BB138_18 Depth=1
	s_mov_b32 s4, exec_lo
	v_cmpx_ge_u64_e64 s[14:15], v[4:5]
	s_xor_b32 s11, exec_lo, s4
	s_cbranch_execz .LBB138_176
; %bb.172:                              ;   in Loop: Header=BB138_18 Depth=1
	ds_load_b64 v[6:7], v3 offset:5120
	s_lshl_b32 s4, 1, s72
	v_or_b32_e32 v9, s24, v9
	v_and_or_b32 v8, v8, s25, s4
	s_wait_dscnt 0x0
	v_cmp_ne_u64_e32 vcc_lo, 0, v[6:7]
	s_cbranch_vccnz .LBB138_176
; %bb.173:                              ;   in Loop: Header=BB138_18 Depth=1
	s_and_saveexec_b32 s4, s5
; %bb.174:                              ;   in Loop: Header=BB138_18 Depth=1
	v_mov_b64_e32 v[6:7], s[14:15]
	ds_store_b64 v3, v[6:7] offset:5128
; %bb.175:                              ;   in Loop: Header=BB138_18 Depth=1
	s_or_b32 exec_lo, exec_lo, s4
	s_wait_dscnt 0x0
	s_barrier_signal -1
	s_barrier_wait -1
.LBB138_176:                            ;   in Loop: Header=BB138_18 Depth=1
	s_or_saveexec_b32 s11, s11
	v_mov_b32_e32 v2, 8
	s_mov_b32 s20, 0
	s_xor_b32 exec_lo, exec_lo, s11
; %bb.177:                              ;   in Loop: Header=BB138_18 Depth=1
	v_sub_nc_u64_e64 v[4:5], v[4:5], s[14:15]
	v_mov_b32_e32 v2, 0
	s_mov_b32 s20, exec_lo
; %bb.178:                              ;   in Loop: Header=BB138_18 Depth=1
	s_or_b32 exec_lo, exec_lo, s11
	s_delay_alu instid0(VALU_DEP_2)
	v_mov_b64_e32 v[6:7], v[4:5]
	s_and_b32 s11, s20, exec_lo
.LBB138_179:                            ;   in Loop: Header=BB138_18 Depth=1
	s_or_b32 exec_lo, exec_lo, s10
	s_mov_b32 s10, -1
                                        ; implicit-def: $sgpr89
                                        ; implicit-def: $sgpr90
	s_and_saveexec_b32 s88, s11
	s_cbranch_execz .LBB138_277
; %bb.180:                              ;   in Loop: Header=BB138_18 Depth=1
	s_delay_alu instid0(VALU_DEP_1) | instskip(SKIP_2) | instid1(SALU_CYCLE_1)
	v_cmp_eq_u64_e32 vcc_lo, 1, v[6:7]
	s_cmp_eq_u64 s[16:17], 1
                                        ; implicit-def: $sgpr90
                                        ; implicit-def: $sgpr89
	s_cselect_b32 s4, -1, 0
	s_and_b32 s92, s4, vcc_lo
	s_delay_alu instid0(SALU_CYCLE_1)
	s_and_saveexec_b32 s91, s92
	s_cbranch_execz .LBB138_214
; %bb.181:                              ;   in Loop: Header=BB138_18 Depth=1
	ds_load_b64 v[4:5], v3 offset:5120
	s_wait_dscnt 0x0
	s_barrier_signal -1
	s_barrier_wait -1
	v_readfirstlane_b32 s10, v4
	v_readfirstlane_b32 s11, v5
	s_and_saveexec_b32 s4, s6
; %bb.182:                              ;   in Loop: Header=BB138_18 Depth=1
	ds_store_b8 v0, v3 offset:3072
; %bb.183:                              ;   in Loop: Header=BB138_18 Depth=1
	s_or_b32 exec_lo, exec_lo, s4
	s_lshl_b32 s4, 2, s72
	v_or_b32_e32 v9, s24, v9
	v_and_or_b32 v8, v8, s25, s4
	s_mov_b32 s89, -1
	s_mov_b32 s90, 0
	s_cmp_eq_u64 s[10:11], 0
	s_mov_b32 s22, 0
	s_mov_b32 s23, -1
	s_wait_dscnt 0x0
	s_barrier_signal -1
	s_barrier_wait -1
                                        ; implicit-def: $vgpr10
	s_cbranch_scc1 .LBB138_199
; %bb.184:                              ;   in Loop: Header=BB138_18 Depth=1
	s_add_nc_u64 s[20:21], s[10:11], s[74:75]
	s_delay_alu instid0(SALU_CYCLE_1) | instskip(NEXT) | instid1(SALU_CYCLE_1)
	s_and_b64 s[22:23], s[20:21], 0xffffffff00000000
	s_cmp_lg_u64 s[22:23], 0
	s_cbranch_scc0 .LBB138_231
; %bb.185:                              ;   in Loop: Header=BB138_18 Depth=1
	s_cvt_f32_u32 s4, s56
	s_sub_nc_u64 s[40:41], 0, s[56:57]
	s_delay_alu instid0(SALU_CYCLE_2) | instskip(NEXT) | instid1(SALU_CYCLE_3)
	s_fmamk_f32 s4, s71, 0x0, s4
	v_s_rcp_f32 s4, s4
	s_delay_alu instid0(TRANS32_DEP_1) | instskip(NEXT) | instid1(SALU_CYCLE_3)
	s_mul_f32 s4, s4, 0x5f7ffffc
	s_mul_f32 s22, s4, 0x2f800000
	s_delay_alu instid0(SALU_CYCLE_3) | instskip(NEXT) | instid1(SALU_CYCLE_3)
	s_trunc_f32 s22, s22
	s_fmamk_f32 s4, s22, 0xcf800000, s4
	s_cvt_u32_f32 s23, s22
	s_delay_alu instid0(SALU_CYCLE_2) | instskip(NEXT) | instid1(SALU_CYCLE_3)
	s_cvt_u32_f32 s22, s4
	s_mul_u64 s[42:43], s[40:41], s[22:23]
	s_delay_alu instid0(SALU_CYCLE_1)
	s_mul_hi_u32 s67, s22, s43
	s_mul_i32 s66, s22, s43
	s_mul_hi_u32 s28, s22, s42
	s_mul_i32 s60, s23, s42
	s_add_nc_u64 s[66:67], s[28:29], s[66:67]
	s_mul_hi_u32 s4, s23, s42
	s_mul_hi_u32 s61, s23, s43
	s_add_co_u32 s28, s66, s60
	s_add_co_ci_u32 s28, s67, s4
	s_mul_i32 s42, s23, s43
	s_add_co_ci_u32 s43, s61, 0
	s_delay_alu instid0(SALU_CYCLE_1) | instskip(NEXT) | instid1(SALU_CYCLE_1)
	s_add_nc_u64 s[42:43], s[28:29], s[42:43]
	s_add_co_u32 s22, s22, s42
	s_cselect_b32 s4, -1, 0
	s_delay_alu instid0(SALU_CYCLE_1) | instskip(SKIP_1) | instid1(SALU_CYCLE_1)
	s_cmp_lg_u32 s4, 0
	s_add_co_ci_u32 s23, s23, s43
	s_mul_u64 s[40:41], s[40:41], s[22:23]
	s_delay_alu instid0(SALU_CYCLE_1)
	s_mul_hi_u32 s43, s22, s41
	s_mul_i32 s42, s22, s41
	s_mul_hi_u32 s28, s22, s40
	s_mul_i32 s60, s23, s40
	s_add_nc_u64 s[42:43], s[28:29], s[42:43]
	s_mul_hi_u32 s4, s23, s40
	s_mul_hi_u32 s61, s23, s41
	s_add_co_u32 s28, s42, s60
	s_add_co_ci_u32 s28, s43, s4
	s_mul_i32 s40, s23, s41
	s_add_co_ci_u32 s41, s61, 0
	s_delay_alu instid0(SALU_CYCLE_1) | instskip(NEXT) | instid1(SALU_CYCLE_1)
	s_add_nc_u64 s[40:41], s[28:29], s[40:41]
	s_add_co_u32 s4, s22, s40
	s_cselect_b32 s22, -1, 0
	s_mul_hi_u32 s28, s20, s4
	s_cmp_lg_u32 s22, 0
	s_mul_hi_u32 s42, s21, s4
	s_add_co_ci_u32 s40, s23, s41
	s_mul_i32 s4, s21, s4
	s_mul_hi_u32 s23, s20, s40
	s_mul_i32 s22, s20, s40
	s_mul_hi_u32 s41, s21, s40
	s_add_nc_u64 s[22:23], s[28:29], s[22:23]
	s_mul_i32 s40, s21, s40
	s_add_co_u32 s4, s22, s4
	s_add_co_ci_u32 s28, s23, s42
	s_add_co_ci_u32 s41, s41, 0
	s_delay_alu instid0(SALU_CYCLE_1) | instskip(NEXT) | instid1(SALU_CYCLE_1)
	s_add_nc_u64 s[22:23], s[28:29], s[40:41]
	s_and_b64 s[40:41], s[22:23], 0xffffffff00000000
	s_delay_alu instid0(SALU_CYCLE_1) | instskip(NEXT) | instid1(SALU_CYCLE_1)
	s_or_b32 s40, s40, s22
	s_mul_u64 s[22:23], s[56:57], s[40:41]
	s_delay_alu instid0(SALU_CYCLE_1) | instskip(SKIP_1) | instid1(SALU_CYCLE_1)
	s_sub_co_u32 s4, s20, s22
	s_cselect_b32 s22, -1, 0
	s_cmp_lg_u32 s22, 0
	s_sub_co_ci_u32 s22, s21, s23
	s_sub_co_u32 s23, s4, s56
	s_cselect_b32 s28, -1, 0
	s_delay_alu instid0(SALU_CYCLE_1) | instskip(SKIP_3) | instid1(SALU_CYCLE_1)
	s_cmp_lg_u32 s28, 0
	s_sub_co_ci_u32 s28, s22, 0
	s_sub_co_u32 s40, s23, s56
	s_cselect_b32 s41, -1, 0
	s_cmp_lg_u32 s41, 0
	s_sub_co_ci_u32 s41, s28, 0
	s_cmp_ge_u32 s23, s56
	s_cselect_b32 s42, -1, 0
	s_cmp_eq_u32 s28, 0
	s_cselect_b32 s42, s42, -1
	s_delay_alu instid0(SALU_CYCLE_1)
	s_cmp_lg_u32 s42, 0
	s_cselect_b32 s28, s41, s28
	s_cselect_b32 s40, s40, s23
	s_cmp_ge_u32 s4, s56
	s_cselect_b32 s23, -1, 0
	s_cmp_eq_u32 s22, 0
	s_cselect_b32 s23, s23, -1
	s_delay_alu instid0(SALU_CYCLE_1)
	s_cmp_lg_u32 s23, 0
	s_cselect_b32 s23, s28, s22
	s_cselect_b32 s22, s40, s4
	s_cbranch_execnz .LBB138_187
.LBB138_186:                            ;   in Loop: Header=BB138_18 Depth=1
	v_cvt_f32_u32_e32 v4, s56
	s_sub_co_i32 s22, 0, s56
	s_delay_alu instid0(VALU_DEP_1) | instskip(SKIP_1) | instid1(TRANS32_DEP_1)
	v_rcp_iflag_f32_e32 v4, v4
	v_nop
	v_mul_f32_e32 v4, 0x4f7ffffe, v4
	s_delay_alu instid0(VALU_DEP_1) | instskip(NEXT) | instid1(VALU_DEP_1)
	v_cvt_u32_f32_e32 v4, v4
	v_readfirstlane_b32 s4, v4
	s_mul_i32 s22, s22, s4
	s_delay_alu instid0(SALU_CYCLE_1) | instskip(NEXT) | instid1(SALU_CYCLE_1)
	s_mul_hi_u32 s22, s4, s22
	s_add_co_i32 s4, s4, s22
	s_delay_alu instid0(SALU_CYCLE_1) | instskip(NEXT) | instid1(SALU_CYCLE_1)
	s_mul_hi_u32 s4, s20, s4
	s_mul_i32 s4, s4, s56
	s_delay_alu instid0(SALU_CYCLE_1) | instskip(NEXT) | instid1(SALU_CYCLE_1)
	s_sub_co_i32 s4, s20, s4
	s_sub_co_i32 s22, s4, s56
	s_cmp_ge_u32 s4, s56
	s_cselect_b32 s4, s22, s4
	s_delay_alu instid0(SALU_CYCLE_1) | instskip(SKIP_2) | instid1(SALU_CYCLE_1)
	s_sub_co_i32 s22, s4, s56
	s_cmp_ge_u32 s4, s56
	s_cselect_b32 s28, s22, s4
	s_mov_b64 s[22:23], s[28:29]
.LBB138_187:                            ;   in Loop: Header=BB138_18 Depth=1
	s_delay_alu instid0(SALU_CYCLE_1)
	s_sub_nc_u64 s[20:21], s[20:21], s[22:23]
	s_mov_b32 s23, 0
	s_mov_b32 s22, 0
	s_mov_b32 s28, exec_lo
                                        ; implicit-def: $vgpr10
	v_cmpx_gt_u64_e64 s[20:21], v[0:1]
	s_cbranch_execz .LBB138_198
; %bb.188:                              ;   in Loop: Header=BB138_18 Depth=1
	v_mov_b64_e32 v[4:5], v[0:1]
	v_mov_b32_e32 v10, v0
                                        ; implicit-def: $sgpr66
	s_branch .LBB138_191
.LBB138_189:                            ;   in Loop: Header=BB138_191 Depth=2
	s_or_b32 exec_lo, exec_lo, s67
	s_wait_dscnt 0x0
	s_barrier_signal -1
	s_barrier_wait -1
	ds_load_u16 v11, v3 offset:3072
	s_mov_b32 s4, -1
	s_mov_b32 s67, -1
	s_wait_dscnt 0x0
	s_barrier_signal -1
	s_barrier_wait -1
	v_and_b32_e32 v24, 0xff, v11
	s_delay_alu instid0(VALU_DEP_1)
	v_cmp_ne_u32_e32 vcc_lo, 0, v24
	s_cbranch_vccz .LBB138_194
.LBB138_190:                            ;   in Loop: Header=BB138_191 Depth=2
	s_and_b32 s4, exec_lo, s4
	s_delay_alu instid0(SALU_CYCLE_1) | instskip(SKIP_2) | instid1(SALU_CYCLE_1)
	s_or_b32 s22, s4, s22
	s_and_not1_b32 s4, s66, exec_lo
	s_and_b32 s40, s67, exec_lo
	s_or_b32 s66, s4, s40
	s_and_not1_b32 exec_lo, exec_lo, s22
	s_cbranch_execz .LBB138_197
.LBB138_191:                            ;   Parent Loop BB138_18 Depth=1
                                        ; =>  This Inner Loop Header: Depth=2
	s_mov_b32 s67, exec_lo
	s_delay_alu instid0(VALU_DEP_2)
	v_cmpx_gt_u64_e64 s[10:11], v[4:5]
	s_cbranch_execz .LBB138_189
; %bb.192:                              ;   in Loop: Header=BB138_191 Depth=2
	ds_load_u8 v11, v10
	s_wait_dscnt 0x0
	v_bfe_i32 v24, v11, 0, 8
	s_delay_alu instid0(VALU_DEP_1) | instskip(NEXT) | instid1(VALU_DEP_1)
	v_add_nc_u32_e32 v24, 0x80, v24
	v_and_b32_e32 v24, v24, v9
	s_delay_alu instid0(VALU_DEP_1)
	v_cmp_eq_u32_e32 vcc_lo, v24, v8
	s_and_b32 exec_lo, exec_lo, vcc_lo
	s_cbranch_execz .LBB138_189
; %bb.193:                              ;   in Loop: Header=BB138_191 Depth=2
	v_lshlrev_b16 v11, 8, v11
	s_delay_alu instid0(VALU_DEP_1)
	v_or_b32_e32 v11, 1, v11
	ds_store_b16 v3, v11 offset:3072
	s_branch .LBB138_189
.LBB138_194:                            ;   in Loop: Header=BB138_191 Depth=2
	v_add_nc_u64_e32 v[4:5], s[56:57], v[4:5]
	v_add_nc_u32_e32 v10, s56, v10
	s_mov_b32 s67, 0
	s_delay_alu instid0(VALU_DEP_2)
	v_cmp_le_u64_e32 vcc_lo, s[20:21], v[4:5]
	s_or_not1_b32 s4, vcc_lo, exec_lo
	s_branch .LBB138_190
.LBB138_195:                            ;   in Loop: Header=BB138_18 Depth=1
                                        ; implicit-def: $sgpr22_sgpr23
	s_branch .LBB138_141
.LBB138_196:                            ;   in Loop: Header=BB138_18 Depth=1
                                        ; implicit-def: $sgpr10_sgpr11
	s_branch .LBB138_157
.LBB138_197:                            ;   in Loop: Header=BB138_18 Depth=1
	s_or_b32 exec_lo, exec_lo, s22
	v_and_b32_e32 v4, 0xffff, v11
	s_and_b32 s22, s66, exec_lo
	s_delay_alu instid0(VALU_DEP_1)
	v_lshrrev_b32_e32 v10, 8, v4
.LBB138_198:                            ;   in Loop: Header=BB138_18 Depth=1
	s_or_b32 exec_lo, exec_lo, s28
.LBB138_199:                            ;   in Loop: Header=BB138_18 Depth=1
	s_delay_alu instid0(SALU_CYCLE_1)
	s_and_b32 vcc_lo, exec_lo, s23
	s_cbranch_vccz .LBB138_213
; %bb.200:                              ;   in Loop: Header=BB138_18 Depth=1
	s_and_b64 s[10:11], s[76:77], 0xffffffff00000000
	s_delay_alu instid0(SALU_CYCLE_1)
	s_cmp_lg_u64 s[10:11], 0
	s_cbranch_scc0 .LBB138_232
; %bb.201:                              ;   in Loop: Header=BB138_18 Depth=1
	s_cvt_f32_u32 s4, s56
	s_sub_nc_u64 s[20:21], 0, s[56:57]
	s_delay_alu instid0(SALU_CYCLE_2) | instskip(NEXT) | instid1(SALU_CYCLE_3)
	s_fmamk_f32 s4, s71, 0x0, s4
	v_s_rcp_f32 s4, s4
	s_delay_alu instid0(TRANS32_DEP_1) | instskip(NEXT) | instid1(SALU_CYCLE_3)
	s_mul_f32 s4, s4, 0x5f7ffffc
	s_mul_f32 s10, s4, 0x2f800000
	s_delay_alu instid0(SALU_CYCLE_3) | instskip(NEXT) | instid1(SALU_CYCLE_3)
	s_trunc_f32 s10, s10
	s_fmamk_f32 s4, s10, 0xcf800000, s4
	s_cvt_u32_f32 s11, s10
	s_delay_alu instid0(SALU_CYCLE_2) | instskip(NEXT) | instid1(SALU_CYCLE_3)
	s_cvt_u32_f32 s10, s4
	s_mul_u64 s[40:41], s[20:21], s[10:11]
	s_delay_alu instid0(SALU_CYCLE_1)
	s_mul_hi_u32 s43, s10, s41
	s_mul_i32 s42, s10, s41
	s_mul_hi_u32 s28, s10, s40
	s_mul_i32 s23, s11, s40
	s_add_nc_u64 s[42:43], s[28:29], s[42:43]
	s_mul_hi_u32 s4, s11, s40
	s_mul_hi_u32 s60, s11, s41
	s_add_co_u32 s23, s42, s23
	s_add_co_ci_u32 s28, s43, s4
	s_mul_i32 s40, s11, s41
	s_add_co_ci_u32 s41, s60, 0
	s_delay_alu instid0(SALU_CYCLE_1) | instskip(NEXT) | instid1(SALU_CYCLE_1)
	s_add_nc_u64 s[40:41], s[28:29], s[40:41]
	s_add_co_u32 s10, s10, s40
	s_cselect_b32 s4, -1, 0
	s_delay_alu instid0(SALU_CYCLE_1) | instskip(SKIP_1) | instid1(SALU_CYCLE_1)
	s_cmp_lg_u32 s4, 0
	s_add_co_ci_u32 s11, s11, s41
	s_mul_u64 s[20:21], s[20:21], s[10:11]
	s_delay_alu instid0(SALU_CYCLE_1)
	s_mul_hi_u32 s41, s10, s21
	s_mul_i32 s40, s10, s21
	s_mul_hi_u32 s28, s10, s20
	s_mul_i32 s23, s11, s20
	s_add_nc_u64 s[40:41], s[28:29], s[40:41]
	s_mul_hi_u32 s4, s11, s20
	s_mul_hi_u32 s42, s11, s21
	s_mul_i32 s20, s11, s21
	s_add_co_u32 s21, s40, s23
	s_add_co_ci_u32 s28, s41, s4
	s_add_co_ci_u32 s21, s42, 0
	s_delay_alu instid0(SALU_CYCLE_1) | instskip(NEXT) | instid1(SALU_CYCLE_1)
	s_add_nc_u64 s[20:21], s[28:29], s[20:21]
	s_add_co_u32 s4, s10, s20
	s_cselect_b32 s10, -1, 0
	s_mul_hi_u32 s28, s76, s4
	s_cmp_lg_u32 s10, 0
	s_mul_hi_u32 s23, s77, s4
	s_add_co_ci_u32 s20, s11, s21
	s_mul_i32 s4, s77, s4
	s_mul_hi_u32 s11, s76, s20
	s_mul_i32 s10, s76, s20
	s_mul_hi_u32 s21, s77, s20
	s_add_nc_u64 s[10:11], s[28:29], s[10:11]
	s_mul_i32 s20, s77, s20
	s_add_co_u32 s4, s10, s4
	s_add_co_ci_u32 s28, s11, s23
	s_add_co_ci_u32 s21, s21, 0
	s_delay_alu instid0(SALU_CYCLE_1) | instskip(NEXT) | instid1(SALU_CYCLE_1)
	s_add_nc_u64 s[10:11], s[28:29], s[20:21]
	s_and_b64 s[20:21], s[10:11], 0xffffffff00000000
	s_delay_alu instid0(SALU_CYCLE_1) | instskip(NEXT) | instid1(SALU_CYCLE_1)
	s_or_b32 s20, s20, s10
	s_mul_u64 s[10:11], s[56:57], s[20:21]
	s_delay_alu instid0(SALU_CYCLE_1) | instskip(SKIP_1) | instid1(SALU_CYCLE_1)
	s_sub_co_u32 s4, s76, s10
	s_cselect_b32 s10, -1, 0
	s_cmp_lg_u32 s10, 0
	s_sub_co_ci_u32 s10, s77, s11
	s_sub_co_u32 s11, s4, s56
	s_cselect_b32 s20, -1, 0
	s_delay_alu instid0(SALU_CYCLE_1) | instskip(SKIP_3) | instid1(SALU_CYCLE_1)
	s_cmp_lg_u32 s20, 0
	s_sub_co_ci_u32 s20, s10, 0
	s_sub_co_u32 s21, s11, s56
	s_cselect_b32 s23, -1, 0
	s_cmp_lg_u32 s23, 0
	s_sub_co_ci_u32 s23, s20, 0
	s_cmp_ge_u32 s11, s56
	s_cselect_b32 s28, -1, 0
	s_cmp_eq_u32 s20, 0
	s_cselect_b32 s28, s28, -1
	s_delay_alu instid0(SALU_CYCLE_1)
	s_cmp_lg_u32 s28, 0
	s_cselect_b32 s20, s23, s20
	s_cselect_b32 s21, s21, s11
	s_cmp_ge_u32 s4, s56
	s_cselect_b32 s11, -1, 0
	s_cmp_eq_u32 s10, 0
	s_cselect_b32 s11, s11, -1
	s_delay_alu instid0(SALU_CYCLE_1)
	s_cmp_lg_u32 s11, 0
	s_cselect_b32 s11, s20, s10
	s_cselect_b32 s10, s21, s4
	s_cbranch_execnz .LBB138_203
.LBB138_202:                            ;   in Loop: Header=BB138_18 Depth=1
	v_cvt_f32_u32_e32 v4, s56
	s_sub_co_i32 s10, 0, s56
	s_delay_alu instid0(VALU_DEP_1) | instskip(SKIP_1) | instid1(TRANS32_DEP_1)
	v_rcp_iflag_f32_e32 v4, v4
	v_nop
	v_mul_f32_e32 v4, 0x4f7ffffe, v4
	s_delay_alu instid0(VALU_DEP_1) | instskip(NEXT) | instid1(VALU_DEP_1)
	v_cvt_u32_f32_e32 v4, v4
	v_readfirstlane_b32 s4, v4
	s_mul_i32 s10, s10, s4
	s_delay_alu instid0(SALU_CYCLE_1) | instskip(NEXT) | instid1(SALU_CYCLE_1)
	s_mul_hi_u32 s10, s4, s10
	s_add_co_i32 s4, s4, s10
	s_delay_alu instid0(SALU_CYCLE_1) | instskip(NEXT) | instid1(SALU_CYCLE_1)
	s_mul_hi_u32 s4, s76, s4
	s_mul_i32 s4, s4, s56
	s_delay_alu instid0(SALU_CYCLE_1) | instskip(NEXT) | instid1(SALU_CYCLE_1)
	s_sub_co_i32 s4, s76, s4
	s_sub_co_i32 s10, s4, s56
	s_cmp_ge_u32 s4, s56
	s_cselect_b32 s4, s10, s4
	s_delay_alu instid0(SALU_CYCLE_1) | instskip(SKIP_2) | instid1(SALU_CYCLE_1)
	s_sub_co_i32 s10, s4, s56
	s_cmp_ge_u32 s4, s56
	s_cselect_b32 s28, s10, s4
	s_mov_b64 s[10:11], s[28:29]
.LBB138_203:                            ;   in Loop: Header=BB138_18 Depth=1
	s_delay_alu instid0(SALU_CYCLE_1)
	s_sub_nc_u64 s[10:11], s[76:77], s[10:11]
	s_mov_b32 s20, exec_lo
                                        ; implicit-def: $vgpr10
	v_cmpx_gt_u64_e64 s[10:11], v[0:1]
	s_cbranch_execz .LBB138_212
; %bb.204:                              ;   in Loop: Header=BB138_18 Depth=1
	v_mov_b64_e32 v[4:5], v[0:1]
	s_mov_b32 s21, 0
                                        ; implicit-def: $sgpr23
	s_branch .LBB138_207
.LBB138_205:                            ;   in Loop: Header=BB138_207 Depth=2
	s_or_b32 exec_lo, exec_lo, s28
	s_wait_dscnt 0x0
	s_barrier_signal -1
	s_barrier_wait -1
	ds_load_u16 v10, v3 offset:3072
	s_mov_b32 s28, -1
	s_mov_b32 s4, -1
	s_wait_dscnt 0x0
	s_barrier_signal -1
	s_barrier_wait -1
	v_and_b32_e32 v11, 0xff, v10
	s_delay_alu instid0(VALU_DEP_1)
	v_cmp_eq_u32_e32 vcc_lo, 0, v11
	s_cbranch_vccnz .LBB138_210
.LBB138_206:                            ;   in Loop: Header=BB138_207 Depth=2
	s_and_b32 s28, exec_lo, s28
	s_delay_alu instid0(SALU_CYCLE_1) | instskip(SKIP_2) | instid1(SALU_CYCLE_1)
	s_or_b32 s21, s28, s21
	s_and_not1_b32 s23, s23, exec_lo
	s_and_b32 s4, s4, exec_lo
	s_or_b32 s23, s23, s4
	s_and_not1_b32 exec_lo, exec_lo, s21
	s_cbranch_execz .LBB138_211
.LBB138_207:                            ;   Parent Loop BB138_18 Depth=1
                                        ; =>  This Inner Loop Header: Depth=2
	s_mov_b32 s28, exec_lo
	s_delay_alu instid0(VALU_DEP_1)
	v_cmpx_gt_u64_e64 s[36:37], v[4:5]
	s_cbranch_execz .LBB138_205
; %bb.208:                              ;   in Loop: Header=BB138_207 Depth=2
	v_mad_nc_u64_u32 v[10:11], v4, s30, s[34:35]
	s_delay_alu instid0(VALU_DEP_1) | instskip(NEXT) | instid1(VALU_DEP_1)
	v_mad_u32 v11, v5, s30, v11
	v_mad_u32 v11, v4, s31, v11
	global_load_u8 v10, v[10:11], off
	s_wait_loadcnt 0x0
	v_bfe_i32 v11, v10, 0, 8
	s_delay_alu instid0(VALU_DEP_1) | instskip(NEXT) | instid1(VALU_DEP_1)
	v_add_nc_u32_e32 v11, 0x80, v11
	v_and_b32_e32 v11, v11, v9
	s_delay_alu instid0(VALU_DEP_1)
	v_cmp_eq_u32_e32 vcc_lo, v11, v8
	s_and_b32 exec_lo, exec_lo, vcc_lo
	s_cbranch_execz .LBB138_205
; %bb.209:                              ;   in Loop: Header=BB138_207 Depth=2
	v_lshlrev_b16 v10, 8, v10
	s_delay_alu instid0(VALU_DEP_1)
	v_or_b32_e32 v10, 1, v10
	ds_store_b16 v3, v10 offset:3072
	s_branch .LBB138_205
.LBB138_210:                            ;   in Loop: Header=BB138_207 Depth=2
	v_add_nc_u64_e32 v[4:5], s[56:57], v[4:5]
	s_mov_b32 s4, 0
	s_delay_alu instid0(VALU_DEP_1)
	v_cmp_le_u64_e32 vcc_lo, s[10:11], v[4:5]
	s_or_not1_b32 s28, vcc_lo, exec_lo
	s_branch .LBB138_206
.LBB138_211:                            ;   in Loop: Header=BB138_18 Depth=1
	s_or_b32 exec_lo, exec_lo, s21
	v_and_b32_e32 v4, 0xffff, v10
	s_and_not1_b32 s4, s22, exec_lo
	s_and_b32 s10, s23, exec_lo
	s_delay_alu instid0(SALU_CYCLE_1) | instskip(NEXT) | instid1(VALU_DEP_1)
	s_or_b32 s22, s4, s10
	v_lshrrev_b32_e32 v10, 8, v4
.LBB138_212:                            ;   in Loop: Header=BB138_18 Depth=1
	s_or_b32 exec_lo, exec_lo, s20
	s_mov_b32 s89, 0
	s_mov_b32 s90, -1
.LBB138_213:                            ;   in Loop: Header=BB138_18 Depth=1
	s_or_not1_b32 s10, s22, exec_lo
.LBB138_214:                            ;   in Loop: Header=BB138_18 Depth=1
	s_or_b32 exec_lo, exec_lo, s91
	s_mov_b32 s11, 0
	s_and_saveexec_b32 s91, s10
	s_cbranch_execz .LBB138_276
; %bb.215:                              ;   in Loop: Header=BB138_18 Depth=1
	v_mov_b64_e32 v[4:5], 1
	v_mov_b32_e32 v2, 1
	s_xor_b32 s4, s92, -1
	s_delay_alu instid0(SALU_CYCLE_1)
	s_and_saveexec_b32 s10, s4
	s_cbranch_execz .LBB138_224
; %bb.216:                              ;   in Loop: Header=BB138_18 Depth=1
	s_mov_b32 s4, exec_lo
	v_cmpx_ge_u64_e64 s[16:17], v[6:7]
	s_xor_b32 s11, exec_lo, s4
	s_cbranch_execz .LBB138_221
; %bb.217:                              ;   in Loop: Header=BB138_18 Depth=1
	ds_load_b64 v[4:5], v3 offset:5120
	s_lshl_b32 s4, 2, s72
	v_or_b32_e32 v9, s24, v9
	v_and_or_b32 v8, v8, s25, s4
	s_wait_dscnt 0x0
	v_cmp_ne_u64_e32 vcc_lo, 0, v[4:5]
	s_cbranch_vccnz .LBB138_221
; %bb.218:                              ;   in Loop: Header=BB138_18 Depth=1
	s_and_saveexec_b32 s4, s5
; %bb.219:                              ;   in Loop: Header=BB138_18 Depth=1
	v_mov_b64_e32 v[4:5], s[16:17]
	ds_store_b64 v3, v[4:5] offset:5128
; %bb.220:                              ;   in Loop: Header=BB138_18 Depth=1
	s_or_b32 exec_lo, exec_lo, s4
	s_wait_dscnt 0x0
	s_barrier_signal -1
	s_barrier_wait -1
.LBB138_221:                            ;   in Loop: Header=BB138_18 Depth=1
	s_or_saveexec_b32 s11, s11
	v_mov_b32_e32 v2, 8
	s_mov_b32 s20, 0
	s_xor_b32 exec_lo, exec_lo, s11
; %bb.222:                              ;   in Loop: Header=BB138_18 Depth=1
	v_sub_nc_u64_e64 v[6:7], v[6:7], s[16:17]
	v_mov_b32_e32 v2, 0
	s_mov_b32 s20, exec_lo
; %bb.223:                              ;   in Loop: Header=BB138_18 Depth=1
	s_or_b32 exec_lo, exec_lo, s11
	s_delay_alu instid0(VALU_DEP_2)
	v_mov_b64_e32 v[4:5], v[6:7]
	s_and_b32 s11, s20, exec_lo
.LBB138_224:                            ;   in Loop: Header=BB138_18 Depth=1
	s_or_b32 exec_lo, exec_lo, s10
	s_mov_b32 s10, -1
                                        ; implicit-def: $sgpr66
                                        ; implicit-def: $sgpr95
	s_and_saveexec_b32 s92, s11
	s_cbranch_execz .LBB138_275
; %bb.225:                              ;   in Loop: Header=BB138_18 Depth=1
	s_delay_alu instid0(VALU_DEP_1) | instskip(SKIP_3) | instid1(SALU_CYCLE_1)
	v_cmp_eq_u64_e32 vcc_lo, 1, v[4:5]
	s_cmp_eq_u64 s[18:19], 1
	s_mov_b32 s11, -1
	s_cselect_b32 s4, -1, 0
                                        ; implicit-def: $sgpr66
                                        ; implicit-def: $sgpr95
	s_and_b32 s93, s4, vcc_lo
	s_delay_alu instid0(SALU_CYCLE_1)
	s_and_saveexec_b32 s94, s93
	s_cbranch_execz .LBB138_263
; %bb.226:                              ;   in Loop: Header=BB138_18 Depth=1
	ds_load_b64 v[6:7], v3 offset:5120
	s_wait_dscnt 0x0
	s_barrier_signal -1
	s_barrier_wait -1
	v_readfirstlane_b32 s10, v6
	v_readfirstlane_b32 s11, v7
	s_and_saveexec_b32 s4, s6
; %bb.227:                              ;   in Loop: Header=BB138_18 Depth=1
	ds_store_b8 v0, v3 offset:3072
; %bb.228:                              ;   in Loop: Header=BB138_18 Depth=1
	s_or_b32 exec_lo, exec_lo, s4
	v_or_b32_e32 v8, s24, v8
	v_or_b32_e32 v9, s24, v9
	s_mov_b32 s95, -1
	s_mov_b32 s66, 0
	s_cmp_eq_u64 s[10:11], 0
	s_mov_b32 s22, 0
	s_mov_b32 s23, -1
	s_wait_dscnt 0x0
	s_barrier_signal -1
	s_barrier_wait -1
                                        ; implicit-def: $vgpr10
	s_cbranch_scc1 .LBB138_246
; %bb.229:                              ;   in Loop: Header=BB138_18 Depth=1
	s_add_nc_u64 s[20:21], s[10:11], s[74:75]
	s_delay_alu instid0(SALU_CYCLE_1) | instskip(NEXT) | instid1(SALU_CYCLE_1)
	s_and_b64 s[22:23], s[20:21], 0xffffffff00000000
	s_cmp_lg_u64 s[22:23], 0
	s_cbranch_scc0 .LBB138_233
; %bb.230:                              ;   in Loop: Header=BB138_18 Depth=1
	s_cvt_f32_u32 s4, s56
	s_sub_nc_u64 s[40:41], 0, s[56:57]
	s_delay_alu instid0(SALU_CYCLE_2) | instskip(NEXT) | instid1(SALU_CYCLE_3)
	s_fmamk_f32 s4, s71, 0x0, s4
	v_s_rcp_f32 s4, s4
	s_delay_alu instid0(TRANS32_DEP_1) | instskip(NEXT) | instid1(SALU_CYCLE_3)
	s_mul_f32 s4, s4, 0x5f7ffffc
	s_mul_f32 s22, s4, 0x2f800000
	s_delay_alu instid0(SALU_CYCLE_3) | instskip(NEXT) | instid1(SALU_CYCLE_3)
	s_trunc_f32 s22, s22
	s_fmamk_f32 s4, s22, 0xcf800000, s4
	s_cvt_u32_f32 s23, s22
	s_delay_alu instid0(SALU_CYCLE_2) | instskip(NEXT) | instid1(SALU_CYCLE_3)
	s_cvt_u32_f32 s22, s4
	s_mul_u64 s[42:43], s[40:41], s[22:23]
	s_delay_alu instid0(SALU_CYCLE_1)
	s_mul_hi_u32 s61, s22, s43
	s_mul_i32 s60, s22, s43
	s_mul_hi_u32 s28, s22, s42
	s_mul_i32 s67, s23, s42
	s_add_nc_u64 s[60:61], s[28:29], s[60:61]
	s_mul_hi_u32 s4, s23, s42
	s_mul_hi_u32 vcc_lo, s23, s43
	s_add_co_u32 s28, s60, s67
	s_add_co_ci_u32 s28, s61, s4
	s_mul_i32 s42, s23, s43
	s_add_co_ci_u32 s43, vcc_lo, 0
	s_delay_alu instid0(SALU_CYCLE_1) | instskip(NEXT) | instid1(SALU_CYCLE_1)
	s_add_nc_u64 s[42:43], s[28:29], s[42:43]
	s_add_co_u32 s22, s22, s42
	s_cselect_b32 s4, -1, 0
	s_delay_alu instid0(SALU_CYCLE_1) | instskip(SKIP_1) | instid1(SALU_CYCLE_1)
	s_cmp_lg_u32 s4, 0
	s_add_co_ci_u32 s23, s23, s43
	s_mul_u64 s[40:41], s[40:41], s[22:23]
	s_delay_alu instid0(SALU_CYCLE_1)
	s_mul_hi_u32 s43, s22, s41
	s_mul_i32 s42, s22, s41
	s_mul_hi_u32 s28, s22, s40
	s_mul_i32 s60, s23, s40
	s_add_nc_u64 s[42:43], s[28:29], s[42:43]
	s_mul_hi_u32 s4, s23, s40
	s_mul_hi_u32 s61, s23, s41
	s_add_co_u32 s28, s42, s60
	s_add_co_ci_u32 s28, s43, s4
	s_mul_i32 s40, s23, s41
	s_add_co_ci_u32 s41, s61, 0
	s_delay_alu instid0(SALU_CYCLE_1) | instskip(NEXT) | instid1(SALU_CYCLE_1)
	s_add_nc_u64 s[40:41], s[28:29], s[40:41]
	s_add_co_u32 s4, s22, s40
	s_cselect_b32 s22, -1, 0
	s_mul_hi_u32 s28, s20, s4
	s_cmp_lg_u32 s22, 0
	s_mul_hi_u32 s42, s21, s4
	s_add_co_ci_u32 s40, s23, s41
	s_mul_i32 s4, s21, s4
	s_mul_hi_u32 s23, s20, s40
	s_mul_i32 s22, s20, s40
	s_mul_hi_u32 s41, s21, s40
	s_add_nc_u64 s[22:23], s[28:29], s[22:23]
	s_mul_i32 s40, s21, s40
	s_add_co_u32 s4, s22, s4
	s_add_co_ci_u32 s28, s23, s42
	s_add_co_ci_u32 s41, s41, 0
	s_delay_alu instid0(SALU_CYCLE_1) | instskip(NEXT) | instid1(SALU_CYCLE_1)
	s_add_nc_u64 s[22:23], s[28:29], s[40:41]
	s_and_b64 s[40:41], s[22:23], 0xffffffff00000000
	s_delay_alu instid0(SALU_CYCLE_1) | instskip(NEXT) | instid1(SALU_CYCLE_1)
	s_or_b32 s40, s40, s22
	s_mul_u64 s[22:23], s[56:57], s[40:41]
	s_delay_alu instid0(SALU_CYCLE_1) | instskip(SKIP_1) | instid1(SALU_CYCLE_1)
	s_sub_co_u32 s4, s20, s22
	s_cselect_b32 s22, -1, 0
	s_cmp_lg_u32 s22, 0
	s_sub_co_ci_u32 s22, s21, s23
	s_sub_co_u32 s23, s4, s56
	s_cselect_b32 s28, -1, 0
	s_delay_alu instid0(SALU_CYCLE_1) | instskip(SKIP_3) | instid1(SALU_CYCLE_1)
	s_cmp_lg_u32 s28, 0
	s_sub_co_ci_u32 s28, s22, 0
	s_sub_co_u32 s40, s23, s56
	s_cselect_b32 s41, -1, 0
	s_cmp_lg_u32 s41, 0
	s_sub_co_ci_u32 s41, s28, 0
	s_cmp_ge_u32 s23, s56
	s_cselect_b32 s42, -1, 0
	s_cmp_eq_u32 s28, 0
	s_cselect_b32 s42, s42, -1
	s_delay_alu instid0(SALU_CYCLE_1)
	s_cmp_lg_u32 s42, 0
	s_cselect_b32 s28, s41, s28
	s_cselect_b32 s40, s40, s23
	s_cmp_ge_u32 s4, s56
	s_cselect_b32 s23, -1, 0
	s_cmp_eq_u32 s22, 0
	s_cselect_b32 s23, s23, -1
	s_delay_alu instid0(SALU_CYCLE_1)
	s_cmp_lg_u32 s23, 0
	s_cselect_b32 s23, s28, s22
	s_cselect_b32 s22, s40, s4
	s_mov_b32 s4, 0
	s_branch .LBB138_234
.LBB138_231:                            ;   in Loop: Header=BB138_18 Depth=1
                                        ; implicit-def: $sgpr22_sgpr23
	s_branch .LBB138_186
.LBB138_232:                            ;   in Loop: Header=BB138_18 Depth=1
                                        ; implicit-def: $sgpr10_sgpr11
	s_branch .LBB138_202
.LBB138_233:                            ;   in Loop: Header=BB138_18 Depth=1
	s_mov_b32 s4, -1
                                        ; implicit-def: $sgpr22_sgpr23
.LBB138_234:                            ;   in Loop: Header=BB138_18 Depth=1
	s_delay_alu instid0(SALU_CYCLE_1)
	s_and_not1_b32 vcc_lo, exec_lo, s4
	s_cbranch_vccnz .LBB138_236
; %bb.235:                              ;   in Loop: Header=BB138_18 Depth=1
	v_cvt_f32_u32_e32 v6, s56
	s_sub_co_i32 s22, 0, s56
	s_delay_alu instid0(VALU_DEP_1) | instskip(SKIP_1) | instid1(TRANS32_DEP_1)
	v_rcp_iflag_f32_e32 v6, v6
	v_nop
	v_mul_f32_e32 v6, 0x4f7ffffe, v6
	s_delay_alu instid0(VALU_DEP_1) | instskip(NEXT) | instid1(VALU_DEP_1)
	v_cvt_u32_f32_e32 v6, v6
	v_readfirstlane_b32 s4, v6
	s_mul_i32 s22, s22, s4
	s_delay_alu instid0(SALU_CYCLE_1) | instskip(NEXT) | instid1(SALU_CYCLE_1)
	s_mul_hi_u32 s22, s4, s22
	s_add_co_i32 s4, s4, s22
	s_delay_alu instid0(SALU_CYCLE_1) | instskip(NEXT) | instid1(SALU_CYCLE_1)
	s_mul_hi_u32 s4, s20, s4
	s_mul_i32 s4, s4, s56
	s_delay_alu instid0(SALU_CYCLE_1) | instskip(NEXT) | instid1(SALU_CYCLE_1)
	s_sub_co_i32 s4, s20, s4
	s_sub_co_i32 s22, s4, s56
	s_cmp_ge_u32 s4, s56
	s_cselect_b32 s4, s22, s4
	s_delay_alu instid0(SALU_CYCLE_1) | instskip(SKIP_2) | instid1(SALU_CYCLE_1)
	s_sub_co_i32 s22, s4, s56
	s_cmp_ge_u32 s4, s56
	s_cselect_b32 s28, s22, s4
	s_mov_b64 s[22:23], s[28:29]
.LBB138_236:                            ;   in Loop: Header=BB138_18 Depth=1
	s_delay_alu instid0(SALU_CYCLE_1)
	s_sub_nc_u64 s[20:21], s[20:21], s[22:23]
	s_mov_b32 s23, 0
	s_mov_b32 s22, 0
	s_mov_b32 s28, exec_lo
                                        ; implicit-def: $vgpr10
	v_cmpx_gt_u64_e64 s[20:21], v[0:1]
	s_cbranch_execz .LBB138_245
; %bb.237:                              ;   in Loop: Header=BB138_18 Depth=1
	v_mov_b64_e32 v[6:7], v[0:1]
	v_mov_b32_e32 v10, v0
                                        ; implicit-def: $sgpr67
	s_branch .LBB138_240
.LBB138_238:                            ;   in Loop: Header=BB138_240 Depth=2
	s_or_b32 exec_lo, exec_lo, s4
	s_wait_dscnt 0x0
	s_barrier_signal -1
	s_barrier_wait -1
	ds_load_u16 v11, v3 offset:3072
	s_mov_b32 s4, -1
	s_mov_b32 s40, -1
	s_wait_dscnt 0x0
	s_barrier_signal -1
	s_barrier_wait -1
	v_and_b32_e32 v24, 0xff, v11
	s_delay_alu instid0(VALU_DEP_1)
	v_cmp_ne_u32_e32 vcc_lo, 0, v24
	s_cbranch_vccz .LBB138_243
.LBB138_239:                            ;   in Loop: Header=BB138_240 Depth=2
	s_and_b32 s4, exec_lo, s4
	s_delay_alu instid0(SALU_CYCLE_1) | instskip(SKIP_2) | instid1(SALU_CYCLE_1)
	s_or_b32 s22, s4, s22
	s_and_not1_b32 s4, s67, exec_lo
	s_and_b32 s40, s40, exec_lo
	s_or_b32 s67, s4, s40
	s_and_not1_b32 exec_lo, exec_lo, s22
	s_cbranch_execz .LBB138_244
.LBB138_240:                            ;   Parent Loop BB138_18 Depth=1
                                        ; =>  This Inner Loop Header: Depth=2
	s_mov_b32 s4, exec_lo
	s_delay_alu instid0(VALU_DEP_2)
	v_cmpx_gt_u64_e64 s[10:11], v[6:7]
	s_cbranch_execz .LBB138_238
; %bb.241:                              ;   in Loop: Header=BB138_240 Depth=2
	ds_load_u8 v11, v10
	s_wait_dscnt 0x0
	v_bfe_i32 v24, v11, 0, 8
	s_delay_alu instid0(VALU_DEP_1) | instskip(NEXT) | instid1(VALU_DEP_1)
	v_add_nc_u32_e32 v24, 0x80, v24
	v_and_b32_e32 v24, v24, v9
	s_delay_alu instid0(VALU_DEP_1)
	v_cmp_eq_u32_e32 vcc_lo, v24, v8
	s_and_b32 exec_lo, exec_lo, vcc_lo
	s_cbranch_execz .LBB138_238
; %bb.242:                              ;   in Loop: Header=BB138_240 Depth=2
	v_lshlrev_b16 v11, 8, v11
	s_delay_alu instid0(VALU_DEP_1)
	v_or_b32_e32 v11, 1, v11
	ds_store_b16 v3, v11 offset:3072
	s_branch .LBB138_238
.LBB138_243:                            ;   in Loop: Header=BB138_240 Depth=2
	v_add_nc_u64_e32 v[6:7], s[56:57], v[6:7]
	v_add_nc_u32_e32 v10, s56, v10
	s_mov_b32 s40, 0
	s_delay_alu instid0(VALU_DEP_2)
	v_cmp_le_u64_e32 vcc_lo, s[20:21], v[6:7]
	s_or_not1_b32 s4, vcc_lo, exec_lo
	s_branch .LBB138_239
.LBB138_244:                            ;   in Loop: Header=BB138_18 Depth=1
	s_or_b32 exec_lo, exec_lo, s22
	v_and_b32_e32 v6, 0xffff, v11
	s_and_b32 s22, s67, exec_lo
	s_delay_alu instid0(VALU_DEP_1)
	v_lshrrev_b32_e32 v10, 8, v6
.LBB138_245:                            ;   in Loop: Header=BB138_18 Depth=1
	s_or_b32 exec_lo, exec_lo, s28
.LBB138_246:                            ;   in Loop: Header=BB138_18 Depth=1
	s_delay_alu instid0(SALU_CYCLE_1)
	s_and_b32 vcc_lo, exec_lo, s23
	s_cbranch_vccz .LBB138_262
; %bb.247:                              ;   in Loop: Header=BB138_18 Depth=1
	s_and_b64 s[10:11], s[76:77], 0xffffffff00000000
	s_delay_alu instid0(SALU_CYCLE_1)
	s_cmp_lg_u64 s[10:11], 0
	s_cbranch_scc0 .LBB138_249
; %bb.248:                              ;   in Loop: Header=BB138_18 Depth=1
	s_cvt_f32_u32 s4, s56
	s_sub_nc_u64 s[20:21], 0, s[56:57]
	s_delay_alu instid0(SALU_CYCLE_2) | instskip(NEXT) | instid1(SALU_CYCLE_3)
	s_fmamk_f32 s4, s71, 0x0, s4
	v_s_rcp_f32 s4, s4
	s_delay_alu instid0(TRANS32_DEP_1) | instskip(NEXT) | instid1(SALU_CYCLE_3)
	s_mul_f32 s4, s4, 0x5f7ffffc
	s_mul_f32 s10, s4, 0x2f800000
	s_delay_alu instid0(SALU_CYCLE_3) | instskip(NEXT) | instid1(SALU_CYCLE_3)
	s_trunc_f32 s10, s10
	s_fmamk_f32 s4, s10, 0xcf800000, s4
	s_cvt_u32_f32 s11, s10
	s_delay_alu instid0(SALU_CYCLE_2) | instskip(NEXT) | instid1(SALU_CYCLE_3)
	s_cvt_u32_f32 s10, s4
	s_mul_u64 s[40:41], s[20:21], s[10:11]
	s_delay_alu instid0(SALU_CYCLE_1)
	s_mul_hi_u32 s43, s10, s41
	s_mul_i32 s42, s10, s41
	s_mul_hi_u32 s28, s10, s40
	s_mul_i32 s23, s11, s40
	s_add_nc_u64 s[42:43], s[28:29], s[42:43]
	s_mul_hi_u32 s4, s11, s40
	s_mul_hi_u32 s60, s11, s41
	s_add_co_u32 s23, s42, s23
	s_add_co_ci_u32 s28, s43, s4
	s_mul_i32 s40, s11, s41
	s_add_co_ci_u32 s41, s60, 0
	s_delay_alu instid0(SALU_CYCLE_1) | instskip(NEXT) | instid1(SALU_CYCLE_1)
	s_add_nc_u64 s[40:41], s[28:29], s[40:41]
	s_add_co_u32 s10, s10, s40
	s_cselect_b32 s4, -1, 0
	s_delay_alu instid0(SALU_CYCLE_1) | instskip(SKIP_1) | instid1(SALU_CYCLE_1)
	s_cmp_lg_u32 s4, 0
	s_add_co_ci_u32 s11, s11, s41
	s_mul_u64 s[20:21], s[20:21], s[10:11]
	s_delay_alu instid0(SALU_CYCLE_1)
	s_mul_hi_u32 s41, s10, s21
	s_mul_i32 s40, s10, s21
	s_mul_hi_u32 s28, s10, s20
	s_mul_i32 s23, s11, s20
	s_add_nc_u64 s[40:41], s[28:29], s[40:41]
	s_mul_hi_u32 s4, s11, s20
	s_mul_hi_u32 s42, s11, s21
	s_mul_i32 s20, s11, s21
	s_add_co_u32 s21, s40, s23
	s_add_co_ci_u32 s28, s41, s4
	s_add_co_ci_u32 s21, s42, 0
	s_delay_alu instid0(SALU_CYCLE_1) | instskip(NEXT) | instid1(SALU_CYCLE_1)
	s_add_nc_u64 s[20:21], s[28:29], s[20:21]
	s_add_co_u32 s4, s10, s20
	s_cselect_b32 s10, -1, 0
	s_mul_hi_u32 s28, s76, s4
	s_cmp_lg_u32 s10, 0
	s_mul_hi_u32 s23, s77, s4
	s_add_co_ci_u32 s20, s11, s21
	s_mul_i32 s4, s77, s4
	s_mul_hi_u32 s11, s76, s20
	s_mul_i32 s10, s76, s20
	s_mul_hi_u32 s21, s77, s20
	s_add_nc_u64 s[10:11], s[28:29], s[10:11]
	s_mul_i32 s20, s77, s20
	s_add_co_u32 s4, s10, s4
	s_add_co_ci_u32 s28, s11, s23
	s_add_co_ci_u32 s21, s21, 0
	s_delay_alu instid0(SALU_CYCLE_1) | instskip(NEXT) | instid1(SALU_CYCLE_1)
	s_add_nc_u64 s[10:11], s[28:29], s[20:21]
	s_and_b64 s[20:21], s[10:11], 0xffffffff00000000
	s_delay_alu instid0(SALU_CYCLE_1) | instskip(NEXT) | instid1(SALU_CYCLE_1)
	s_or_b32 s20, s20, s10
	s_mul_u64 s[10:11], s[56:57], s[20:21]
	s_delay_alu instid0(SALU_CYCLE_1) | instskip(SKIP_1) | instid1(SALU_CYCLE_1)
	s_sub_co_u32 s4, s76, s10
	s_cselect_b32 s10, -1, 0
	s_cmp_lg_u32 s10, 0
	s_sub_co_ci_u32 s10, s77, s11
	s_sub_co_u32 s11, s4, s56
	s_cselect_b32 s20, -1, 0
	s_delay_alu instid0(SALU_CYCLE_1) | instskip(SKIP_3) | instid1(SALU_CYCLE_1)
	s_cmp_lg_u32 s20, 0
	s_sub_co_ci_u32 s20, s10, 0
	s_sub_co_u32 s21, s11, s56
	s_cselect_b32 s23, -1, 0
	s_cmp_lg_u32 s23, 0
	s_sub_co_ci_u32 s23, s20, 0
	s_cmp_ge_u32 s11, s56
	s_cselect_b32 s28, -1, 0
	s_cmp_eq_u32 s20, 0
	s_cselect_b32 s28, s28, -1
	s_delay_alu instid0(SALU_CYCLE_1)
	s_cmp_lg_u32 s28, 0
	s_cselect_b32 s20, s23, s20
	s_cselect_b32 s21, s21, s11
	s_cmp_ge_u32 s4, s56
	s_cselect_b32 s11, -1, 0
	s_cmp_eq_u32 s10, 0
	s_cselect_b32 s11, s11, -1
	s_delay_alu instid0(SALU_CYCLE_1)
	s_cmp_lg_u32 s11, 0
	s_cselect_b32 s11, s20, s10
	s_cselect_b32 s10, s21, s4
	s_mov_b32 s4, 0
	s_branch .LBB138_250
.LBB138_249:                            ;   in Loop: Header=BB138_18 Depth=1
	s_mov_b32 s4, -1
                                        ; implicit-def: $sgpr10_sgpr11
.LBB138_250:                            ;   in Loop: Header=BB138_18 Depth=1
	s_delay_alu instid0(SALU_CYCLE_1)
	s_and_not1_b32 vcc_lo, exec_lo, s4
	s_cbranch_vccnz .LBB138_252
; %bb.251:                              ;   in Loop: Header=BB138_18 Depth=1
	v_cvt_f32_u32_e32 v6, s56
	s_sub_co_i32 s10, 0, s56
	s_delay_alu instid0(VALU_DEP_1) | instskip(SKIP_1) | instid1(TRANS32_DEP_1)
	v_rcp_iflag_f32_e32 v6, v6
	v_nop
	v_mul_f32_e32 v6, 0x4f7ffffe, v6
	s_delay_alu instid0(VALU_DEP_1) | instskip(NEXT) | instid1(VALU_DEP_1)
	v_cvt_u32_f32_e32 v6, v6
	v_readfirstlane_b32 s4, v6
	s_mul_i32 s10, s10, s4
	s_delay_alu instid0(SALU_CYCLE_1) | instskip(NEXT) | instid1(SALU_CYCLE_1)
	s_mul_hi_u32 s10, s4, s10
	s_add_co_i32 s4, s4, s10
	s_delay_alu instid0(SALU_CYCLE_1) | instskip(NEXT) | instid1(SALU_CYCLE_1)
	s_mul_hi_u32 s4, s76, s4
	s_mul_i32 s4, s4, s56
	s_delay_alu instid0(SALU_CYCLE_1) | instskip(NEXT) | instid1(SALU_CYCLE_1)
	s_sub_co_i32 s4, s76, s4
	s_sub_co_i32 s10, s4, s56
	s_cmp_ge_u32 s4, s56
	s_cselect_b32 s4, s10, s4
	s_delay_alu instid0(SALU_CYCLE_1) | instskip(SKIP_2) | instid1(SALU_CYCLE_1)
	s_sub_co_i32 s10, s4, s56
	s_cmp_ge_u32 s4, s56
	s_cselect_b32 s28, s10, s4
	s_mov_b64 s[10:11], s[28:29]
.LBB138_252:                            ;   in Loop: Header=BB138_18 Depth=1
	s_delay_alu instid0(SALU_CYCLE_1)
	s_sub_nc_u64 s[10:11], s[76:77], s[10:11]
	s_mov_b32 s20, exec_lo
                                        ; implicit-def: $vgpr10
	v_cmpx_gt_u64_e64 s[10:11], v[0:1]
	s_cbranch_execz .LBB138_261
; %bb.253:                              ;   in Loop: Header=BB138_18 Depth=1
	v_mov_b64_e32 v[6:7], v[0:1]
	s_mov_b32 s21, 0
                                        ; implicit-def: $sgpr23
	s_branch .LBB138_256
.LBB138_254:                            ;   in Loop: Header=BB138_256 Depth=2
	s_or_b32 exec_lo, exec_lo, s28
	s_wait_dscnt 0x0
	s_barrier_signal -1
	s_barrier_wait -1
	ds_load_u16 v10, v3 offset:3072
	s_mov_b32 s28, -1
	s_mov_b32 s4, -1
	s_wait_dscnt 0x0
	s_barrier_signal -1
	s_barrier_wait -1
	v_and_b32_e32 v11, 0xff, v10
	s_delay_alu instid0(VALU_DEP_1)
	v_cmp_eq_u32_e32 vcc_lo, 0, v11
	s_cbranch_vccnz .LBB138_259
.LBB138_255:                            ;   in Loop: Header=BB138_256 Depth=2
	s_and_b32 s28, exec_lo, s28
	s_delay_alu instid0(SALU_CYCLE_1) | instskip(SKIP_2) | instid1(SALU_CYCLE_1)
	s_or_b32 s21, s28, s21
	s_and_not1_b32 s23, s23, exec_lo
	s_and_b32 s4, s4, exec_lo
	s_or_b32 s23, s23, s4
	s_and_not1_b32 exec_lo, exec_lo, s21
	s_cbranch_execz .LBB138_260
.LBB138_256:                            ;   Parent Loop BB138_18 Depth=1
                                        ; =>  This Inner Loop Header: Depth=2
	s_mov_b32 s28, exec_lo
	s_delay_alu instid0(VALU_DEP_1)
	v_cmpx_gt_u64_e64 s[36:37], v[6:7]
	s_cbranch_execz .LBB138_254
; %bb.257:                              ;   in Loop: Header=BB138_256 Depth=2
	v_mad_nc_u64_u32 v[10:11], v6, s30, s[34:35]
	s_delay_alu instid0(VALU_DEP_1) | instskip(NEXT) | instid1(VALU_DEP_1)
	v_mad_u32 v11, v7, s30, v11
	v_mad_u32 v11, v6, s31, v11
	global_load_u8 v10, v[10:11], off
	s_wait_loadcnt 0x0
	v_bfe_i32 v11, v10, 0, 8
	s_delay_alu instid0(VALU_DEP_1) | instskip(NEXT) | instid1(VALU_DEP_1)
	v_add_nc_u32_e32 v11, 0x80, v11
	v_and_b32_e32 v11, v11, v9
	s_delay_alu instid0(VALU_DEP_1)
	v_cmp_eq_u32_e32 vcc_lo, v11, v8
	s_and_b32 exec_lo, exec_lo, vcc_lo
	s_cbranch_execz .LBB138_254
; %bb.258:                              ;   in Loop: Header=BB138_256 Depth=2
	v_lshlrev_b16 v10, 8, v10
	s_delay_alu instid0(VALU_DEP_1)
	v_or_b32_e32 v10, 1, v10
	ds_store_b16 v3, v10 offset:3072
	s_branch .LBB138_254
.LBB138_259:                            ;   in Loop: Header=BB138_256 Depth=2
	v_add_nc_u64_e32 v[6:7], s[56:57], v[6:7]
	s_mov_b32 s4, 0
	s_delay_alu instid0(VALU_DEP_1)
	v_cmp_le_u64_e32 vcc_lo, s[10:11], v[6:7]
	s_or_not1_b32 s28, vcc_lo, exec_lo
	s_branch .LBB138_255
.LBB138_260:                            ;   in Loop: Header=BB138_18 Depth=1
	s_or_b32 exec_lo, exec_lo, s21
	v_and_b32_e32 v6, 0xffff, v10
	s_and_not1_b32 s4, s22, exec_lo
	s_and_b32 s10, s23, exec_lo
	s_delay_alu instid0(SALU_CYCLE_1) | instskip(NEXT) | instid1(VALU_DEP_1)
	s_or_b32 s22, s4, s10
	v_lshrrev_b32_e32 v10, 8, v6
.LBB138_261:                            ;   in Loop: Header=BB138_18 Depth=1
	s_or_b32 exec_lo, exec_lo, s20
	s_mov_b32 s95, 0
	s_mov_b32 s66, -1
.LBB138_262:                            ;   in Loop: Header=BB138_18 Depth=1
	s_or_not1_b32 s11, s22, exec_lo
.LBB138_263:                            ;   in Loop: Header=BB138_18 Depth=1
	s_or_b32 exec_lo, exec_lo, s94
	s_mov_b32 s20, 0
	s_and_saveexec_b32 s10, s11
	s_cbranch_execz .LBB138_274
; %bb.264:                              ;   in Loop: Header=BB138_18 Depth=1
	v_mov_b64_e32 v[6:7], 1
	v_mov_b32_e32 v2, 1
	s_xor_b32 s4, s93, -1
	s_delay_alu instid0(SALU_CYCLE_1)
	s_and_saveexec_b32 s11, s4
	s_cbranch_execz .LBB138_273
; %bb.265:                              ;   in Loop: Header=BB138_18 Depth=1
	s_mov_b32 s4, exec_lo
	v_cmpx_ge_u64_e64 s[18:19], v[4:5]
	s_xor_b32 s20, exec_lo, s4
	s_cbranch_execz .LBB138_270
; %bb.266:                              ;   in Loop: Header=BB138_18 Depth=1
	ds_load_b64 v[6:7], v3 offset:5120
	v_or_b32_e32 v8, s24, v8
	v_or_b32_e32 v9, s24, v9
	s_wait_dscnt 0x0
	v_cmp_ne_u64_e32 vcc_lo, 0, v[6:7]
	s_cbranch_vccnz .LBB138_270
; %bb.267:                              ;   in Loop: Header=BB138_18 Depth=1
	s_and_saveexec_b32 s4, s5
; %bb.268:                              ;   in Loop: Header=BB138_18 Depth=1
	v_mov_b64_e32 v[6:7], s[18:19]
	ds_store_b64 v3, v[6:7] offset:5128
; %bb.269:                              ;   in Loop: Header=BB138_18 Depth=1
	s_or_b32 exec_lo, exec_lo, s4
	s_wait_dscnt 0x0
	s_barrier_signal -1
	s_barrier_wait -1
.LBB138_270:                            ;   in Loop: Header=BB138_18 Depth=1
	s_and_not1_saveexec_b32 s4, s20
; %bb.271:                              ;   in Loop: Header=BB138_18 Depth=1
	v_sub_nc_u64_e64 v[4:5], v[4:5], s[18:19]
; %bb.272:                              ;   in Loop: Header=BB138_18 Depth=1
	s_or_b32 exec_lo, exec_lo, s4
	s_delay_alu instid0(VALU_DEP_1)
	v_mov_b64_e32 v[6:7], v[4:5]
	v_mov_b32_e32 v2, 8
.LBB138_273:                            ;   in Loop: Header=BB138_18 Depth=1
	s_or_b32 exec_lo, exec_lo, s11
	s_delay_alu instid0(VALU_DEP_2)
	v_mov_b64_e32 v[4:5], v[6:7]
	s_mov_b32 s20, exec_lo
.LBB138_274:                            ;   in Loop: Header=BB138_18 Depth=1
	s_or_b32 exec_lo, exec_lo, s10
	s_delay_alu instid0(SALU_CYCLE_1)
	s_or_not1_b32 s10, s20, exec_lo
.LBB138_275:                            ;   in Loop: Header=BB138_18 Depth=1
	s_or_b32 exec_lo, exec_lo, s92
	s_delay_alu instid0(VALU_DEP_1)
	v_mov_b64_e32 v[6:7], v[4:5]
	s_and_not1_b32 s4, s90, exec_lo
	s_and_b32 s11, s66, exec_lo
	s_and_not1_b32 s20, s89, exec_lo
	s_and_b32 s21, s95, exec_lo
	s_or_b32 s90, s4, s11
	s_or_b32 s89, s20, s21
	s_and_b32 s11, s10, exec_lo
.LBB138_276:                            ;   in Loop: Header=BB138_18 Depth=1
	s_or_b32 exec_lo, exec_lo, s91
	s_delay_alu instid0(SALU_CYCLE_1)
	s_or_not1_b32 s10, s11, exec_lo
.LBB138_277:                            ;   in Loop: Header=BB138_18 Depth=1
	s_or_b32 exec_lo, exec_lo, s88
	v_mov_b64_e32 v[4:5], v[6:7]
	s_and_not1_b32 s4, s86, exec_lo
	s_and_b32 s11, s90, exec_lo
	s_and_not1_b32 s20, s63, exec_lo
	s_and_b32 s21, s89, exec_lo
	s_or_b32 s86, s4, s11
	s_or_b32 s63, s20, s21
	s_and_b32 s11, s10, exec_lo
.LBB138_278:                            ;   in Loop: Header=BB138_18 Depth=1
	s_or_b32 exec_lo, exec_lo, s87
	s_delay_alu instid0(SALU_CYCLE_1)
	s_or_not1_b32 s10, s11, exec_lo
.LBB138_279:                            ;   in Loop: Header=BB138_18 Depth=1
	s_or_b32 exec_lo, exec_lo, s27
	s_mov_b32 s11, 0
	s_mov_b32 s20, 0
	s_and_saveexec_b32 s4, s10
	s_delay_alu instid0(SALU_CYCLE_1)
	s_xor_b32 s4, exec_lo, s4
; %bb.280:                              ;   in Loop: Header=BB138_18 Depth=1
	v_cmp_ne_u32_e32 vcc_lo, 8, v2
	v_cmp_eq_u32_e64 s10, 8, v2
	s_and_b32 s20, vcc_lo, exec_lo
	s_and_b32 s11, s10, exec_lo
; %bb.281:                              ;   in Loop: Header=BB138_18 Depth=1
	s_or_b32 exec_lo, exec_lo, s4
	s_delay_alu instid0(SALU_CYCLE_1)
	s_and_not1_b32 s4, s83, exec_lo
	s_and_b32 s10, s86, exec_lo
	s_and_not1_b32 s21, s82, exec_lo
	s_and_b32 s22, s63, exec_lo
	s_or_b32 s83, s4, s10
	s_or_b32 s82, s21, s22
	s_and_b32 s27, s20, exec_lo
	s_and_b32 s63, s11, exec_lo
.LBB138_282:                            ;   in Loop: Header=BB138_18 Depth=1
	s_or_b32 exec_lo, exec_lo, s85
.LBB138_283:                            ;   in Loop: Header=BB138_18 Depth=1
	s_delay_alu instid0(SALU_CYCLE_1)
	s_and_b32 vcc_lo, exec_lo, s84
	s_cbranch_vccz .LBB138_299
; %bb.284:                              ;   in Loop: Header=BB138_18 Depth=1
	s_cmp_eq_u64 s[18:19], 1
	s_mov_b32 s10, -1
	s_cselect_b32 s4, -1, 0
                                        ; implicit-def: $sgpr84
                                        ; implicit-def: $sgpr26
	s_delay_alu instid0(SALU_CYCLE_1) | instskip(NEXT) | instid1(SALU_CYCLE_1)
	s_and_b32 s9, s4, s9
	s_and_saveexec_b32 s82, s9
	s_cbranch_execz .LBB138_317
; %bb.285:                              ;   in Loop: Header=BB138_18 Depth=1
	ds_load_b64 v[4:5], v3 offset:5120
	s_wait_dscnt 0x0
	s_barrier_signal -1
	s_barrier_wait -1
	v_readfirstlane_b32 s10, v4
	v_readfirstlane_b32 s11, v5
	s_and_saveexec_b32 s4, s6
; %bb.286:                              ;   in Loop: Header=BB138_18 Depth=1
	ds_store_b8 v0, v3 offset:3072
; %bb.287:                              ;   in Loop: Header=BB138_18 Depth=1
	s_or_b32 exec_lo, exec_lo, s4
	v_or_b32_e32 v29, s24, v29
	v_or_b32_e32 v31, s24, v31
	s_mov_b32 s26, -1
	s_mov_b32 s84, 0
	s_cmp_eq_u64 s[10:11], 0
	s_mov_b32 s22, 0
	s_mov_b32 s23, -1
	s_wait_dscnt 0x0
	s_barrier_signal -1
	s_barrier_wait -1
                                        ; implicit-def: $vgpr32
	s_cbranch_scc1 .LBB138_302
; %bb.288:                              ;   in Loop: Header=BB138_18 Depth=1
	s_add_nc_u64 s[20:21], s[10:11], s[74:75]
	s_delay_alu instid0(SALU_CYCLE_1) | instskip(NEXT) | instid1(SALU_CYCLE_1)
	s_and_b64 s[22:23], s[20:21], 0xffffffff00000000
	s_cmp_lg_u64 s[22:23], 0
	s_cbranch_scc0 .LBB138_340
; %bb.289:                              ;   in Loop: Header=BB138_18 Depth=1
	s_cvt_f32_u32 s4, s56
	s_sub_nc_u64 s[40:41], 0, s[56:57]
	s_delay_alu instid0(SALU_CYCLE_2) | instskip(NEXT) | instid1(SALU_CYCLE_3)
	s_fmamk_f32 s4, s71, 0x0, s4
	v_s_rcp_f32 s4, s4
	s_delay_alu instid0(TRANS32_DEP_1) | instskip(NEXT) | instid1(SALU_CYCLE_3)
	s_mul_f32 s4, s4, 0x5f7ffffc
	s_mul_f32 s22, s4, 0x2f800000
	s_delay_alu instid0(SALU_CYCLE_3) | instskip(NEXT) | instid1(SALU_CYCLE_3)
	s_trunc_f32 s22, s22
	s_fmamk_f32 s4, s22, 0xcf800000, s4
	s_cvt_u32_f32 s23, s22
	s_delay_alu instid0(SALU_CYCLE_2) | instskip(NEXT) | instid1(SALU_CYCLE_3)
	s_cvt_u32_f32 s22, s4
	s_mul_u64 s[42:43], s[40:41], s[22:23]
	s_delay_alu instid0(SALU_CYCLE_1)
	s_mul_hi_u32 s67, s22, s43
	s_mul_i32 s66, s22, s43
	s_mul_hi_u32 s28, s22, s42
	s_mul_i32 s60, s23, s42
	s_add_nc_u64 s[66:67], s[28:29], s[66:67]
	s_mul_hi_u32 s4, s23, s42
	s_mul_hi_u32 s61, s23, s43
	s_add_co_u32 s28, s66, s60
	s_add_co_ci_u32 s28, s67, s4
	s_mul_i32 s42, s23, s43
	s_add_co_ci_u32 s43, s61, 0
	s_delay_alu instid0(SALU_CYCLE_1) | instskip(NEXT) | instid1(SALU_CYCLE_1)
	s_add_nc_u64 s[42:43], s[28:29], s[42:43]
	s_add_co_u32 s22, s22, s42
	s_cselect_b32 s4, -1, 0
	s_delay_alu instid0(SALU_CYCLE_1) | instskip(SKIP_1) | instid1(SALU_CYCLE_1)
	s_cmp_lg_u32 s4, 0
	s_add_co_ci_u32 s23, s23, s43
	s_mul_u64 s[40:41], s[40:41], s[22:23]
	s_delay_alu instid0(SALU_CYCLE_1)
	s_mul_hi_u32 s43, s22, s41
	s_mul_i32 s42, s22, s41
	s_mul_hi_u32 s28, s22, s40
	s_mul_i32 s60, s23, s40
	s_add_nc_u64 s[42:43], s[28:29], s[42:43]
	s_mul_hi_u32 s4, s23, s40
	s_mul_hi_u32 s61, s23, s41
	s_add_co_u32 s28, s42, s60
	s_add_co_ci_u32 s28, s43, s4
	s_mul_i32 s40, s23, s41
	s_add_co_ci_u32 s41, s61, 0
	s_delay_alu instid0(SALU_CYCLE_1) | instskip(NEXT) | instid1(SALU_CYCLE_1)
	s_add_nc_u64 s[40:41], s[28:29], s[40:41]
	s_add_co_u32 s4, s22, s40
	s_cselect_b32 s22, -1, 0
	s_mul_hi_u32 s28, s20, s4
	s_cmp_lg_u32 s22, 0
	s_mul_hi_u32 s42, s21, s4
	s_add_co_ci_u32 s40, s23, s41
	s_mul_i32 s4, s21, s4
	s_mul_hi_u32 s23, s20, s40
	s_mul_i32 s22, s20, s40
	s_mul_hi_u32 s41, s21, s40
	s_add_nc_u64 s[22:23], s[28:29], s[22:23]
	s_mul_i32 s40, s21, s40
	s_add_co_u32 s4, s22, s4
	s_add_co_ci_u32 s28, s23, s42
	s_add_co_ci_u32 s41, s41, 0
	s_delay_alu instid0(SALU_CYCLE_1) | instskip(NEXT) | instid1(SALU_CYCLE_1)
	s_add_nc_u64 s[22:23], s[28:29], s[40:41]
	s_and_b64 s[40:41], s[22:23], 0xffffffff00000000
	s_delay_alu instid0(SALU_CYCLE_1) | instskip(NEXT) | instid1(SALU_CYCLE_1)
	s_or_b32 s40, s40, s22
	s_mul_u64 s[22:23], s[56:57], s[40:41]
	s_delay_alu instid0(SALU_CYCLE_1) | instskip(SKIP_1) | instid1(SALU_CYCLE_1)
	s_sub_co_u32 s4, s20, s22
	s_cselect_b32 s22, -1, 0
	s_cmp_lg_u32 s22, 0
	s_sub_co_ci_u32 s22, s21, s23
	s_sub_co_u32 s23, s4, s56
	s_cselect_b32 s28, -1, 0
	s_delay_alu instid0(SALU_CYCLE_1) | instskip(SKIP_3) | instid1(SALU_CYCLE_1)
	s_cmp_lg_u32 s28, 0
	s_sub_co_ci_u32 s28, s22, 0
	s_sub_co_u32 s40, s23, s56
	s_cselect_b32 s41, -1, 0
	s_cmp_lg_u32 s41, 0
	s_sub_co_ci_u32 s41, s28, 0
	s_cmp_ge_u32 s23, s56
	s_cselect_b32 s42, -1, 0
	s_cmp_eq_u32 s28, 0
	s_cselect_b32 s42, s42, -1
	s_delay_alu instid0(SALU_CYCLE_1)
	s_cmp_lg_u32 s42, 0
	s_cselect_b32 s28, s41, s28
	s_cselect_b32 s40, s40, s23
	s_cmp_ge_u32 s4, s56
	s_cselect_b32 s23, -1, 0
	s_cmp_eq_u32 s22, 0
	s_cselect_b32 s23, s23, -1
	s_delay_alu instid0(SALU_CYCLE_1)
	s_cmp_lg_u32 s23, 0
	s_cselect_b32 s23, s28, s22
	s_cselect_b32 s22, s40, s4
	s_cbranch_execnz .LBB138_291
.LBB138_290:                            ;   in Loop: Header=BB138_18 Depth=1
	v_cvt_f32_u32_e32 v2, s56
	s_sub_co_i32 s22, 0, s56
	s_delay_alu instid0(VALU_DEP_1) | instskip(SKIP_1) | instid1(TRANS32_DEP_1)
	v_rcp_iflag_f32_e32 v2, v2
	v_nop
	v_mul_f32_e32 v2, 0x4f7ffffe, v2
	s_delay_alu instid0(VALU_DEP_1) | instskip(NEXT) | instid1(VALU_DEP_1)
	v_cvt_u32_f32_e32 v2, v2
	v_readfirstlane_b32 s4, v2
	s_mul_i32 s22, s22, s4
	s_delay_alu instid0(SALU_CYCLE_1) | instskip(NEXT) | instid1(SALU_CYCLE_1)
	s_mul_hi_u32 s22, s4, s22
	s_add_co_i32 s4, s4, s22
	s_delay_alu instid0(SALU_CYCLE_1) | instskip(NEXT) | instid1(SALU_CYCLE_1)
	s_mul_hi_u32 s4, s20, s4
	s_mul_i32 s4, s4, s56
	s_delay_alu instid0(SALU_CYCLE_1) | instskip(NEXT) | instid1(SALU_CYCLE_1)
	s_sub_co_i32 s4, s20, s4
	s_sub_co_i32 s22, s4, s56
	s_cmp_ge_u32 s4, s56
	s_cselect_b32 s4, s22, s4
	s_delay_alu instid0(SALU_CYCLE_1) | instskip(SKIP_2) | instid1(SALU_CYCLE_1)
	s_sub_co_i32 s22, s4, s56
	s_cmp_ge_u32 s4, s56
	s_cselect_b32 s28, s22, s4
	s_mov_b64 s[22:23], s[28:29]
.LBB138_291:                            ;   in Loop: Header=BB138_18 Depth=1
	s_delay_alu instid0(SALU_CYCLE_1)
	s_sub_nc_u64 s[20:21], s[20:21], s[22:23]
	s_mov_b32 s23, 0
	s_mov_b32 s22, 0
	s_mov_b32 s28, exec_lo
                                        ; implicit-def: $vgpr32
	v_cmpx_gt_u64_e64 s[20:21], v[0:1]
	s_cbranch_execz .LBB138_301
; %bb.292:                              ;   in Loop: Header=BB138_18 Depth=1
	v_mov_b64_e32 v[4:5], v[0:1]
	v_mov_b32_e32 v2, v0
                                        ; implicit-def: $sgpr66
	s_branch .LBB138_295
.LBB138_293:                            ;   in Loop: Header=BB138_295 Depth=2
	s_or_b32 exec_lo, exec_lo, s67
	s_wait_dscnt 0x0
	s_barrier_signal -1
	s_barrier_wait -1
	ds_load_u16 v6, v3 offset:3072
	s_mov_b32 s4, -1
	s_mov_b32 s40, -1
	s_wait_dscnt 0x0
	s_barrier_signal -1
	s_barrier_wait -1
	v_and_b32_e32 v7, 0xff, v6
	s_delay_alu instid0(VALU_DEP_1)
	v_cmp_ne_u32_e32 vcc_lo, 0, v7
	s_cbranch_vccz .LBB138_298
.LBB138_294:                            ;   in Loop: Header=BB138_295 Depth=2
	s_and_b32 s4, exec_lo, s4
	s_delay_alu instid0(SALU_CYCLE_1) | instskip(SKIP_2) | instid1(SALU_CYCLE_1)
	s_or_b32 s22, s4, s22
	s_and_not1_b32 s4, s66, exec_lo
	s_and_b32 s40, s40, exec_lo
	s_or_b32 s66, s4, s40
	s_and_not1_b32 exec_lo, exec_lo, s22
	s_cbranch_execz .LBB138_300
.LBB138_295:                            ;   Parent Loop BB138_18 Depth=1
                                        ; =>  This Inner Loop Header: Depth=2
	s_mov_b32 s67, exec_lo
	s_delay_alu instid0(VALU_DEP_2)
	v_cmpx_gt_u64_e64 s[10:11], v[4:5]
	s_cbranch_execz .LBB138_293
; %bb.296:                              ;   in Loop: Header=BB138_295 Depth=2
	ds_load_u8 v6, v2
	s_wait_dscnt 0x0
	v_bfe_i32 v7, v6, 0, 8
	s_delay_alu instid0(VALU_DEP_1) | instskip(NEXT) | instid1(VALU_DEP_1)
	v_add_nc_u32_e32 v7, 0x80, v7
	v_and_b32_e32 v7, v7, v31
	s_delay_alu instid0(VALU_DEP_1)
	v_cmp_eq_u32_e32 vcc_lo, v7, v29
	s_and_b32 exec_lo, exec_lo, vcc_lo
	s_cbranch_execz .LBB138_293
; %bb.297:                              ;   in Loop: Header=BB138_295 Depth=2
	v_lshlrev_b16 v6, 8, v6
	s_delay_alu instid0(VALU_DEP_1)
	v_or_b32_e32 v6, 1, v6
	ds_store_b16 v3, v6 offset:3072
	s_branch .LBB138_293
.LBB138_298:                            ;   in Loop: Header=BB138_295 Depth=2
	v_add_nc_u64_e32 v[4:5], s[56:57], v[4:5]
	v_add_nc_u32_e32 v2, s56, v2
	s_mov_b32 s40, 0
	s_delay_alu instid0(VALU_DEP_2)
	v_cmp_le_u64_e32 vcc_lo, s[20:21], v[4:5]
	s_or_not1_b32 s4, vcc_lo, exec_lo
	s_branch .LBB138_294
.LBB138_299:                            ;   in Loop: Header=BB138_18 Depth=1
	v_dual_mov_b32 v29, v8 :: v_dual_mov_b32 v31, v9
	v_mov_b32_e32 v32, v10
	s_mov_b32 s84, 0
	s_and_saveexec_b32 s4, s63
	s_cbranch_execnz .LBB138_476
	s_branch .LBB138_477
.LBB138_300:                            ;   in Loop: Header=BB138_18 Depth=1
	s_or_b32 exec_lo, exec_lo, s22
	v_and_b32_e32 v2, 0xffff, v6
	s_and_b32 s22, s66, exec_lo
	s_delay_alu instid0(VALU_DEP_1)
	v_lshrrev_b32_e32 v32, 8, v2
.LBB138_301:                            ;   in Loop: Header=BB138_18 Depth=1
	s_or_b32 exec_lo, exec_lo, s28
.LBB138_302:                            ;   in Loop: Header=BB138_18 Depth=1
	s_delay_alu instid0(SALU_CYCLE_1)
	s_and_b32 vcc_lo, exec_lo, s23
	s_cbranch_vccz .LBB138_316
; %bb.303:                              ;   in Loop: Header=BB138_18 Depth=1
	s_and_b64 s[10:11], s[76:77], 0xffffffff00000000
	s_delay_alu instid0(SALU_CYCLE_1)
	s_cmp_lg_u64 s[10:11], 0
	s_cbranch_scc0 .LBB138_341
; %bb.304:                              ;   in Loop: Header=BB138_18 Depth=1
	s_cvt_f32_u32 s4, s56
	s_sub_nc_u64 s[20:21], 0, s[56:57]
	s_delay_alu instid0(SALU_CYCLE_2) | instskip(NEXT) | instid1(SALU_CYCLE_3)
	s_fmamk_f32 s4, s71, 0x0, s4
	v_s_rcp_f32 s4, s4
	s_delay_alu instid0(TRANS32_DEP_1) | instskip(NEXT) | instid1(SALU_CYCLE_3)
	s_mul_f32 s4, s4, 0x5f7ffffc
	s_mul_f32 s10, s4, 0x2f800000
	s_delay_alu instid0(SALU_CYCLE_3) | instskip(NEXT) | instid1(SALU_CYCLE_3)
	s_trunc_f32 s10, s10
	s_fmamk_f32 s4, s10, 0xcf800000, s4
	s_cvt_u32_f32 s11, s10
	s_delay_alu instid0(SALU_CYCLE_2) | instskip(NEXT) | instid1(SALU_CYCLE_3)
	s_cvt_u32_f32 s10, s4
	s_mul_u64 s[40:41], s[20:21], s[10:11]
	s_delay_alu instid0(SALU_CYCLE_1)
	s_mul_hi_u32 s43, s10, s41
	s_mul_i32 s42, s10, s41
	s_mul_hi_u32 s28, s10, s40
	s_mul_i32 s23, s11, s40
	s_add_nc_u64 s[42:43], s[28:29], s[42:43]
	s_mul_hi_u32 s4, s11, s40
	s_mul_hi_u32 s26, s11, s41
	s_add_co_u32 s23, s42, s23
	s_add_co_ci_u32 s28, s43, s4
	s_mul_i32 s40, s11, s41
	s_add_co_ci_u32 s41, s26, 0
	s_delay_alu instid0(SALU_CYCLE_1) | instskip(NEXT) | instid1(SALU_CYCLE_1)
	s_add_nc_u64 s[40:41], s[28:29], s[40:41]
	s_add_co_u32 s10, s10, s40
	s_cselect_b32 s4, -1, 0
	s_delay_alu instid0(SALU_CYCLE_1) | instskip(SKIP_1) | instid1(SALU_CYCLE_1)
	s_cmp_lg_u32 s4, 0
	s_add_co_ci_u32 s11, s11, s41
	s_mul_u64 s[20:21], s[20:21], s[10:11]
	s_delay_alu instid0(SALU_CYCLE_1)
	s_mul_hi_u32 s41, s10, s21
	s_mul_i32 s40, s10, s21
	s_mul_hi_u32 s28, s10, s20
	s_mul_i32 s23, s11, s20
	s_add_nc_u64 s[40:41], s[28:29], s[40:41]
	s_mul_hi_u32 s4, s11, s20
	s_mul_hi_u32 s26, s11, s21
	s_mul_i32 s20, s11, s21
	s_add_co_u32 s21, s40, s23
	s_add_co_ci_u32 s28, s41, s4
	s_add_co_ci_u32 s21, s26, 0
	s_delay_alu instid0(SALU_CYCLE_1) | instskip(NEXT) | instid1(SALU_CYCLE_1)
	s_add_nc_u64 s[20:21], s[28:29], s[20:21]
	s_add_co_u32 s4, s10, s20
	s_cselect_b32 s10, -1, 0
	s_mul_hi_u32 s28, s76, s4
	s_cmp_lg_u32 s10, 0
	s_mul_hi_u32 s23, s77, s4
	s_add_co_ci_u32 s20, s11, s21
	s_mul_i32 s4, s77, s4
	s_mul_hi_u32 s11, s76, s20
	s_mul_i32 s10, s76, s20
	s_mul_hi_u32 s21, s77, s20
	s_add_nc_u64 s[10:11], s[28:29], s[10:11]
	s_mul_i32 s20, s77, s20
	s_add_co_u32 s4, s10, s4
	s_add_co_ci_u32 s28, s11, s23
	s_add_co_ci_u32 s21, s21, 0
	s_delay_alu instid0(SALU_CYCLE_1) | instskip(NEXT) | instid1(SALU_CYCLE_1)
	s_add_nc_u64 s[10:11], s[28:29], s[20:21]
	s_and_b64 s[20:21], s[10:11], 0xffffffff00000000
	s_delay_alu instid0(SALU_CYCLE_1) | instskip(NEXT) | instid1(SALU_CYCLE_1)
	s_or_b32 s20, s20, s10
	s_mul_u64 s[10:11], s[56:57], s[20:21]
	s_delay_alu instid0(SALU_CYCLE_1) | instskip(SKIP_1) | instid1(SALU_CYCLE_1)
	s_sub_co_u32 s4, s76, s10
	s_cselect_b32 s10, -1, 0
	s_cmp_lg_u32 s10, 0
	s_sub_co_ci_u32 s10, s77, s11
	s_sub_co_u32 s11, s4, s56
	s_cselect_b32 s20, -1, 0
	s_delay_alu instid0(SALU_CYCLE_1) | instskip(SKIP_3) | instid1(SALU_CYCLE_1)
	s_cmp_lg_u32 s20, 0
	s_sub_co_ci_u32 s20, s10, 0
	s_sub_co_u32 s21, s11, s56
	s_cselect_b32 s23, -1, 0
	s_cmp_lg_u32 s23, 0
	s_sub_co_ci_u32 s23, s20, 0
	s_cmp_ge_u32 s11, s56
	s_cselect_b32 s26, -1, 0
	s_cmp_eq_u32 s20, 0
	s_cselect_b32 s26, s26, -1
	s_delay_alu instid0(SALU_CYCLE_1)
	s_cmp_lg_u32 s26, 0
	s_cselect_b32 s20, s23, s20
	s_cselect_b32 s21, s21, s11
	s_cmp_ge_u32 s4, s56
	s_cselect_b32 s11, -1, 0
	s_cmp_eq_u32 s10, 0
	s_cselect_b32 s11, s11, -1
	s_delay_alu instid0(SALU_CYCLE_1)
	s_cmp_lg_u32 s11, 0
	s_cselect_b32 s11, s20, s10
	s_cselect_b32 s10, s21, s4
	s_cbranch_execnz .LBB138_306
.LBB138_305:                            ;   in Loop: Header=BB138_18 Depth=1
	v_cvt_f32_u32_e32 v2, s56
	s_sub_co_i32 s10, 0, s56
	s_delay_alu instid0(VALU_DEP_1) | instskip(SKIP_1) | instid1(TRANS32_DEP_1)
	v_rcp_iflag_f32_e32 v2, v2
	v_nop
	v_mul_f32_e32 v2, 0x4f7ffffe, v2
	s_delay_alu instid0(VALU_DEP_1) | instskip(NEXT) | instid1(VALU_DEP_1)
	v_cvt_u32_f32_e32 v2, v2
	v_readfirstlane_b32 s4, v2
	s_mul_i32 s10, s10, s4
	s_delay_alu instid0(SALU_CYCLE_1) | instskip(NEXT) | instid1(SALU_CYCLE_1)
	s_mul_hi_u32 s10, s4, s10
	s_add_co_i32 s4, s4, s10
	s_delay_alu instid0(SALU_CYCLE_1) | instskip(NEXT) | instid1(SALU_CYCLE_1)
	s_mul_hi_u32 s4, s76, s4
	s_mul_i32 s4, s4, s56
	s_delay_alu instid0(SALU_CYCLE_1) | instskip(NEXT) | instid1(SALU_CYCLE_1)
	s_sub_co_i32 s4, s76, s4
	s_sub_co_i32 s10, s4, s56
	s_cmp_ge_u32 s4, s56
	s_cselect_b32 s4, s10, s4
	s_delay_alu instid0(SALU_CYCLE_1) | instskip(SKIP_2) | instid1(SALU_CYCLE_1)
	s_sub_co_i32 s10, s4, s56
	s_cmp_ge_u32 s4, s56
	s_cselect_b32 s28, s10, s4
	s_mov_b64 s[10:11], s[28:29]
.LBB138_306:                            ;   in Loop: Header=BB138_18 Depth=1
	s_delay_alu instid0(SALU_CYCLE_1)
	s_sub_nc_u64 s[10:11], s[76:77], s[10:11]
	s_mov_b32 s20, exec_lo
                                        ; implicit-def: $vgpr32
	v_cmpx_gt_u64_e64 s[10:11], v[0:1]
	s_cbranch_execz .LBB138_315
; %bb.307:                              ;   in Loop: Header=BB138_18 Depth=1
	v_mov_b64_e32 v[4:5], v[0:1]
	s_mov_b32 s23, 0
                                        ; implicit-def: $sgpr21
	s_branch .LBB138_310
.LBB138_308:                            ;   in Loop: Header=BB138_310 Depth=2
	s_or_b32 exec_lo, exec_lo, s26
	s_wait_dscnt 0x0
	s_barrier_signal -1
	s_barrier_wait -1
	ds_load_u16 v2, v3 offset:3072
	s_mov_b32 s26, -1
	s_mov_b32 s4, -1
	s_wait_dscnt 0x0
	s_barrier_signal -1
	s_barrier_wait -1
	v_and_b32_e32 v6, 0xff, v2
	s_delay_alu instid0(VALU_DEP_1)
	v_cmp_ne_u32_e32 vcc_lo, 0, v6
	s_cbranch_vccz .LBB138_313
.LBB138_309:                            ;   in Loop: Header=BB138_310 Depth=2
	s_and_b32 s26, exec_lo, s26
	s_delay_alu instid0(SALU_CYCLE_1) | instskip(SKIP_2) | instid1(SALU_CYCLE_1)
	s_or_b32 s23, s26, s23
	s_and_not1_b32 s21, s21, exec_lo
	s_and_b32 s4, s4, exec_lo
	s_or_b32 s21, s21, s4
	s_and_not1_b32 exec_lo, exec_lo, s23
	s_cbranch_execz .LBB138_314
.LBB138_310:                            ;   Parent Loop BB138_18 Depth=1
                                        ; =>  This Inner Loop Header: Depth=2
	s_mov_b32 s26, exec_lo
	s_delay_alu instid0(VALU_DEP_1)
	v_cmpx_gt_u64_e64 s[36:37], v[4:5]
	s_cbranch_execz .LBB138_308
; %bb.311:                              ;   in Loop: Header=BB138_310 Depth=2
	v_mad_nc_u64_u32 v[6:7], v4, s30, s[34:35]
	s_delay_alu instid0(VALU_DEP_1) | instskip(NEXT) | instid1(VALU_DEP_1)
	v_mad_u32 v2, v5, s30, v7
	v_mad_u32 v7, v4, s31, v2
	global_load_u8 v2, v[6:7], off
	s_wait_loadcnt 0x0
	v_bfe_i32 v6, v2, 0, 8
	s_delay_alu instid0(VALU_DEP_1) | instskip(NEXT) | instid1(VALU_DEP_1)
	v_add_nc_u32_e32 v6, 0x80, v6
	v_and_b32_e32 v6, v6, v31
	s_delay_alu instid0(VALU_DEP_1)
	v_cmp_eq_u32_e32 vcc_lo, v6, v29
	s_and_b32 exec_lo, exec_lo, vcc_lo
	s_cbranch_execz .LBB138_308
; %bb.312:                              ;   in Loop: Header=BB138_310 Depth=2
	v_lshlrev_b16 v2, 8, v2
	s_delay_alu instid0(VALU_DEP_1)
	v_or_b32_e32 v2, 1, v2
	ds_store_b16 v3, v2 offset:3072
	s_branch .LBB138_308
.LBB138_313:                            ;   in Loop: Header=BB138_310 Depth=2
	v_add_nc_u64_e32 v[4:5], s[56:57], v[4:5]
	s_mov_b32 s4, 0
	s_delay_alu instid0(VALU_DEP_1)
	v_cmp_le_u64_e32 vcc_lo, s[10:11], v[4:5]
	s_or_not1_b32 s26, vcc_lo, exec_lo
	s_branch .LBB138_309
.LBB138_314:                            ;   in Loop: Header=BB138_18 Depth=1
	s_or_b32 exec_lo, exec_lo, s23
	v_and_b32_e32 v2, 0xffff, v2
	s_and_not1_b32 s4, s22, exec_lo
	s_and_b32 s10, s21, exec_lo
	s_delay_alu instid0(SALU_CYCLE_1) | instskip(NEXT) | instid1(VALU_DEP_1)
	s_or_b32 s22, s4, s10
	v_lshrrev_b32_e32 v32, 8, v2
.LBB138_315:                            ;   in Loop: Header=BB138_18 Depth=1
	s_or_b32 exec_lo, exec_lo, s20
	s_mov_b32 s26, 0
	s_mov_b32 s84, -1
.LBB138_316:                            ;   in Loop: Header=BB138_18 Depth=1
	s_or_not1_b32 s10, s22, exec_lo
.LBB138_317:                            ;   in Loop: Header=BB138_18 Depth=1
	s_or_b32 exec_lo, exec_lo, s82
                                        ; implicit-def: $vgpr4_vgpr5
                                        ; implicit-def: $vgpr2
	s_and_saveexec_b32 s22, s10
	s_cbranch_execz .LBB138_475
; %bb.318:                              ;   in Loop: Header=BB138_18 Depth=1
	v_mov_b64_e32 v[4:5], 1
	v_mov_b32_e32 v2, 1
	s_xor_b32 s4, s9, -1
	s_mov_b32 s11, 0
	s_and_saveexec_b32 s9, s4
	s_cbranch_execz .LBB138_324
; %bb.319:                              ;   in Loop: Header=BB138_18 Depth=1
	s_mov_b32 s4, exec_lo
	v_cmpx_ge_u64_e64 s[18:19], v[22:23]
	s_xor_b32 s10, exec_lo, s4
	s_cbranch_execz .LBB138_321
; %bb.320:                              ;   in Loop: Header=BB138_18 Depth=1
	ds_load_b64 v[4:5], v3 offset:5120
	v_or_b32_e32 v29, s24, v29
	v_or_b32_e32 v31, s24, v31
	s_wait_dscnt 0x0
	v_cmp_ne_u64_e32 vcc_lo, 0, v[4:5]
	s_cbranch_vccz .LBB138_342
.LBB138_321:                            ;   in Loop: Header=BB138_18 Depth=1
	s_or_saveexec_b32 s10, s10
	v_mov_b32_e32 v2, 5
	s_xor_b32 exec_lo, exec_lo, s10
.LBB138_322:                            ;   in Loop: Header=BB138_18 Depth=1
	v_sub_nc_u64_e64 v[22:23], v[22:23], s[18:19]
	v_mov_b32_e32 v2, 0
	s_mov_b32 s11, exec_lo
.LBB138_323:                            ;   in Loop: Header=BB138_18 Depth=1
	s_or_b32 exec_lo, exec_lo, s10
	s_delay_alu instid0(VALU_DEP_2)
	v_mov_b64_e32 v[4:5], v[22:23]
	s_and_b32 s11, s11, exec_lo
.LBB138_324:                            ;   in Loop: Header=BB138_18 Depth=1
	s_or_b32 exec_lo, exec_lo, s9
	s_mov_b32 s10, -1
                                        ; implicit-def: $sgpr23
                                        ; implicit-def: $sgpr82
	s_and_saveexec_b32 s4, s11
	s_delay_alu instid0(SALU_CYCLE_1)
	s_xor_b32 s9, exec_lo, s4
	s_cbranch_execz .LBB138_472
; %bb.325:                              ;   in Loop: Header=BB138_18 Depth=1
	v_cmp_eq_u64_e32 vcc_lo, 1, v[4:5]
	s_cmp_eq_u64 s[16:17], 1
                                        ; implicit-def: $sgpr82
                                        ; implicit-def: $sgpr23
	s_cselect_b32 s4, -1, 0
	s_delay_alu instid0(SALU_CYCLE_1) | instskip(NEXT) | instid1(SALU_CYCLE_1)
	s_and_b32 s83, s4, vcc_lo
	s_and_saveexec_b32 s85, s83
	s_cbranch_execz .LBB138_362
; %bb.326:                              ;   in Loop: Header=BB138_18 Depth=1
	ds_load_b64 v[6:7], v3 offset:5120
	s_wait_dscnt 0x0
	s_barrier_signal -1
	s_barrier_wait -1
	v_readfirstlane_b32 s10, v6
	v_readfirstlane_b32 s11, v7
	s_and_saveexec_b32 s4, s6
; %bb.327:                              ;   in Loop: Header=BB138_18 Depth=1
	ds_store_b8 v0, v3 offset:3072
; %bb.328:                              ;   in Loop: Header=BB138_18 Depth=1
	s_or_b32 exec_lo, exec_lo, s4
	s_lshl_b32 s4, 2, s72
	v_or_b32_e32 v31, s24, v31
	v_and_or_b32 v29, v29, s25, s4
	s_mov_b32 s23, -1
	s_mov_b32 s82, 0
	s_cmp_eq_u64 s[10:11], 0
	s_mov_b32 s20, 0
	s_mov_b32 s21, -1
	s_wait_dscnt 0x0
	s_barrier_signal -1
	s_barrier_wait -1
                                        ; implicit-def: $vgpr32
	s_cbranch_scc1 .LBB138_347
; %bb.329:                              ;   in Loop: Header=BB138_18 Depth=1
	s_add_nc_u64 s[18:19], s[10:11], s[74:75]
	s_delay_alu instid0(SALU_CYCLE_1) | instskip(NEXT) | instid1(SALU_CYCLE_1)
	s_and_b64 s[20:21], s[18:19], 0xffffffff00000000
	s_cmp_lg_u64 s[20:21], 0
	s_cbranch_scc0 .LBB138_388
; %bb.330:                              ;   in Loop: Header=BB138_18 Depth=1
	s_cvt_f32_u32 s4, s56
	s_sub_nc_u64 s[40:41], 0, s[56:57]
	s_delay_alu instid0(SALU_CYCLE_2) | instskip(NEXT) | instid1(SALU_CYCLE_3)
	s_fmamk_f32 s4, s71, 0x0, s4
	v_s_rcp_f32 s4, s4
	s_delay_alu instid0(TRANS32_DEP_1) | instskip(NEXT) | instid1(SALU_CYCLE_3)
	s_mul_f32 s4, s4, 0x5f7ffffc
	s_mul_f32 s20, s4, 0x2f800000
	s_delay_alu instid0(SALU_CYCLE_3) | instskip(NEXT) | instid1(SALU_CYCLE_3)
	s_trunc_f32 s20, s20
	s_fmamk_f32 s4, s20, 0xcf800000, s4
	s_cvt_u32_f32 s21, s20
	s_delay_alu instid0(SALU_CYCLE_2) | instskip(NEXT) | instid1(SALU_CYCLE_3)
	s_cvt_u32_f32 s20, s4
	s_mul_u64 s[42:43], s[40:41], s[20:21]
	s_delay_alu instid0(SALU_CYCLE_1)
	s_mul_hi_u32 s67, s20, s43
	s_mul_i32 s66, s20, s43
	s_mul_hi_u32 s28, s20, s42
	s_mul_i32 s60, s21, s42
	s_add_nc_u64 s[66:67], s[28:29], s[66:67]
	s_mul_hi_u32 s4, s21, s42
	s_mul_hi_u32 s61, s21, s43
	s_add_co_u32 s28, s66, s60
	s_add_co_ci_u32 s28, s67, s4
	s_mul_i32 s42, s21, s43
	s_add_co_ci_u32 s43, s61, 0
	s_delay_alu instid0(SALU_CYCLE_1) | instskip(NEXT) | instid1(SALU_CYCLE_1)
	s_add_nc_u64 s[42:43], s[28:29], s[42:43]
	s_add_co_u32 s20, s20, s42
	s_cselect_b32 s4, -1, 0
	s_delay_alu instid0(SALU_CYCLE_1) | instskip(SKIP_1) | instid1(SALU_CYCLE_1)
	s_cmp_lg_u32 s4, 0
	s_add_co_ci_u32 s21, s21, s43
	s_mul_u64 s[40:41], s[40:41], s[20:21]
	s_delay_alu instid0(SALU_CYCLE_1)
	s_mul_hi_u32 s43, s20, s41
	s_mul_i32 s42, s20, s41
	s_mul_hi_u32 s28, s20, s40
	s_mul_i32 s60, s21, s40
	s_add_nc_u64 s[42:43], s[28:29], s[42:43]
	s_mul_hi_u32 s4, s21, s40
	s_mul_hi_u32 s61, s21, s41
	s_add_co_u32 s28, s42, s60
	s_add_co_ci_u32 s28, s43, s4
	s_mul_i32 s40, s21, s41
	s_add_co_ci_u32 s41, s61, 0
	s_delay_alu instid0(SALU_CYCLE_1) | instskip(NEXT) | instid1(SALU_CYCLE_1)
	s_add_nc_u64 s[40:41], s[28:29], s[40:41]
	s_add_co_u32 s4, s20, s40
	s_cselect_b32 s20, -1, 0
	s_mul_hi_u32 s28, s18, s4
	s_cmp_lg_u32 s20, 0
	s_mul_hi_u32 s42, s19, s4
	s_add_co_ci_u32 s40, s21, s41
	s_mul_i32 s4, s19, s4
	s_mul_hi_u32 s21, s18, s40
	s_mul_i32 s20, s18, s40
	s_mul_hi_u32 s41, s19, s40
	s_add_nc_u64 s[20:21], s[28:29], s[20:21]
	s_mul_i32 s40, s19, s40
	s_add_co_u32 s4, s20, s4
	s_add_co_ci_u32 s28, s21, s42
	s_add_co_ci_u32 s41, s41, 0
	s_delay_alu instid0(SALU_CYCLE_1) | instskip(NEXT) | instid1(SALU_CYCLE_1)
	s_add_nc_u64 s[20:21], s[28:29], s[40:41]
	s_and_b64 s[40:41], s[20:21], 0xffffffff00000000
	s_delay_alu instid0(SALU_CYCLE_1) | instskip(NEXT) | instid1(SALU_CYCLE_1)
	s_or_b32 s40, s40, s20
	s_mul_u64 s[20:21], s[56:57], s[40:41]
	s_delay_alu instid0(SALU_CYCLE_1) | instskip(SKIP_1) | instid1(SALU_CYCLE_1)
	s_sub_co_u32 s4, s18, s20
	s_cselect_b32 s20, -1, 0
	s_cmp_lg_u32 s20, 0
	s_sub_co_ci_u32 s20, s19, s21
	s_sub_co_u32 s21, s4, s56
	s_cselect_b32 s28, -1, 0
	s_delay_alu instid0(SALU_CYCLE_1) | instskip(SKIP_3) | instid1(SALU_CYCLE_1)
	s_cmp_lg_u32 s28, 0
	s_sub_co_ci_u32 s28, s20, 0
	s_sub_co_u32 s40, s21, s56
	s_cselect_b32 s41, -1, 0
	s_cmp_lg_u32 s41, 0
	s_sub_co_ci_u32 s41, s28, 0
	s_cmp_ge_u32 s21, s56
	s_cselect_b32 s42, -1, 0
	s_cmp_eq_u32 s28, 0
	s_cselect_b32 s42, s42, -1
	s_delay_alu instid0(SALU_CYCLE_1)
	s_cmp_lg_u32 s42, 0
	s_cselect_b32 s28, s41, s28
	s_cselect_b32 s40, s40, s21
	s_cmp_ge_u32 s4, s56
	s_cselect_b32 s21, -1, 0
	s_cmp_eq_u32 s20, 0
	s_cselect_b32 s21, s21, -1
	s_delay_alu instid0(SALU_CYCLE_1)
	s_cmp_lg_u32 s21, 0
	s_cselect_b32 s21, s28, s20
	s_cselect_b32 s20, s40, s4
	s_cbranch_execnz .LBB138_332
.LBB138_331:                            ;   in Loop: Header=BB138_18 Depth=1
	v_cvt_f32_u32_e32 v6, s56
	s_sub_co_i32 s20, 0, s56
	s_delay_alu instid0(VALU_DEP_1) | instskip(SKIP_1) | instid1(TRANS32_DEP_1)
	v_rcp_iflag_f32_e32 v6, v6
	v_nop
	v_mul_f32_e32 v6, 0x4f7ffffe, v6
	s_delay_alu instid0(VALU_DEP_1) | instskip(NEXT) | instid1(VALU_DEP_1)
	v_cvt_u32_f32_e32 v6, v6
	v_readfirstlane_b32 s4, v6
	s_mul_i32 s20, s20, s4
	s_delay_alu instid0(SALU_CYCLE_1) | instskip(NEXT) | instid1(SALU_CYCLE_1)
	s_mul_hi_u32 s20, s4, s20
	s_add_co_i32 s4, s4, s20
	s_delay_alu instid0(SALU_CYCLE_1) | instskip(NEXT) | instid1(SALU_CYCLE_1)
	s_mul_hi_u32 s4, s18, s4
	s_mul_i32 s4, s4, s56
	s_delay_alu instid0(SALU_CYCLE_1) | instskip(NEXT) | instid1(SALU_CYCLE_1)
	s_sub_co_i32 s4, s18, s4
	s_sub_co_i32 s20, s4, s56
	s_cmp_ge_u32 s4, s56
	s_cselect_b32 s4, s20, s4
	s_delay_alu instid0(SALU_CYCLE_1) | instskip(SKIP_2) | instid1(SALU_CYCLE_1)
	s_sub_co_i32 s20, s4, s56
	s_cmp_ge_u32 s4, s56
	s_cselect_b32 s28, s20, s4
	s_mov_b64 s[20:21], s[28:29]
.LBB138_332:                            ;   in Loop: Header=BB138_18 Depth=1
	s_delay_alu instid0(SALU_CYCLE_1)
	s_sub_nc_u64 s[18:19], s[18:19], s[20:21]
	s_mov_b32 s21, 0
	s_mov_b32 s20, 0
	s_mov_b32 s28, exec_lo
                                        ; implicit-def: $vgpr32
	v_cmpx_gt_u64_e64 s[18:19], v[0:1]
	s_cbranch_execz .LBB138_346
; %bb.333:                              ;   in Loop: Header=BB138_18 Depth=1
	v_mov_b64_e32 v[6:7], v[0:1]
	v_mov_b32_e32 v8, v0
                                        ; implicit-def: $sgpr66
	s_branch .LBB138_336
.LBB138_334:                            ;   in Loop: Header=BB138_336 Depth=2
	s_or_b32 exec_lo, exec_lo, s67
	s_wait_dscnt 0x0
	s_barrier_signal -1
	s_barrier_wait -1
	ds_load_u16 v9, v3 offset:3072
	s_mov_b32 s4, -1
	s_mov_b32 s40, -1
	s_wait_dscnt 0x0
	s_barrier_signal -1
	s_barrier_wait -1
	v_and_b32_e32 v10, 0xff, v9
	s_delay_alu instid0(VALU_DEP_1)
	v_cmp_ne_u32_e32 vcc_lo, 0, v10
	s_cbranch_vccz .LBB138_339
.LBB138_335:                            ;   in Loop: Header=BB138_336 Depth=2
	s_and_b32 s4, exec_lo, s4
	s_delay_alu instid0(SALU_CYCLE_1) | instskip(SKIP_2) | instid1(SALU_CYCLE_1)
	s_or_b32 s20, s4, s20
	s_and_not1_b32 s4, s66, exec_lo
	s_and_b32 s40, s40, exec_lo
	s_or_b32 s66, s4, s40
	s_and_not1_b32 exec_lo, exec_lo, s20
	s_cbranch_execz .LBB138_345
.LBB138_336:                            ;   Parent Loop BB138_18 Depth=1
                                        ; =>  This Inner Loop Header: Depth=2
	s_mov_b32 s67, exec_lo
	s_delay_alu instid0(VALU_DEP_2)
	v_cmpx_gt_u64_e64 s[10:11], v[6:7]
	s_cbranch_execz .LBB138_334
; %bb.337:                              ;   in Loop: Header=BB138_336 Depth=2
	ds_load_u8 v9, v8
	s_wait_dscnt 0x0
	v_bfe_i32 v10, v9, 0, 8
	s_delay_alu instid0(VALU_DEP_1) | instskip(NEXT) | instid1(VALU_DEP_1)
	v_add_nc_u32_e32 v10, 0x80, v10
	v_and_b32_e32 v10, v10, v31
	s_delay_alu instid0(VALU_DEP_1)
	v_cmp_eq_u32_e32 vcc_lo, v10, v29
	s_and_b32 exec_lo, exec_lo, vcc_lo
	s_cbranch_execz .LBB138_334
; %bb.338:                              ;   in Loop: Header=BB138_336 Depth=2
	v_lshlrev_b16 v9, 8, v9
	s_delay_alu instid0(VALU_DEP_1)
	v_or_b32_e32 v9, 1, v9
	ds_store_b16 v3, v9 offset:3072
	s_branch .LBB138_334
.LBB138_339:                            ;   in Loop: Header=BB138_336 Depth=2
	v_add_nc_u64_e32 v[6:7], s[56:57], v[6:7]
	v_add_nc_u32_e32 v8, s56, v8
	s_mov_b32 s40, 0
	s_delay_alu instid0(VALU_DEP_2)
	v_cmp_le_u64_e32 vcc_lo, s[18:19], v[6:7]
	s_or_not1_b32 s4, vcc_lo, exec_lo
	s_branch .LBB138_335
.LBB138_340:                            ;   in Loop: Header=BB138_18 Depth=1
                                        ; implicit-def: $sgpr22_sgpr23
	s_branch .LBB138_290
.LBB138_341:                            ;   in Loop: Header=BB138_18 Depth=1
                                        ; implicit-def: $sgpr10_sgpr11
	s_branch .LBB138_305
.LBB138_342:                            ;   in Loop: Header=BB138_18 Depth=1
	s_and_saveexec_b32 s4, s5
; %bb.343:                              ;   in Loop: Header=BB138_18 Depth=1
	v_mov_b64_e32 v[4:5], s[18:19]
	ds_store_b64 v3, v[4:5] offset:5128
; %bb.344:                              ;   in Loop: Header=BB138_18 Depth=1
	s_or_b32 exec_lo, exec_lo, s4
	s_wait_dscnt 0x0
	s_barrier_signal -1
	s_barrier_wait -1
	s_or_saveexec_b32 s10, s10
	v_mov_b32_e32 v2, 5
	s_xor_b32 exec_lo, exec_lo, s10
	s_cbranch_execnz .LBB138_322
	s_branch .LBB138_323
.LBB138_345:                            ;   in Loop: Header=BB138_18 Depth=1
	s_or_b32 exec_lo, exec_lo, s20
	v_and_b32_e32 v6, 0xffff, v9
	s_and_b32 s20, s66, exec_lo
	s_delay_alu instid0(VALU_DEP_1)
	v_lshrrev_b32_e32 v32, 8, v6
.LBB138_346:                            ;   in Loop: Header=BB138_18 Depth=1
	s_or_b32 exec_lo, exec_lo, s28
.LBB138_347:                            ;   in Loop: Header=BB138_18 Depth=1
	s_delay_alu instid0(SALU_CYCLE_1)
	s_and_b32 vcc_lo, exec_lo, s21
	s_cbranch_vccz .LBB138_361
; %bb.348:                              ;   in Loop: Header=BB138_18 Depth=1
	s_and_b64 s[10:11], s[76:77], 0xffffffff00000000
	s_delay_alu instid0(SALU_CYCLE_1)
	s_cmp_lg_u64 s[10:11], 0
	s_cbranch_scc0 .LBB138_389
; %bb.349:                              ;   in Loop: Header=BB138_18 Depth=1
	s_cvt_f32_u32 s4, s56
	s_sub_nc_u64 s[18:19], 0, s[56:57]
	s_delay_alu instid0(SALU_CYCLE_2) | instskip(NEXT) | instid1(SALU_CYCLE_3)
	s_fmamk_f32 s4, s71, 0x0, s4
	v_s_rcp_f32 s4, s4
	s_delay_alu instid0(TRANS32_DEP_1) | instskip(NEXT) | instid1(SALU_CYCLE_3)
	s_mul_f32 s4, s4, 0x5f7ffffc
	s_mul_f32 s10, s4, 0x2f800000
	s_delay_alu instid0(SALU_CYCLE_3) | instskip(NEXT) | instid1(SALU_CYCLE_3)
	s_trunc_f32 s10, s10
	s_fmamk_f32 s4, s10, 0xcf800000, s4
	s_cvt_u32_f32 s11, s10
	s_delay_alu instid0(SALU_CYCLE_2) | instskip(NEXT) | instid1(SALU_CYCLE_3)
	s_cvt_u32_f32 s10, s4
	s_mul_u64 s[40:41], s[18:19], s[10:11]
	s_delay_alu instid0(SALU_CYCLE_1)
	s_mul_hi_u32 s43, s10, s41
	s_mul_i32 s42, s10, s41
	s_mul_hi_u32 s28, s10, s40
	s_mul_i32 s21, s11, s40
	s_add_nc_u64 s[42:43], s[28:29], s[42:43]
	s_mul_hi_u32 s4, s11, s40
	s_mul_hi_u32 s23, s11, s41
	s_add_co_u32 s21, s42, s21
	s_add_co_ci_u32 s28, s43, s4
	s_mul_i32 s40, s11, s41
	s_add_co_ci_u32 s41, s23, 0
	s_delay_alu instid0(SALU_CYCLE_1) | instskip(NEXT) | instid1(SALU_CYCLE_1)
	s_add_nc_u64 s[40:41], s[28:29], s[40:41]
	s_add_co_u32 s10, s10, s40
	s_cselect_b32 s4, -1, 0
	s_delay_alu instid0(SALU_CYCLE_1) | instskip(SKIP_1) | instid1(SALU_CYCLE_1)
	s_cmp_lg_u32 s4, 0
	s_add_co_ci_u32 s11, s11, s41
	s_mul_u64 s[18:19], s[18:19], s[10:11]
	s_delay_alu instid0(SALU_CYCLE_1)
	s_mul_hi_u32 s41, s10, s19
	s_mul_i32 s40, s10, s19
	s_mul_hi_u32 s28, s10, s18
	s_mul_i32 s21, s11, s18
	s_add_nc_u64 s[40:41], s[28:29], s[40:41]
	s_mul_hi_u32 s4, s11, s18
	s_mul_hi_u32 s23, s11, s19
	s_mul_i32 s18, s11, s19
	s_add_co_u32 s19, s40, s21
	s_add_co_ci_u32 s28, s41, s4
	s_add_co_ci_u32 s19, s23, 0
	s_delay_alu instid0(SALU_CYCLE_1) | instskip(NEXT) | instid1(SALU_CYCLE_1)
	s_add_nc_u64 s[18:19], s[28:29], s[18:19]
	s_add_co_u32 s4, s10, s18
	s_cselect_b32 s10, -1, 0
	s_mul_hi_u32 s28, s76, s4
	s_cmp_lg_u32 s10, 0
	s_mul_hi_u32 s21, s77, s4
	s_add_co_ci_u32 s18, s11, s19
	s_mul_i32 s4, s77, s4
	s_mul_hi_u32 s11, s76, s18
	s_mul_i32 s10, s76, s18
	s_mul_hi_u32 s19, s77, s18
	s_add_nc_u64 s[10:11], s[28:29], s[10:11]
	s_mul_i32 s18, s77, s18
	s_add_co_u32 s4, s10, s4
	s_add_co_ci_u32 s28, s11, s21
	s_add_co_ci_u32 s19, s19, 0
	s_delay_alu instid0(SALU_CYCLE_1) | instskip(NEXT) | instid1(SALU_CYCLE_1)
	s_add_nc_u64 s[10:11], s[28:29], s[18:19]
	s_and_b64 s[18:19], s[10:11], 0xffffffff00000000
	s_delay_alu instid0(SALU_CYCLE_1) | instskip(NEXT) | instid1(SALU_CYCLE_1)
	s_or_b32 s18, s18, s10
	s_mul_u64 s[10:11], s[56:57], s[18:19]
	s_delay_alu instid0(SALU_CYCLE_1) | instskip(SKIP_1) | instid1(SALU_CYCLE_1)
	s_sub_co_u32 s4, s76, s10
	s_cselect_b32 s10, -1, 0
	s_cmp_lg_u32 s10, 0
	s_sub_co_ci_u32 s10, s77, s11
	s_sub_co_u32 s11, s4, s56
	s_cselect_b32 s18, -1, 0
	s_delay_alu instid0(SALU_CYCLE_1) | instskip(SKIP_3) | instid1(SALU_CYCLE_1)
	s_cmp_lg_u32 s18, 0
	s_sub_co_ci_u32 s18, s10, 0
	s_sub_co_u32 s19, s11, s56
	s_cselect_b32 s21, -1, 0
	s_cmp_lg_u32 s21, 0
	s_sub_co_ci_u32 s21, s18, 0
	s_cmp_ge_u32 s11, s56
	s_cselect_b32 s23, -1, 0
	s_cmp_eq_u32 s18, 0
	s_cselect_b32 s23, s23, -1
	s_delay_alu instid0(SALU_CYCLE_1)
	s_cmp_lg_u32 s23, 0
	s_cselect_b32 s18, s21, s18
	s_cselect_b32 s19, s19, s11
	s_cmp_ge_u32 s4, s56
	s_cselect_b32 s11, -1, 0
	s_cmp_eq_u32 s10, 0
	s_cselect_b32 s11, s11, -1
	s_delay_alu instid0(SALU_CYCLE_1)
	s_cmp_lg_u32 s11, 0
	s_cselect_b32 s11, s18, s10
	s_cselect_b32 s10, s19, s4
	s_cbranch_execnz .LBB138_351
.LBB138_350:                            ;   in Loop: Header=BB138_18 Depth=1
	v_cvt_f32_u32_e32 v6, s56
	s_sub_co_i32 s10, 0, s56
	s_delay_alu instid0(VALU_DEP_1) | instskip(SKIP_1) | instid1(TRANS32_DEP_1)
	v_rcp_iflag_f32_e32 v6, v6
	v_nop
	v_mul_f32_e32 v6, 0x4f7ffffe, v6
	s_delay_alu instid0(VALU_DEP_1) | instskip(NEXT) | instid1(VALU_DEP_1)
	v_cvt_u32_f32_e32 v6, v6
	v_readfirstlane_b32 s4, v6
	s_mul_i32 s10, s10, s4
	s_delay_alu instid0(SALU_CYCLE_1) | instskip(NEXT) | instid1(SALU_CYCLE_1)
	s_mul_hi_u32 s10, s4, s10
	s_add_co_i32 s4, s4, s10
	s_delay_alu instid0(SALU_CYCLE_1) | instskip(NEXT) | instid1(SALU_CYCLE_1)
	s_mul_hi_u32 s4, s76, s4
	s_mul_i32 s4, s4, s56
	s_delay_alu instid0(SALU_CYCLE_1) | instskip(NEXT) | instid1(SALU_CYCLE_1)
	s_sub_co_i32 s4, s76, s4
	s_sub_co_i32 s10, s4, s56
	s_cmp_ge_u32 s4, s56
	s_cselect_b32 s4, s10, s4
	s_delay_alu instid0(SALU_CYCLE_1) | instskip(SKIP_2) | instid1(SALU_CYCLE_1)
	s_sub_co_i32 s10, s4, s56
	s_cmp_ge_u32 s4, s56
	s_cselect_b32 s28, s10, s4
	s_mov_b64 s[10:11], s[28:29]
.LBB138_351:                            ;   in Loop: Header=BB138_18 Depth=1
	s_delay_alu instid0(SALU_CYCLE_1)
	s_sub_nc_u64 s[10:11], s[76:77], s[10:11]
	s_mov_b32 s18, exec_lo
                                        ; implicit-def: $vgpr32
	v_cmpx_gt_u64_e64 s[10:11], v[0:1]
	s_cbranch_execz .LBB138_360
; %bb.352:                              ;   in Loop: Header=BB138_18 Depth=1
	v_mov_b64_e32 v[6:7], v[0:1]
	s_mov_b32 s19, 0
                                        ; implicit-def: $sgpr21
	s_branch .LBB138_355
.LBB138_353:                            ;   in Loop: Header=BB138_355 Depth=2
	s_or_b32 exec_lo, exec_lo, s23
	s_wait_dscnt 0x0
	s_barrier_signal -1
	s_barrier_wait -1
	ds_load_u16 v8, v3 offset:3072
	s_mov_b32 s23, -1
	s_mov_b32 s4, -1
	s_wait_dscnt 0x0
	s_barrier_signal -1
	s_barrier_wait -1
	v_and_b32_e32 v9, 0xff, v8
	s_delay_alu instid0(VALU_DEP_1)
	v_cmp_eq_u32_e32 vcc_lo, 0, v9
	s_cbranch_vccnz .LBB138_358
.LBB138_354:                            ;   in Loop: Header=BB138_355 Depth=2
	s_and_b32 s23, exec_lo, s23
	s_delay_alu instid0(SALU_CYCLE_1) | instskip(SKIP_2) | instid1(SALU_CYCLE_1)
	s_or_b32 s19, s23, s19
	s_and_not1_b32 s21, s21, exec_lo
	s_and_b32 s4, s4, exec_lo
	s_or_b32 s21, s21, s4
	s_and_not1_b32 exec_lo, exec_lo, s19
	s_cbranch_execz .LBB138_359
.LBB138_355:                            ;   Parent Loop BB138_18 Depth=1
                                        ; =>  This Inner Loop Header: Depth=2
	s_mov_b32 s23, exec_lo
	s_delay_alu instid0(VALU_DEP_1)
	v_cmpx_gt_u64_e64 s[36:37], v[6:7]
	s_cbranch_execz .LBB138_353
; %bb.356:                              ;   in Loop: Header=BB138_355 Depth=2
	v_mad_nc_u64_u32 v[8:9], v6, s30, s[34:35]
	s_delay_alu instid0(VALU_DEP_1) | instskip(NEXT) | instid1(VALU_DEP_1)
	v_mad_u32 v9, v7, s30, v9
	v_mad_u32 v9, v6, s31, v9
	global_load_u8 v8, v[8:9], off
	s_wait_loadcnt 0x0
	v_bfe_i32 v9, v8, 0, 8
	s_delay_alu instid0(VALU_DEP_1) | instskip(NEXT) | instid1(VALU_DEP_1)
	v_add_nc_u32_e32 v9, 0x80, v9
	v_and_b32_e32 v9, v9, v31
	s_delay_alu instid0(VALU_DEP_1)
	v_cmp_eq_u32_e32 vcc_lo, v9, v29
	s_and_b32 exec_lo, exec_lo, vcc_lo
	s_cbranch_execz .LBB138_353
; %bb.357:                              ;   in Loop: Header=BB138_355 Depth=2
	v_lshlrev_b16 v8, 8, v8
	s_delay_alu instid0(VALU_DEP_1)
	v_or_b32_e32 v8, 1, v8
	ds_store_b16 v3, v8 offset:3072
	s_branch .LBB138_353
.LBB138_358:                            ;   in Loop: Header=BB138_355 Depth=2
	v_add_nc_u64_e32 v[6:7], s[56:57], v[6:7]
	s_mov_b32 s4, 0
	s_delay_alu instid0(VALU_DEP_1)
	v_cmp_le_u64_e32 vcc_lo, s[10:11], v[6:7]
	s_or_not1_b32 s23, vcc_lo, exec_lo
	s_branch .LBB138_354
.LBB138_359:                            ;   in Loop: Header=BB138_18 Depth=1
	s_or_b32 exec_lo, exec_lo, s19
	v_and_b32_e32 v6, 0xffff, v8
	s_and_not1_b32 s4, s20, exec_lo
	s_and_b32 s10, s21, exec_lo
	s_delay_alu instid0(SALU_CYCLE_1) | instskip(NEXT) | instid1(VALU_DEP_1)
	s_or_b32 s20, s4, s10
	v_lshrrev_b32_e32 v32, 8, v6
.LBB138_360:                            ;   in Loop: Header=BB138_18 Depth=1
	s_or_b32 exec_lo, exec_lo, s18
	s_mov_b32 s23, 0
	s_mov_b32 s82, -1
.LBB138_361:                            ;   in Loop: Header=BB138_18 Depth=1
	s_or_not1_b32 s10, s20, exec_lo
.LBB138_362:                            ;   in Loop: Header=BB138_18 Depth=1
	s_or_b32 exec_lo, exec_lo, s85
	s_mov_b32 s11, 0
	s_and_saveexec_b32 s20, s10
	s_cbranch_execz .LBB138_471
; %bb.363:                              ;   in Loop: Header=BB138_18 Depth=1
	v_mov_b64_e32 v[6:7], 1
	v_mov_b32_e32 v2, 1
	s_xor_b32 s4, s83, -1
	s_delay_alu instid0(SALU_CYCLE_1)
	s_and_saveexec_b32 s10, s4
	s_cbranch_execz .LBB138_372
; %bb.364:                              ;   in Loop: Header=BB138_18 Depth=1
	s_mov_b32 s4, exec_lo
	v_cmpx_ge_u64_e64 s[16:17], v[4:5]
	s_xor_b32 s11, exec_lo, s4
	s_cbranch_execz .LBB138_369
; %bb.365:                              ;   in Loop: Header=BB138_18 Depth=1
	ds_load_b64 v[6:7], v3 offset:5120
	s_lshl_b32 s4, 2, s72
	v_or_b32_e32 v31, s24, v31
	v_and_or_b32 v29, v29, s25, s4
	s_wait_dscnt 0x0
	v_cmp_ne_u64_e32 vcc_lo, 0, v[6:7]
	s_cbranch_vccnz .LBB138_369
; %bb.366:                              ;   in Loop: Header=BB138_18 Depth=1
	s_and_saveexec_b32 s4, s5
; %bb.367:                              ;   in Loop: Header=BB138_18 Depth=1
	v_mov_b64_e32 v[6:7], s[16:17]
	ds_store_b64 v3, v[6:7] offset:5128
; %bb.368:                              ;   in Loop: Header=BB138_18 Depth=1
	s_or_b32 exec_lo, exec_lo, s4
	s_wait_dscnt 0x0
	s_barrier_signal -1
	s_barrier_wait -1
.LBB138_369:                            ;   in Loop: Header=BB138_18 Depth=1
	s_or_saveexec_b32 s11, s11
	v_mov_b32_e32 v2, 5
	s_mov_b32 s18, 0
	s_xor_b32 exec_lo, exec_lo, s11
; %bb.370:                              ;   in Loop: Header=BB138_18 Depth=1
	v_sub_nc_u64_e64 v[4:5], v[4:5], s[16:17]
	v_mov_b32_e32 v2, 0
	s_mov_b32 s18, exec_lo
; %bb.371:                              ;   in Loop: Header=BB138_18 Depth=1
	s_or_b32 exec_lo, exec_lo, s11
	s_delay_alu instid0(VALU_DEP_2)
	v_mov_b64_e32 v[6:7], v[4:5]
	s_and_b32 s11, s18, exec_lo
.LBB138_372:                            ;   in Loop: Header=BB138_18 Depth=1
	s_or_b32 exec_lo, exec_lo, s10
	s_mov_b32 s10, -1
                                        ; implicit-def: $sgpr83
                                        ; implicit-def: $sgpr85
	s_and_saveexec_b32 s21, s11
	s_cbranch_execz .LBB138_470
; %bb.373:                              ;   in Loop: Header=BB138_18 Depth=1
	s_delay_alu instid0(VALU_DEP_1) | instskip(SKIP_2) | instid1(SALU_CYCLE_1)
	v_cmp_eq_u64_e32 vcc_lo, 1, v[6:7]
	s_cmp_eq_u64 s[14:15], 1
                                        ; implicit-def: $sgpr85
                                        ; implicit-def: $sgpr83
	s_cselect_b32 s4, -1, 0
	s_and_b32 s86, s4, vcc_lo
	s_delay_alu instid0(SALU_CYCLE_1)
	s_and_saveexec_b32 s87, s86
	s_cbranch_execz .LBB138_407
; %bb.374:                              ;   in Loop: Header=BB138_18 Depth=1
	ds_load_b64 v[4:5], v3 offset:5120
	s_wait_dscnt 0x0
	s_barrier_signal -1
	s_barrier_wait -1
	v_readfirstlane_b32 s10, v4
	v_readfirstlane_b32 s11, v5
	s_and_saveexec_b32 s4, s6
; %bb.375:                              ;   in Loop: Header=BB138_18 Depth=1
	ds_store_b8 v0, v3 offset:3072
; %bb.376:                              ;   in Loop: Header=BB138_18 Depth=1
	s_or_b32 exec_lo, exec_lo, s4
	s_lshl_b32 s4, 1, s72
	v_or_b32_e32 v31, s24, v31
	v_and_or_b32 v29, v29, s25, s4
	s_mov_b32 s83, -1
	s_mov_b32 s85, 0
	s_cmp_eq_u64 s[10:11], 0
	s_mov_b32 s18, 0
	s_mov_b32 s19, -1
	s_wait_dscnt 0x0
	s_barrier_signal -1
	s_barrier_wait -1
                                        ; implicit-def: $vgpr32
	s_cbranch_scc1 .LBB138_392
; %bb.377:                              ;   in Loop: Header=BB138_18 Depth=1
	s_add_nc_u64 s[16:17], s[10:11], s[74:75]
	s_delay_alu instid0(SALU_CYCLE_1) | instskip(NEXT) | instid1(SALU_CYCLE_1)
	s_and_b64 s[18:19], s[16:17], 0xffffffff00000000
	s_cmp_lg_u64 s[18:19], 0
	s_cbranch_scc0 .LBB138_424
; %bb.378:                              ;   in Loop: Header=BB138_18 Depth=1
	s_cvt_f32_u32 s4, s56
	s_sub_nc_u64 s[40:41], 0, s[56:57]
	s_delay_alu instid0(SALU_CYCLE_2) | instskip(NEXT) | instid1(SALU_CYCLE_3)
	s_fmamk_f32 s4, s71, 0x0, s4
	v_s_rcp_f32 s4, s4
	s_delay_alu instid0(TRANS32_DEP_1) | instskip(NEXT) | instid1(SALU_CYCLE_3)
	s_mul_f32 s4, s4, 0x5f7ffffc
	s_mul_f32 s18, s4, 0x2f800000
	s_delay_alu instid0(SALU_CYCLE_3) | instskip(NEXT) | instid1(SALU_CYCLE_3)
	s_trunc_f32 s18, s18
	s_fmamk_f32 s4, s18, 0xcf800000, s4
	s_cvt_u32_f32 s19, s18
	s_delay_alu instid0(SALU_CYCLE_2) | instskip(NEXT) | instid1(SALU_CYCLE_3)
	s_cvt_u32_f32 s18, s4
	s_mul_u64 s[42:43], s[40:41], s[18:19]
	s_delay_alu instid0(SALU_CYCLE_1)
	s_mul_hi_u32 s67, s18, s43
	s_mul_i32 s66, s18, s43
	s_mul_hi_u32 s28, s18, s42
	s_mul_i32 s60, s19, s42
	s_add_nc_u64 s[66:67], s[28:29], s[66:67]
	s_mul_hi_u32 s4, s19, s42
	s_mul_hi_u32 s61, s19, s43
	s_add_co_u32 s28, s66, s60
	s_add_co_ci_u32 s28, s67, s4
	s_mul_i32 s42, s19, s43
	s_add_co_ci_u32 s43, s61, 0
	s_delay_alu instid0(SALU_CYCLE_1) | instskip(NEXT) | instid1(SALU_CYCLE_1)
	s_add_nc_u64 s[42:43], s[28:29], s[42:43]
	s_add_co_u32 s18, s18, s42
	s_cselect_b32 s4, -1, 0
	s_delay_alu instid0(SALU_CYCLE_1) | instskip(SKIP_1) | instid1(SALU_CYCLE_1)
	s_cmp_lg_u32 s4, 0
	s_add_co_ci_u32 s19, s19, s43
	s_mul_u64 s[40:41], s[40:41], s[18:19]
	s_delay_alu instid0(SALU_CYCLE_1)
	s_mul_hi_u32 s43, s18, s41
	s_mul_i32 s42, s18, s41
	s_mul_hi_u32 s28, s18, s40
	s_mul_i32 s60, s19, s40
	s_add_nc_u64 s[42:43], s[28:29], s[42:43]
	s_mul_hi_u32 s4, s19, s40
	s_mul_hi_u32 s61, s19, s41
	s_add_co_u32 s28, s42, s60
	s_add_co_ci_u32 s28, s43, s4
	s_mul_i32 s40, s19, s41
	s_add_co_ci_u32 s41, s61, 0
	s_delay_alu instid0(SALU_CYCLE_1) | instskip(NEXT) | instid1(SALU_CYCLE_1)
	s_add_nc_u64 s[40:41], s[28:29], s[40:41]
	s_add_co_u32 s4, s18, s40
	s_cselect_b32 s18, -1, 0
	s_mul_hi_u32 s28, s16, s4
	s_cmp_lg_u32 s18, 0
	s_mul_hi_u32 s42, s17, s4
	s_add_co_ci_u32 s40, s19, s41
	s_mul_i32 s4, s17, s4
	s_mul_hi_u32 s19, s16, s40
	s_mul_i32 s18, s16, s40
	s_mul_hi_u32 s41, s17, s40
	s_add_nc_u64 s[18:19], s[28:29], s[18:19]
	s_mul_i32 s40, s17, s40
	s_add_co_u32 s4, s18, s4
	s_add_co_ci_u32 s28, s19, s42
	s_add_co_ci_u32 s41, s41, 0
	s_delay_alu instid0(SALU_CYCLE_1) | instskip(NEXT) | instid1(SALU_CYCLE_1)
	s_add_nc_u64 s[18:19], s[28:29], s[40:41]
	s_and_b64 s[40:41], s[18:19], 0xffffffff00000000
	s_delay_alu instid0(SALU_CYCLE_1) | instskip(NEXT) | instid1(SALU_CYCLE_1)
	s_or_b32 s40, s40, s18
	s_mul_u64 s[18:19], s[56:57], s[40:41]
	s_delay_alu instid0(SALU_CYCLE_1) | instskip(SKIP_1) | instid1(SALU_CYCLE_1)
	s_sub_co_u32 s4, s16, s18
	s_cselect_b32 s18, -1, 0
	s_cmp_lg_u32 s18, 0
	s_sub_co_ci_u32 s18, s17, s19
	s_sub_co_u32 s19, s4, s56
	s_cselect_b32 s28, -1, 0
	s_delay_alu instid0(SALU_CYCLE_1) | instskip(SKIP_3) | instid1(SALU_CYCLE_1)
	s_cmp_lg_u32 s28, 0
	s_sub_co_ci_u32 s28, s18, 0
	s_sub_co_u32 s40, s19, s56
	s_cselect_b32 s41, -1, 0
	s_cmp_lg_u32 s41, 0
	s_sub_co_ci_u32 s41, s28, 0
	s_cmp_ge_u32 s19, s56
	s_cselect_b32 s42, -1, 0
	s_cmp_eq_u32 s28, 0
	s_cselect_b32 s42, s42, -1
	s_delay_alu instid0(SALU_CYCLE_1)
	s_cmp_lg_u32 s42, 0
	s_cselect_b32 s28, s41, s28
	s_cselect_b32 s40, s40, s19
	s_cmp_ge_u32 s4, s56
	s_cselect_b32 s19, -1, 0
	s_cmp_eq_u32 s18, 0
	s_cselect_b32 s19, s19, -1
	s_delay_alu instid0(SALU_CYCLE_1)
	s_cmp_lg_u32 s19, 0
	s_cselect_b32 s19, s28, s18
	s_cselect_b32 s18, s40, s4
	s_cbranch_execnz .LBB138_380
.LBB138_379:                            ;   in Loop: Header=BB138_18 Depth=1
	v_cvt_f32_u32_e32 v4, s56
	s_sub_co_i32 s18, 0, s56
	s_delay_alu instid0(VALU_DEP_1) | instskip(SKIP_1) | instid1(TRANS32_DEP_1)
	v_rcp_iflag_f32_e32 v4, v4
	v_nop
	v_mul_f32_e32 v4, 0x4f7ffffe, v4
	s_delay_alu instid0(VALU_DEP_1) | instskip(NEXT) | instid1(VALU_DEP_1)
	v_cvt_u32_f32_e32 v4, v4
	v_readfirstlane_b32 s4, v4
	s_mul_i32 s18, s18, s4
	s_delay_alu instid0(SALU_CYCLE_1) | instskip(NEXT) | instid1(SALU_CYCLE_1)
	s_mul_hi_u32 s18, s4, s18
	s_add_co_i32 s4, s4, s18
	s_delay_alu instid0(SALU_CYCLE_1) | instskip(NEXT) | instid1(SALU_CYCLE_1)
	s_mul_hi_u32 s4, s16, s4
	s_mul_i32 s4, s4, s56
	s_delay_alu instid0(SALU_CYCLE_1) | instskip(NEXT) | instid1(SALU_CYCLE_1)
	s_sub_co_i32 s4, s16, s4
	s_sub_co_i32 s18, s4, s56
	s_cmp_ge_u32 s4, s56
	s_cselect_b32 s4, s18, s4
	s_delay_alu instid0(SALU_CYCLE_1) | instskip(SKIP_2) | instid1(SALU_CYCLE_1)
	s_sub_co_i32 s18, s4, s56
	s_cmp_ge_u32 s4, s56
	s_cselect_b32 s28, s18, s4
	s_mov_b64 s[18:19], s[28:29]
.LBB138_380:                            ;   in Loop: Header=BB138_18 Depth=1
	s_delay_alu instid0(SALU_CYCLE_1)
	s_sub_nc_u64 s[16:17], s[16:17], s[18:19]
	s_mov_b32 s19, 0
	s_mov_b32 s18, 0
	s_mov_b32 s28, exec_lo
                                        ; implicit-def: $vgpr32
	v_cmpx_gt_u64_e64 s[16:17], v[0:1]
	s_cbranch_execz .LBB138_391
; %bb.381:                              ;   in Loop: Header=BB138_18 Depth=1
	v_mov_b64_e32 v[4:5], v[0:1]
	v_mov_b32_e32 v8, v0
                                        ; implicit-def: $sgpr66
	s_branch .LBB138_384
.LBB138_382:                            ;   in Loop: Header=BB138_384 Depth=2
	s_or_b32 exec_lo, exec_lo, s67
	s_wait_dscnt 0x0
	s_barrier_signal -1
	s_barrier_wait -1
	ds_load_u16 v9, v3 offset:3072
	s_mov_b32 s4, -1
	s_mov_b32 s40, -1
	s_wait_dscnt 0x0
	s_barrier_signal -1
	s_barrier_wait -1
	v_and_b32_e32 v10, 0xff, v9
	s_delay_alu instid0(VALU_DEP_1)
	v_cmp_ne_u32_e32 vcc_lo, 0, v10
	s_cbranch_vccz .LBB138_387
.LBB138_383:                            ;   in Loop: Header=BB138_384 Depth=2
	s_and_b32 s4, exec_lo, s4
	s_delay_alu instid0(SALU_CYCLE_1) | instskip(SKIP_2) | instid1(SALU_CYCLE_1)
	s_or_b32 s18, s4, s18
	s_and_not1_b32 s4, s66, exec_lo
	s_and_b32 s40, s40, exec_lo
	s_or_b32 s66, s4, s40
	s_and_not1_b32 exec_lo, exec_lo, s18
	s_cbranch_execz .LBB138_390
.LBB138_384:                            ;   Parent Loop BB138_18 Depth=1
                                        ; =>  This Inner Loop Header: Depth=2
	s_mov_b32 s67, exec_lo
	s_delay_alu instid0(VALU_DEP_2)
	v_cmpx_gt_u64_e64 s[10:11], v[4:5]
	s_cbranch_execz .LBB138_382
; %bb.385:                              ;   in Loop: Header=BB138_384 Depth=2
	ds_load_u8 v9, v8
	s_wait_dscnt 0x0
	v_bfe_i32 v10, v9, 0, 8
	s_delay_alu instid0(VALU_DEP_1) | instskip(NEXT) | instid1(VALU_DEP_1)
	v_add_nc_u32_e32 v10, 0x80, v10
	v_and_b32_e32 v10, v10, v31
	s_delay_alu instid0(VALU_DEP_1)
	v_cmp_eq_u32_e32 vcc_lo, v10, v29
	s_and_b32 exec_lo, exec_lo, vcc_lo
	s_cbranch_execz .LBB138_382
; %bb.386:                              ;   in Loop: Header=BB138_384 Depth=2
	v_lshlrev_b16 v9, 8, v9
	s_delay_alu instid0(VALU_DEP_1)
	v_or_b32_e32 v9, 1, v9
	ds_store_b16 v3, v9 offset:3072
	s_branch .LBB138_382
.LBB138_387:                            ;   in Loop: Header=BB138_384 Depth=2
	v_add_nc_u64_e32 v[4:5], s[56:57], v[4:5]
	v_add_nc_u32_e32 v8, s56, v8
	s_mov_b32 s40, 0
	s_delay_alu instid0(VALU_DEP_2)
	v_cmp_le_u64_e32 vcc_lo, s[16:17], v[4:5]
	s_or_not1_b32 s4, vcc_lo, exec_lo
	s_branch .LBB138_383
.LBB138_388:                            ;   in Loop: Header=BB138_18 Depth=1
                                        ; implicit-def: $sgpr20_sgpr21
	s_branch .LBB138_331
.LBB138_389:                            ;   in Loop: Header=BB138_18 Depth=1
                                        ; implicit-def: $sgpr10_sgpr11
	s_branch .LBB138_350
.LBB138_390:                            ;   in Loop: Header=BB138_18 Depth=1
	s_or_b32 exec_lo, exec_lo, s18
	v_and_b32_e32 v4, 0xffff, v9
	s_and_b32 s18, s66, exec_lo
	s_delay_alu instid0(VALU_DEP_1)
	v_lshrrev_b32_e32 v32, 8, v4
.LBB138_391:                            ;   in Loop: Header=BB138_18 Depth=1
	s_or_b32 exec_lo, exec_lo, s28
.LBB138_392:                            ;   in Loop: Header=BB138_18 Depth=1
	s_delay_alu instid0(SALU_CYCLE_1)
	s_and_b32 vcc_lo, exec_lo, s19
	s_cbranch_vccz .LBB138_406
; %bb.393:                              ;   in Loop: Header=BB138_18 Depth=1
	s_and_b64 s[10:11], s[76:77], 0xffffffff00000000
	s_delay_alu instid0(SALU_CYCLE_1)
	s_cmp_lg_u64 s[10:11], 0
	s_cbranch_scc0 .LBB138_425
; %bb.394:                              ;   in Loop: Header=BB138_18 Depth=1
	s_cvt_f32_u32 s4, s56
	s_sub_nc_u64 s[16:17], 0, s[56:57]
	s_delay_alu instid0(SALU_CYCLE_2) | instskip(NEXT) | instid1(SALU_CYCLE_3)
	s_fmamk_f32 s4, s71, 0x0, s4
	v_s_rcp_f32 s4, s4
	s_delay_alu instid0(TRANS32_DEP_1) | instskip(NEXT) | instid1(SALU_CYCLE_3)
	s_mul_f32 s4, s4, 0x5f7ffffc
	s_mul_f32 s10, s4, 0x2f800000
	s_delay_alu instid0(SALU_CYCLE_3) | instskip(NEXT) | instid1(SALU_CYCLE_3)
	s_trunc_f32 s10, s10
	s_fmamk_f32 s4, s10, 0xcf800000, s4
	s_cvt_u32_f32 s11, s10
	s_delay_alu instid0(SALU_CYCLE_2) | instskip(NEXT) | instid1(SALU_CYCLE_3)
	s_cvt_u32_f32 s10, s4
	s_mul_u64 s[40:41], s[16:17], s[10:11]
	s_delay_alu instid0(SALU_CYCLE_1)
	s_mul_hi_u32 s43, s10, s41
	s_mul_i32 s42, s10, s41
	s_mul_hi_u32 s28, s10, s40
	s_mul_i32 s19, s11, s40
	s_add_nc_u64 s[42:43], s[28:29], s[42:43]
	s_mul_hi_u32 s4, s11, s40
	s_mul_hi_u32 s60, s11, s41
	s_add_co_u32 s19, s42, s19
	s_add_co_ci_u32 s28, s43, s4
	s_mul_i32 s40, s11, s41
	s_add_co_ci_u32 s41, s60, 0
	s_delay_alu instid0(SALU_CYCLE_1) | instskip(NEXT) | instid1(SALU_CYCLE_1)
	s_add_nc_u64 s[40:41], s[28:29], s[40:41]
	s_add_co_u32 s10, s10, s40
	s_cselect_b32 s4, -1, 0
	s_delay_alu instid0(SALU_CYCLE_1) | instskip(SKIP_1) | instid1(SALU_CYCLE_1)
	s_cmp_lg_u32 s4, 0
	s_add_co_ci_u32 s11, s11, s41
	s_mul_u64 s[16:17], s[16:17], s[10:11]
	s_delay_alu instid0(SALU_CYCLE_1)
	s_mul_hi_u32 s41, s10, s17
	s_mul_i32 s40, s10, s17
	s_mul_hi_u32 s28, s10, s16
	s_mul_i32 s19, s11, s16
	s_add_nc_u64 s[40:41], s[28:29], s[40:41]
	s_mul_hi_u32 s4, s11, s16
	s_mul_hi_u32 s42, s11, s17
	s_mul_i32 s16, s11, s17
	s_add_co_u32 s17, s40, s19
	s_add_co_ci_u32 s28, s41, s4
	s_add_co_ci_u32 s17, s42, 0
	s_delay_alu instid0(SALU_CYCLE_1) | instskip(NEXT) | instid1(SALU_CYCLE_1)
	s_add_nc_u64 s[16:17], s[28:29], s[16:17]
	s_add_co_u32 s4, s10, s16
	s_cselect_b32 s10, -1, 0
	s_mul_hi_u32 s28, s76, s4
	s_cmp_lg_u32 s10, 0
	s_mul_hi_u32 s19, s77, s4
	s_add_co_ci_u32 s16, s11, s17
	s_mul_i32 s4, s77, s4
	s_mul_hi_u32 s11, s76, s16
	s_mul_i32 s10, s76, s16
	s_mul_hi_u32 s17, s77, s16
	s_add_nc_u64 s[10:11], s[28:29], s[10:11]
	s_mul_i32 s16, s77, s16
	s_add_co_u32 s4, s10, s4
	s_add_co_ci_u32 s28, s11, s19
	s_add_co_ci_u32 s17, s17, 0
	s_delay_alu instid0(SALU_CYCLE_1) | instskip(NEXT) | instid1(SALU_CYCLE_1)
	s_add_nc_u64 s[10:11], s[28:29], s[16:17]
	s_and_b64 s[16:17], s[10:11], 0xffffffff00000000
	s_delay_alu instid0(SALU_CYCLE_1) | instskip(NEXT) | instid1(SALU_CYCLE_1)
	s_or_b32 s16, s16, s10
	s_mul_u64 s[10:11], s[56:57], s[16:17]
	s_delay_alu instid0(SALU_CYCLE_1) | instskip(SKIP_1) | instid1(SALU_CYCLE_1)
	s_sub_co_u32 s4, s76, s10
	s_cselect_b32 s10, -1, 0
	s_cmp_lg_u32 s10, 0
	s_sub_co_ci_u32 s10, s77, s11
	s_sub_co_u32 s11, s4, s56
	s_cselect_b32 s16, -1, 0
	s_delay_alu instid0(SALU_CYCLE_1) | instskip(SKIP_3) | instid1(SALU_CYCLE_1)
	s_cmp_lg_u32 s16, 0
	s_sub_co_ci_u32 s16, s10, 0
	s_sub_co_u32 s17, s11, s56
	s_cselect_b32 s19, -1, 0
	s_cmp_lg_u32 s19, 0
	s_sub_co_ci_u32 s19, s16, 0
	s_cmp_ge_u32 s11, s56
	s_cselect_b32 s28, -1, 0
	s_cmp_eq_u32 s16, 0
	s_cselect_b32 s28, s28, -1
	s_delay_alu instid0(SALU_CYCLE_1)
	s_cmp_lg_u32 s28, 0
	s_cselect_b32 s16, s19, s16
	s_cselect_b32 s17, s17, s11
	s_cmp_ge_u32 s4, s56
	s_cselect_b32 s11, -1, 0
	s_cmp_eq_u32 s10, 0
	s_cselect_b32 s11, s11, -1
	s_delay_alu instid0(SALU_CYCLE_1)
	s_cmp_lg_u32 s11, 0
	s_cselect_b32 s11, s16, s10
	s_cselect_b32 s10, s17, s4
	s_cbranch_execnz .LBB138_396
.LBB138_395:                            ;   in Loop: Header=BB138_18 Depth=1
	v_cvt_f32_u32_e32 v4, s56
	s_sub_co_i32 s10, 0, s56
	s_delay_alu instid0(VALU_DEP_1) | instskip(SKIP_1) | instid1(TRANS32_DEP_1)
	v_rcp_iflag_f32_e32 v4, v4
	v_nop
	v_mul_f32_e32 v4, 0x4f7ffffe, v4
	s_delay_alu instid0(VALU_DEP_1) | instskip(NEXT) | instid1(VALU_DEP_1)
	v_cvt_u32_f32_e32 v4, v4
	v_readfirstlane_b32 s4, v4
	s_mul_i32 s10, s10, s4
	s_delay_alu instid0(SALU_CYCLE_1) | instskip(NEXT) | instid1(SALU_CYCLE_1)
	s_mul_hi_u32 s10, s4, s10
	s_add_co_i32 s4, s4, s10
	s_delay_alu instid0(SALU_CYCLE_1) | instskip(NEXT) | instid1(SALU_CYCLE_1)
	s_mul_hi_u32 s4, s76, s4
	s_mul_i32 s4, s4, s56
	s_delay_alu instid0(SALU_CYCLE_1) | instskip(NEXT) | instid1(SALU_CYCLE_1)
	s_sub_co_i32 s4, s76, s4
	s_sub_co_i32 s10, s4, s56
	s_cmp_ge_u32 s4, s56
	s_cselect_b32 s4, s10, s4
	s_delay_alu instid0(SALU_CYCLE_1) | instskip(SKIP_2) | instid1(SALU_CYCLE_1)
	s_sub_co_i32 s10, s4, s56
	s_cmp_ge_u32 s4, s56
	s_cselect_b32 s28, s10, s4
	s_mov_b64 s[10:11], s[28:29]
.LBB138_396:                            ;   in Loop: Header=BB138_18 Depth=1
	s_delay_alu instid0(SALU_CYCLE_1)
	s_sub_nc_u64 s[10:11], s[76:77], s[10:11]
	s_mov_b32 s16, exec_lo
                                        ; implicit-def: $vgpr32
	v_cmpx_gt_u64_e64 s[10:11], v[0:1]
	s_cbranch_execz .LBB138_405
; %bb.397:                              ;   in Loop: Header=BB138_18 Depth=1
	v_mov_b64_e32 v[4:5], v[0:1]
	s_mov_b32 s17, 0
                                        ; implicit-def: $sgpr19
	s_branch .LBB138_400
.LBB138_398:                            ;   in Loop: Header=BB138_400 Depth=2
	s_or_b32 exec_lo, exec_lo, s28
	s_wait_dscnt 0x0
	s_barrier_signal -1
	s_barrier_wait -1
	ds_load_u16 v8, v3 offset:3072
	s_mov_b32 s28, -1
	s_mov_b32 s4, -1
	s_wait_dscnt 0x0
	s_barrier_signal -1
	s_barrier_wait -1
	v_and_b32_e32 v9, 0xff, v8
	s_delay_alu instid0(VALU_DEP_1)
	v_cmp_eq_u32_e32 vcc_lo, 0, v9
	s_cbranch_vccnz .LBB138_403
.LBB138_399:                            ;   in Loop: Header=BB138_400 Depth=2
	s_and_b32 s28, exec_lo, s28
	s_delay_alu instid0(SALU_CYCLE_1) | instskip(SKIP_2) | instid1(SALU_CYCLE_1)
	s_or_b32 s17, s28, s17
	s_and_not1_b32 s19, s19, exec_lo
	s_and_b32 s4, s4, exec_lo
	s_or_b32 s19, s19, s4
	s_and_not1_b32 exec_lo, exec_lo, s17
	s_cbranch_execz .LBB138_404
.LBB138_400:                            ;   Parent Loop BB138_18 Depth=1
                                        ; =>  This Inner Loop Header: Depth=2
	s_mov_b32 s28, exec_lo
	s_delay_alu instid0(VALU_DEP_1)
	v_cmpx_gt_u64_e64 s[36:37], v[4:5]
	s_cbranch_execz .LBB138_398
; %bb.401:                              ;   in Loop: Header=BB138_400 Depth=2
	v_mad_nc_u64_u32 v[8:9], v4, s30, s[34:35]
	s_delay_alu instid0(VALU_DEP_1) | instskip(NEXT) | instid1(VALU_DEP_1)
	v_mad_u32 v9, v5, s30, v9
	v_mad_u32 v9, v4, s31, v9
	global_load_u8 v8, v[8:9], off
	s_wait_loadcnt 0x0
	v_bfe_i32 v9, v8, 0, 8
	s_delay_alu instid0(VALU_DEP_1) | instskip(NEXT) | instid1(VALU_DEP_1)
	v_add_nc_u32_e32 v9, 0x80, v9
	v_and_b32_e32 v9, v9, v31
	s_delay_alu instid0(VALU_DEP_1)
	v_cmp_eq_u32_e32 vcc_lo, v9, v29
	s_and_b32 exec_lo, exec_lo, vcc_lo
	s_cbranch_execz .LBB138_398
; %bb.402:                              ;   in Loop: Header=BB138_400 Depth=2
	v_lshlrev_b16 v8, 8, v8
	s_delay_alu instid0(VALU_DEP_1)
	v_or_b32_e32 v8, 1, v8
	ds_store_b16 v3, v8 offset:3072
	s_branch .LBB138_398
.LBB138_403:                            ;   in Loop: Header=BB138_400 Depth=2
	v_add_nc_u64_e32 v[4:5], s[56:57], v[4:5]
	s_mov_b32 s4, 0
	s_delay_alu instid0(VALU_DEP_1)
	v_cmp_le_u64_e32 vcc_lo, s[10:11], v[4:5]
	s_or_not1_b32 s28, vcc_lo, exec_lo
	s_branch .LBB138_399
.LBB138_404:                            ;   in Loop: Header=BB138_18 Depth=1
	s_or_b32 exec_lo, exec_lo, s17
	v_and_b32_e32 v4, 0xffff, v8
	s_and_not1_b32 s4, s18, exec_lo
	s_and_b32 s10, s19, exec_lo
	s_delay_alu instid0(SALU_CYCLE_1) | instskip(NEXT) | instid1(VALU_DEP_1)
	s_or_b32 s18, s4, s10
	v_lshrrev_b32_e32 v32, 8, v4
.LBB138_405:                            ;   in Loop: Header=BB138_18 Depth=1
	s_or_b32 exec_lo, exec_lo, s16
	s_mov_b32 s83, 0
	s_mov_b32 s85, -1
.LBB138_406:                            ;   in Loop: Header=BB138_18 Depth=1
	s_or_not1_b32 s10, s18, exec_lo
.LBB138_407:                            ;   in Loop: Header=BB138_18 Depth=1
	s_or_b32 exec_lo, exec_lo, s87
	s_mov_b32 s11, 0
	s_and_saveexec_b32 s18, s10
	s_cbranch_execz .LBB138_469
; %bb.408:                              ;   in Loop: Header=BB138_18 Depth=1
	v_mov_b64_e32 v[4:5], 1
	v_mov_b32_e32 v2, 1
	s_xor_b32 s4, s86, -1
	s_delay_alu instid0(SALU_CYCLE_1)
	s_and_saveexec_b32 s10, s4
	s_cbranch_execz .LBB138_417
; %bb.409:                              ;   in Loop: Header=BB138_18 Depth=1
	s_mov_b32 s4, exec_lo
	v_cmpx_ge_u64_e64 s[14:15], v[6:7]
	s_xor_b32 s11, exec_lo, s4
	s_cbranch_execz .LBB138_414
; %bb.410:                              ;   in Loop: Header=BB138_18 Depth=1
	ds_load_b64 v[4:5], v3 offset:5120
	s_lshl_b32 s4, 1, s72
	v_or_b32_e32 v31, s24, v31
	v_and_or_b32 v29, v29, s25, s4
	s_wait_dscnt 0x0
	v_cmp_ne_u64_e32 vcc_lo, 0, v[4:5]
	s_cbranch_vccnz .LBB138_414
; %bb.411:                              ;   in Loop: Header=BB138_18 Depth=1
	s_and_saveexec_b32 s4, s5
; %bb.412:                              ;   in Loop: Header=BB138_18 Depth=1
	v_mov_b64_e32 v[4:5], s[14:15]
	ds_store_b64 v3, v[4:5] offset:5128
; %bb.413:                              ;   in Loop: Header=BB138_18 Depth=1
	s_or_b32 exec_lo, exec_lo, s4
	s_wait_dscnt 0x0
	s_barrier_signal -1
	s_barrier_wait -1
.LBB138_414:                            ;   in Loop: Header=BB138_18 Depth=1
	s_or_saveexec_b32 s11, s11
	v_mov_b32_e32 v2, 5
	s_mov_b32 s16, 0
	s_xor_b32 exec_lo, exec_lo, s11
; %bb.415:                              ;   in Loop: Header=BB138_18 Depth=1
	v_sub_nc_u64_e64 v[6:7], v[6:7], s[14:15]
	v_mov_b32_e32 v2, 0
	s_mov_b32 s16, exec_lo
; %bb.416:                              ;   in Loop: Header=BB138_18 Depth=1
	s_or_b32 exec_lo, exec_lo, s11
	s_delay_alu instid0(VALU_DEP_2)
	v_mov_b64_e32 v[4:5], v[6:7]
	s_and_b32 s11, s16, exec_lo
.LBB138_417:                            ;   in Loop: Header=BB138_18 Depth=1
	s_or_b32 exec_lo, exec_lo, s10
	s_mov_b32 s10, -1
                                        ; implicit-def: $sgpr89
                                        ; implicit-def: $sgpr88
	s_and_saveexec_b32 s19, s11
	s_cbranch_execz .LBB138_468
; %bb.418:                              ;   in Loop: Header=BB138_18 Depth=1
	s_delay_alu instid0(VALU_DEP_1) | instskip(SKIP_3) | instid1(SALU_CYCLE_1)
	v_cmp_eq_u64_e32 vcc_lo, 1, v[4:5]
	s_cmp_eq_u64 s[12:13], 1
	s_mov_b32 s11, -1
	s_cselect_b32 s4, -1, 0
                                        ; implicit-def: $sgpr89
                                        ; implicit-def: $sgpr88
	s_and_b32 s86, s4, vcc_lo
	s_delay_alu instid0(SALU_CYCLE_1)
	s_and_saveexec_b32 s87, s86
	s_cbranch_execz .LBB138_456
; %bb.419:                              ;   in Loop: Header=BB138_18 Depth=1
	ds_load_b64 v[6:7], v3 offset:5120
	s_wait_dscnt 0x0
	s_barrier_signal -1
	s_barrier_wait -1
	v_readfirstlane_b32 s10, v6
	v_readfirstlane_b32 s11, v7
	s_and_saveexec_b32 s4, s6
; %bb.420:                              ;   in Loop: Header=BB138_18 Depth=1
	ds_store_b8 v0, v3 offset:3072
; %bb.421:                              ;   in Loop: Header=BB138_18 Depth=1
	s_or_b32 exec_lo, exec_lo, s4
	v_and_b32_e32 v29, s25, v29
	v_or_b32_e32 v31, s24, v31
	s_mov_b32 s88, -1
	s_mov_b32 s89, 0
	s_cmp_eq_u64 s[10:11], 0
	s_mov_b32 s16, 0
	s_mov_b32 s17, -1
	s_wait_dscnt 0x0
	s_barrier_signal -1
	s_barrier_wait -1
                                        ; implicit-def: $vgpr32
	s_cbranch_scc1 .LBB138_439
; %bb.422:                              ;   in Loop: Header=BB138_18 Depth=1
	s_add_nc_u64 s[14:15], s[10:11], s[74:75]
	s_delay_alu instid0(SALU_CYCLE_1) | instskip(NEXT) | instid1(SALU_CYCLE_1)
	s_and_b64 s[16:17], s[14:15], 0xffffffff00000000
	s_cmp_lg_u64 s[16:17], 0
	s_cbranch_scc0 .LBB138_426
; %bb.423:                              ;   in Loop: Header=BB138_18 Depth=1
	s_cvt_f32_u32 s4, s56
	s_sub_nc_u64 s[40:41], 0, s[56:57]
	s_delay_alu instid0(SALU_CYCLE_2) | instskip(NEXT) | instid1(SALU_CYCLE_3)
	s_fmamk_f32 s4, s71, 0x0, s4
	v_s_rcp_f32 s4, s4
	s_delay_alu instid0(TRANS32_DEP_1) | instskip(NEXT) | instid1(SALU_CYCLE_3)
	s_mul_f32 s4, s4, 0x5f7ffffc
	s_mul_f32 s16, s4, 0x2f800000
	s_delay_alu instid0(SALU_CYCLE_3) | instskip(NEXT) | instid1(SALU_CYCLE_3)
	s_trunc_f32 s16, s16
	s_fmamk_f32 s4, s16, 0xcf800000, s4
	s_cvt_u32_f32 s17, s16
	s_delay_alu instid0(SALU_CYCLE_2) | instskip(NEXT) | instid1(SALU_CYCLE_3)
	s_cvt_u32_f32 s16, s4
	s_mul_u64 s[42:43], s[40:41], s[16:17]
	s_delay_alu instid0(SALU_CYCLE_1)
	s_mul_hi_u32 s67, s16, s43
	s_mul_i32 s66, s16, s43
	s_mul_hi_u32 s28, s16, s42
	s_mul_i32 s60, s17, s42
	s_add_nc_u64 s[66:67], s[28:29], s[66:67]
	s_mul_hi_u32 s4, s17, s42
	s_mul_hi_u32 s61, s17, s43
	s_add_co_u32 s28, s66, s60
	s_add_co_ci_u32 s28, s67, s4
	s_mul_i32 s42, s17, s43
	s_add_co_ci_u32 s43, s61, 0
	s_delay_alu instid0(SALU_CYCLE_1) | instskip(NEXT) | instid1(SALU_CYCLE_1)
	s_add_nc_u64 s[42:43], s[28:29], s[42:43]
	s_add_co_u32 s16, s16, s42
	s_cselect_b32 s4, -1, 0
	s_delay_alu instid0(SALU_CYCLE_1) | instskip(SKIP_1) | instid1(SALU_CYCLE_1)
	s_cmp_lg_u32 s4, 0
	s_add_co_ci_u32 s17, s17, s43
	s_mul_u64 s[40:41], s[40:41], s[16:17]
	s_delay_alu instid0(SALU_CYCLE_1)
	s_mul_hi_u32 s43, s16, s41
	s_mul_i32 s42, s16, s41
	s_mul_hi_u32 s28, s16, s40
	s_mul_i32 s60, s17, s40
	s_add_nc_u64 s[42:43], s[28:29], s[42:43]
	s_mul_hi_u32 s4, s17, s40
	s_mul_hi_u32 s61, s17, s41
	s_add_co_u32 s28, s42, s60
	s_add_co_ci_u32 s28, s43, s4
	s_mul_i32 s40, s17, s41
	s_add_co_ci_u32 s41, s61, 0
	s_delay_alu instid0(SALU_CYCLE_1) | instskip(NEXT) | instid1(SALU_CYCLE_1)
	s_add_nc_u64 s[40:41], s[28:29], s[40:41]
	s_add_co_u32 s4, s16, s40
	s_cselect_b32 s16, -1, 0
	s_mul_hi_u32 s28, s14, s4
	s_cmp_lg_u32 s16, 0
	s_mul_hi_u32 s42, s15, s4
	s_add_co_ci_u32 s40, s17, s41
	s_mul_i32 s4, s15, s4
	s_mul_hi_u32 s17, s14, s40
	s_mul_i32 s16, s14, s40
	s_mul_hi_u32 s41, s15, s40
	s_add_nc_u64 s[16:17], s[28:29], s[16:17]
	s_mul_i32 s40, s15, s40
	s_add_co_u32 s4, s16, s4
	s_add_co_ci_u32 s28, s17, s42
	s_add_co_ci_u32 s41, s41, 0
	s_delay_alu instid0(SALU_CYCLE_1) | instskip(NEXT) | instid1(SALU_CYCLE_1)
	s_add_nc_u64 s[16:17], s[28:29], s[40:41]
	s_and_b64 s[40:41], s[16:17], 0xffffffff00000000
	s_delay_alu instid0(SALU_CYCLE_1) | instskip(NEXT) | instid1(SALU_CYCLE_1)
	s_or_b32 s40, s40, s16
	s_mul_u64 s[16:17], s[56:57], s[40:41]
	s_delay_alu instid0(SALU_CYCLE_1) | instskip(SKIP_1) | instid1(SALU_CYCLE_1)
	s_sub_co_u32 s4, s14, s16
	s_cselect_b32 s16, -1, 0
	s_cmp_lg_u32 s16, 0
	s_sub_co_ci_u32 s16, s15, s17
	s_sub_co_u32 s17, s4, s56
	s_cselect_b32 s28, -1, 0
	s_delay_alu instid0(SALU_CYCLE_1) | instskip(SKIP_3) | instid1(SALU_CYCLE_1)
	s_cmp_lg_u32 s28, 0
	s_sub_co_ci_u32 s28, s16, 0
	s_sub_co_u32 s40, s17, s56
	s_cselect_b32 s41, -1, 0
	s_cmp_lg_u32 s41, 0
	s_sub_co_ci_u32 s41, s28, 0
	s_cmp_ge_u32 s17, s56
	s_cselect_b32 s42, -1, 0
	s_cmp_eq_u32 s28, 0
	s_cselect_b32 s42, s42, -1
	s_delay_alu instid0(SALU_CYCLE_1)
	s_cmp_lg_u32 s42, 0
	s_cselect_b32 s28, s41, s28
	s_cselect_b32 s40, s40, s17
	s_cmp_ge_u32 s4, s56
	s_cselect_b32 s17, -1, 0
	s_cmp_eq_u32 s16, 0
	s_cselect_b32 s17, s17, -1
	s_delay_alu instid0(SALU_CYCLE_1)
	s_cmp_lg_u32 s17, 0
	s_cselect_b32 s17, s28, s16
	s_cselect_b32 s16, s40, s4
	s_mov_b32 s4, 0
	s_branch .LBB138_427
.LBB138_424:                            ;   in Loop: Header=BB138_18 Depth=1
                                        ; implicit-def: $sgpr18_sgpr19
	s_branch .LBB138_379
.LBB138_425:                            ;   in Loop: Header=BB138_18 Depth=1
                                        ; implicit-def: $sgpr10_sgpr11
	s_branch .LBB138_395
.LBB138_426:                            ;   in Loop: Header=BB138_18 Depth=1
	s_mov_b32 s4, -1
                                        ; implicit-def: $sgpr16_sgpr17
.LBB138_427:                            ;   in Loop: Header=BB138_18 Depth=1
	s_delay_alu instid0(SALU_CYCLE_1)
	s_and_not1_b32 vcc_lo, exec_lo, s4
	s_cbranch_vccnz .LBB138_429
; %bb.428:                              ;   in Loop: Header=BB138_18 Depth=1
	v_cvt_f32_u32_e32 v6, s56
	s_sub_co_i32 s16, 0, s56
	s_delay_alu instid0(VALU_DEP_1) | instskip(SKIP_1) | instid1(TRANS32_DEP_1)
	v_rcp_iflag_f32_e32 v6, v6
	v_nop
	v_mul_f32_e32 v6, 0x4f7ffffe, v6
	s_delay_alu instid0(VALU_DEP_1) | instskip(NEXT) | instid1(VALU_DEP_1)
	v_cvt_u32_f32_e32 v6, v6
	v_readfirstlane_b32 s4, v6
	s_mul_i32 s16, s16, s4
	s_delay_alu instid0(SALU_CYCLE_1) | instskip(NEXT) | instid1(SALU_CYCLE_1)
	s_mul_hi_u32 s16, s4, s16
	s_add_co_i32 s4, s4, s16
	s_delay_alu instid0(SALU_CYCLE_1) | instskip(NEXT) | instid1(SALU_CYCLE_1)
	s_mul_hi_u32 s4, s14, s4
	s_mul_i32 s4, s4, s56
	s_delay_alu instid0(SALU_CYCLE_1) | instskip(NEXT) | instid1(SALU_CYCLE_1)
	s_sub_co_i32 s4, s14, s4
	s_sub_co_i32 s16, s4, s56
	s_cmp_ge_u32 s4, s56
	s_cselect_b32 s4, s16, s4
	s_delay_alu instid0(SALU_CYCLE_1) | instskip(SKIP_2) | instid1(SALU_CYCLE_1)
	s_sub_co_i32 s16, s4, s56
	s_cmp_ge_u32 s4, s56
	s_cselect_b32 s28, s16, s4
	s_mov_b64 s[16:17], s[28:29]
.LBB138_429:                            ;   in Loop: Header=BB138_18 Depth=1
	s_delay_alu instid0(SALU_CYCLE_1)
	s_sub_nc_u64 s[14:15], s[14:15], s[16:17]
	s_mov_b32 s17, 0
	s_mov_b32 s16, 0
	s_mov_b32 s28, exec_lo
                                        ; implicit-def: $vgpr32
	v_cmpx_gt_u64_e64 s[14:15], v[0:1]
	s_cbranch_execz .LBB138_438
; %bb.430:                              ;   in Loop: Header=BB138_18 Depth=1
	v_mov_b64_e32 v[6:7], v[0:1]
	v_mov_b32_e32 v8, v0
                                        ; implicit-def: $sgpr66
	s_branch .LBB138_433
.LBB138_431:                            ;   in Loop: Header=BB138_433 Depth=2
	s_or_b32 exec_lo, exec_lo, s67
	s_wait_dscnt 0x0
	s_barrier_signal -1
	s_barrier_wait -1
	ds_load_u16 v9, v3 offset:3072
	s_mov_b32 s4, -1
	s_mov_b32 s40, -1
	s_wait_dscnt 0x0
	s_barrier_signal -1
	s_barrier_wait -1
	v_and_b32_e32 v10, 0xff, v9
	s_delay_alu instid0(VALU_DEP_1)
	v_cmp_ne_u32_e32 vcc_lo, 0, v10
	s_cbranch_vccz .LBB138_436
.LBB138_432:                            ;   in Loop: Header=BB138_433 Depth=2
	s_and_b32 s4, exec_lo, s4
	s_delay_alu instid0(SALU_CYCLE_1) | instskip(SKIP_2) | instid1(SALU_CYCLE_1)
	s_or_b32 s16, s4, s16
	s_and_not1_b32 s4, s66, exec_lo
	s_and_b32 s40, s40, exec_lo
	s_or_b32 s66, s4, s40
	s_and_not1_b32 exec_lo, exec_lo, s16
	s_cbranch_execz .LBB138_437
.LBB138_433:                            ;   Parent Loop BB138_18 Depth=1
                                        ; =>  This Inner Loop Header: Depth=2
	s_mov_b32 s67, exec_lo
	s_delay_alu instid0(VALU_DEP_2)
	v_cmpx_gt_u64_e64 s[10:11], v[6:7]
	s_cbranch_execz .LBB138_431
; %bb.434:                              ;   in Loop: Header=BB138_433 Depth=2
	ds_load_u8 v9, v8
	s_wait_dscnt 0x0
	v_bfe_i32 v10, v9, 0, 8
	s_delay_alu instid0(VALU_DEP_1) | instskip(NEXT) | instid1(VALU_DEP_1)
	v_add_nc_u32_e32 v10, 0x80, v10
	v_and_b32_e32 v10, v10, v31
	s_delay_alu instid0(VALU_DEP_1)
	v_cmp_eq_u32_e32 vcc_lo, v10, v29
	s_and_b32 exec_lo, exec_lo, vcc_lo
	s_cbranch_execz .LBB138_431
; %bb.435:                              ;   in Loop: Header=BB138_433 Depth=2
	v_lshlrev_b16 v9, 8, v9
	s_delay_alu instid0(VALU_DEP_1)
	v_or_b32_e32 v9, 1, v9
	ds_store_b16 v3, v9 offset:3072
	s_branch .LBB138_431
.LBB138_436:                            ;   in Loop: Header=BB138_433 Depth=2
	v_add_nc_u64_e32 v[6:7], s[56:57], v[6:7]
	v_add_nc_u32_e32 v8, s56, v8
	s_mov_b32 s40, 0
	s_delay_alu instid0(VALU_DEP_2)
	v_cmp_le_u64_e32 vcc_lo, s[14:15], v[6:7]
	s_or_not1_b32 s4, vcc_lo, exec_lo
	s_branch .LBB138_432
.LBB138_437:                            ;   in Loop: Header=BB138_18 Depth=1
	s_or_b32 exec_lo, exec_lo, s16
	v_and_b32_e32 v6, 0xffff, v9
	s_and_b32 s16, s66, exec_lo
	s_delay_alu instid0(VALU_DEP_1)
	v_lshrrev_b32_e32 v32, 8, v6
.LBB138_438:                            ;   in Loop: Header=BB138_18 Depth=1
	s_or_b32 exec_lo, exec_lo, s28
.LBB138_439:                            ;   in Loop: Header=BB138_18 Depth=1
	s_delay_alu instid0(SALU_CYCLE_1)
	s_and_b32 vcc_lo, exec_lo, s17
	s_cbranch_vccz .LBB138_455
; %bb.440:                              ;   in Loop: Header=BB138_18 Depth=1
	s_and_b64 s[10:11], s[76:77], 0xffffffff00000000
	s_delay_alu instid0(SALU_CYCLE_1)
	s_cmp_lg_u64 s[10:11], 0
	s_cbranch_scc0 .LBB138_442
; %bb.441:                              ;   in Loop: Header=BB138_18 Depth=1
	s_cvt_f32_u32 s4, s56
	s_sub_nc_u64 s[14:15], 0, s[56:57]
	s_delay_alu instid0(SALU_CYCLE_2) | instskip(NEXT) | instid1(SALU_CYCLE_3)
	s_fmamk_f32 s4, s71, 0x0, s4
	v_s_rcp_f32 s4, s4
	s_delay_alu instid0(TRANS32_DEP_1) | instskip(NEXT) | instid1(SALU_CYCLE_3)
	s_mul_f32 s4, s4, 0x5f7ffffc
	s_mul_f32 s10, s4, 0x2f800000
	s_delay_alu instid0(SALU_CYCLE_3) | instskip(NEXT) | instid1(SALU_CYCLE_3)
	s_trunc_f32 s10, s10
	s_fmamk_f32 s4, s10, 0xcf800000, s4
	s_cvt_u32_f32 s11, s10
	s_delay_alu instid0(SALU_CYCLE_2) | instskip(NEXT) | instid1(SALU_CYCLE_3)
	s_cvt_u32_f32 s10, s4
	s_mul_u64 s[40:41], s[14:15], s[10:11]
	s_delay_alu instid0(SALU_CYCLE_1)
	s_mul_hi_u32 s43, s10, s41
	s_mul_i32 s42, s10, s41
	s_mul_hi_u32 s28, s10, s40
	s_mul_i32 s17, s11, s40
	s_add_nc_u64 s[42:43], s[28:29], s[42:43]
	s_mul_hi_u32 s4, s11, s40
	s_mul_hi_u32 s60, s11, s41
	s_add_co_u32 s17, s42, s17
	s_add_co_ci_u32 s28, s43, s4
	s_mul_i32 s40, s11, s41
	s_add_co_ci_u32 s41, s60, 0
	s_delay_alu instid0(SALU_CYCLE_1) | instskip(NEXT) | instid1(SALU_CYCLE_1)
	s_add_nc_u64 s[40:41], s[28:29], s[40:41]
	s_add_co_u32 s10, s10, s40
	s_cselect_b32 s4, -1, 0
	s_delay_alu instid0(SALU_CYCLE_1) | instskip(SKIP_1) | instid1(SALU_CYCLE_1)
	s_cmp_lg_u32 s4, 0
	s_add_co_ci_u32 s11, s11, s41
	s_mul_u64 s[14:15], s[14:15], s[10:11]
	s_delay_alu instid0(SALU_CYCLE_1)
	s_mul_hi_u32 s41, s10, s15
	s_mul_i32 s40, s10, s15
	s_mul_hi_u32 s28, s10, s14
	s_mul_i32 s17, s11, s14
	s_add_nc_u64 s[40:41], s[28:29], s[40:41]
	s_mul_hi_u32 s4, s11, s14
	s_mul_hi_u32 s42, s11, s15
	s_mul_i32 s14, s11, s15
	s_add_co_u32 s15, s40, s17
	s_add_co_ci_u32 s28, s41, s4
	s_add_co_ci_u32 s15, s42, 0
	s_delay_alu instid0(SALU_CYCLE_1) | instskip(NEXT) | instid1(SALU_CYCLE_1)
	s_add_nc_u64 s[14:15], s[28:29], s[14:15]
	s_add_co_u32 s4, s10, s14
	s_cselect_b32 s10, -1, 0
	s_mul_hi_u32 s28, s76, s4
	s_cmp_lg_u32 s10, 0
	s_mul_hi_u32 s17, s77, s4
	s_add_co_ci_u32 s14, s11, s15
	s_mul_i32 s4, s77, s4
	s_mul_hi_u32 s11, s76, s14
	s_mul_i32 s10, s76, s14
	s_mul_hi_u32 s15, s77, s14
	s_add_nc_u64 s[10:11], s[28:29], s[10:11]
	s_mul_i32 s14, s77, s14
	s_add_co_u32 s4, s10, s4
	s_add_co_ci_u32 s28, s11, s17
	s_add_co_ci_u32 s15, s15, 0
	s_delay_alu instid0(SALU_CYCLE_1) | instskip(NEXT) | instid1(SALU_CYCLE_1)
	s_add_nc_u64 s[10:11], s[28:29], s[14:15]
	s_and_b64 s[14:15], s[10:11], 0xffffffff00000000
	s_delay_alu instid0(SALU_CYCLE_1) | instskip(NEXT) | instid1(SALU_CYCLE_1)
	s_or_b32 s14, s14, s10
	s_mul_u64 s[10:11], s[56:57], s[14:15]
	s_delay_alu instid0(SALU_CYCLE_1) | instskip(SKIP_1) | instid1(SALU_CYCLE_1)
	s_sub_co_u32 s4, s76, s10
	s_cselect_b32 s10, -1, 0
	s_cmp_lg_u32 s10, 0
	s_sub_co_ci_u32 s10, s77, s11
	s_sub_co_u32 s11, s4, s56
	s_cselect_b32 s14, -1, 0
	s_delay_alu instid0(SALU_CYCLE_1) | instskip(SKIP_3) | instid1(SALU_CYCLE_1)
	s_cmp_lg_u32 s14, 0
	s_sub_co_ci_u32 s14, s10, 0
	s_sub_co_u32 s15, s11, s56
	s_cselect_b32 s17, -1, 0
	s_cmp_lg_u32 s17, 0
	s_sub_co_ci_u32 s17, s14, 0
	s_cmp_ge_u32 s11, s56
	s_cselect_b32 s28, -1, 0
	s_cmp_eq_u32 s14, 0
	s_cselect_b32 s28, s28, -1
	s_delay_alu instid0(SALU_CYCLE_1)
	s_cmp_lg_u32 s28, 0
	s_cselect_b32 s14, s17, s14
	s_cselect_b32 s15, s15, s11
	s_cmp_ge_u32 s4, s56
	s_cselect_b32 s11, -1, 0
	s_cmp_eq_u32 s10, 0
	s_cselect_b32 s11, s11, -1
	s_delay_alu instid0(SALU_CYCLE_1)
	s_cmp_lg_u32 s11, 0
	s_cselect_b32 s11, s14, s10
	s_cselect_b32 s10, s15, s4
	s_mov_b32 s4, 0
	s_branch .LBB138_443
.LBB138_442:                            ;   in Loop: Header=BB138_18 Depth=1
	s_mov_b32 s4, -1
                                        ; implicit-def: $sgpr10_sgpr11
.LBB138_443:                            ;   in Loop: Header=BB138_18 Depth=1
	s_delay_alu instid0(SALU_CYCLE_1)
	s_and_not1_b32 vcc_lo, exec_lo, s4
	s_cbranch_vccnz .LBB138_445
; %bb.444:                              ;   in Loop: Header=BB138_18 Depth=1
	v_cvt_f32_u32_e32 v6, s56
	s_sub_co_i32 s10, 0, s56
	s_delay_alu instid0(VALU_DEP_1) | instskip(SKIP_1) | instid1(TRANS32_DEP_1)
	v_rcp_iflag_f32_e32 v6, v6
	v_nop
	v_mul_f32_e32 v6, 0x4f7ffffe, v6
	s_delay_alu instid0(VALU_DEP_1) | instskip(NEXT) | instid1(VALU_DEP_1)
	v_cvt_u32_f32_e32 v6, v6
	v_readfirstlane_b32 s4, v6
	s_mul_i32 s10, s10, s4
	s_delay_alu instid0(SALU_CYCLE_1) | instskip(NEXT) | instid1(SALU_CYCLE_1)
	s_mul_hi_u32 s10, s4, s10
	s_add_co_i32 s4, s4, s10
	s_delay_alu instid0(SALU_CYCLE_1) | instskip(NEXT) | instid1(SALU_CYCLE_1)
	s_mul_hi_u32 s4, s76, s4
	s_mul_i32 s4, s4, s56
	s_delay_alu instid0(SALU_CYCLE_1) | instskip(NEXT) | instid1(SALU_CYCLE_1)
	s_sub_co_i32 s4, s76, s4
	s_sub_co_i32 s10, s4, s56
	s_cmp_ge_u32 s4, s56
	s_cselect_b32 s4, s10, s4
	s_delay_alu instid0(SALU_CYCLE_1) | instskip(SKIP_2) | instid1(SALU_CYCLE_1)
	s_sub_co_i32 s10, s4, s56
	s_cmp_ge_u32 s4, s56
	s_cselect_b32 s28, s10, s4
	s_mov_b64 s[10:11], s[28:29]
.LBB138_445:                            ;   in Loop: Header=BB138_18 Depth=1
	s_delay_alu instid0(SALU_CYCLE_1)
	s_sub_nc_u64 s[10:11], s[76:77], s[10:11]
	s_mov_b32 s14, exec_lo
                                        ; implicit-def: $vgpr32
	v_cmpx_gt_u64_e64 s[10:11], v[0:1]
	s_cbranch_execz .LBB138_454
; %bb.446:                              ;   in Loop: Header=BB138_18 Depth=1
	v_mov_b64_e32 v[6:7], v[0:1]
	s_mov_b32 s15, 0
                                        ; implicit-def: $sgpr17
	s_branch .LBB138_449
.LBB138_447:                            ;   in Loop: Header=BB138_449 Depth=2
	s_or_b32 exec_lo, exec_lo, s28
	s_wait_dscnt 0x0
	s_barrier_signal -1
	s_barrier_wait -1
	ds_load_u16 v8, v3 offset:3072
	s_mov_b32 s28, -1
	s_mov_b32 s4, -1
	s_wait_dscnt 0x0
	s_barrier_signal -1
	s_barrier_wait -1
	v_and_b32_e32 v9, 0xff, v8
	s_delay_alu instid0(VALU_DEP_1)
	v_cmp_eq_u32_e32 vcc_lo, 0, v9
	s_cbranch_vccnz .LBB138_452
.LBB138_448:                            ;   in Loop: Header=BB138_449 Depth=2
	s_and_b32 s28, exec_lo, s28
	s_delay_alu instid0(SALU_CYCLE_1) | instskip(SKIP_2) | instid1(SALU_CYCLE_1)
	s_or_b32 s15, s28, s15
	s_and_not1_b32 s17, s17, exec_lo
	s_and_b32 s4, s4, exec_lo
	s_or_b32 s17, s17, s4
	s_and_not1_b32 exec_lo, exec_lo, s15
	s_cbranch_execz .LBB138_453
.LBB138_449:                            ;   Parent Loop BB138_18 Depth=1
                                        ; =>  This Inner Loop Header: Depth=2
	s_mov_b32 s28, exec_lo
	s_delay_alu instid0(VALU_DEP_1)
	v_cmpx_gt_u64_e64 s[36:37], v[6:7]
	s_cbranch_execz .LBB138_447
; %bb.450:                              ;   in Loop: Header=BB138_449 Depth=2
	v_mad_nc_u64_u32 v[8:9], v6, s30, s[34:35]
	s_delay_alu instid0(VALU_DEP_1) | instskip(NEXT) | instid1(VALU_DEP_1)
	v_mad_u32 v9, v7, s30, v9
	v_mad_u32 v9, v6, s31, v9
	global_load_u8 v8, v[8:9], off
	s_wait_loadcnt 0x0
	v_bfe_i32 v9, v8, 0, 8
	s_delay_alu instid0(VALU_DEP_1) | instskip(NEXT) | instid1(VALU_DEP_1)
	v_add_nc_u32_e32 v9, 0x80, v9
	v_and_b32_e32 v9, v9, v31
	s_delay_alu instid0(VALU_DEP_1)
	v_cmp_eq_u32_e32 vcc_lo, v9, v29
	s_and_b32 exec_lo, exec_lo, vcc_lo
	s_cbranch_execz .LBB138_447
; %bb.451:                              ;   in Loop: Header=BB138_449 Depth=2
	v_lshlrev_b16 v8, 8, v8
	s_delay_alu instid0(VALU_DEP_1)
	v_or_b32_e32 v8, 1, v8
	ds_store_b16 v3, v8 offset:3072
	s_branch .LBB138_447
.LBB138_452:                            ;   in Loop: Header=BB138_449 Depth=2
	v_add_nc_u64_e32 v[6:7], s[56:57], v[6:7]
	s_mov_b32 s4, 0
	s_delay_alu instid0(VALU_DEP_1)
	v_cmp_le_u64_e32 vcc_lo, s[10:11], v[6:7]
	s_or_not1_b32 s28, vcc_lo, exec_lo
	s_branch .LBB138_448
.LBB138_453:                            ;   in Loop: Header=BB138_18 Depth=1
	s_or_b32 exec_lo, exec_lo, s15
	v_and_b32_e32 v6, 0xffff, v8
	s_and_not1_b32 s4, s16, exec_lo
	s_and_b32 s10, s17, exec_lo
	s_delay_alu instid0(SALU_CYCLE_1) | instskip(NEXT) | instid1(VALU_DEP_1)
	s_or_b32 s16, s4, s10
	v_lshrrev_b32_e32 v32, 8, v6
.LBB138_454:                            ;   in Loop: Header=BB138_18 Depth=1
	s_or_b32 exec_lo, exec_lo, s14
	s_mov_b32 s88, 0
	s_mov_b32 s89, -1
.LBB138_455:                            ;   in Loop: Header=BB138_18 Depth=1
	s_or_not1_b32 s11, s16, exec_lo
.LBB138_456:                            ;   in Loop: Header=BB138_18 Depth=1
	s_or_b32 exec_lo, exec_lo, s87
	s_mov_b32 s14, 0
	s_and_saveexec_b32 s10, s11
	s_cbranch_execz .LBB138_467
; %bb.457:                              ;   in Loop: Header=BB138_18 Depth=1
	v_mov_b64_e32 v[6:7], 1
	v_mov_b32_e32 v2, 1
	s_xor_b32 s4, s86, -1
	s_delay_alu instid0(SALU_CYCLE_1)
	s_and_saveexec_b32 s11, s4
	s_cbranch_execz .LBB138_466
; %bb.458:                              ;   in Loop: Header=BB138_18 Depth=1
	s_mov_b32 s4, exec_lo
	v_cmpx_ge_u64_e64 s[12:13], v[4:5]
	s_xor_b32 s14, exec_lo, s4
	s_cbranch_execz .LBB138_463
; %bb.459:                              ;   in Loop: Header=BB138_18 Depth=1
	ds_load_b64 v[6:7], v3 offset:5120
	v_and_b32_e32 v29, s25, v29
	v_or_b32_e32 v31, s24, v31
	s_wait_dscnt 0x0
	v_cmp_ne_u64_e32 vcc_lo, 0, v[6:7]
	s_cbranch_vccnz .LBB138_463
; %bb.460:                              ;   in Loop: Header=BB138_18 Depth=1
	s_and_saveexec_b32 s4, s5
; %bb.461:                              ;   in Loop: Header=BB138_18 Depth=1
	v_mov_b64_e32 v[6:7], s[12:13]
	ds_store_b64 v3, v[6:7] offset:5128
; %bb.462:                              ;   in Loop: Header=BB138_18 Depth=1
	s_or_b32 exec_lo, exec_lo, s4
	s_wait_dscnt 0x0
	s_barrier_signal -1
	s_barrier_wait -1
.LBB138_463:                            ;   in Loop: Header=BB138_18 Depth=1
	s_and_not1_saveexec_b32 s4, s14
; %bb.464:                              ;   in Loop: Header=BB138_18 Depth=1
	v_sub_nc_u64_e64 v[4:5], v[4:5], s[12:13]
; %bb.465:                              ;   in Loop: Header=BB138_18 Depth=1
	s_or_b32 exec_lo, exec_lo, s4
	s_delay_alu instid0(VALU_DEP_1)
	v_mov_b64_e32 v[6:7], v[4:5]
	v_mov_b32_e32 v2, 5
.LBB138_466:                            ;   in Loop: Header=BB138_18 Depth=1
	s_or_b32 exec_lo, exec_lo, s11
	s_delay_alu instid0(VALU_DEP_2)
	v_mov_b64_e32 v[4:5], v[6:7]
	s_mov_b32 s14, exec_lo
.LBB138_467:                            ;   in Loop: Header=BB138_18 Depth=1
	s_or_b32 exec_lo, exec_lo, s10
	s_delay_alu instid0(SALU_CYCLE_1)
	s_or_not1_b32 s10, s14, exec_lo
.LBB138_468:                            ;   in Loop: Header=BB138_18 Depth=1
	s_or_b32 exec_lo, exec_lo, s19
	s_delay_alu instid0(VALU_DEP_1)
	v_mov_b64_e32 v[6:7], v[4:5]
	s_and_not1_b32 s4, s85, exec_lo
	s_and_b32 s11, s89, exec_lo
	s_and_not1_b32 s12, s83, exec_lo
	s_and_b32 s13, s88, exec_lo
	s_or_b32 s85, s4, s11
	s_or_b32 s83, s12, s13
	s_and_b32 s11, s10, exec_lo
.LBB138_469:                            ;   in Loop: Header=BB138_18 Depth=1
	s_or_b32 exec_lo, exec_lo, s18
	s_delay_alu instid0(SALU_CYCLE_1)
	s_or_not1_b32 s10, s11, exec_lo
.LBB138_470:                            ;   in Loop: Header=BB138_18 Depth=1
	s_or_b32 exec_lo, exec_lo, s21
	v_mov_b64_e32 v[4:5], v[6:7]
	s_and_not1_b32 s4, s82, exec_lo
	s_and_b32 s11, s85, exec_lo
	s_and_not1_b32 s12, s23, exec_lo
	s_and_b32 s13, s83, exec_lo
	s_or_b32 s82, s4, s11
	s_or_b32 s23, s12, s13
	s_and_b32 s11, s10, exec_lo
.LBB138_471:                            ;   in Loop: Header=BB138_18 Depth=1
	s_or_b32 exec_lo, exec_lo, s20
	s_delay_alu instid0(SALU_CYCLE_1)
	s_or_not1_b32 s10, s11, exec_lo
.LBB138_472:                            ;   in Loop: Header=BB138_18 Depth=1
	s_or_b32 exec_lo, exec_lo, s9
	s_mov_b32 s9, s63
	s_mov_b32 s11, s27
	s_and_saveexec_b32 s12, s10
; %bb.473:                              ;   in Loop: Header=BB138_18 Depth=1
	v_cmp_ne_u32_e32 vcc_lo, 5, v2
	v_cmp_eq_u32_e64 s9, 5, v2
	s_and_not1_b32 s4, s27, exec_lo
	s_and_not1_b32 s10, s63, exec_lo
	s_and_b32 s11, vcc_lo, exec_lo
	s_and_b32 s9, s9, exec_lo
	s_or_b32 s11, s4, s11
	s_or_b32 s9, s10, s9
; %bb.474:                              ;   in Loop: Header=BB138_18 Depth=1
	s_or_b32 exec_lo, exec_lo, s12
	s_delay_alu instid0(SALU_CYCLE_1)
	s_and_not1_b32 s4, s84, exec_lo
	s_and_b32 s10, s82, exec_lo
	s_and_not1_b32 s12, s26, exec_lo
	s_and_b32 s13, s23, exec_lo
	s_or_b32 s84, s4, s10
	s_and_not1_b32 s4, s27, exec_lo
	s_and_b32 s10, s11, exec_lo
	s_and_not1_b32 s11, s63, exec_lo
	s_and_b32 s9, s9, exec_lo
	s_or_b32 s26, s12, s13
	s_or_b32 s27, s4, s10
	;; [unrolled: 1-line block ×3, first 2 shown]
.LBB138_475:                            ;   in Loop: Header=BB138_18 Depth=1
	s_or_b32 exec_lo, exec_lo, s22
	s_mov_b32 s82, 0
	s_mov_b32 s83, 0
	s_and_saveexec_b32 s4, s63
.LBB138_476:                            ;   in Loop: Header=BB138_18 Depth=1
	v_mov_b32_e32 v2, 0
	s_or_b32 s27, s27, exec_lo
.LBB138_477:                            ;   in Loop: Header=BB138_18 Depth=1
	s_or_b32 exec_lo, exec_lo, s4
	v_mov_b64_e32 v[22:23], v[4:5]
	s_and_not1_b32 s4, s8, exec_lo
	s_and_b32 s8, s84, exec_lo
	s_and_not1_b32 s9, s54, exec_lo
	s_and_b32 s11, s26, exec_lo
	s_or_b32 s8, s4, s8
	s_or_b32 s54, s9, s11
	s_and_not1_b32 s4, s62, exec_lo
	s_and_b32 s9, s83, exec_lo
	s_and_not1_b32 s7, s7, exec_lo
	s_and_b32 s11, s82, exec_lo
	s_mov_b32 s10, -1
	s_and_not1_b32 s55, s55, exec_lo
	s_or_b32 s62, s4, s9
	s_or_b32 s7, s7, s11
	s_and_saveexec_b32 s4, s27
	s_delay_alu instid0(SALU_CYCLE_1)
	s_xor_b32 s9, exec_lo, s4
	s_cbranch_execz .LBB138_17
; %bb.478:                              ;   in Loop: Header=BB138_18 Depth=1
	s_mov_b32 s11, -1
	s_mov_b32 s4, exec_lo
	v_cmpx_eq_u32_e32 0, v2
	s_cbranch_execz .LBB138_16
; %bb.479:                              ;   in Loop: Header=BB138_18 Depth=1
	s_xor_b32 s49, s49, 1
	s_add_co_i32 s12, s72, -2
	s_cmp_eq_u32 s72, 0
	s_mov_b32 s72, s12
	s_cselect_b32 s10, -1, 0
	s_xor_b32 s11, exec_lo, -1
	s_or_not1_b32 s10, s10, exec_lo
	s_branch .LBB138_16
.LBB138_480:
	s_or_b32 exec_lo, exec_lo, s73
	s_xor_b32 s7, s53, -1
	s_xor_b32 s9, s51, -1
	;; [unrolled: 1-line block ×5, first 2 shown]
	s_mov_b32 s8, 0
	s_and_saveexec_b32 s11, s10
	s_delay_alu instid0(SALU_CYCLE_1)
	s_xor_b32 s16, exec_lo, s11
	s_cbranch_execnz .LBB138_485
; %bb.481:
	s_and_not1_saveexec_b32 s0, s16
	s_cbranch_execnz .LBB138_504
.LBB138_482:
	s_or_b32 exec_lo, exec_lo, s0
	s_and_saveexec_b32 s0, s8
.LBB138_483:
	; divergent unreachable
.LBB138_484:
	s_endpgm
.LBB138_485:
	s_and_saveexec_b32 s10, s4
	s_delay_alu instid0(SALU_CYCLE_1)
	s_xor_b32 s17, exec_lo, s10
	s_cbranch_execz .LBB138_502
; %bb.486:
	s_and_saveexec_b32 s4, s9
	s_delay_alu instid0(SALU_CYCLE_1)
	s_xor_b32 s18, exec_lo, s4
	s_cbranch_execz .LBB138_500
; %bb.487:
	;; [unrolled: 5-line block ×3, first 2 shown]
	s_and_saveexec_b32 s4, s6
	s_delay_alu instid0(SALU_CYCLE_1)
	s_xor_b32 s4, exec_lo, s4
; %bb.489:
	v_xor_b32_e32 v32, 0xffffff80, v29
; %bb.490:
	s_or_b32 exec_lo, exec_lo, s4
	s_and_saveexec_b32 s4, s5
	v_readlane_b32 s33, v42, 16
; %bb.491:
	v_mov_b64_e32 v[2:3], 0
	v_mov_b32_e32 v4, 0
	ds_store_b64 v4, v[2:3] offset:5136
; %bb.492:
	s_or_b32 exec_lo, exec_lo, s4
	v_mov_b32_e32 v13, 0
	s_wait_dscnt 0x0
	s_barrier_signal -1
	s_barrier_wait -1
	s_and_saveexec_b32 s4, s3
	s_cbranch_execz .LBB138_494
; %bb.493:
	global_load_u8 v13, v[14:15], off
.LBB138_494:
	s_wait_xcnt 0x0
	s_or_b32 exec_lo, exec_lo, s4
	s_clause 0x1
	s_load_b128 s[20:23], s[0:1], 0x1d8
	s_load_b128 s[24:27], s[0:1], 0x298
	v_readlane_b32 s6, v42, 0
	v_readlane_b32 s28, v42, 2
	v_readlane_b32 s7, v42, 1
	v_readlane_b32 s29, v42, 3
	s_load_b64 s[4:5], s[0:1], 0x450
	s_add_nc_u64 s[10:11], s[36:37], 31
	s_mov_b64 s[12:13], 0xffffffffffffffe0
	s_mul_u64 s[14:15], s[64:65], s[46:47]
	s_and_b64 s[10:11], s[10:11], s[12:13]
	s_sub_nc_u64 s[12:13], s[58:59], s[14:15]
	v_readlane_b32 s40, v42, 4
	v_readlane_b32 s41, v42, 5
	;; [unrolled: 1-line block ×4, first 2 shown]
	v_cmp_gt_u64_e32 vcc_lo, s[10:11], v[0:1]
	s_wait_kmcnt 0x0
	s_mul_u64 s[20:21], s[6:7], s[20:21]
	s_mul_u64 s[22:23], s[28:29], s[22:23]
	s_sub_nc_u64 s[14:15], s[28:29], s[20:21]
	s_sub_nc_u64 s[20:21], s[58:59], s[22:23]
	v_readlane_b32 s22, v42, 8
	s_mov_b64 s[50:51], s[26:27]
	v_readlane_b32 s23, v42, 9
	s_mov_b64 s[48:49], s[24:25]
	v_readlane_b32 s26, v42, 10
	s_mul_u64 s[24:25], s[6:7], s[48:49]
	s_clause 0x1
	s_load_b64 s[6:7], s[0:1], 0x510
	s_load_b64 s[8:9], s[0:1], 0x368
	s_mul_u64 s[20:21], s[20:21], s[22:23]
	v_readlane_b32 s22, v42, 12
	v_readlane_b32 s27, v42, 11
	;; [unrolled: 1-line block ×3, first 2 shown]
	s_mul_u64 s[4:5], s[12:13], s[4:5]
	s_mul_u64 s[14:15], s[14:15], s[50:51]
	s_lshl_b64 s[4:5], s[4:5], 3
	s_wait_xcnt 0x0
	s_mul_u64 s[0:1], s[26:27], s[44:45]
	s_add_nc_u64 s[22:23], s[22:23], s[24:25]
	v_readlane_b32 s24, v42, 14
	v_readlane_b32 s25, v42, 15
	s_mul_u64 s[26:27], s[26:27], s[40:41]
	s_sub_nc_u64 s[0:1], s[64:65], s[0:1]
	s_lshl_b64 s[12:13], s[26:27], 3
	s_mul_u64 s[0:1], s[0:1], s[42:43]
	s_add_nc_u64 s[12:13], s[24:25], s[12:13]
	s_lshl_b64 s[0:1], s[0:1], 3
	s_add_nc_u64 s[14:15], s[22:23], s[14:15]
	s_add_nc_u64 s[0:1], s[12:13], s[0:1]
	;; [unrolled: 1-line block ×4, first 2 shown]
	s_mov_b32 s0, -1
	s_mov_b32 s5, 0
	s_mov_b32 s1, 0
	s_and_saveexec_b32 s20, vcc_lo
	s_cbranch_execnz .LBB138_505
; %bb.495:
	s_or_b32 exec_lo, exec_lo, s20
	s_and_saveexec_b32 s4, s0
	s_cbranch_execnz .LBB138_520
.LBB138_496:
	s_or_b32 exec_lo, exec_lo, s4
	s_and_saveexec_b32 s0, s1
	s_delay_alu instid0(SALU_CYCLE_1)
	s_xor_b32 s0, exec_lo, s0
	s_cbranch_execnz .LBB138_543
.LBB138_497:
	s_or_b32 exec_lo, exec_lo, s0
	s_wait_kmcnt 0x0
	s_and_b32 s8, s5, exec_lo
.LBB138_498:
	s_and_not1_saveexec_b32 s0, s19
	s_cbranch_execnz .LBB138_545
.LBB138_499:
	s_or_b32 exec_lo, exec_lo, s0
	s_delay_alu instid0(SALU_CYCLE_1)
	s_and_b32 s8, s8, exec_lo
.LBB138_500:
	s_and_not1_saveexec_b32 s0, s18
	s_cbranch_execnz .LBB138_544
.LBB138_501:
	s_or_b32 exec_lo, exec_lo, s0
	s_delay_alu instid0(SALU_CYCLE_1)
	s_and_b32 s8, s8, exec_lo
.LBB138_502:
	s_and_not1_saveexec_b32 s0, s17
	s_cbranch_execnz .LBB138_539
.LBB138_503:
	s_or_b32 exec_lo, exec_lo, s0
	s_delay_alu instid0(SALU_CYCLE_1)
	s_and_b32 s8, s8, exec_lo
	s_and_not1_saveexec_b32 s0, s16
	s_cbranch_execz .LBB138_482
.LBB138_504:
	s_or_b32 s8, s8, exec_lo
	s_trap 2
	s_or_b32 exec_lo, exec_lo, s0
	s_and_saveexec_b32 s0, s8
	s_cbranch_execnz .LBB138_483
	s_branch .LBB138_484
.LBB138_505:
	v_bfe_i32 v2, v32, 0, 8
	v_mov_b64_e32 v[8:9], v[0:1]
	v_mov_b32_e32 v3, 0
	s_mov_b32 s21, 0
                                        ; implicit-def: $sgpr22
                                        ; implicit-def: $vgpr6_vgpr7
	s_delay_alu instid0(VALU_DEP_3)
	v_add_nc_u32_e32 v16, 0x80, v2
	s_branch .LBB138_507
.LBB138_506:                            ;   in Loop: Header=BB138_507 Depth=1
	s_or_b32 exec_lo, exec_lo, s23
	s_xor_b32 s0, s4, -1
	s_and_b32 s1, exec_lo, s1
	v_mov_b64_e32 v[8:9], v[4:5]
	v_mov_b32_e32 v13, v17
	s_or_b32 s21, s1, s21
	s_and_not1_b32 s1, s22, exec_lo
	s_and_b32 s0, s0, exec_lo
	s_delay_alu instid0(SALU_CYCLE_1)
	s_or_b32 s22, s1, s0
	s_and_not1_b32 exec_lo, exec_lo, s21
	s_cbranch_execz .LBB138_519
.LBB138_507:                            ; =>This Inner Loop Header: Depth=1
	s_delay_alu instid0(VALU_DEP_3) | instskip(SKIP_2) | instid1(VALU_DEP_2)
	v_add_nc_u64_e32 v[4:5], s[56:57], v[8:9]
	v_mov_b32_e32 v17, 0
	s_mov_b32 s1, exec_lo
	v_cmpx_gt_u64_e64 s[36:37], v[4:5]
	s_cbranch_execz .LBB138_509
; %bb.508:                              ;   in Loop: Header=BB138_507 Depth=1
	v_mad_nc_u64_u32 v[10:11], v4, s30, s[34:35]
	s_delay_alu instid0(VALU_DEP_1) | instskip(NEXT) | instid1(VALU_DEP_1)
	v_mad_u32 v2, v5, s30, v11
	v_mad_u32 v11, v4, s31, v2
	global_load_u8 v17, v[10:11], off
.LBB138_509:                            ;   in Loop: Header=BB138_507 Depth=1
	s_wait_xcnt 0x0
	s_or_b32 exec_lo, exec_lo, s1
	s_wait_loadcnt 0x0
	v_bfe_i32 v2, v13, 0, 8
	s_delay_alu instid0(VALU_DEP_1) | instskip(NEXT) | instid1(VALU_DEP_1)
	v_add_nc_u32_e32 v2, 0x80, v2
	v_cmp_gt_u32_e64 s0, v2, v16
	s_delay_alu instid0(VALU_DEP_1) | instskip(SKIP_1) | instid1(VALU_DEP_1)
	v_cndmask_b32_e64 v10, 0, 1, s0
	v_cmp_lt_u32_e64 s0, v2, v16
	v_cndmask_b32_e64 v2, 0, 1, s0
	v_cmp_gt_u64_e64 s0, s[36:37], v[8:9]
	s_delay_alu instid0(VALU_DEP_2) | instskip(NEXT) | instid1(VALU_DEP_1)
	v_cndmask_b32_e64 v2, v2, v10, s33
	v_and_b32_e32 v2, 1, v2
	s_delay_alu instid0(VALU_DEP_1) | instskip(SKIP_1) | instid1(SALU_CYCLE_1)
	v_cmp_eq_u32_e64 s1, 1, v2
	s_and_b32 s23, s0, s1
	v_cndmask_b32_e64 v2, 0, 1, s23
	s_delay_alu instid0(VALU_DEP_1) | instskip(SKIP_2) | instid1(SALU_CYCLE_1)
	v_cmp_ne_u32_e64 s0, 0, v2
	s_cmp_lg_u32 s0, 0
	s_cselect_b32 s1, -1, 0
	s_and_b32 s1, s2, s1
	s_delay_alu instid0(SALU_CYCLE_1)
	s_and_saveexec_b32 s24, s1
	s_cbranch_execz .LBB138_513
; %bb.510:                              ;   in Loop: Header=BB138_507 Depth=1
	s_mov_b32 s26, exec_lo
	s_bcnt1_i32_b32 s25, s0
	v_mbcnt_lo_u32_b32 v10, s26, 0
	s_mov_b32 s4, exec_lo
                                        ; implicit-def: $vgpr6_vgpr7
	s_delay_alu instid0(VALU_DEP_1)
	v_cmpx_eq_u32_e32 0, v10
	s_cbranch_execz .LBB138_512
; %bb.511:                              ;   in Loop: Header=BB138_507 Depth=1
	s_bcnt1_i32_b32 s1, s26
	s_delay_alu instid0(SALU_CYCLE_1) | instskip(NEXT) | instid1(SALU_CYCLE_1)
	s_mul_i32 s1, s25, s1
	v_mov_b32_e32 v2, s1
	s_wait_dscnt 0x0
	ds_add_rtn_u64 v[6:7], v3, v[2:3] offset:5136
.LBB138_512:                            ;   in Loop: Header=BB138_507 Depth=1
	s_or_b32 exec_lo, exec_lo, s4
	s_wait_dscnt 0x0
	v_readfirstlane_b32 s27, v7
	v_readfirstlane_b32 s26, v6
	s_delay_alu instid0(VALU_DEP_1)
	v_mad_nc_u64_u32 v[6:7], s25, v10, s[26:27]
.LBB138_513:                            ;   in Loop: Header=BB138_507 Depth=1
	s_or_b32 exec_lo, exec_lo, s24
	s_wait_dscnt 0x1
	ds_bpermute_b32 v6, v3, v6
	s_wait_dscnt 0x1
	ds_bpermute_b32 v7, v3, v7
	s_mov_b32 s1, -1
	s_mov_b32 s25, -1
	s_and_saveexec_b32 s24, s23
	s_cbranch_execz .LBB138_517
; %bb.514:                              ;   in Loop: Header=BB138_507 Depth=1
	v_and_b32_e32 v2, s0, v12
	s_mov_b32 s23, 0
	s_mov_b32 s4, exec_lo
	s_delay_alu instid0(VALU_DEP_1) | instskip(SKIP_1) | instid1(VALU_DEP_1)
	v_bcnt_u32_b32 v2, v2, 0
	s_wait_dscnt 0x0
	v_add_nc_u64_e32 v[10:11], v[6:7], v[2:3]
	s_delay_alu instid0(VALU_DEP_1)
	v_cmpx_gt_u64_e64 s[38:39], v[10:11]
	s_cbranch_execz .LBB138_516
; %bb.515:                              ;   in Loop: Header=BB138_507 Depth=1
	s_wait_kmcnt 0x0
	v_mul_u64_e32 v[18:19], s[6:7], v[10:11]
	v_mad_nc_u64_u32 v[20:21], v10, s8, s[12:13]
	s_mov_b32 s23, exec_lo
	s_delay_alu instid0(VALU_DEP_1) | instskip(NEXT) | instid1(VALU_DEP_1)
	v_mad_u32 v2, v11, s8, v21
	v_mad_u32 v21, v10, s9, v2
	s_delay_alu instid0(VALU_DEP_4)
	v_lshl_add_u64 v[10:11], v[18:19], 3, s[14:15]
	global_store_b8 v[20:21], v13, off
	global_store_b64 v[10:11], v[8:9], off
.LBB138_516:                            ;   in Loop: Header=BB138_507 Depth=1
	s_wait_xcnt 0x0
	s_or_b32 exec_lo, exec_lo, s4
	s_delay_alu instid0(SALU_CYCLE_1)
	s_or_not1_b32 s25, s23, exec_lo
.LBB138_517:                            ;   in Loop: Header=BB138_507 Depth=1
	s_or_b32 exec_lo, exec_lo, s24
	s_mov_b32 s4, -1
	s_and_saveexec_b32 s23, s25
	s_cbranch_execz .LBB138_506
; %bb.518:                              ;   in Loop: Header=BB138_507 Depth=1
	v_cmp_le_u64_e64 s0, s[10:11], v[4:5]
	s_xor_b32 s4, exec_lo, -1
	s_or_not1_b32 s1, s0, exec_lo
	s_branch .LBB138_506
.LBB138_519:
	s_or_b32 exec_lo, exec_lo, s21
	s_delay_alu instid0(SALU_CYCLE_1)
	s_mov_b32 s1, exec_lo
	s_or_not1_b32 s0, s22, exec_lo
	s_or_b32 exec_lo, exec_lo, s20
	s_and_saveexec_b32 s4, s0
	s_cbranch_execz .LBB138_496
.LBB138_520:
	v_mov_b32_e32 v2, 0
	s_wait_storecnt 0x0
	s_wait_loadcnt_dscnt 0x0
	s_barrier_signal -1
	s_barrier_wait -1
	s_and_saveexec_b32 s0, s3
	s_cbranch_execz .LBB138_522
; %bb.521:
	global_load_u8 v2, v[14:15], off
.LBB138_522:
	s_wait_xcnt 0x0
	s_or_b32 exec_lo, exec_lo, s0
	s_mov_b32 s0, 0
	s_and_saveexec_b32 s3, vcc_lo
	s_cbranch_execz .LBB138_542
; %bb.523:
	v_and_b32_e32 v10, 0xff, v32
	v_mov_b32_e32 v3, 0
	s_mov_b32 s5, 0
                                        ; implicit-def: $sgpr20
                                        ; implicit-def: $vgpr6_vgpr7
	s_branch .LBB138_526
.LBB138_524:                            ;   in Loop: Header=BB138_526 Depth=1
	s_or_b32 exec_lo, exec_lo, s21
	s_delay_alu instid0(SALU_CYCLE_1)
	s_or_not1_b32 s23, s23, exec_lo
	s_or_not1_b32 s22, s22, exec_lo
.LBB138_525:                            ;   in Loop: Header=BB138_526 Depth=1
	s_or_b32 exec_lo, exec_lo, s0
	s_xor_b32 s0, s23, -1
	s_and_b32 s21, exec_lo, s22
	v_mov_b64_e32 v[0:1], v[4:5]
	s_or_b32 s5, s21, s5
	v_mov_b32_e32 v2, v11
	s_and_not1_b32 s20, s20, exec_lo
	s_and_b32 s0, s0, exec_lo
	s_delay_alu instid0(SALU_CYCLE_1)
	s_or_b32 s20, s20, s0
	s_and_not1_b32 exec_lo, exec_lo, s5
	s_cbranch_execz .LBB138_540
.LBB138_526:                            ; =>This Inner Loop Header: Depth=1
	v_add_nc_u64_e32 v[4:5], s[56:57], v[0:1]
	v_mov_b32_e32 v11, 0
	s_mov_b32 s0, exec_lo
	s_delay_alu instid0(VALU_DEP_2)
	v_cmpx_gt_u64_e64 s[36:37], v[4:5]
	s_cbranch_execz .LBB138_528
; %bb.527:                              ;   in Loop: Header=BB138_526 Depth=1
	v_mad_nc_u64_u32 v[8:9], v4, s30, s[34:35]
	s_delay_alu instid0(VALU_DEP_1) | instskip(NEXT) | instid1(VALU_DEP_1)
	v_mad_u32 v9, v5, s30, v9
	v_mad_u32 v9, v4, s31, v9
	global_load_u8 v11, v[8:9], off
.LBB138_528:                            ;   in Loop: Header=BB138_526 Depth=1
	s_wait_xcnt 0x0
	s_or_b32 exec_lo, exec_lo, s0
	s_wait_loadcnt 0x0
	v_and_b32_e32 v2, 0xff, v2
	v_cmp_gt_u64_e32 vcc_lo, s[36:37], v[0:1]
	s_delay_alu instid0(VALU_DEP_2) | instskip(SKIP_1) | instid1(SALU_CYCLE_1)
	v_cmp_eq_u16_e64 s0, v2, v10
	s_and_b32 s21, vcc_lo, s0
	v_cndmask_b32_e64 v2, 0, 1, s21
	s_delay_alu instid0(VALU_DEP_1) | instskip(SKIP_2) | instid1(SALU_CYCLE_1)
	v_cmp_ne_u32_e32 vcc_lo, 0, v2
	s_cmp_lg_u32 vcc_lo, 0
	s_cselect_b32 s0, -1, 0
	s_and_b32 s0, s2, s0
	s_delay_alu instid0(SALU_CYCLE_1)
	s_and_saveexec_b32 s22, s0
	s_cbranch_execz .LBB138_532
; %bb.529:                              ;   in Loop: Header=BB138_526 Depth=1
	s_mov_b32 s25, exec_lo
	s_bcnt1_i32_b32 s23, vcc_lo
	v_mbcnt_lo_u32_b32 v8, s25, 0
	s_mov_b32 s24, exec_lo
                                        ; implicit-def: $vgpr6_vgpr7
	s_delay_alu instid0(VALU_DEP_1)
	v_cmpx_eq_u32_e32 0, v8
; %bb.530:                              ;   in Loop: Header=BB138_526 Depth=1
	s_bcnt1_i32_b32 s0, s25
	s_delay_alu instid0(SALU_CYCLE_1) | instskip(NEXT) | instid1(SALU_CYCLE_1)
	s_mul_i32 s0, s23, s0
	v_mov_b32_e32 v2, s0
	ds_add_rtn_u64 v[6:7], v3, v[2:3] offset:5136
; %bb.531:                              ;   in Loop: Header=BB138_526 Depth=1
	s_or_b32 exec_lo, exec_lo, s24
	s_wait_dscnt 0x0
	v_readfirstlane_b32 s25, v7
	v_readfirstlane_b32 s24, v6
	s_delay_alu instid0(VALU_DEP_1)
	v_mad_nc_u64_u32 v[6:7], s23, v8, s[24:25]
.LBB138_532:                            ;   in Loop: Header=BB138_526 Depth=1
	s_or_b32 exec_lo, exec_lo, s22
	ds_bpermute_b32 v6, v3, v6
	ds_bpermute_b32 v7, v3, v7
	s_cmp_eq_u32 vcc_lo, 0
	s_mov_b32 s22, -1
	s_cselect_b32 s23, -1, 0
	s_wait_dscnt 0x0
	v_cmp_gt_u64_e64 s0, s[38:39], v[6:7]
	s_or_b32 s24, s23, s0
	s_mov_b32 s23, -1
	s_and_saveexec_b32 s0, s24
	s_cbranch_execz .LBB138_525
; %bb.533:                              ;   in Loop: Header=BB138_526 Depth=1
	v_and_b32_e32 v2, vcc_lo, v12
	v_sub_nc_u64_e32 v[8:9], s[38:39], v[6:7]
	s_mov_b32 s24, -1
	s_delay_alu instid0(VALU_DEP_2) | instskip(NEXT) | instid1(VALU_DEP_1)
	v_bcnt_u32_b32 v2, v2, 0
	v_bcnt_u32_b32 v2, 0, v2
	s_delay_alu instid0(VALU_DEP_1) | instskip(SKIP_1) | instid1(SALU_CYCLE_1)
	v_cmp_gt_u64_e32 vcc_lo, v[8:9], v[2:3]
	s_and_b32 s25, s21, vcc_lo
	s_and_saveexec_b32 s21, s25
	s_cbranch_execz .LBB138_537
; %bb.534:                              ;   in Loop: Header=BB138_526 Depth=1
	v_add_nc_u64_e32 v[8:9], v[6:7], v[2:3]
	s_mov_b32 s24, 0
	s_mov_b32 s23, exec_lo
	s_delay_alu instid0(VALU_DEP_1)
	v_cmpx_gt_u64_e64 s[38:39], v[8:9]
	s_cbranch_execz .LBB138_536
; %bb.535:                              ;   in Loop: Header=BB138_526 Depth=1
	s_wait_kmcnt 0x0
	v_mul_u64_e32 v[14:15], s[6:7], v[8:9]
	v_mad_nc_u64_u32 v[16:17], v8, s8, s[12:13]
	s_mov_b32 s24, exec_lo
	s_delay_alu instid0(VALU_DEP_1) | instskip(NEXT) | instid1(VALU_DEP_1)
	v_mad_u32 v2, v9, s8, v17
	v_mad_u32 v17, v8, s9, v2
	s_delay_alu instid0(VALU_DEP_4)
	v_lshl_add_u64 v[8:9], v[14:15], 3, s[14:15]
	global_store_b8 v[16:17], v32, off
	global_store_b64 v[8:9], v[0:1], off
.LBB138_536:                            ;   in Loop: Header=BB138_526 Depth=1
	s_wait_xcnt 0x0
	s_or_b32 exec_lo, exec_lo, s23
	s_delay_alu instid0(SALU_CYCLE_1)
	s_xor_b32 s23, exec_lo, -1
	s_or_not1_b32 s24, s24, exec_lo
.LBB138_537:                            ;   in Loop: Header=BB138_526 Depth=1
	s_or_b32 exec_lo, exec_lo, s21
	s_and_saveexec_b32 s21, s24
	s_cbranch_execz .LBB138_524
; %bb.538:                              ;   in Loop: Header=BB138_526 Depth=1
	v_cmp_le_u64_e32 vcc_lo, s[10:11], v[4:5]
	s_or_b32 s23, s23, exec_lo
	s_or_not1_b32 s22, vcc_lo, exec_lo
	s_branch .LBB138_524
.LBB138_539:
	s_or_b32 s8, s8, exec_lo
	s_trap 2
	s_branch .LBB138_503
.LBB138_540:
	s_or_b32 exec_lo, exec_lo, s5
	s_mov_b32 s0, 0
	s_and_saveexec_b32 s2, s20
	s_delay_alu instid0(SALU_CYCLE_1)
	s_xor_b32 s2, exec_lo, s2
	s_cbranch_execnz .LBB138_546
.LBB138_541:
	s_or_b32 exec_lo, exec_lo, s2
	s_delay_alu instid0(SALU_CYCLE_1)
	s_and_b32 s0, s0, exec_lo
.LBB138_542:
	s_or_b32 exec_lo, exec_lo, s3
	s_delay_alu instid0(SALU_CYCLE_1) | instskip(SKIP_3) | instid1(SALU_CYCLE_1)
	s_and_b32 s5, s0, exec_lo
	s_and_not1_b32 s1, s1, exec_lo
	s_or_b32 exec_lo, exec_lo, s4
	s_and_saveexec_b32 s0, s1
	s_xor_b32 s0, exec_lo, s0
	s_cbranch_execz .LBB138_497
.LBB138_543:
	s_or_b32 s5, s5, exec_lo
	s_trap 2
	s_branch .LBB138_497
.LBB138_544:
	s_or_b32 s8, s8, exec_lo
	s_trap 2
	s_branch .LBB138_501
.LBB138_545:
	s_or_b32 s8, s8, exec_lo
	s_trap 2
	s_branch .LBB138_499
.LBB138_546:
	s_mov_b32 s0, exec_lo
	s_trap 2
	s_branch .LBB138_541
	.section	.rodata,"a",@progbits
	.p2align	6, 0x0
	.amdhsa_kernel _ZN2at6native6sbtopk10gatherTopKIamLi3ELb0EEEvNS_4cuda6detail10TensorInfoIKT_T0_EES8_S8_bS8_S8_NS5_IS6_S8_EES8_NS5_IlS8_EES8_PS6_
		.amdhsa_group_segment_fixed_size 5152
		.amdhsa_private_segment_fixed_size 0
		.amdhsa_kernarg_size 1568
		.amdhsa_user_sgpr_count 2
		.amdhsa_user_sgpr_dispatch_ptr 0
		.amdhsa_user_sgpr_queue_ptr 0
		.amdhsa_user_sgpr_kernarg_segment_ptr 1
		.amdhsa_user_sgpr_dispatch_id 0
		.amdhsa_user_sgpr_kernarg_preload_length 0
		.amdhsa_user_sgpr_kernarg_preload_offset 0
		.amdhsa_user_sgpr_private_segment_size 0
		.amdhsa_wavefront_size32 1
		.amdhsa_uses_dynamic_stack 0
		.amdhsa_enable_private_segment 0
		.amdhsa_system_sgpr_workgroup_id_x 1
		.amdhsa_system_sgpr_workgroup_id_y 1
		.amdhsa_system_sgpr_workgroup_id_z 1
		.amdhsa_system_sgpr_workgroup_info 0
		.amdhsa_system_vgpr_workitem_id 0
		.amdhsa_next_free_vgpr 43
		.amdhsa_next_free_sgpr 105
		.amdhsa_named_barrier_count 0
		.amdhsa_reserve_vcc 1
		.amdhsa_float_round_mode_32 0
		.amdhsa_float_round_mode_16_64 0
		.amdhsa_float_denorm_mode_32 3
		.amdhsa_float_denorm_mode_16_64 3
		.amdhsa_fp16_overflow 0
		.amdhsa_memory_ordered 1
		.amdhsa_forward_progress 1
		.amdhsa_inst_pref_size 207
		.amdhsa_round_robin_scheduling 0
		.amdhsa_exception_fp_ieee_invalid_op 0
		.amdhsa_exception_fp_denorm_src 0
		.amdhsa_exception_fp_ieee_div_zero 0
		.amdhsa_exception_fp_ieee_overflow 0
		.amdhsa_exception_fp_ieee_underflow 0
		.amdhsa_exception_fp_ieee_inexact 0
		.amdhsa_exception_int_div_zero 0
	.end_amdhsa_kernel
	.section	.text._ZN2at6native6sbtopk10gatherTopKIamLi3ELb0EEEvNS_4cuda6detail10TensorInfoIKT_T0_EES8_S8_bS8_S8_NS5_IS6_S8_EES8_NS5_IlS8_EES8_PS6_,"axG",@progbits,_ZN2at6native6sbtopk10gatherTopKIamLi3ELb0EEEvNS_4cuda6detail10TensorInfoIKT_T0_EES8_S8_bS8_S8_NS5_IS6_S8_EES8_NS5_IlS8_EES8_PS6_,comdat
.Lfunc_end138:
	.size	_ZN2at6native6sbtopk10gatherTopKIamLi3ELb0EEEvNS_4cuda6detail10TensorInfoIKT_T0_EES8_S8_bS8_S8_NS5_IS6_S8_EES8_NS5_IlS8_EES8_PS6_, .Lfunc_end138-_ZN2at6native6sbtopk10gatherTopKIamLi3ELb0EEEvNS_4cuda6detail10TensorInfoIKT_T0_EES8_S8_bS8_S8_NS5_IS6_S8_EES8_NS5_IlS8_EES8_PS6_
                                        ; -- End function
	.set _ZN2at6native6sbtopk10gatherTopKIamLi3ELb0EEEvNS_4cuda6detail10TensorInfoIKT_T0_EES8_S8_bS8_S8_NS5_IS6_S8_EES8_NS5_IlS8_EES8_PS6_.num_vgpr, 43
	.set _ZN2at6native6sbtopk10gatherTopKIamLi3ELb0EEEvNS_4cuda6detail10TensorInfoIKT_T0_EES8_S8_bS8_S8_NS5_IS6_S8_EES8_NS5_IlS8_EES8_PS6_.num_agpr, 0
	.set _ZN2at6native6sbtopk10gatherTopKIamLi3ELb0EEEvNS_4cuda6detail10TensorInfoIKT_T0_EES8_S8_bS8_S8_NS5_IS6_S8_EES8_NS5_IlS8_EES8_PS6_.numbered_sgpr, 105
	.set _ZN2at6native6sbtopk10gatherTopKIamLi3ELb0EEEvNS_4cuda6detail10TensorInfoIKT_T0_EES8_S8_bS8_S8_NS5_IS6_S8_EES8_NS5_IlS8_EES8_PS6_.num_named_barrier, 0
	.set _ZN2at6native6sbtopk10gatherTopKIamLi3ELb0EEEvNS_4cuda6detail10TensorInfoIKT_T0_EES8_S8_bS8_S8_NS5_IS6_S8_EES8_NS5_IlS8_EES8_PS6_.private_seg_size, 0
	.set _ZN2at6native6sbtopk10gatherTopKIamLi3ELb0EEEvNS_4cuda6detail10TensorInfoIKT_T0_EES8_S8_bS8_S8_NS5_IS6_S8_EES8_NS5_IlS8_EES8_PS6_.uses_vcc, 1
	.set _ZN2at6native6sbtopk10gatherTopKIamLi3ELb0EEEvNS_4cuda6detail10TensorInfoIKT_T0_EES8_S8_bS8_S8_NS5_IS6_S8_EES8_NS5_IlS8_EES8_PS6_.uses_flat_scratch, 0
	.set _ZN2at6native6sbtopk10gatherTopKIamLi3ELb0EEEvNS_4cuda6detail10TensorInfoIKT_T0_EES8_S8_bS8_S8_NS5_IS6_S8_EES8_NS5_IlS8_EES8_PS6_.has_dyn_sized_stack, 0
	.set _ZN2at6native6sbtopk10gatherTopKIamLi3ELb0EEEvNS_4cuda6detail10TensorInfoIKT_T0_EES8_S8_bS8_S8_NS5_IS6_S8_EES8_NS5_IlS8_EES8_PS6_.has_recursion, 0
	.set _ZN2at6native6sbtopk10gatherTopKIamLi3ELb0EEEvNS_4cuda6detail10TensorInfoIKT_T0_EES8_S8_bS8_S8_NS5_IS6_S8_EES8_NS5_IlS8_EES8_PS6_.has_indirect_call, 0
	.section	.AMDGPU.csdata,"",@progbits
; Kernel info:
; codeLenInByte = 26408
; TotalNumSgprs: 107
; NumVgprs: 43
; ScratchSize: 0
; MemoryBound: 0
; FloatMode: 240
; IeeeMode: 1
; LDSByteSize: 5152 bytes/workgroup (compile time only)
; SGPRBlocks: 0
; VGPRBlocks: 2
; NumSGPRsForWavesPerEU: 107
; NumVGPRsForWavesPerEU: 43
; NamedBarCnt: 0
; Occupancy: 16
; WaveLimiterHint : 1
; COMPUTE_PGM_RSRC2:SCRATCH_EN: 0
; COMPUTE_PGM_RSRC2:USER_SGPR: 2
; COMPUTE_PGM_RSRC2:TRAP_HANDLER: 0
; COMPUTE_PGM_RSRC2:TGID_X_EN: 1
; COMPUTE_PGM_RSRC2:TGID_Y_EN: 1
; COMPUTE_PGM_RSRC2:TGID_Z_EN: 1
; COMPUTE_PGM_RSRC2:TIDIG_COMP_CNT: 0
	.section	.text._ZN2at6native6mbtopk23computeBlockDigitCountsIamjLin1EEEvNS_4cuda6detail10TensorInfoIKT_T0_EEjPjjS8_iijT1_PSB_Ps,"axG",@progbits,_ZN2at6native6mbtopk23computeBlockDigitCountsIamjLin1EEEvNS_4cuda6detail10TensorInfoIKT_T0_EEjPjjS8_iijT1_PSB_Ps,comdat
	.protected	_ZN2at6native6mbtopk23computeBlockDigitCountsIamjLin1EEEvNS_4cuda6detail10TensorInfoIKT_T0_EEjPjjS8_iijT1_PSB_Ps ; -- Begin function _ZN2at6native6mbtopk23computeBlockDigitCountsIamjLin1EEEvNS_4cuda6detail10TensorInfoIKT_T0_EEjPjjS8_iijT1_PSB_Ps
	.globl	_ZN2at6native6mbtopk23computeBlockDigitCountsIamjLin1EEEvNS_4cuda6detail10TensorInfoIKT_T0_EEjPjjS8_iijT1_PSB_Ps
	.p2align	8
	.type	_ZN2at6native6mbtopk23computeBlockDigitCountsIamjLin1EEEvNS_4cuda6detail10TensorInfoIKT_T0_EEjPjjS8_iijT1_PSB_Ps,@function
_ZN2at6native6mbtopk23computeBlockDigitCountsIamjLin1EEEvNS_4cuda6detail10TensorInfoIKT_T0_EEjPjjS8_iijT1_PSB_Ps: ; @_ZN2at6native6mbtopk23computeBlockDigitCountsIamjLin1EEEvNS_4cuda6detail10TensorInfoIKT_T0_EEjPjjS8_iijT1_PSB_Ps
; %bb.0:
	s_load_b128 s[4:7], s[0:1], 0x1c0
	s_bfe_u32 s2, ttmp6, 0x40010
	s_and_b32 s8, ttmp7, 0xffff
	s_add_co_i32 s9, s2, 1
	s_bfe_u32 s10, ttmp6, 0x40004
	s_mul_i32 s9, s8, s9
	s_load_b64 s[2:3], s[0:1], 0x1e0
	s_add_co_i32 s10, s10, s9
	s_bfe_u32 s11, ttmp6, 0x4000c
	s_bfe_u32 s13, ttmp6, 0x40014
	s_add_co_i32 s11, s11, 1
	s_and_b32 s12, ttmp6, 15
	s_mul_i32 s11, ttmp9, s11
	s_add_co_i32 s13, s13, 1
	s_add_co_i32 s12, s12, s11
	s_getreg_b32 s14, hwreg(HW_REG_IB_STS2, 6, 4)
	s_wait_kmcnt 0x0
	s_cvt_f32_u32 s9, s6
	s_delay_alu instid0(SALU_CYCLE_3) | instskip(SKIP_1) | instid1(SALU_CYCLE_1)
	v_rcp_iflag_f32_e32 v1, s9
	s_lshr_b32 s9, ttmp7, 16
	s_mul_i32 s11, s9, s13
	s_bfe_u32 s13, ttmp6, 0x40008
	s_delay_alu instid0(SALU_CYCLE_1) | instskip(SKIP_1) | instid1(TRANS32_DEP_1)
	s_add_co_i32 s13, s13, s11
	v_nop
	v_readfirstlane_b32 s15, v1
	s_cmp_eq_u32 s14, 0
	s_cselect_b32 s9, s9, s13
	s_load_b32 s13, s[0:1], 0x1b0
	s_mul_f32 s11, s15, 0x4f7ffffe
	s_mul_i32 s3, s3, s9
	s_cselect_b32 s9, ttmp9, s12
	s_cselect_b32 s8, s8, s10
	s_cvt_u32_f32 s11, s11
	s_sub_co_i32 s10, 0, s6
	s_add_co_i32 s3, s3, s8
	s_delay_alu instid0(SALU_CYCLE_1) | instskip(SKIP_3) | instid1(SALU_CYCLE_1)
	s_mul_i32 s24, s3, s2
	s_mul_i32 s10, s10, s11
	s_add_co_i32 s24, s24, s9
	s_mul_hi_u32 s2, s11, s10
	s_add_co_i32 s11, s11, s2
	s_delay_alu instid0(SALU_CYCLE_1) | instskip(NEXT) | instid1(SALU_CYCLE_1)
	s_mul_hi_u32 s2, s24, s11
	s_mul_i32 s3, s2, s6
	s_add_co_i32 s8, s2, 1
	s_sub_co_i32 s3, s24, s3
	s_delay_alu instid0(SALU_CYCLE_1)
	s_sub_co_i32 s9, s3, s6
	s_cmp_ge_u32 s3, s6
	s_cselect_b32 s2, s8, s2
	s_cselect_b32 s3, s9, s3
	s_add_co_i32 s8, s2, 1
	s_cmp_ge_u32 s3, s6
	s_cselect_b32 s12, s8, s2
	s_wait_kmcnt 0x0
	s_cmp_ge_u32 s12, s13
	s_mov_b32 s13, 0
	s_cbranch_scc1 .LBB139_28
; %bb.1:
	s_clause 0x1
	s_load_b32 s14, s[0:1], 0x198
	s_load_b128 s[8:11], s[0:1], 0x1d0
	s_mov_b64 s[2:3], 0
	s_wait_kmcnt 0x0
	s_cmp_lt_i32 s14, 2
	s_cbranch_scc1 .LBB139_7
; %bb.2:
	s_add_co_i32 s16, s14, -1
	s_mov_b32 s17, 0
	s_add_co_i32 s25, s14, 1
	s_lshl_b64 s[2:3], s[16:17], 3
	s_mov_b64 s[20:21], s[12:13]
	s_add_nc_u64 s[14:15], s[0:1], s[2:3]
	s_mov_b64 s[2:3], 0
	s_add_nc_u64 s[18:19], s[14:15], 8
.LBB139_3:                              ; =>This Inner Loop Header: Depth=1
	s_load_b64 s[22:23], s[18:19], 0x0
	s_mov_b64 s[14:15], 0
	s_wait_kmcnt 0x0
	v_cmp_lt_u64_e64 s13, s[20:21], s[22:23]
	s_and_b32 vcc_lo, exec_lo, s13
	s_cbranch_vccnz .LBB139_5
; %bb.4:                                ;   in Loop: Header=BB139_3 Depth=1
	v_cvt_f32_u32_e32 v1, s22
	s_sub_co_i32 s14, 0, s22
	s_delay_alu instid0(VALU_DEP_1) | instskip(SKIP_1) | instid1(TRANS32_DEP_1)
	v_rcp_iflag_f32_e32 v1, v1
	v_nop
	v_mul_f32_e32 v1, 0x4f7ffffe, v1
	s_delay_alu instid0(VALU_DEP_1) | instskip(NEXT) | instid1(VALU_DEP_1)
	v_cvt_u32_f32_e32 v1, v1
	v_readfirstlane_b32 s13, v1
	s_mul_i32 s14, s14, s13
	s_delay_alu instid0(SALU_CYCLE_1) | instskip(NEXT) | instid1(SALU_CYCLE_1)
	s_mul_hi_u32 s14, s13, s14
	s_add_co_i32 s13, s13, s14
	s_delay_alu instid0(SALU_CYCLE_1) | instskip(NEXT) | instid1(SALU_CYCLE_1)
	s_mul_hi_u32 s13, s20, s13
	s_mul_i32 s14, s13, s22
	s_add_co_i32 s15, s13, 1
	s_sub_co_i32 s14, s20, s14
	s_delay_alu instid0(SALU_CYCLE_1)
	s_sub_co_i32 s16, s14, s22
	s_cmp_ge_u32 s14, s22
	s_cselect_b32 s13, s15, s13
	s_cselect_b32 s14, s16, s14
	s_add_co_i32 s15, s13, 1
	s_cmp_ge_u32 s14, s22
	s_cselect_b32 s16, s15, s13
	s_delay_alu instid0(SALU_CYCLE_1)
	s_mov_b64 s[14:15], s[16:17]
.LBB139_5:                              ;   in Loop: Header=BB139_3 Depth=1
	s_load_b64 s[26:27], s[18:19], 0xc8
	s_mul_u64 s[22:23], s[14:15], s[22:23]
	s_add_co_i32 s25, s25, -1
	s_sub_nc_u64 s[20:21], s[20:21], s[22:23]
	s_cmp_gt_u32 s25, 2
	s_wait_xcnt 0x0
	s_add_nc_u64 s[18:19], s[18:19], -8
	s_wait_kmcnt 0x0
	s_mul_u64 s[20:21], s[26:27], s[20:21]
	s_delay_alu instid0(SALU_CYCLE_1)
	s_add_nc_u64 s[2:3], s[20:21], s[2:3]
	s_cbranch_scc0 .LBB139_8
; %bb.6:                                ;   in Loop: Header=BB139_3 Depth=1
	s_mov_b64 s[20:21], s[14:15]
	s_branch .LBB139_3
.LBB139_7:
	s_mov_b64 s[14:15], s[12:13]
.LBB139_8:
	s_load_b32 s16, s[8:9], s12 offset:0x0 scale_offset
	v_cmp_gt_u32_e32 vcc_lo, 0x100, v0
	v_lshlrev_b32_e32 v1, 2, v0
	s_wait_xcnt 0x0
	s_and_saveexec_b32 s8, vcc_lo
; %bb.9:
	v_mov_b32_e32 v2, 0
	ds_store_b32 v1, v2
; %bb.10:
	s_or_b32 exec_lo, exec_lo, s8
	s_load_b32 s17, s[0:1], 0x1a0
	s_mul_i32 s8, s12, s6
	s_mov_b32 s13, 0
	s_sub_co_i32 s19, s24, s8
	s_wait_dscnt 0x0
	s_mul_i32 s8, s5, s19
	s_add_co_i32 s19, s19, 1
	s_lshl_b32 s18, s8, 8
	s_barrier_signal -1
	s_barrier_wait -1
	s_wait_kmcnt 0x0
	s_sub_co_i32 s12, s17, s18
	s_delay_alu instid0(SALU_CYCLE_1) | instskip(NEXT) | instid1(SALU_CYCLE_1)
	s_add_nc_u64 s[8:9], s[12:13], 0xff
	s_lshr_b64 s[8:9], s[8:9], 8
	s_cmp_lt_u32 s19, s6
	s_cselect_b32 s5, s5, s8
	s_delay_alu instid0(SALU_CYCLE_1)
	s_cmp_lt_i32 s5, 1
	s_cbranch_scc1 .LBB139_26
; %bb.11:
	s_clause 0x2
	s_load_b64 s[20:21], s[0:1], 0xd0
	s_load_b64 s[8:9], s[0:1], 0x1b8
	s_load_b64 s[22:23], s[0:1], 0x0
	v_add_nc_u32_e32 v2, s18, v0
	s_wait_kmcnt 0x0
	s_mul_u64 s[0:1], s[20:21], s[14:15]
	s_delay_alu instid0(SALU_CYCLE_1)
	s_add_nc_u64 s[14:15], s[22:23], s[0:1]
	s_and_b32 s1, s4, 0xff
	s_cmp_eq_u32 s5, 1
	s_add_nc_u64 s[2:3], s[14:15], s[2:3]
	s_cbranch_scc1 .LBB139_21
; %bb.12:
	v_dual_mov_b32 v3, 1 :: v_dual_mov_b32 v4, v2
	s_and_b32 s4, s5, 0x7ffffffe
	s_mov_b32 s6, 0
	s_branch .LBB139_14
.LBB139_13:                             ;   in Loop: Header=BB139_14 Depth=1
	s_or_b32 exec_lo, exec_lo, s12
	v_add_nc_u32_e32 v4, 0x200, v4
	s_add_co_i32 s6, s6, 2
	s_delay_alu instid0(SALU_CYCLE_1)
	s_cmp_eq_u32 s4, s6
	s_cbranch_scc1 .LBB139_20
.LBB139_14:                             ; =>This Inner Loop Header: Depth=1
	s_mov_b32 s12, exec_lo
	v_cmpx_gt_u32_e64 s17, v4
	s_cbranch_execz .LBB139_17
; %bb.15:                               ;   in Loop: Header=BB139_14 Depth=1
	v_mad_nc_u64_u32 v[6:7], s8, v4, s[2:3]
	s_delay_alu instid0(VALU_DEP_1) | instskip(SKIP_4) | instid1(VALU_DEP_1)
	v_mad_u32 v7, s9, v4, v7
	global_load_i8 v5, v[6:7], off
	s_wait_loadcnt 0x0
	v_add_nc_u32_e32 v5, 0x80, v5
	s_wait_xcnt 0x0
	v_bitop3_b32 v6, v5, s7, s16 bitop3:0x48
	s_delay_alu instid0(VALU_DEP_1)
	v_cmp_eq_u32_e64 s0, 0, v6
	s_and_b32 exec_lo, exec_lo, s0
; %bb.16:                               ;   in Loop: Header=BB139_14 Depth=1
	v_lshrrev_b32_e32 v5, s1, v5
	s_delay_alu instid0(VALU_DEP_1)
	v_lshlrev_b32_e32 v5, 2, v5
	ds_add_u32 v5, v3
.LBB139_17:                             ;   in Loop: Header=BB139_14 Depth=1
	s_or_b32 exec_lo, exec_lo, s12
	v_add_nc_u32_e32 v5, 0x100, v4
	s_mov_b32 s12, exec_lo
	s_delay_alu instid0(VALU_DEP_1)
	v_cmpx_gt_u32_e64 s17, v5
	s_cbranch_execz .LBB139_13
; %bb.18:                               ;   in Loop: Header=BB139_14 Depth=1
	v_mad_nc_u64_u32 v[6:7], s8, v5, s[2:3]
	s_delay_alu instid0(VALU_DEP_1) | instskip(SKIP_3) | instid1(VALU_DEP_1)
	v_mad_u32 v7, s9, v5, v7
	global_load_i8 v5, v[6:7], off
	s_wait_loadcnt 0x0
	v_add_nc_u32_e32 v5, 0x80, v5
	v_bitop3_b32 v6, v5, s7, s16 bitop3:0x48
	s_delay_alu instid0(VALU_DEP_1)
	v_cmp_eq_u32_e64 s0, 0, v6
	s_and_b32 exec_lo, exec_lo, s0
	s_cbranch_execz .LBB139_13
; %bb.19:                               ;   in Loop: Header=BB139_14 Depth=1
	v_lshrrev_b32_e32 v5, s1, v5
	s_delay_alu instid0(VALU_DEP_1)
	v_lshlrev_b32_e32 v5, 2, v5
	ds_add_u32 v5, v3
	s_branch .LBB139_13
.LBB139_20:
	s_lshl_b32 s13, s4, 8
.LBB139_21:
	s_bitcmp0_b32 s5, 0
	s_cbranch_scc1 .LBB139_26
; %bb.22:
	v_add_nc_u32_e32 v2, s13, v2
	s_mov_b32 s4, exec_lo
	s_delay_alu instid0(VALU_DEP_1)
	v_cmpx_gt_u32_e64 s17, v2
	s_cbranch_execz .LBB139_25
; %bb.23:
	v_mad_nc_u64_u32 v[4:5], s8, v2, s[2:3]
	s_delay_alu instid0(VALU_DEP_1) | instskip(SKIP_3) | instid1(VALU_DEP_1)
	v_mad_u32 v5, s9, v2, v5
	global_load_i8 v2, v[4:5], off
	s_wait_loadcnt 0x0
	v_add_nc_u32_e32 v2, 0x80, v2
	v_bitop3_b32 v3, v2, s7, s16 bitop3:0x48
	s_delay_alu instid0(VALU_DEP_1)
	v_cmp_eq_u32_e64 s0, 0, v3
	s_and_b32 exec_lo, exec_lo, s0
; %bb.24:
	v_dual_mov_b32 v3, 1 :: v_dual_lshrrev_b32 v2, s1, v2
	s_delay_alu instid0(VALU_DEP_1)
	v_lshlrev_b32_e32 v2, 2, v2
	ds_add_u32 v2, v3
.LBB139_25:
	s_or_b32 exec_lo, exec_lo, s4
.LBB139_26:
	s_wait_dscnt 0x0
	s_barrier_signal -1
	s_barrier_wait -1
	s_and_saveexec_b32 s0, vcc_lo
	s_cbranch_execz .LBB139_28
; %bb.27:
	ds_load_b32 v1, v1
	v_lshl_or_b32 v0, s24, 8, v0
	s_wait_dscnt 0x0
	global_store_b16 v0, v1, s[10:11] scale_offset
.LBB139_28:
	s_endpgm
	.section	.rodata,"a",@progbits
	.p2align	6, 0x0
	.amdhsa_kernel _ZN2at6native6mbtopk23computeBlockDigitCountsIamjLin1EEEvNS_4cuda6detail10TensorInfoIKT_T0_EEjPjjS8_iijT1_PSB_Ps
		.amdhsa_group_segment_fixed_size 1024
		.amdhsa_private_segment_fixed_size 0
		.amdhsa_kernarg_size 736
		.amdhsa_user_sgpr_count 2
		.amdhsa_user_sgpr_dispatch_ptr 0
		.amdhsa_user_sgpr_queue_ptr 0
		.amdhsa_user_sgpr_kernarg_segment_ptr 1
		.amdhsa_user_sgpr_dispatch_id 0
		.amdhsa_user_sgpr_kernarg_preload_length 0
		.amdhsa_user_sgpr_kernarg_preload_offset 0
		.amdhsa_user_sgpr_private_segment_size 0
		.amdhsa_wavefront_size32 1
		.amdhsa_uses_dynamic_stack 0
		.amdhsa_enable_private_segment 0
		.amdhsa_system_sgpr_workgroup_id_x 1
		.amdhsa_system_sgpr_workgroup_id_y 1
		.amdhsa_system_sgpr_workgroup_id_z 1
		.amdhsa_system_sgpr_workgroup_info 0
		.amdhsa_system_vgpr_workitem_id 0
		.amdhsa_next_free_vgpr 8
		.amdhsa_next_free_sgpr 28
		.amdhsa_named_barrier_count 0
		.amdhsa_reserve_vcc 1
		.amdhsa_float_round_mode_32 0
		.amdhsa_float_round_mode_16_64 0
		.amdhsa_float_denorm_mode_32 3
		.amdhsa_float_denorm_mode_16_64 3
		.amdhsa_fp16_overflow 0
		.amdhsa_memory_ordered 1
		.amdhsa_forward_progress 1
		.amdhsa_inst_pref_size 10
		.amdhsa_round_robin_scheduling 0
		.amdhsa_exception_fp_ieee_invalid_op 0
		.amdhsa_exception_fp_denorm_src 0
		.amdhsa_exception_fp_ieee_div_zero 0
		.amdhsa_exception_fp_ieee_overflow 0
		.amdhsa_exception_fp_ieee_underflow 0
		.amdhsa_exception_fp_ieee_inexact 0
		.amdhsa_exception_int_div_zero 0
	.end_amdhsa_kernel
	.section	.text._ZN2at6native6mbtopk23computeBlockDigitCountsIamjLin1EEEvNS_4cuda6detail10TensorInfoIKT_T0_EEjPjjS8_iijT1_PSB_Ps,"axG",@progbits,_ZN2at6native6mbtopk23computeBlockDigitCountsIamjLin1EEEvNS_4cuda6detail10TensorInfoIKT_T0_EEjPjjS8_iijT1_PSB_Ps,comdat
.Lfunc_end139:
	.size	_ZN2at6native6mbtopk23computeBlockDigitCountsIamjLin1EEEvNS_4cuda6detail10TensorInfoIKT_T0_EEjPjjS8_iijT1_PSB_Ps, .Lfunc_end139-_ZN2at6native6mbtopk23computeBlockDigitCountsIamjLin1EEEvNS_4cuda6detail10TensorInfoIKT_T0_EEjPjjS8_iijT1_PSB_Ps
                                        ; -- End function
	.set _ZN2at6native6mbtopk23computeBlockDigitCountsIamjLin1EEEvNS_4cuda6detail10TensorInfoIKT_T0_EEjPjjS8_iijT1_PSB_Ps.num_vgpr, 8
	.set _ZN2at6native6mbtopk23computeBlockDigitCountsIamjLin1EEEvNS_4cuda6detail10TensorInfoIKT_T0_EEjPjjS8_iijT1_PSB_Ps.num_agpr, 0
	.set _ZN2at6native6mbtopk23computeBlockDigitCountsIamjLin1EEEvNS_4cuda6detail10TensorInfoIKT_T0_EEjPjjS8_iijT1_PSB_Ps.numbered_sgpr, 28
	.set _ZN2at6native6mbtopk23computeBlockDigitCountsIamjLin1EEEvNS_4cuda6detail10TensorInfoIKT_T0_EEjPjjS8_iijT1_PSB_Ps.num_named_barrier, 0
	.set _ZN2at6native6mbtopk23computeBlockDigitCountsIamjLin1EEEvNS_4cuda6detail10TensorInfoIKT_T0_EEjPjjS8_iijT1_PSB_Ps.private_seg_size, 0
	.set _ZN2at6native6mbtopk23computeBlockDigitCountsIamjLin1EEEvNS_4cuda6detail10TensorInfoIKT_T0_EEjPjjS8_iijT1_PSB_Ps.uses_vcc, 1
	.set _ZN2at6native6mbtopk23computeBlockDigitCountsIamjLin1EEEvNS_4cuda6detail10TensorInfoIKT_T0_EEjPjjS8_iijT1_PSB_Ps.uses_flat_scratch, 0
	.set _ZN2at6native6mbtopk23computeBlockDigitCountsIamjLin1EEEvNS_4cuda6detail10TensorInfoIKT_T0_EEjPjjS8_iijT1_PSB_Ps.has_dyn_sized_stack, 0
	.set _ZN2at6native6mbtopk23computeBlockDigitCountsIamjLin1EEEvNS_4cuda6detail10TensorInfoIKT_T0_EEjPjjS8_iijT1_PSB_Ps.has_recursion, 0
	.set _ZN2at6native6mbtopk23computeBlockDigitCountsIamjLin1EEEvNS_4cuda6detail10TensorInfoIKT_T0_EEjPjjS8_iijT1_PSB_Ps.has_indirect_call, 0
	.section	.AMDGPU.csdata,"",@progbits
; Kernel info:
; codeLenInByte = 1236
; TotalNumSgprs: 30
; NumVgprs: 8
; ScratchSize: 0
; MemoryBound: 0
; FloatMode: 240
; IeeeMode: 1
; LDSByteSize: 1024 bytes/workgroup (compile time only)
; SGPRBlocks: 0
; VGPRBlocks: 0
; NumSGPRsForWavesPerEU: 30
; NumVGPRsForWavesPerEU: 8
; NamedBarCnt: 0
; Occupancy: 16
; WaveLimiterHint : 0
; COMPUTE_PGM_RSRC2:SCRATCH_EN: 0
; COMPUTE_PGM_RSRC2:USER_SGPR: 2
; COMPUTE_PGM_RSRC2:TRAP_HANDLER: 0
; COMPUTE_PGM_RSRC2:TGID_X_EN: 1
; COMPUTE_PGM_RSRC2:TGID_Y_EN: 1
; COMPUTE_PGM_RSRC2:TGID_Z_EN: 1
; COMPUTE_PGM_RSRC2:TIDIG_COMP_CNT: 0
	.section	.text._ZN2at6native6mbtopk10gatherTopKIamLin1EEEvNS_4cuda6detail10TensorInfoIKT_T0_EES8_S8_bjS8_NS5_IS6_S8_EES8_NS5_IlS8_EES8_jjPS6_PjSD_j,"axG",@progbits,_ZN2at6native6mbtopk10gatherTopKIamLin1EEEvNS_4cuda6detail10TensorInfoIKT_T0_EES8_S8_bjS8_NS5_IS6_S8_EES8_NS5_IlS8_EES8_jjPS6_PjSD_j,comdat
	.protected	_ZN2at6native6mbtopk10gatherTopKIamLin1EEEvNS_4cuda6detail10TensorInfoIKT_T0_EES8_S8_bjS8_NS5_IS6_S8_EES8_NS5_IlS8_EES8_jjPS6_PjSD_j ; -- Begin function _ZN2at6native6mbtopk10gatherTopKIamLin1EEEvNS_4cuda6detail10TensorInfoIKT_T0_EES8_S8_bjS8_NS5_IS6_S8_EES8_NS5_IlS8_EES8_jjPS6_PjSD_j
	.globl	_ZN2at6native6mbtopk10gatherTopKIamLin1EEEvNS_4cuda6detail10TensorInfoIKT_T0_EES8_S8_bjS8_NS5_IS6_S8_EES8_NS5_IlS8_EES8_jjPS6_PjSD_j
	.p2align	8
	.type	_ZN2at6native6mbtopk10gatherTopKIamLin1EEEvNS_4cuda6detail10TensorInfoIKT_T0_EES8_S8_bjS8_NS5_IS6_S8_EES8_NS5_IlS8_EES8_jjPS6_PjSD_j,@function
_ZN2at6native6mbtopk10gatherTopKIamLin1EEEvNS_4cuda6detail10TensorInfoIKT_T0_EES8_S8_bjS8_NS5_IS6_S8_EES8_NS5_IlS8_EES8_jjPS6_PjSD_j: ; @_ZN2at6native6mbtopk10gatherTopKIamLin1EEEvNS_4cuda6detail10TensorInfoIKT_T0_EES8_S8_bjS8_NS5_IS6_S8_EES8_NS5_IlS8_EES8_jjPS6_PjSD_j
; %bb.0:
	s_bfe_u32 s2, ttmp6, 0x40010
	s_and_b32 s4, ttmp7, 0xffff
	s_add_co_i32 s5, s2, 1
	s_clause 0x1
	s_load_b32 s6, s[0:1], 0x530
	s_load_b64 s[2:3], s[0:1], 0x538
	s_bfe_u32 s8, ttmp6, 0x4000c
	s_mul_i32 s5, s4, s5
	s_bfe_u32 s7, ttmp6, 0x40004
	s_add_co_i32 s8, s8, 1
	s_bfe_u32 s9, ttmp6, 0x40014
	s_add_co_i32 s7, s7, s5
	s_and_b32 s5, ttmp6, 15
	s_mul_i32 s8, ttmp9, s8
	s_lshr_b32 s10, ttmp7, 16
	s_add_co_i32 s9, s9, 1
	s_add_co_i32 s5, s5, s8
	s_mul_i32 s8, s10, s9
	s_bfe_u32 s9, ttmp6, 0x40008
	s_getreg_b32 s11, hwreg(HW_REG_IB_STS2, 6, 4)
	s_add_co_i32 s9, s9, s8
	s_cmp_eq_u32 s11, 0
	s_cselect_b32 s8, s10, s9
	s_cselect_b32 s4, s4, s7
	s_wait_kmcnt 0x0
	s_mul_i32 s3, s3, s8
	s_cselect_b32 s5, ttmp9, s5
	s_add_co_i32 s3, s3, s4
	s_delay_alu instid0(SALU_CYCLE_1) | instskip(NEXT) | instid1(SALU_CYCLE_1)
	s_mul_i32 s3, s3, s2
	s_add_co_i32 s3, s3, s5
	s_delay_alu instid0(SALU_CYCLE_1)
	s_cmp_ge_u32 s3, s6
	s_cbranch_scc1 .LBB140_61
; %bb.1:
	s_load_b64 s[16:17], s[0:1], 0x510
	s_wait_kmcnt 0x0
	s_cvt_f32_u32 s2, s17
	s_sub_co_i32 s4, 0, s17
	s_lshl_b32 s33, s16, 8
	s_delay_alu instid0(SALU_CYCLE_1) | instskip(SKIP_1) | instid1(TRANS32_DEP_1)
	v_rcp_iflag_f32_e32 v1, s2
	v_nop
	v_readfirstlane_b32 s2, v1
	s_mul_f32 s2, s2, 0x4f7ffffe
	s_delay_alu instid0(SALU_CYCLE_3) | instskip(NEXT) | instid1(SALU_CYCLE_3)
	s_cvt_u32_f32 s2, s2
	s_mul_i32 s4, s4, s2
	s_delay_alu instid0(SALU_CYCLE_1) | instskip(NEXT) | instid1(SALU_CYCLE_1)
	s_mul_hi_u32 s4, s2, s4
	s_add_co_i32 s2, s2, s4
	s_load_b128 s[4:7], s[0:1], 0x1a0
	s_mul_hi_u32 s2, s3, s2
	s_delay_alu instid0(SALU_CYCLE_1) | instskip(SKIP_2) | instid1(SALU_CYCLE_1)
	s_mul_i32 s8, s2, s17
	s_add_co_i32 s9, s2, 1
	s_sub_co_i32 s8, s3, s8
	s_sub_co_i32 s10, s8, s17
	s_cmp_ge_u32 s8, s17
	s_cselect_b32 s2, s9, s2
	s_cselect_b32 s8, s10, s8
	s_add_co_i32 s9, s2, 1
	s_cmp_ge_u32 s8, s17
	s_cselect_b32 s2, s9, s2
	s_delay_alu instid0(SALU_CYCLE_1) | instskip(NEXT) | instid1(SALU_CYCLE_1)
	s_mul_i32 s20, s2, s17
	s_sub_co_i32 s44, s3, s20
	s_delay_alu instid0(SALU_CYCLE_1) | instskip(NEXT) | instid1(SALU_CYCLE_1)
	s_add_co_i32 s3, s44, 1
	s_cmp_lt_u32 s3, s17
	s_cbranch_scc1 .LBB140_3
; %bb.2:
	s_mul_i32 s8, s44, s33
	s_mov_b32 s9, 0
	s_wait_kmcnt 0x0
	s_sub_nc_u64 s[10:11], s[4:5], s[8:9]
	s_delay_alu instid0(SALU_CYCLE_1) | instskip(NEXT) | instid1(SALU_CYCLE_1)
	s_add_nc_u64 s[10:11], s[10:11], 0xff
	s_ashr_i32 s3, s11, 31
	s_delay_alu instid0(SALU_CYCLE_1) | instskip(NEXT) | instid1(SALU_CYCLE_1)
	s_lshr_b32 s8, s3, 24
	s_add_nc_u64 s[8:9], s[10:11], s[8:9]
	s_delay_alu instid0(SALU_CYCLE_1) | instskip(NEXT) | instid1(SALU_CYCLE_1)
	s_lshr_b64 s[8:9], s[8:9], 8
	s_mov_b32 s16, s8
.LBB140_3:
	s_load_b32 s10, s[0:1], 0x198
	s_mov_b32 s9, 0
	s_mov_b64 s[18:19], 0
	s_mov_b32 s3, s9
	s_delay_alu instid0(SALU_CYCLE_1)
	s_mov_b64 s[22:23], s[2:3]
	s_wait_kmcnt 0x0
	s_cmp_lt_i32 s10, 2
	s_cbranch_scc1 .LBB140_9
; %bb.4:
	s_add_co_i32 s8, s10, -1
	s_add_co_i32 s21, s10, 1
	s_lshl_b64 s[12:13], s[8:9], 3
	s_delay_alu instid0(SALU_CYCLE_1)
	s_add_nc_u64 s[10:11], s[0:1], s[12:13]
	s_mov_b64 s[12:13], s[2:3]
	s_add_nc_u64 s[10:11], s[10:11], 8
.LBB140_5:                              ; =>This Inner Loop Header: Depth=1
	s_load_b64 s[14:15], s[10:11], 0x0
	s_mov_b64 s[22:23], 0
	s_wait_kmcnt 0x0
	v_cmp_lt_u64_e64 s8, s[12:13], s[14:15]
	s_and_b32 vcc_lo, exec_lo, s8
	s_cbranch_vccnz .LBB140_7
; %bb.6:                                ;   in Loop: Header=BB140_5 Depth=1
	v_cvt_f32_u32_e32 v1, s14
	s_sub_co_i32 s22, 0, s14
	s_delay_alu instid0(VALU_DEP_1) | instskip(SKIP_1) | instid1(TRANS32_DEP_1)
	v_rcp_iflag_f32_e32 v1, v1
	v_nop
	v_mul_f32_e32 v1, 0x4f7ffffe, v1
	s_delay_alu instid0(VALU_DEP_1) | instskip(NEXT) | instid1(VALU_DEP_1)
	v_cvt_u32_f32_e32 v1, v1
	v_readfirstlane_b32 s8, v1
	s_mul_i32 s22, s22, s8
	s_delay_alu instid0(SALU_CYCLE_1) | instskip(NEXT) | instid1(SALU_CYCLE_1)
	s_mul_hi_u32 s22, s8, s22
	s_add_co_i32 s8, s8, s22
	s_delay_alu instid0(SALU_CYCLE_1) | instskip(NEXT) | instid1(SALU_CYCLE_1)
	s_mul_hi_u32 s8, s12, s8
	s_mul_i32 s22, s8, s14
	s_add_co_i32 s23, s8, 1
	s_sub_co_i32 s22, s12, s22
	s_delay_alu instid0(SALU_CYCLE_1)
	s_sub_co_i32 s24, s22, s14
	s_cmp_ge_u32 s22, s14
	s_cselect_b32 s8, s23, s8
	s_cselect_b32 s22, s24, s22
	s_add_co_i32 s23, s8, 1
	s_cmp_ge_u32 s22, s14
	s_cselect_b32 s8, s23, s8
	s_delay_alu instid0(SALU_CYCLE_1)
	s_mov_b64 s[22:23], s[8:9]
.LBB140_7:                              ;   in Loop: Header=BB140_5 Depth=1
	s_load_b64 s[24:25], s[10:11], 0xc8
	s_mul_u64 s[14:15], s[22:23], s[14:15]
	s_add_co_i32 s21, s21, -1
	s_sub_nc_u64 s[12:13], s[12:13], s[14:15]
	s_cmp_gt_u32 s21, 2
	s_wait_xcnt 0x0
	s_add_nc_u64 s[10:11], s[10:11], -8
	s_wait_kmcnt 0x0
	s_mul_u64 s[12:13], s[24:25], s[12:13]
	s_delay_alu instid0(SALU_CYCLE_1)
	s_add_nc_u64 s[18:19], s[12:13], s[18:19]
	s_cbranch_scc0 .LBB140_9
; %bb.8:                                ;   in Loop: Header=BB140_5 Depth=1
	s_mov_b64 s[12:13], s[22:23]
	s_branch .LBB140_5
.LBB140_9:
	s_load_b32 s12, s[0:1], 0x358
	s_add_nc_u64 s[8:9], s[0:1], 0x1c0
	s_mov_b64 s[24:25], 0
	s_mov_b64 s[26:27], s[2:3]
	s_wait_kmcnt 0x0
	s_cmp_lt_i32 s12, 2
	s_cbranch_scc1 .LBB140_15
; %bb.10:
	s_add_co_i32 s10, s12, -1
	s_mov_b32 s11, 0
	s_add_co_i32 s21, s12, 1
	s_lshl_b64 s[14:15], s[10:11], 3
	s_delay_alu instid0(SALU_CYCLE_1)
	s_add_nc_u64 s[12:13], s[8:9], s[14:15]
	s_mov_b64 s[14:15], s[2:3]
	s_add_nc_u64 s[12:13], s[12:13], 8
.LBB140_11:                             ; =>This Inner Loop Header: Depth=1
	s_load_b64 s[28:29], s[12:13], 0x0
	s_mov_b64 s[26:27], 0
	s_wait_kmcnt 0x0
	v_cmp_lt_u64_e64 s10, s[14:15], s[28:29]
	s_and_b32 vcc_lo, exec_lo, s10
	s_cbranch_vccnz .LBB140_13
; %bb.12:                               ;   in Loop: Header=BB140_11 Depth=1
	v_cvt_f32_u32_e32 v1, s28
	s_sub_co_i32 s26, 0, s28
	s_delay_alu instid0(VALU_DEP_1) | instskip(SKIP_1) | instid1(TRANS32_DEP_1)
	v_rcp_iflag_f32_e32 v1, v1
	v_nop
	v_mul_f32_e32 v1, 0x4f7ffffe, v1
	s_delay_alu instid0(VALU_DEP_1) | instskip(NEXT) | instid1(VALU_DEP_1)
	v_cvt_u32_f32_e32 v1, v1
	v_readfirstlane_b32 s10, v1
	s_mul_i32 s26, s26, s10
	s_delay_alu instid0(SALU_CYCLE_1) | instskip(NEXT) | instid1(SALU_CYCLE_1)
	s_mul_hi_u32 s26, s10, s26
	s_add_co_i32 s10, s10, s26
	s_delay_alu instid0(SALU_CYCLE_1) | instskip(NEXT) | instid1(SALU_CYCLE_1)
	s_mul_hi_u32 s10, s14, s10
	s_mul_i32 s26, s10, s28
	s_add_co_i32 s27, s10, 1
	s_sub_co_i32 s26, s14, s26
	s_delay_alu instid0(SALU_CYCLE_1)
	s_sub_co_i32 s30, s26, s28
	s_cmp_ge_u32 s26, s28
	s_cselect_b32 s10, s27, s10
	s_cselect_b32 s26, s30, s26
	s_add_co_i32 s27, s10, 1
	s_cmp_ge_u32 s26, s28
	s_cselect_b32 s10, s27, s10
	s_delay_alu instid0(SALU_CYCLE_1)
	s_mov_b64 s[26:27], s[10:11]
.LBB140_13:                             ;   in Loop: Header=BB140_11 Depth=1
	s_load_b64 s[30:31], s[12:13], 0xc8
	s_mul_u64 s[28:29], s[26:27], s[28:29]
	s_add_co_i32 s21, s21, -1
	s_sub_nc_u64 s[14:15], s[14:15], s[28:29]
	s_cmp_gt_u32 s21, 2
	s_wait_xcnt 0x0
	s_add_nc_u64 s[12:13], s[12:13], -8
	s_wait_kmcnt 0x0
	s_mul_u64 s[14:15], s[30:31], s[14:15]
	s_delay_alu instid0(SALU_CYCLE_1)
	s_add_nc_u64 s[24:25], s[14:15], s[24:25]
	s_cbranch_scc0 .LBB140_15
; %bb.14:                               ;   in Loop: Header=BB140_11 Depth=1
	s_mov_b64 s[14:15], s[26:27]
	s_branch .LBB140_11
.LBB140_15:
	s_clause 0x1
	s_load_b64 s[28:29], s[0:1], 0xd0
	s_load_b32 s12, s[0:1], 0x500
	s_mov_b64 s[30:31], 0
	s_wait_kmcnt 0x0
	s_cmp_lt_i32 s12, 2
	s_cbranch_scc1 .LBB140_21
; %bb.16:
	s_add_co_i32 s10, s12, -1
	s_mov_b32 s11, 0
	s_add_nc_u64 s[14:15], s[0:1], 0x368
	s_lshl_b64 s[30:31], s[10:11], 3
	s_add_co_i32 s21, s12, 1
	s_add_nc_u64 s[14:15], s[14:15], s[30:31]
	s_mov_b64 s[30:31], 0
	s_add_nc_u64 s[12:13], s[14:15], 8
	s_mov_b64 s[14:15], s[2:3]
.LBB140_17:                             ; =>This Inner Loop Header: Depth=1
	s_load_b64 s[36:37], s[12:13], 0x0
	s_mov_b64 s[34:35], 0
	s_wait_kmcnt 0x0
	v_cmp_lt_u64_e64 s10, s[14:15], s[36:37]
	s_and_b32 vcc_lo, exec_lo, s10
	s_cbranch_vccnz .LBB140_19
; %bb.18:                               ;   in Loop: Header=BB140_17 Depth=1
	v_cvt_f32_u32_e32 v1, s36
	s_sub_co_i32 s34, 0, s36
	s_delay_alu instid0(VALU_DEP_1) | instskip(SKIP_1) | instid1(TRANS32_DEP_1)
	v_rcp_iflag_f32_e32 v1, v1
	v_nop
	v_mul_f32_e32 v1, 0x4f7ffffe, v1
	s_delay_alu instid0(VALU_DEP_1) | instskip(NEXT) | instid1(VALU_DEP_1)
	v_cvt_u32_f32_e32 v1, v1
	v_readfirstlane_b32 s10, v1
	s_mul_i32 s34, s34, s10
	s_delay_alu instid0(SALU_CYCLE_1) | instskip(NEXT) | instid1(SALU_CYCLE_1)
	s_mul_hi_u32 s34, s10, s34
	s_add_co_i32 s10, s10, s34
	s_delay_alu instid0(SALU_CYCLE_1) | instskip(NEXT) | instid1(SALU_CYCLE_1)
	s_mul_hi_u32 s10, s14, s10
	s_mul_i32 s34, s10, s36
	s_add_co_i32 s35, s10, 1
	s_sub_co_i32 s34, s14, s34
	s_delay_alu instid0(SALU_CYCLE_1)
	s_sub_co_i32 s38, s34, s36
	s_cmp_ge_u32 s34, s36
	s_cselect_b32 s10, s35, s10
	s_cselect_b32 s34, s38, s34
	s_add_co_i32 s35, s10, 1
	s_cmp_ge_u32 s34, s36
	s_cselect_b32 s10, s35, s10
	s_delay_alu instid0(SALU_CYCLE_1)
	s_mov_b64 s[34:35], s[10:11]
.LBB140_19:                             ;   in Loop: Header=BB140_17 Depth=1
	s_load_b64 s[38:39], s[12:13], 0xc8
	s_mul_u64 s[36:37], s[34:35], s[36:37]
	s_add_co_i32 s21, s21, -1
	s_sub_nc_u64 s[14:15], s[14:15], s[36:37]
	s_cmp_gt_u32 s21, 2
	s_wait_xcnt 0x0
	s_add_nc_u64 s[12:13], s[12:13], -8
	s_wait_kmcnt 0x0
	s_mul_u64 s[14:15], s[38:39], s[14:15]
	s_delay_alu instid0(SALU_CYCLE_1)
	s_add_nc_u64 s[30:31], s[14:15], s[30:31]
	s_cbranch_scc0 .LBB140_22
; %bb.20:                               ;   in Loop: Header=BB140_17 Depth=1
	s_mov_b64 s[14:15], s[34:35]
	s_branch .LBB140_17
.LBB140_21:
	s_mov_b64 s[34:35], s[2:3]
.LBB140_22:
	s_load_b64 s[36:37], s[8:9], 0xd0
	s_wait_xcnt 0x0
	s_load_b128 s[8:11], s[0:1], 0x518
	v_mov_b32_e32 v1, 0
	s_mov_b32 s21, 0
	s_wait_kmcnt 0x0
	s_add_nc_u64 s[2:3], s[8:9], s[2:3]
	global_load_u8 v6, v1, s[2:3]
	s_wait_xcnt 0x0
	v_cmp_ne_u32_e64 s2, 0, v0
	v_cmp_eq_u32_e64 s3, 0, v0
	s_and_saveexec_b32 s45, s3
	s_cbranch_execz .LBB140_38
; %bb.23:
	s_load_b64 s[38:39], s[0:1], 0x528
	s_lshl_b64 s[40:41], s[20:21], 2
	s_cmp_lt_u32 s17, 4
	s_cbranch_scc1 .LBB140_35
; %bb.24:
	s_mov_b64 s[8:9], 0
	s_mov_b32 s20, 0
.LBB140_25:                             ; =>This Inner Loop Header: Depth=1
	s_add_nc_u64 s[42:43], s[10:11], s[40:41]
	s_cmp_ge_u32 s20, s44
	s_load_b128 s[12:15], s[42:43], 0x0
	s_wait_kmcnt 0x0
	s_add_nc_u64 s[42:43], s[38:39], s[40:41]
	s_cbranch_scc0 .LBB140_32
; %bb.26:                               ;   in Loop: Header=BB140_25 Depth=1
	s_add_co_i32 s46, s20, 1
	s_delay_alu instid0(SALU_CYCLE_1)
	s_cmp_ge_u32 s46, s44
	s_cbranch_scc0 .LBB140_33
.LBB140_27:                             ;   in Loop: Header=BB140_25 Depth=1
	s_add_co_i32 s46, s46, 1
	s_delay_alu instid0(SALU_CYCLE_1)
	s_cmp_ge_u32 s46, s44
	s_cbranch_scc0 .LBB140_34
.LBB140_28:                             ;   in Loop: Header=BB140_25 Depth=1
	s_add_co_i32 s46, s46, 1
	s_delay_alu instid0(SALU_CYCLE_1)
	s_cmp_ge_u32 s46, s44
	s_cbranch_scc1 .LBB140_30
.LBB140_29:                             ;   in Loop: Header=BB140_25 Depth=1
	s_load_b32 s42, s[42:43], 0xc
	s_add_co_i32 s9, s15, s9
	s_wait_kmcnt 0x0
	s_add_co_i32 s8, s42, s8
.LBB140_30:                             ;   in Loop: Header=BB140_25 Depth=1
	s_add_co_i32 s12, s12, s21
	s_add_nc_u64 s[10:11], s[10:11], 16
	s_add_co_i32 s12, s12, s13
	s_add_co_i32 s13, s46, 4
	;; [unrolled: 1-line block ×3, first 2 shown]
	s_add_nc_u64 s[38:39], s[38:39], 16
	s_add_co_i32 s21, s12, s15
	s_add_co_i32 s12, s46, 1
	s_cmp_ge_u32 s13, s17
	s_cbranch_scc1 .LBB140_36
; %bb.31:                               ;   in Loop: Header=BB140_25 Depth=1
	s_mov_b32 s20, s12
	s_branch .LBB140_25
.LBB140_32:                             ;   in Loop: Header=BB140_25 Depth=1
	s_load_b32 s46, s[42:43], 0x0
	s_add_co_i32 s9, s12, s9
	s_wait_kmcnt 0x0
	s_add_co_i32 s8, s46, s8
	s_add_co_i32 s46, s20, 1
	s_delay_alu instid0(SALU_CYCLE_1)
	s_cmp_ge_u32 s46, s44
	s_cbranch_scc1 .LBB140_27
.LBB140_33:                             ;   in Loop: Header=BB140_25 Depth=1
	s_load_b32 s47, s[42:43], 0x4
	s_add_co_i32 s9, s13, s9
	s_wait_kmcnt 0x0
	s_add_co_i32 s8, s47, s8
	s_add_co_i32 s46, s46, 1
	s_delay_alu instid0(SALU_CYCLE_1)
	s_cmp_ge_u32 s46, s44
	s_cbranch_scc1 .LBB140_28
.LBB140_34:                             ;   in Loop: Header=BB140_25 Depth=1
	s_load_b32 s47, s[42:43], 0x8
	s_add_co_i32 s9, s14, s9
	s_wait_kmcnt 0x0
	s_add_co_i32 s8, s47, s8
	s_add_co_i32 s46, s46, 1
	s_delay_alu instid0(SALU_CYCLE_1)
	s_cmp_ge_u32 s46, s44
	s_cbranch_scc0 .LBB140_29
	s_branch .LBB140_30
.LBB140_35:
	s_mov_b64 s[8:9], 0
	s_add_nc_u64 s[10:11], s[10:11], s[40:41]
	s_wait_kmcnt 0x0
	s_add_nc_u64 s[12:13], s[38:39], s[40:41]
	s_mov_b32 s14, 0
	s_delay_alu instid0(SALU_CYCLE_1)
	s_cmp_ge_u32 s14, s17
	s_cbranch_scc0 .LBB140_59
	s_branch .LBB140_37
.LBB140_36:
	s_add_co_i32 s14, s20, 4
	s_add_nc_u64 s[12:13], s[38:39], s[40:41]
	s_add_nc_u64 s[10:11], s[10:11], s[40:41]
	s_cmp_ge_u32 s14, s17
	s_cbranch_scc0 .LBB140_59
.LBB140_37:
	v_dual_mov_b32 v2, s8 :: v_dual_mov_b32 v3, s21
	v_dual_mov_b32 v4, s9 :: v_dual_mov_b32 v1, 0
	ds_store_b96 v1, v[2:4] offset:1056
.LBB140_38:
	s_or_b32 exec_lo, exec_lo, s45
	s_clause 0x3
	s_load_b64 s[8:9], s[0:1], 0x438
	s_load_b64 s[14:15], s[0:1], 0x0
	;; [unrolled: 1-line block ×4, first 2 shown]
	s_cmp_eq_u32 s16, 0
	s_wait_loadcnt_dscnt 0x0
	s_barrier_signal -1
	s_barrier_wait -1
	s_cbranch_scc1 .LBB140_61
; %bb.39:
	v_dual_mov_b32 v1, 0 :: v_dual_lshrrev_b32 v7, 3, v0
	s_mul_u64 s[22:23], s[28:29], s[22:23]
	s_wait_kmcnt 0x0
	s_mul_u64 s[28:29], s[8:9], s[34:35]
	v_add_nc_u32_e32 v10, -1, v0
	ds_load_b96 v[2:4], v1 offset:1056
	s_clause 0x3
	s_load_b32 s17, s[0:1], 0x1b0
	s_load_b64 s[8:9], s[0:1], 0x1b8
	s_load_b64 s[10:11], s[0:1], 0x360
	;; [unrolled: 1-line block ×3, first 2 shown]
	v_and_b32_e32 v7, 28, v7
	s_wait_xcnt 0x0
	v_cmp_gt_u32_e64 s0, 32, v0
	v_lshrrev_b32_e32 v9, 3, v10
	v_bfe_i32 v5, v6, 0, 8
	s_mul_u64 s[26:27], s[36:37], s[26:27]
	v_lshl_add_u32 v8, v0, 2, v7
	s_add_nc_u64 s[14:15], s[14:15], s[22:23]
	s_add_nc_u64 s[22:23], s[38:39], s[26:27]
	s_lshl_b64 s[26:27], s[28:29], 3
	s_lshl_b64 s[30:31], s[30:31], 3
	v_add_nc_u32_e32 v5, 0x80, v5
	v_and_b32_e32 v11, 0xff, v6
	s_add_nc_u64 s[20:21], s[20:21], s[26:27]
	s_add_nc_u64 s[14:15], s[14:15], s[18:19]
	;; [unrolled: 1-line block ×4, first 2 shown]
	s_wait_kmcnt 0x0
	s_bitcmp1_b32 s17, 0
                                        ; implicit-def: $vgpr16
	s_cselect_b32 s1, -1, 0
	s_wait_dscnt 0x0
	v_add_nc_u32_e32 v2, v2, v3
	v_and_b32_e32 v7, 0x1ffffffc, v9
	v_and_b32_e32 v3, 0xfc, v0
	v_mbcnt_lo_u32_b32 v9, -1, 0
	v_lshlrev_b32_e32 v12, 5, v0
	v_mad_u32 v0, s44, s33, v0
	v_lshl_add_u32 v10, v10, 2, v7
	s_delay_alu instid0(VALU_DEP_3)
	v_dual_add_nc_u32 v12, v3, v12 :: v_dual_bitop2_b32 v13, 15, v9 bitop3:0x40
	v_add_nc_u32_e32 v15, -1, v9
	v_bfe_i32 v14, v9, 4, 1
	s_branch .LBB140_42
.LBB140_40:                             ;   in Loop: Header=BB140_42 Depth=1
	s_wait_xcnt 0x0
	s_or_b32 exec_lo, exec_lo, s17
	v_add_nc_u32_e32 v2, v3, v2
.LBB140_41:                             ;   in Loop: Header=BB140_42 Depth=1
	v_add_nc_u32_e32 v4, v17, v4
	v_add_nc_u32_e32 v0, 0x100, v0
	s_add_co_i32 s16, s16, -1
	s_delay_alu instid0(SALU_CYCLE_1)
	s_cmp_lg_u32 s16, 0
	s_cbranch_scc0 .LBB140_61
.LBB140_42:                             ; =>This Inner Loop Header: Depth=1
	v_dual_mov_b32 v3, v1 :: v_dual_mov_b32 v6, v1
	s_mov_b32 s17, exec_lo
	v_cmpx_gt_u64_e64 s[4:5], v[0:1]
	s_cbranch_execz .LBB140_44
; %bb.43:                               ;   in Loop: Header=BB140_42 Depth=1
	v_mad_nc_u64_u32 v[6:7], s8, v0, s[14:15]
	s_delay_alu instid0(VALU_DEP_1) | instskip(SKIP_3) | instid1(VALU_DEP_1)
	v_mad_u32 v7, s9, v0, v7
	global_load_u8 v16, v[6:7], off
	s_wait_loadcnt 0x0
	v_bfe_i32 v3, v16, 0, 8
	v_add_nc_u32_e32 v3, 0x80, v3
	s_delay_alu instid0(VALU_DEP_1)
	v_cmp_gt_u32_e32 vcc_lo, v3, v5
	s_wait_xcnt 0x0
	v_cndmask_b32_e64 v6, 0, 1, vcc_lo
	v_cmp_lt_u32_e32 vcc_lo, v3, v5
	v_cndmask_b32_e64 v3, 0, 1, vcc_lo
	v_cmp_eq_u16_e32 vcc_lo, v16, v11
	s_delay_alu instid0(VALU_DEP_2) | instskip(SKIP_1) | instid1(VALU_DEP_2)
	v_cndmask_b32_e64 v3, v3, v6, s1
	v_cndmask_b32_e64 v6, 0, 1, vcc_lo
	v_and_b32_e32 v3, 1, v3
.LBB140_44:                             ;   in Loop: Header=BB140_42 Depth=1
	s_or_b32 exec_lo, exec_lo, s17
	ds_store_b32 v8, v3
	s_wait_dscnt 0x0
	s_barrier_signal -1
	s_barrier_wait -1
	s_and_saveexec_b32 s17, s0
	s_cbranch_execz .LBB140_46
; %bb.45:                               ;   in Loop: Header=BB140_42 Depth=1
	ds_load_2addr_b32 v[18:19], v12 offset1:1
	ds_load_2addr_b32 v[20:21], v12 offset0:2 offset1:3
	ds_load_2addr_b32 v[22:23], v12 offset0:4 offset1:5
	;; [unrolled: 1-line block ×3, first 2 shown]
	v_cmp_ne_u32_e32 vcc_lo, 0, v13
	; wave barrier
	s_wait_dscnt 0x3
	v_add_nc_u32_e32 v7, v19, v18
	s_wait_dscnt 0x2
	s_delay_alu instid0(VALU_DEP_1) | instskip(SKIP_1) | instid1(VALU_DEP_1)
	v_add3_u32 v7, v7, v20, v21
	s_wait_dscnt 0x1
	v_add3_u32 v7, v7, v22, v23
	s_wait_dscnt 0x0
	s_delay_alu instid0(VALU_DEP_1) | instskip(NEXT) | instid1(VALU_DEP_1)
	v_add3_u32 v7, v7, v24, v25
	v_mov_b32_dpp v17, v7 row_shr:1 row_mask:0xf bank_mask:0xf
	s_delay_alu instid0(VALU_DEP_1) | instskip(SKIP_1) | instid1(VALU_DEP_2)
	v_cndmask_b32_e32 v17, 0, v17, vcc_lo
	v_cmp_lt_u32_e32 vcc_lo, 1, v13
	v_add_nc_u32_e32 v7, v17, v7
	s_delay_alu instid0(VALU_DEP_1) | instskip(NEXT) | instid1(VALU_DEP_1)
	v_mov_b32_dpp v17, v7 row_shr:2 row_mask:0xf bank_mask:0xf
	v_cndmask_b32_e32 v17, 0, v17, vcc_lo
	v_cmp_lt_u32_e32 vcc_lo, 3, v13
	s_delay_alu instid0(VALU_DEP_2) | instskip(NEXT) | instid1(VALU_DEP_1)
	v_add_nc_u32_e32 v7, v7, v17
	v_mov_b32_dpp v17, v7 row_shr:4 row_mask:0xf bank_mask:0xf
	s_delay_alu instid0(VALU_DEP_1) | instskip(SKIP_1) | instid1(VALU_DEP_2)
	v_cndmask_b32_e32 v17, 0, v17, vcc_lo
	v_cmp_lt_u32_e32 vcc_lo, 7, v13
	v_add_nc_u32_e32 v7, v7, v17
	s_delay_alu instid0(VALU_DEP_1) | instskip(NEXT) | instid1(VALU_DEP_1)
	v_mov_b32_dpp v17, v7 row_shr:8 row_mask:0xf bank_mask:0xf
	v_cndmask_b32_e32 v17, 0, v17, vcc_lo
	v_cmp_gt_i32_e32 vcc_lo, 0, v15
	s_delay_alu instid0(VALU_DEP_2) | instskip(SKIP_4) | instid1(VALU_DEP_1)
	v_add_nc_u32_e32 v7, v7, v17
	v_cndmask_b32_e32 v19, v15, v9, vcc_lo
	ds_swizzle_b32 v17, v7 offset:swizzle(BROADCAST,32,15)
	s_wait_dscnt 0x0
	v_dual_lshlrev_b32 v19, 2, v19 :: v_dual_bitop2_b32 v17, v14, v17 bitop3:0x40
	v_add_nc_u32_e32 v7, v7, v17
	ds_bpermute_b32 v7, v19, v7
	s_wait_dscnt 0x0
	v_add_nc_u32_e32 v7, v7, v18
	s_delay_alu instid0(VALU_DEP_1)
	v_cndmask_b32_e64 v7, v7, v3, s3
	ds_store_b32 v12, v7
	; wave barrier
	ds_load_2addr_b32 v[18:19], v12 offset0:1 offset1:2
	ds_load_2addr_b32 v[20:21], v12 offset0:3 offset1:4
	ds_load_2addr_b32 v[22:23], v12 offset0:5 offset1:6
	ds_load_b32 v17, v12 offset:28
	s_wait_dscnt 0x3
	v_add_nc_u32_e32 v7, v18, v7
	s_delay_alu instid0(VALU_DEP_1) | instskip(SKIP_1) | instid1(VALU_DEP_1)
	v_add_nc_u32_e32 v18, v19, v7
	s_wait_dscnt 0x2
	v_add_nc_u32_e32 v19, v20, v18
	s_delay_alu instid0(VALU_DEP_1) | instskip(SKIP_1) | instid1(VALU_DEP_1)
	v_add_nc_u32_e32 v20, v21, v19
	;; [unrolled: 4-line block ×3, first 2 shown]
	s_wait_dscnt 0x0
	v_add_nc_u32_e32 v17, v17, v22
	ds_store_2addr_b32 v12, v7, v18 offset0:1 offset1:2
	ds_store_2addr_b32 v12, v19, v20 offset0:3 offset1:4
	;; [unrolled: 1-line block ×3, first 2 shown]
	ds_store_b32 v12, v17 offset:28
.LBB140_46:                             ;   in Loop: Header=BB140_42 Depth=1
	s_or_b32 exec_lo, exec_lo, s17
	v_mov_b32_e32 v7, 0
	s_wait_dscnt 0x0
	s_barrier_signal -1
	s_barrier_wait -1
	s_and_saveexec_b32 s17, s2
; %bb.47:                               ;   in Loop: Header=BB140_42 Depth=1
	ds_load_b32 v7, v10
; %bb.48:                               ;   in Loop: Header=BB140_42 Depth=1
	s_or_b32 exec_lo, exec_lo, s17
	ds_load_b32 v17, v1 offset:1048
	s_mov_b32 s17, exec_lo
	s_wait_dscnt 0x0
	s_barrier_signal -1
	s_barrier_wait -1
	v_cmpx_ne_u32_e32 0, v3
	s_cbranch_execz .LBB140_50
; %bb.49:                               ;   in Loop: Header=BB140_42 Depth=1
	v_dual_mov_b32 v19, v1 :: v_dual_add_nc_u32 v18, v7, v4
	s_delay_alu instid0(VALU_DEP_1) | instskip(NEXT) | instid1(VALU_DEP_2)
	v_mad_nc_u64_u32 v[22:23], s10, v18, s[18:19]
	v_mul_u64_e32 v[20:21], s[12:13], v[18:19]
	s_delay_alu instid0(VALU_DEP_2) | instskip(NEXT) | instid1(VALU_DEP_2)
	v_mad_u32 v23, s11, v18, v23
	v_lshl_add_u64 v[18:19], v[20:21], 3, s[20:21]
	global_store_b8 v[22:23], v16, off
	global_store_b64 v[18:19], v[0:1], off
.LBB140_50:                             ;   in Loop: Header=BB140_42 Depth=1
	s_wait_xcnt 0x0
	s_or_b32 exec_lo, exec_lo, s17
	v_mov_b32_e32 v3, v1
	s_delay_alu instid0(VALU_DEP_1)
	v_cmp_le_u64_e32 vcc_lo, s[6:7], v[2:3]
	s_cbranch_vccnz .LBB140_41
; %bb.51:                               ;   in Loop: Header=BB140_42 Depth=1
	ds_store_b32 v8, v6
	s_wait_storecnt_dscnt 0x0
	s_barrier_signal -1
	s_barrier_wait -1
	s_and_saveexec_b32 s17, s0
	s_cbranch_execz .LBB140_53
; %bb.52:                               ;   in Loop: Header=BB140_42 Depth=1
	ds_load_2addr_b32 v[18:19], v12 offset1:1
	ds_load_2addr_b32 v[20:21], v12 offset0:2 offset1:3
	ds_load_2addr_b32 v[22:23], v12 offset0:4 offset1:5
	;; [unrolled: 1-line block ×3, first 2 shown]
	v_cmp_ne_u32_e32 vcc_lo, 0, v13
	; wave barrier
	s_wait_dscnt 0x3
	v_add_nc_u32_e32 v3, v19, v18
	s_wait_dscnt 0x2
	s_delay_alu instid0(VALU_DEP_1) | instskip(SKIP_1) | instid1(VALU_DEP_1)
	v_add3_u32 v3, v3, v20, v21
	s_wait_dscnt 0x1
	v_add3_u32 v3, v3, v22, v23
	s_wait_dscnt 0x0
	s_delay_alu instid0(VALU_DEP_1) | instskip(NEXT) | instid1(VALU_DEP_1)
	v_add3_u32 v3, v3, v24, v25
	v_mov_b32_dpp v7, v3 row_shr:1 row_mask:0xf bank_mask:0xf
	s_delay_alu instid0(VALU_DEP_1) | instskip(SKIP_1) | instid1(VALU_DEP_2)
	v_cndmask_b32_e32 v7, 0, v7, vcc_lo
	v_cmp_lt_u32_e32 vcc_lo, 1, v13
	v_add_nc_u32_e32 v3, v7, v3
	s_delay_alu instid0(VALU_DEP_1) | instskip(NEXT) | instid1(VALU_DEP_1)
	v_mov_b32_dpp v7, v3 row_shr:2 row_mask:0xf bank_mask:0xf
	v_cndmask_b32_e32 v7, 0, v7, vcc_lo
	v_cmp_lt_u32_e32 vcc_lo, 3, v13
	s_delay_alu instid0(VALU_DEP_2) | instskip(NEXT) | instid1(VALU_DEP_1)
	v_add_nc_u32_e32 v3, v3, v7
	v_mov_b32_dpp v7, v3 row_shr:4 row_mask:0xf bank_mask:0xf
	s_delay_alu instid0(VALU_DEP_1) | instskip(SKIP_1) | instid1(VALU_DEP_2)
	v_cndmask_b32_e32 v7, 0, v7, vcc_lo
	v_cmp_lt_u32_e32 vcc_lo, 7, v13
	v_add_nc_u32_e32 v3, v3, v7
	s_delay_alu instid0(VALU_DEP_1) | instskip(NEXT) | instid1(VALU_DEP_1)
	v_mov_b32_dpp v7, v3 row_shr:8 row_mask:0xf bank_mask:0xf
	v_cndmask_b32_e32 v7, 0, v7, vcc_lo
	v_cmp_gt_i32_e32 vcc_lo, 0, v15
	s_delay_alu instid0(VALU_DEP_2)
	v_add_nc_u32_e32 v3, v3, v7
	v_cndmask_b32_e32 v19, v15, v9, vcc_lo
	ds_swizzle_b32 v7, v3 offset:swizzle(BROADCAST,32,15)
	v_lshlrev_b32_e32 v19, 2, v19
	s_wait_dscnt 0x0
	v_and_b32_e32 v7, v14, v7
	s_delay_alu instid0(VALU_DEP_1) | instskip(SKIP_3) | instid1(VALU_DEP_1)
	v_add_nc_u32_e32 v3, v3, v7
	ds_bpermute_b32 v3, v19, v3
	s_wait_dscnt 0x0
	v_add_nc_u32_e32 v3, v3, v18
	v_cndmask_b32_e64 v3, v3, v6, s3
	ds_store_b32 v12, v3
	; wave barrier
	ds_load_2addr_b32 v[18:19], v12 offset0:1 offset1:2
	ds_load_2addr_b32 v[20:21], v12 offset0:3 offset1:4
	;; [unrolled: 1-line block ×3, first 2 shown]
	ds_load_b32 v7, v12 offset:28
	s_wait_dscnt 0x3
	v_add_nc_u32_e32 v3, v18, v3
	s_delay_alu instid0(VALU_DEP_1) | instskip(SKIP_1) | instid1(VALU_DEP_1)
	v_add_nc_u32_e32 v18, v19, v3
	s_wait_dscnt 0x2
	v_add_nc_u32_e32 v19, v20, v18
	s_delay_alu instid0(VALU_DEP_1) | instskip(SKIP_1) | instid1(VALU_DEP_1)
	v_add_nc_u32_e32 v20, v21, v19
	;; [unrolled: 4-line block ×3, first 2 shown]
	s_wait_dscnt 0x0
	v_add_nc_u32_e32 v7, v7, v22
	ds_store_2addr_b32 v12, v3, v18 offset0:1 offset1:2
	ds_store_2addr_b32 v12, v19, v20 offset0:3 offset1:4
	;; [unrolled: 1-line block ×3, first 2 shown]
	ds_store_b32 v12, v7 offset:28
.LBB140_53:                             ;   in Loop: Header=BB140_42 Depth=1
	s_or_b32 exec_lo, exec_lo, s17
	v_mov_b32_e32 v7, 0
	s_wait_dscnt 0x0
	s_barrier_signal -1
	s_barrier_wait -1
	s_and_saveexec_b32 s17, s2
; %bb.54:                               ;   in Loop: Header=BB140_42 Depth=1
	ds_load_b32 v7, v10
; %bb.55:                               ;   in Loop: Header=BB140_42 Depth=1
	s_or_b32 exec_lo, exec_lo, s17
	ds_load_b32 v3, v1 offset:1048
	s_mov_b32 s17, exec_lo
	s_wait_dscnt 0x0
	s_barrier_signal -1
	s_barrier_wait -1
	v_cmpx_ne_u32_e32 0, v6
	s_cbranch_execz .LBB140_40
; %bb.56:                               ;   in Loop: Header=BB140_42 Depth=1
	v_dual_mov_b32 v7, v1 :: v_dual_add_nc_u32 v6, v7, v2
	s_delay_alu instid0(VALU_DEP_1)
	v_cmp_gt_u64_e32 vcc_lo, s[6:7], v[6:7]
	s_and_b32 exec_lo, exec_lo, vcc_lo
	s_cbranch_execz .LBB140_40
; %bb.57:                               ;   in Loop: Header=BB140_42 Depth=1
	v_mul_u64_e32 v[18:19], s[12:13], v[6:7]
	v_mad_nc_u64_u32 v[20:21], s10, v6, s[18:19]
	s_delay_alu instid0(VALU_DEP_1) | instskip(NEXT) | instid1(VALU_DEP_3)
	v_mad_u32 v21, s11, v6, v21
	v_lshl_add_u64 v[6:7], v[18:19], 3, s[20:21]
	global_store_b8 v[20:21], v16, off
	global_store_b64 v[6:7], v[0:1], off
	s_branch .LBB140_40
.LBB140_58:                             ;   in Loop: Header=BB140_59 Depth=1
	s_add_co_i32 s14, s14, 1
	s_wait_kmcnt 0x0
	s_add_co_i32 s21, s15, s21
	s_add_nc_u64 s[10:11], s[10:11], 4
	s_cmp_lt_u32 s14, s17
	s_add_nc_u64 s[12:13], s[12:13], 4
	s_cbranch_scc0 .LBB140_37
.LBB140_59:                             ; =>This Inner Loop Header: Depth=1
	s_load_b32 s15, s[10:11], 0x0
	s_cmp_ge_u32 s14, s44
	s_cbranch_scc1 .LBB140_58
; %bb.60:                               ;   in Loop: Header=BB140_59 Depth=1
	s_load_b32 s20, s[12:13], 0x0
	s_wait_kmcnt 0x0
	s_add_co_i32 s9, s15, s9
	s_add_co_i32 s8, s20, s8
	s_branch .LBB140_58
.LBB140_61:
	s_endpgm
	.section	.rodata,"a",@progbits
	.p2align	6, 0x0
	.amdhsa_kernel _ZN2at6native6mbtopk10gatherTopKIamLin1EEEvNS_4cuda6detail10TensorInfoIKT_T0_EES8_S8_bjS8_NS5_IS6_S8_EES8_NS5_IlS8_EES8_jjPS6_PjSD_j
		.amdhsa_group_segment_fixed_size 1068
		.amdhsa_private_segment_fixed_size 0
		.amdhsa_kernarg_size 1592
		.amdhsa_user_sgpr_count 2
		.amdhsa_user_sgpr_dispatch_ptr 0
		.amdhsa_user_sgpr_queue_ptr 0
		.amdhsa_user_sgpr_kernarg_segment_ptr 1
		.amdhsa_user_sgpr_dispatch_id 0
		.amdhsa_user_sgpr_kernarg_preload_length 0
		.amdhsa_user_sgpr_kernarg_preload_offset 0
		.amdhsa_user_sgpr_private_segment_size 0
		.amdhsa_wavefront_size32 1
		.amdhsa_uses_dynamic_stack 0
		.amdhsa_enable_private_segment 0
		.amdhsa_system_sgpr_workgroup_id_x 1
		.amdhsa_system_sgpr_workgroup_id_y 1
		.amdhsa_system_sgpr_workgroup_id_z 1
		.amdhsa_system_sgpr_workgroup_info 0
		.amdhsa_system_vgpr_workitem_id 0
		.amdhsa_next_free_vgpr 26
		.amdhsa_next_free_sgpr 48
		.amdhsa_named_barrier_count 0
		.amdhsa_reserve_vcc 1
		.amdhsa_float_round_mode_32 0
		.amdhsa_float_round_mode_16_64 0
		.amdhsa_float_denorm_mode_32 3
		.amdhsa_float_denorm_mode_16_64 3
		.amdhsa_fp16_overflow 0
		.amdhsa_memory_ordered 1
		.amdhsa_forward_progress 1
		.amdhsa_inst_pref_size 27
		.amdhsa_round_robin_scheduling 0
		.amdhsa_exception_fp_ieee_invalid_op 0
		.amdhsa_exception_fp_denorm_src 0
		.amdhsa_exception_fp_ieee_div_zero 0
		.amdhsa_exception_fp_ieee_overflow 0
		.amdhsa_exception_fp_ieee_underflow 0
		.amdhsa_exception_fp_ieee_inexact 0
		.amdhsa_exception_int_div_zero 0
	.end_amdhsa_kernel
	.section	.text._ZN2at6native6mbtopk10gatherTopKIamLin1EEEvNS_4cuda6detail10TensorInfoIKT_T0_EES8_S8_bjS8_NS5_IS6_S8_EES8_NS5_IlS8_EES8_jjPS6_PjSD_j,"axG",@progbits,_ZN2at6native6mbtopk10gatherTopKIamLin1EEEvNS_4cuda6detail10TensorInfoIKT_T0_EES8_S8_bjS8_NS5_IS6_S8_EES8_NS5_IlS8_EES8_jjPS6_PjSD_j,comdat
.Lfunc_end140:
	.size	_ZN2at6native6mbtopk10gatherTopKIamLin1EEEvNS_4cuda6detail10TensorInfoIKT_T0_EES8_S8_bjS8_NS5_IS6_S8_EES8_NS5_IlS8_EES8_jjPS6_PjSD_j, .Lfunc_end140-_ZN2at6native6mbtopk10gatherTopKIamLin1EEEvNS_4cuda6detail10TensorInfoIKT_T0_EES8_S8_bjS8_NS5_IS6_S8_EES8_NS5_IlS8_EES8_jjPS6_PjSD_j
                                        ; -- End function
	.set _ZN2at6native6mbtopk10gatherTopKIamLin1EEEvNS_4cuda6detail10TensorInfoIKT_T0_EES8_S8_bjS8_NS5_IS6_S8_EES8_NS5_IlS8_EES8_jjPS6_PjSD_j.num_vgpr, 26
	.set _ZN2at6native6mbtopk10gatherTopKIamLin1EEEvNS_4cuda6detail10TensorInfoIKT_T0_EES8_S8_bjS8_NS5_IS6_S8_EES8_NS5_IlS8_EES8_jjPS6_PjSD_j.num_agpr, 0
	.set _ZN2at6native6mbtopk10gatherTopKIamLin1EEEvNS_4cuda6detail10TensorInfoIKT_T0_EES8_S8_bjS8_NS5_IS6_S8_EES8_NS5_IlS8_EES8_jjPS6_PjSD_j.numbered_sgpr, 48
	.set _ZN2at6native6mbtopk10gatherTopKIamLin1EEEvNS_4cuda6detail10TensorInfoIKT_T0_EES8_S8_bjS8_NS5_IS6_S8_EES8_NS5_IlS8_EES8_jjPS6_PjSD_j.num_named_barrier, 0
	.set _ZN2at6native6mbtopk10gatherTopKIamLin1EEEvNS_4cuda6detail10TensorInfoIKT_T0_EES8_S8_bjS8_NS5_IS6_S8_EES8_NS5_IlS8_EES8_jjPS6_PjSD_j.private_seg_size, 0
	.set _ZN2at6native6mbtopk10gatherTopKIamLin1EEEvNS_4cuda6detail10TensorInfoIKT_T0_EES8_S8_bjS8_NS5_IS6_S8_EES8_NS5_IlS8_EES8_jjPS6_PjSD_j.uses_vcc, 1
	.set _ZN2at6native6mbtopk10gatherTopKIamLin1EEEvNS_4cuda6detail10TensorInfoIKT_T0_EES8_S8_bjS8_NS5_IS6_S8_EES8_NS5_IlS8_EES8_jjPS6_PjSD_j.uses_flat_scratch, 0
	.set _ZN2at6native6mbtopk10gatherTopKIamLin1EEEvNS_4cuda6detail10TensorInfoIKT_T0_EES8_S8_bjS8_NS5_IS6_S8_EES8_NS5_IlS8_EES8_jjPS6_PjSD_j.has_dyn_sized_stack, 0
	.set _ZN2at6native6mbtopk10gatherTopKIamLin1EEEvNS_4cuda6detail10TensorInfoIKT_T0_EES8_S8_bjS8_NS5_IS6_S8_EES8_NS5_IlS8_EES8_jjPS6_PjSD_j.has_recursion, 0
	.set _ZN2at6native6mbtopk10gatherTopKIamLin1EEEvNS_4cuda6detail10TensorInfoIKT_T0_EES8_S8_bjS8_NS5_IS6_S8_EES8_NS5_IlS8_EES8_jjPS6_PjSD_j.has_indirect_call, 0
	.section	.AMDGPU.csdata,"",@progbits
; Kernel info:
; codeLenInByte = 3352
; TotalNumSgprs: 50
; NumVgprs: 26
; ScratchSize: 0
; MemoryBound: 0
; FloatMode: 240
; IeeeMode: 1
; LDSByteSize: 1068 bytes/workgroup (compile time only)
; SGPRBlocks: 0
; VGPRBlocks: 1
; NumSGPRsForWavesPerEU: 50
; NumVGPRsForWavesPerEU: 26
; NamedBarCnt: 0
; Occupancy: 16
; WaveLimiterHint : 1
; COMPUTE_PGM_RSRC2:SCRATCH_EN: 0
; COMPUTE_PGM_RSRC2:USER_SGPR: 2
; COMPUTE_PGM_RSRC2:TRAP_HANDLER: 0
; COMPUTE_PGM_RSRC2:TGID_X_EN: 1
; COMPUTE_PGM_RSRC2:TGID_Y_EN: 1
; COMPUTE_PGM_RSRC2:TGID_Z_EN: 1
; COMPUTE_PGM_RSRC2:TIDIG_COMP_CNT: 0
	.section	.text._ZN2at6native6sbtopk10gatherTopKIamLin1ELb0EEEvNS_4cuda6detail10TensorInfoIKT_T0_EES8_S8_bS8_S8_NS5_IS6_S8_EES8_NS5_IlS8_EES8_PS6_,"axG",@progbits,_ZN2at6native6sbtopk10gatherTopKIamLin1ELb0EEEvNS_4cuda6detail10TensorInfoIKT_T0_EES8_S8_bS8_S8_NS5_IS6_S8_EES8_NS5_IlS8_EES8_PS6_,comdat
	.protected	_ZN2at6native6sbtopk10gatherTopKIamLin1ELb0EEEvNS_4cuda6detail10TensorInfoIKT_T0_EES8_S8_bS8_S8_NS5_IS6_S8_EES8_NS5_IlS8_EES8_PS6_ ; -- Begin function _ZN2at6native6sbtopk10gatherTopKIamLin1ELb0EEEvNS_4cuda6detail10TensorInfoIKT_T0_EES8_S8_bS8_S8_NS5_IS6_S8_EES8_NS5_IlS8_EES8_PS6_
	.globl	_ZN2at6native6sbtopk10gatherTopKIamLin1ELb0EEEvNS_4cuda6detail10TensorInfoIKT_T0_EES8_S8_bS8_S8_NS5_IS6_S8_EES8_NS5_IlS8_EES8_PS6_
	.p2align	8
	.type	_ZN2at6native6sbtopk10gatherTopKIamLin1ELb0EEEvNS_4cuda6detail10TensorInfoIKT_T0_EES8_S8_bS8_S8_NS5_IS6_S8_EES8_NS5_IlS8_EES8_PS6_,@function
_ZN2at6native6sbtopk10gatherTopKIamLin1ELb0EEEvNS_4cuda6detail10TensorInfoIKT_T0_EES8_S8_bS8_S8_NS5_IS6_S8_EES8_NS5_IlS8_EES8_PS6_: ; @_ZN2at6native6sbtopk10gatherTopKIamLin1ELb0EEEvNS_4cuda6detail10TensorInfoIKT_T0_EES8_S8_bS8_S8_NS5_IS6_S8_EES8_NS5_IlS8_EES8_PS6_
; %bb.0:
	s_clause 0x1
	s_load_b128 s[28:31], s[0:1], 0x1b8
	s_load_b64 s[8:9], s[0:1], 0x520
	s_bfe_u32 s2, ttmp6, 0x40010
	s_and_b32 s3, ttmp7, 0xffff
	s_add_co_i32 s2, s2, 1
	s_bfe_u32 s5, ttmp6, 0x4000c
	s_mul_i32 s2, s3, s2
	s_bfe_u32 s4, ttmp6, 0x40004
	s_add_co_i32 s5, s5, 1
	s_bfe_u32 s6, ttmp6, 0x40014
	s_add_co_i32 s4, s4, s2
	s_and_b32 s2, ttmp6, 15
	s_mul_i32 s5, ttmp9, s5
	s_lshr_b32 s7, ttmp7, 16
	s_add_co_i32 s6, s6, 1
	s_add_co_i32 s2, s2, s5
	s_mul_i32 s5, s7, s6
	s_bfe_u32 s6, ttmp6, 0x40008
	s_getreg_b32 s10, hwreg(HW_REG_IB_STS2, 6, 4)
	s_add_co_i32 s6, s6, s5
	s_cmp_eq_u32 s10, 0
	s_cselect_b32 s5, s7, s6
	s_cselect_b32 s3, s3, s4
	s_wait_kmcnt 0x0
	s_mul_i32 s5, s9, s5
	s_cselect_b32 s9, ttmp9, s2
	s_add_co_i32 s2, s5, s3
	s_mov_b32 s3, 0
	s_mul_i32 s2, s2, s8
	s_delay_alu instid0(SALU_CYCLE_1) | instskip(NEXT) | instid1(SALU_CYCLE_1)
	s_add_co_i32 s2, s2, s9
	v_cmp_le_u64_e64 s4, s[28:29], s[2:3]
	s_and_b32 vcc_lo, exec_lo, s4
	s_cbranch_vccnz .LBB141_497
; %bb.1:
	s_load_b32 s12, s[0:1], 0x198
	s_mov_b64 s[10:11], 0
	s_mov_b64 s[6:7], s[2:3]
	s_wait_kmcnt 0x0
	s_cmp_lt_i32 s12, 2
	s_cbranch_scc1 .LBB141_9
; %bb.2:
	s_add_co_i32 s4, s12, -1
	s_mov_b32 s5, 0
	s_add_co_i32 s18, s12, 1
	s_lshl_b64 s[6:7], s[4:5], 3
	s_mov_b64 s[14:15], s[2:3]
	s_add_nc_u64 s[6:7], s[0:1], s[6:7]
	s_delay_alu instid0(SALU_CYCLE_1)
	s_add_nc_u64 s[12:13], s[6:7], 8
.LBB141_3:                              ; =>This Inner Loop Header: Depth=1
	s_load_b64 s[16:17], s[12:13], 0x0
	s_mov_b32 s4, -1
	s_wait_kmcnt 0x0
	s_or_b64 s[6:7], s[14:15], s[16:17]
	s_delay_alu instid0(SALU_CYCLE_1) | instskip(NEXT) | instid1(SALU_CYCLE_1)
	s_and_b64 s[6:7], s[6:7], 0xffffffff00000000
	s_cmp_lg_u64 s[6:7], 0
                                        ; implicit-def: $sgpr6_sgpr7
	s_cbranch_scc0 .LBB141_5
; %bb.4:                                ;   in Loop: Header=BB141_3 Depth=1
	s_cvt_f32_u32 s4, s16
	s_cvt_f32_u32 s6, s17
	s_sub_nc_u64 s[20:21], 0, s[16:17]
	s_delay_alu instid0(SALU_CYCLE_2) | instskip(NEXT) | instid1(SALU_CYCLE_3)
	s_fmamk_f32 s4, s6, 0x4f800000, s4
	v_s_rcp_f32 s4, s4
	s_delay_alu instid0(TRANS32_DEP_1) | instskip(NEXT) | instid1(SALU_CYCLE_3)
	s_mul_f32 s4, s4, 0x5f7ffffc
	s_mul_f32 s6, s4, 0x2f800000
	s_delay_alu instid0(SALU_CYCLE_3) | instskip(NEXT) | instid1(SALU_CYCLE_3)
	s_trunc_f32 s6, s6
	s_fmamk_f32 s4, s6, 0xcf800000, s4
	s_cvt_u32_f32 s7, s6
	s_delay_alu instid0(SALU_CYCLE_2) | instskip(NEXT) | instid1(SALU_CYCLE_3)
	s_cvt_u32_f32 s6, s4
	s_mul_u64 s[22:23], s[20:21], s[6:7]
	s_delay_alu instid0(SALU_CYCLE_1)
	s_mul_hi_u32 s25, s6, s23
	s_mul_i32 s24, s6, s23
	s_mul_hi_u32 s4, s6, s22
	s_mul_i32 s26, s7, s22
	s_add_nc_u64 s[24:25], s[4:5], s[24:25]
	s_mul_hi_u32 s19, s7, s22
	s_mul_hi_u32 s27, s7, s23
	s_add_co_u32 s4, s24, s26
	s_add_co_ci_u32 s4, s25, s19
	s_mul_i32 s22, s7, s23
	s_add_co_ci_u32 s23, s27, 0
	s_delay_alu instid0(SALU_CYCLE_1) | instskip(NEXT) | instid1(SALU_CYCLE_1)
	s_add_nc_u64 s[22:23], s[4:5], s[22:23]
	s_add_co_u32 s6, s6, s22
	s_cselect_b32 s4, -1, 0
	s_delay_alu instid0(SALU_CYCLE_1) | instskip(SKIP_1) | instid1(SALU_CYCLE_1)
	s_cmp_lg_u32 s4, 0
	s_add_co_ci_u32 s7, s7, s23
	s_mul_u64 s[20:21], s[20:21], s[6:7]
	s_delay_alu instid0(SALU_CYCLE_1)
	s_mul_hi_u32 s23, s6, s21
	s_mul_i32 s22, s6, s21
	s_mul_hi_u32 s4, s6, s20
	s_mul_i32 s24, s7, s20
	s_add_nc_u64 s[22:23], s[4:5], s[22:23]
	s_mul_hi_u32 s19, s7, s20
	s_mul_hi_u32 s25, s7, s21
	s_add_co_u32 s4, s22, s24
	s_add_co_ci_u32 s4, s23, s19
	s_mul_i32 s20, s7, s21
	s_add_co_ci_u32 s21, s25, 0
	s_delay_alu instid0(SALU_CYCLE_1) | instskip(NEXT) | instid1(SALU_CYCLE_1)
	s_add_nc_u64 s[20:21], s[4:5], s[20:21]
	s_add_co_u32 s6, s6, s20
	s_cselect_b32 s19, -1, 0
	s_mul_hi_u32 s4, s14, s6
	s_cmp_lg_u32 s19, 0
	s_mul_hi_u32 s19, s15, s6
	s_add_co_ci_u32 s20, s7, s21
	s_mul_i32 s21, s15, s6
	s_mul_hi_u32 s7, s14, s20
	s_mul_i32 s6, s14, s20
	s_mul_hi_u32 s22, s15, s20
	s_add_nc_u64 s[6:7], s[4:5], s[6:7]
	s_mul_i32 s20, s15, s20
	s_add_co_u32 s4, s6, s21
	s_add_co_ci_u32 s4, s7, s19
	s_add_co_ci_u32 s21, s22, 0
	s_delay_alu instid0(SALU_CYCLE_1) | instskip(NEXT) | instid1(SALU_CYCLE_1)
	s_add_nc_u64 s[6:7], s[4:5], s[20:21]
	s_and_b64 s[20:21], s[6:7], 0xffffffff00000000
	s_delay_alu instid0(SALU_CYCLE_1) | instskip(NEXT) | instid1(SALU_CYCLE_1)
	s_or_b32 s20, s20, s6
	s_mul_u64 s[6:7], s[16:17], s[20:21]
	s_delay_alu instid0(SALU_CYCLE_1)
	s_sub_co_u32 s4, s14, s6
	s_cselect_b32 s6, -1, 0
	s_sub_co_i32 s19, s15, s7
	s_cmp_lg_u32 s6, 0
	s_sub_co_ci_u32 s19, s19, s17
	s_sub_co_u32 s22, s4, s16
	s_cselect_b32 s23, -1, 0
	s_delay_alu instid0(SALU_CYCLE_1) | instskip(SKIP_1) | instid1(SALU_CYCLE_1)
	s_cmp_lg_u32 s23, 0
	s_sub_co_ci_u32 s19, s19, 0
	s_cmp_ge_u32 s19, s17
	s_cselect_b32 s24, -1, 0
	s_cmp_ge_u32 s22, s16
	s_add_nc_u64 s[22:23], s[20:21], 1
	s_cselect_b32 s25, -1, 0
	s_cmp_eq_u32 s19, s17
	s_cselect_b32 s19, s25, s24
	s_add_nc_u64 s[24:25], s[20:21], 2
	s_cmp_lg_u32 s19, 0
	s_cselect_b32 s19, s24, s22
	s_cselect_b32 s22, s25, s23
	s_cmp_lg_u32 s6, 0
	s_sub_co_ci_u32 s6, s15, s7
	s_delay_alu instid0(SALU_CYCLE_1)
	s_cmp_ge_u32 s6, s17
	s_cselect_b32 s7, -1, 0
	s_cmp_ge_u32 s4, s16
	s_cselect_b32 s4, -1, 0
	s_cmp_eq_u32 s6, s17
	s_cselect_b32 s4, s4, s7
	s_delay_alu instid0(SALU_CYCLE_1)
	s_cmp_lg_u32 s4, 0
	s_mov_b32 s4, 0
	s_cselect_b32 s7, s22, s21
	s_cselect_b32 s6, s19, s20
.LBB141_5:                              ;   in Loop: Header=BB141_3 Depth=1
	s_and_not1_b32 vcc_lo, exec_lo, s4
	s_cbranch_vccnz .LBB141_7
; %bb.6:                                ;   in Loop: Header=BB141_3 Depth=1
	v_cvt_f32_u32_e32 v1, s16
	s_sub_co_i32 s6, 0, s16
	s_delay_alu instid0(VALU_DEP_1) | instskip(SKIP_1) | instid1(TRANS32_DEP_1)
	v_rcp_iflag_f32_e32 v1, v1
	v_nop
	v_mul_f32_e32 v1, 0x4f7ffffe, v1
	s_delay_alu instid0(VALU_DEP_1) | instskip(NEXT) | instid1(VALU_DEP_1)
	v_cvt_u32_f32_e32 v1, v1
	v_readfirstlane_b32 s4, v1
	s_mul_i32 s6, s6, s4
	s_delay_alu instid0(SALU_CYCLE_1) | instskip(NEXT) | instid1(SALU_CYCLE_1)
	s_mul_hi_u32 s6, s4, s6
	s_add_co_i32 s4, s4, s6
	s_delay_alu instid0(SALU_CYCLE_1) | instskip(NEXT) | instid1(SALU_CYCLE_1)
	s_mul_hi_u32 s4, s14, s4
	s_mul_i32 s6, s4, s16
	s_add_co_i32 s7, s4, 1
	s_sub_co_i32 s6, s14, s6
	s_delay_alu instid0(SALU_CYCLE_1)
	s_sub_co_i32 s19, s6, s16
	s_cmp_ge_u32 s6, s16
	s_cselect_b32 s4, s7, s4
	s_cselect_b32 s6, s19, s6
	s_add_co_i32 s7, s4, 1
	s_cmp_ge_u32 s6, s16
	s_cselect_b32 s4, s7, s4
	s_delay_alu instid0(SALU_CYCLE_1)
	s_mov_b64 s[6:7], s[4:5]
.LBB141_7:                              ;   in Loop: Header=BB141_3 Depth=1
	s_load_b64 s[20:21], s[12:13], 0xc8
	s_mul_u64 s[16:17], s[6:7], s[16:17]
	s_add_co_i32 s18, s18, -1
	s_sub_nc_u64 s[14:15], s[14:15], s[16:17]
	s_cmp_gt_u32 s18, 2
	s_wait_xcnt 0x0
	s_add_nc_u64 s[12:13], s[12:13], -8
	s_wait_kmcnt 0x0
	s_mul_u64 s[14:15], s[20:21], s[14:15]
	s_delay_alu instid0(SALU_CYCLE_1)
	s_add_nc_u64 s[10:11], s[14:15], s[10:11]
	s_cbranch_scc0 .LBB141_9
; %bb.8:                                ;   in Loop: Header=BB141_3 Depth=1
	s_mov_b64 s[14:15], s[6:7]
	s_branch .LBB141_3
.LBB141_9:
	s_load_b32 s16, s[0:1], 0x360
	s_add_nc_u64 s[12:13], s[0:1], 0x520
	s_add_nc_u64 s[4:5], s[0:1], 0x1c8
	s_mov_b64 s[34:35], 0
	s_mov_b64 s[42:43], s[2:3]
	s_wait_kmcnt 0x0
	s_cmp_lt_i32 s16, 2
	s_cbranch_scc1 .LBB141_17
; %bb.10:
	s_add_co_i32 s14, s16, -1
	s_mov_b32 s15, 0
	s_add_co_i32 s22, s16, 1
	s_lshl_b64 s[18:19], s[14:15], 3
	s_delay_alu instid0(SALU_CYCLE_1)
	s_add_nc_u64 s[16:17], s[4:5], s[18:19]
	s_mov_b64 s[18:19], s[2:3]
	s_add_nc_u64 s[16:17], s[16:17], 8
.LBB141_11:                             ; =>This Inner Loop Header: Depth=1
	s_load_b64 s[20:21], s[16:17], 0x0
	s_mov_b32 s14, -1
                                        ; implicit-def: $sgpr42_sgpr43
	s_wait_kmcnt 0x0
	s_or_b64 s[24:25], s[18:19], s[20:21]
	s_delay_alu instid0(SALU_CYCLE_1) | instskip(NEXT) | instid1(SALU_CYCLE_1)
	s_and_b64 s[24:25], s[24:25], 0xffffffff00000000
	s_cmp_lg_u64 s[24:25], 0
	s_cbranch_scc0 .LBB141_13
; %bb.12:                               ;   in Loop: Header=BB141_11 Depth=1
	s_cvt_f32_u32 s14, s20
	s_cvt_f32_u32 s23, s21
	s_sub_nc_u64 s[26:27], 0, s[20:21]
	s_delay_alu instid0(SALU_CYCLE_2) | instskip(NEXT) | instid1(SALU_CYCLE_3)
	s_fmamk_f32 s14, s23, 0x4f800000, s14
	v_s_rcp_f32 s14, s14
	s_delay_alu instid0(TRANS32_DEP_1) | instskip(NEXT) | instid1(SALU_CYCLE_3)
	s_mul_f32 s14, s14, 0x5f7ffffc
	s_mul_f32 s23, s14, 0x2f800000
	s_delay_alu instid0(SALU_CYCLE_3) | instskip(NEXT) | instid1(SALU_CYCLE_3)
	s_trunc_f32 s23, s23
	s_fmamk_f32 s14, s23, 0xcf800000, s14
	s_cvt_u32_f32 s25, s23
	s_delay_alu instid0(SALU_CYCLE_2) | instskip(NEXT) | instid1(SALU_CYCLE_3)
	s_cvt_u32_f32 s24, s14
	s_mul_u64 s[28:29], s[26:27], s[24:25]
	s_delay_alu instid0(SALU_CYCLE_1)
	s_mul_hi_u32 s37, s24, s29
	s_mul_i32 s36, s24, s29
	s_mul_hi_u32 s14, s24, s28
	s_mul_i32 s33, s25, s28
	s_add_nc_u64 s[36:37], s[14:15], s[36:37]
	s_mul_hi_u32 s23, s25, s28
	s_mul_hi_u32 s38, s25, s29
	s_add_co_u32 s14, s36, s33
	s_add_co_ci_u32 s14, s37, s23
	s_mul_i32 s28, s25, s29
	s_add_co_ci_u32 s29, s38, 0
	s_delay_alu instid0(SALU_CYCLE_1) | instskip(NEXT) | instid1(SALU_CYCLE_1)
	s_add_nc_u64 s[28:29], s[14:15], s[28:29]
	s_add_co_u32 s24, s24, s28
	s_cselect_b32 s14, -1, 0
	s_delay_alu instid0(SALU_CYCLE_1) | instskip(SKIP_1) | instid1(SALU_CYCLE_1)
	s_cmp_lg_u32 s14, 0
	s_add_co_ci_u32 s25, s25, s29
	s_mul_u64 s[26:27], s[26:27], s[24:25]
	s_delay_alu instid0(SALU_CYCLE_1)
	s_mul_hi_u32 s29, s24, s27
	s_mul_i32 s28, s24, s27
	s_mul_hi_u32 s14, s24, s26
	s_mul_i32 s33, s25, s26
	s_add_nc_u64 s[28:29], s[14:15], s[28:29]
	s_mul_hi_u32 s23, s25, s26
	s_mul_hi_u32 s36, s25, s27
	s_add_co_u32 s14, s28, s33
	s_add_co_ci_u32 s14, s29, s23
	s_mul_i32 s26, s25, s27
	s_add_co_ci_u32 s27, s36, 0
	s_delay_alu instid0(SALU_CYCLE_1) | instskip(NEXT) | instid1(SALU_CYCLE_1)
	s_add_nc_u64 s[26:27], s[14:15], s[26:27]
	s_add_co_u32 s23, s24, s26
	s_cselect_b32 s24, -1, 0
	s_mul_hi_u32 s14, s18, s23
	s_cmp_lg_u32 s24, 0
	s_mul_hi_u32 s28, s19, s23
	s_add_co_ci_u32 s26, s25, s27
	s_mul_i32 s23, s19, s23
	s_mul_hi_u32 s25, s18, s26
	s_mul_i32 s24, s18, s26
	s_mul_hi_u32 s27, s19, s26
	s_add_nc_u64 s[24:25], s[14:15], s[24:25]
	s_mul_i32 s26, s19, s26
	s_add_co_u32 s14, s24, s23
	s_add_co_ci_u32 s14, s25, s28
	s_add_co_ci_u32 s27, s27, 0
	s_delay_alu instid0(SALU_CYCLE_1) | instskip(NEXT) | instid1(SALU_CYCLE_1)
	s_add_nc_u64 s[24:25], s[14:15], s[26:27]
	s_and_b64 s[26:27], s[24:25], 0xffffffff00000000
	s_delay_alu instid0(SALU_CYCLE_1) | instskip(NEXT) | instid1(SALU_CYCLE_1)
	s_or_b32 s26, s26, s24
	s_mul_u64 s[24:25], s[20:21], s[26:27]
	s_delay_alu instid0(SALU_CYCLE_1)
	s_sub_co_u32 s14, s18, s24
	s_cselect_b32 s23, -1, 0
	s_sub_co_i32 s24, s19, s25
	s_cmp_lg_u32 s23, 0
	s_sub_co_ci_u32 s24, s24, s21
	s_sub_co_u32 s28, s14, s20
	s_cselect_b32 s29, -1, 0
	s_delay_alu instid0(SALU_CYCLE_1) | instskip(SKIP_1) | instid1(SALU_CYCLE_1)
	s_cmp_lg_u32 s29, 0
	s_sub_co_ci_u32 s24, s24, 0
	s_cmp_ge_u32 s24, s21
	s_cselect_b32 s33, -1, 0
	s_cmp_ge_u32 s28, s20
	s_add_nc_u64 s[28:29], s[26:27], 1
	s_cselect_b32 s36, -1, 0
	s_cmp_eq_u32 s24, s21
	s_cselect_b32 s24, s36, s33
	s_add_nc_u64 s[36:37], s[26:27], 2
	s_cmp_lg_u32 s24, 0
	s_cselect_b32 s24, s36, s28
	s_cselect_b32 s28, s37, s29
	s_cmp_lg_u32 s23, 0
	s_sub_co_ci_u32 s23, s19, s25
	s_delay_alu instid0(SALU_CYCLE_1)
	s_cmp_ge_u32 s23, s21
	s_cselect_b32 s25, -1, 0
	s_cmp_ge_u32 s14, s20
	s_cselect_b32 s14, -1, 0
	s_cmp_eq_u32 s23, s21
	s_cselect_b32 s14, s14, s25
	s_delay_alu instid0(SALU_CYCLE_1)
	s_cmp_lg_u32 s14, 0
	s_mov_b32 s14, 0
	s_cselect_b32 s43, s28, s27
	s_cselect_b32 s42, s24, s26
.LBB141_13:                             ;   in Loop: Header=BB141_11 Depth=1
	s_and_not1_b32 vcc_lo, exec_lo, s14
	s_cbranch_vccnz .LBB141_15
; %bb.14:                               ;   in Loop: Header=BB141_11 Depth=1
	v_cvt_f32_u32_e32 v1, s20
	s_sub_co_i32 s23, 0, s20
	s_delay_alu instid0(VALU_DEP_1) | instskip(SKIP_1) | instid1(TRANS32_DEP_1)
	v_rcp_iflag_f32_e32 v1, v1
	v_nop
	v_mul_f32_e32 v1, 0x4f7ffffe, v1
	s_delay_alu instid0(VALU_DEP_1) | instskip(NEXT) | instid1(VALU_DEP_1)
	v_cvt_u32_f32_e32 v1, v1
	v_readfirstlane_b32 s14, v1
	s_mul_i32 s23, s23, s14
	s_delay_alu instid0(SALU_CYCLE_1) | instskip(NEXT) | instid1(SALU_CYCLE_1)
	s_mul_hi_u32 s23, s14, s23
	s_add_co_i32 s14, s14, s23
	s_delay_alu instid0(SALU_CYCLE_1) | instskip(NEXT) | instid1(SALU_CYCLE_1)
	s_mul_hi_u32 s14, s18, s14
	s_mul_i32 s23, s14, s20
	s_add_co_i32 s24, s14, 1
	s_sub_co_i32 s23, s18, s23
	s_delay_alu instid0(SALU_CYCLE_1)
	s_sub_co_i32 s25, s23, s20
	s_cmp_ge_u32 s23, s20
	s_cselect_b32 s14, s24, s14
	s_cselect_b32 s23, s25, s23
	s_add_co_i32 s24, s14, 1
	s_cmp_ge_u32 s23, s20
	s_cselect_b32 s14, s24, s14
	s_delay_alu instid0(SALU_CYCLE_1)
	s_mov_b64 s[42:43], s[14:15]
.LBB141_15:                             ;   in Loop: Header=BB141_11 Depth=1
	s_load_b64 s[24:25], s[16:17], 0xc8
	s_mul_u64 s[20:21], s[42:43], s[20:21]
	s_add_co_i32 s22, s22, -1
	s_sub_nc_u64 s[18:19], s[18:19], s[20:21]
	s_cmp_gt_u32 s22, 2
	s_wait_xcnt 0x0
	s_add_nc_u64 s[16:17], s[16:17], -8
	s_wait_kmcnt 0x0
	s_mul_u64 s[18:19], s[24:25], s[18:19]
	s_delay_alu instid0(SALU_CYCLE_1)
	s_add_nc_u64 s[34:35], s[18:19], s[34:35]
	s_cbranch_scc0 .LBB141_17
; %bb.16:                               ;   in Loop: Header=BB141_11 Depth=1
	s_mov_b64 s[18:19], s[42:43]
	s_branch .LBB141_11
.LBB141_17:
	s_clause 0x1
	s_load_b64 s[14:15], s[0:1], 0xd0
	s_load_b32 s18, s[0:1], 0x508
	s_mov_b64 s[46:47], 0
	s_wait_kmcnt 0x0
	s_cmp_lt_i32 s18, 2
	s_cbranch_scc1 .LBB141_25
; %bb.18:
	s_add_co_i32 s16, s18, -1
	s_mov_b32 s17, 0
	s_add_nc_u64 s[20:21], s[0:1], 0x370
	s_lshl_b64 s[22:23], s[16:17], 3
	s_delay_alu instid0(SALU_CYCLE_1)
	s_add_nc_u64 s[20:21], s[20:21], s[22:23]
	s_add_co_i32 s22, s18, 1
	s_add_nc_u64 s[18:19], s[20:21], 8
.LBB141_19:                             ; =>This Inner Loop Header: Depth=1
	s_load_b64 s[20:21], s[18:19], 0x0
	s_mov_b32 s16, -1
                                        ; implicit-def: $sgpr50_sgpr51
	s_wait_kmcnt 0x0
	s_or_b64 s[24:25], s[2:3], s[20:21]
	s_delay_alu instid0(SALU_CYCLE_1) | instskip(NEXT) | instid1(SALU_CYCLE_1)
	s_and_b64 s[24:25], s[24:25], 0xffffffff00000000
	s_cmp_lg_u64 s[24:25], 0
	s_cbranch_scc0 .LBB141_21
; %bb.20:                               ;   in Loop: Header=BB141_19 Depth=1
	s_cvt_f32_u32 s16, s20
	s_cvt_f32_u32 s23, s21
	s_sub_nc_u64 s[26:27], 0, s[20:21]
	s_delay_alu instid0(SALU_CYCLE_2) | instskip(NEXT) | instid1(SALU_CYCLE_3)
	s_fmamk_f32 s16, s23, 0x4f800000, s16
	v_s_rcp_f32 s16, s16
	s_delay_alu instid0(TRANS32_DEP_1) | instskip(NEXT) | instid1(SALU_CYCLE_3)
	s_mul_f32 s16, s16, 0x5f7ffffc
	s_mul_f32 s23, s16, 0x2f800000
	s_delay_alu instid0(SALU_CYCLE_3) | instskip(NEXT) | instid1(SALU_CYCLE_3)
	s_trunc_f32 s23, s23
	s_fmamk_f32 s16, s23, 0xcf800000, s16
	s_cvt_u32_f32 s25, s23
	s_delay_alu instid0(SALU_CYCLE_2) | instskip(NEXT) | instid1(SALU_CYCLE_3)
	s_cvt_u32_f32 s24, s16
	s_mul_u64 s[28:29], s[26:27], s[24:25]
	s_delay_alu instid0(SALU_CYCLE_1)
	s_mul_hi_u32 s37, s24, s29
	s_mul_i32 s36, s24, s29
	s_mul_hi_u32 s16, s24, s28
	s_mul_i32 s33, s25, s28
	s_add_nc_u64 s[36:37], s[16:17], s[36:37]
	s_mul_hi_u32 s23, s25, s28
	s_mul_hi_u32 s38, s25, s29
	s_add_co_u32 s16, s36, s33
	s_add_co_ci_u32 s16, s37, s23
	s_mul_i32 s28, s25, s29
	s_add_co_ci_u32 s29, s38, 0
	s_delay_alu instid0(SALU_CYCLE_1) | instskip(NEXT) | instid1(SALU_CYCLE_1)
	s_add_nc_u64 s[28:29], s[16:17], s[28:29]
	s_add_co_u32 s24, s24, s28
	s_cselect_b32 s16, -1, 0
	s_delay_alu instid0(SALU_CYCLE_1) | instskip(SKIP_1) | instid1(SALU_CYCLE_1)
	s_cmp_lg_u32 s16, 0
	s_add_co_ci_u32 s25, s25, s29
	s_mul_u64 s[26:27], s[26:27], s[24:25]
	s_delay_alu instid0(SALU_CYCLE_1)
	s_mul_hi_u32 s29, s24, s27
	s_mul_i32 s28, s24, s27
	s_mul_hi_u32 s16, s24, s26
	s_mul_i32 s33, s25, s26
	s_add_nc_u64 s[28:29], s[16:17], s[28:29]
	s_mul_hi_u32 s23, s25, s26
	s_mul_hi_u32 s36, s25, s27
	s_add_co_u32 s16, s28, s33
	s_add_co_ci_u32 s16, s29, s23
	s_mul_i32 s26, s25, s27
	s_add_co_ci_u32 s27, s36, 0
	s_delay_alu instid0(SALU_CYCLE_1) | instskip(NEXT) | instid1(SALU_CYCLE_1)
	s_add_nc_u64 s[26:27], s[16:17], s[26:27]
	s_add_co_u32 s23, s24, s26
	s_cselect_b32 s24, -1, 0
	s_mul_hi_u32 s16, s2, s23
	s_cmp_lg_u32 s24, 0
	s_mul_hi_u32 s28, s3, s23
	s_add_co_ci_u32 s26, s25, s27
	s_mul_i32 s23, s3, s23
	s_mul_hi_u32 s25, s2, s26
	s_mul_i32 s24, s2, s26
	s_mul_hi_u32 s27, s3, s26
	s_add_nc_u64 s[24:25], s[16:17], s[24:25]
	s_mul_i32 s26, s3, s26
	s_add_co_u32 s16, s24, s23
	s_add_co_ci_u32 s16, s25, s28
	s_add_co_ci_u32 s27, s27, 0
	s_delay_alu instid0(SALU_CYCLE_1) | instskip(NEXT) | instid1(SALU_CYCLE_1)
	s_add_nc_u64 s[24:25], s[16:17], s[26:27]
	s_and_b64 s[26:27], s[24:25], 0xffffffff00000000
	s_delay_alu instid0(SALU_CYCLE_1) | instskip(NEXT) | instid1(SALU_CYCLE_1)
	s_or_b32 s26, s26, s24
	s_mul_u64 s[24:25], s[20:21], s[26:27]
	s_delay_alu instid0(SALU_CYCLE_1)
	s_sub_co_u32 s16, s2, s24
	s_cselect_b32 s23, -1, 0
	s_sub_co_i32 s24, s3, s25
	s_cmp_lg_u32 s23, 0
	s_sub_co_ci_u32 s24, s24, s21
	s_sub_co_u32 s28, s16, s20
	s_cselect_b32 s29, -1, 0
	s_delay_alu instid0(SALU_CYCLE_1) | instskip(SKIP_1) | instid1(SALU_CYCLE_1)
	s_cmp_lg_u32 s29, 0
	s_sub_co_ci_u32 s24, s24, 0
	s_cmp_ge_u32 s24, s21
	s_cselect_b32 s33, -1, 0
	s_cmp_ge_u32 s28, s20
	s_add_nc_u64 s[28:29], s[26:27], 1
	s_cselect_b32 s36, -1, 0
	s_cmp_eq_u32 s24, s21
	s_cselect_b32 s24, s36, s33
	s_add_nc_u64 s[36:37], s[26:27], 2
	s_cmp_lg_u32 s24, 0
	s_cselect_b32 s24, s36, s28
	s_cselect_b32 s28, s37, s29
	s_cmp_lg_u32 s23, 0
	s_sub_co_ci_u32 s23, s3, s25
	s_delay_alu instid0(SALU_CYCLE_1)
	s_cmp_ge_u32 s23, s21
	s_cselect_b32 s25, -1, 0
	s_cmp_ge_u32 s16, s20
	s_cselect_b32 s16, -1, 0
	s_cmp_eq_u32 s23, s21
	s_cselect_b32 s16, s16, s25
	s_delay_alu instid0(SALU_CYCLE_1)
	s_cmp_lg_u32 s16, 0
	s_mov_b32 s16, 0
	s_cselect_b32 s51, s28, s27
	s_cselect_b32 s50, s24, s26
.LBB141_21:                             ;   in Loop: Header=BB141_19 Depth=1
	s_and_not1_b32 vcc_lo, exec_lo, s16
	s_cbranch_vccnz .LBB141_23
; %bb.22:                               ;   in Loop: Header=BB141_19 Depth=1
	v_cvt_f32_u32_e32 v1, s20
	s_sub_co_i32 s23, 0, s20
	s_delay_alu instid0(VALU_DEP_1) | instskip(SKIP_1) | instid1(TRANS32_DEP_1)
	v_rcp_iflag_f32_e32 v1, v1
	v_nop
	v_mul_f32_e32 v1, 0x4f7ffffe, v1
	s_delay_alu instid0(VALU_DEP_1) | instskip(NEXT) | instid1(VALU_DEP_1)
	v_cvt_u32_f32_e32 v1, v1
	v_readfirstlane_b32 s16, v1
	s_mul_i32 s23, s23, s16
	s_delay_alu instid0(SALU_CYCLE_1) | instskip(NEXT) | instid1(SALU_CYCLE_1)
	s_mul_hi_u32 s23, s16, s23
	s_add_co_i32 s16, s16, s23
	s_delay_alu instid0(SALU_CYCLE_1) | instskip(NEXT) | instid1(SALU_CYCLE_1)
	s_mul_hi_u32 s16, s2, s16
	s_mul_i32 s23, s16, s20
	s_add_co_i32 s24, s16, 1
	s_sub_co_i32 s23, s2, s23
	s_delay_alu instid0(SALU_CYCLE_1)
	s_sub_co_i32 s25, s23, s20
	s_cmp_ge_u32 s23, s20
	s_cselect_b32 s16, s24, s16
	s_cselect_b32 s23, s25, s23
	s_add_co_i32 s24, s16, 1
	s_cmp_ge_u32 s23, s20
	s_cselect_b32 s16, s24, s16
	s_delay_alu instid0(SALU_CYCLE_1)
	s_mov_b64 s[50:51], s[16:17]
.LBB141_23:                             ;   in Loop: Header=BB141_19 Depth=1
	s_load_b64 s[24:25], s[18:19], 0xc8
	s_mul_u64 s[20:21], s[50:51], s[20:21]
	s_add_co_i32 s22, s22, -1
	s_sub_nc_u64 s[2:3], s[2:3], s[20:21]
	s_cmp_gt_u32 s22, 2
	s_wait_xcnt 0x0
	s_add_nc_u64 s[18:19], s[18:19], -8
	s_wait_kmcnt 0x0
	s_mul_u64 s[2:3], s[24:25], s[2:3]
	s_delay_alu instid0(SALU_CYCLE_1)
	s_add_nc_u64 s[46:47], s[2:3], s[46:47]
	s_cbranch_scc0 .LBB141_26
; %bb.24:                               ;   in Loop: Header=BB141_19 Depth=1
	s_mov_b64 s[2:3], s[50:51]
	s_branch .LBB141_19
.LBB141_25:
	s_mov_b64 s[50:51], s[2:3]
.LBB141_26:
	s_clause 0x2
	s_load_b64 s[2:3], s[4:5], 0xd0
	s_load_b128 s[36:39], s[0:1], 0x1a0
	s_load_b64 s[16:17], s[0:1], 0x0
                                        ; implicit-def: $vgpr54 : SGPR spill to VGPR lane
	s_wait_xcnt 0x0
	v_cmp_eq_u32_e64 s5, 0, v0
	s_mov_b32 s29, 0
	s_wait_kmcnt 0x0
	v_writelane_b32 v54, s2, 0
	v_writelane_b32 v54, s3, 1
	s_and_saveexec_b32 s2, s5
	s_cbranch_execz .LBB141_28
; %bb.27:
	v_dual_mov_b32 v2, 0 :: v_dual_mov_b32 v4, s36
	s_delay_alu instid0(VALU_DEP_1)
	v_dual_mov_b32 v5, s37 :: v_dual_mov_b32 v3, v2
	ds_store_b32 v2, v2 offset:5144
	ds_store_b128 v2, v[2:5] offset:5120
.LBB141_28:
	s_or_b32 exec_lo, exec_lo, s2
	s_load_b64 s[2:3], s[0:1], 0x440
	v_dual_mov_b32 v3, 0 :: v_dual_add_nc_u32 v2, 2, v0
	s_mul_u64 s[14:15], s[14:15], s[6:7]
	s_wait_dscnt 0x0
	s_barrier_signal -1
	s_delay_alu instid0(VALU_DEP_1)
	v_dual_mov_b32 v1, v3 :: v_dual_lshlrev_b32 v16, 2, v0
	v_max_u64 v[4:5], s[36:37], v[2:3]
	s_barrier_wait -1
	s_load_b32 s18, s[12:13], 0xc
	v_dual_mov_b32 v9, -1 :: v_dual_mov_b32 v17, v3
	v_not_b32_e32 v8, v0
	v_mbcnt_lo_u32_b32 v13, -1, 0
	v_dual_mov_b32 v44, 0 :: v_dual_bitop2_b32 v2, 3, v16 bitop3:0x54
	v_mul_u64_e32 v[6:7], s[30:31], v[0:1]
	v_cmp_gt_u32_e32 vcc_lo, 32, v0
	s_wait_kmcnt 0x0
	v_writelane_b32 v54, s2, 2
	v_cmp_gt_i32_e64 s7, 4, v13
	v_mul_u64_e32 v[22:23], s[30:31], v[2:3]
	v_dual_mov_b32 v41, 0 :: v_dual_bitop2_b32 v2, 2, v16 bitop3:0x54
	v_writelane_b32 v54, s3, 3
	s_clause 0x1
	s_load_b64 s[2:3], s[0:1], 0x1c8
	s_load_b32 s4, s[0:1], 0x1b0
	v_mul_u64_e32 v[24:25], s[30:31], v[2:3]
	v_mad_nc_u64_u32 v[26:27], s30, v16, s[30:31]
	v_lshlrev_b64_e64 v[10:11], v13, -1
	v_cmp_lt_u64_e64 s33, 0xc00, s[36:37]
	v_mov_b64_e32 v[32:33], s[38:39]
	s_mov_b32 s41, s29
	v_cmp_gt_u32_e64 s6, 2, v0
	v_lshl_or_b32 v42, v13, 3, 0xc00
	v_mov_b32_e32 v43, 0
	v_not_b32_e32 v12, v10
	s_mov_b32 s89, s30
	s_mov_b32 s90, s31
	v_add_nc_u64_e32 v[4:5], v[4:5], v[8:9]
	v_mad_u32 v27, s31, v16, v27
	s_mov_b32 s91, s30
	s_mov_b32 s92, s31
	;; [unrolled: 1-line block ×4, first 2 shown]
	s_wait_kmcnt 0x0
	v_writelane_b32 v54, s2, 4
	s_bitcmp1_b32 s4, 0
	v_dual_mov_b32 v19, v5 :: v_dual_bitop2_b32 v18, -4, v4 bitop3:0x40
	s_cselect_b32 s4, -1, 0
	v_writelane_b32 v54, s3, 5
	s_load_b64 s[2:3], s[0:1], 0x370
	s_xor_b32 s87, s4, -1
	s_and_b32 s86, vcc_lo, s7
	s_and_b32 s40, s18, 0xffff
	v_cmp_ne_u64_e64 s7, v[4:5], v[18:19]
	v_add_nc_u64_e32 v[20:21], v[18:19], v[0:1]
	v_lshlrev_b64_e32 v[28:29], 2, v[6:7]
	s_add_nc_u64 s[62:63], s[40:41], -1
	s_mov_b32 s99, 6
	s_add_nc_u64 s[64:65], s[62:63], s[36:37]
	s_mul_u64 s[44:45], s[30:31], s[40:41]
	s_mov_b32 s100, 0x4f800000
	s_mov_b32 s101, 0
	;; [unrolled: 1-line block ×3, first 2 shown]
                                        ; implicit-def: $sgpr102
                                        ; implicit-def: $sgpr52
                                        ; implicit-def: $vcc_hi
                                        ; implicit-def: $sgpr53
                                        ; implicit-def: $sgpr104
                                        ; implicit-def: $sgpr57
                                        ; implicit-def: $sgpr58
                                        ; implicit-def: $sgpr54
                                        ; implicit-def: $sgpr56
                                        ; implicit-def: $sgpr55
	s_wait_kmcnt 0x0
	v_writelane_b32 v54, s2, 6
	v_writelane_b32 v54, s3, 7
	s_add_nc_u64 s[2:3], s[16:17], s[14:15]
	s_delay_alu instid0(SALU_CYCLE_1) | instskip(SKIP_3) | instid1(VALU_DEP_3)
	s_add_nc_u64 s[60:61], s[2:3], s[10:11]
	v_cmp_gt_u64_e64 s3, s[36:37], v[0:1]
	v_add_nc_u64_e32 v[14:15], s[60:61], v[6:7]
	v_cmp_eq_u32_e64 s2, 0, v13
	v_writelane_b32 v54, s3, 8
	s_bfe_u32 s3, s18, 0xb0005
	s_cmp_gt_u32 s40, 31
	s_cselect_b32 s88, -1, 0
	v_writelane_b32 v54, s4, 9
	s_movk_i32 s4, 0x3e0
	s_cmp_lt_u32 s9, s8
	v_and_or_b32 v40, v0, s4, 0xc00
	v_cmp_lt_u64_e64 s4, 3, v[4:5]
	s_cselect_b32 s28, 12, 18
	s_add_nc_u64 s[8:9], s[10:11], s[14:15]
	s_add_nc_u64 s[70:71], s[12:13], s[28:29]
	;; [unrolled: 1-line block ×3, first 2 shown]
	v_writelane_b32 v54, s4, 10
	s_add_co_i32 s4, s3, -1
	s_delay_alu instid0(SALU_CYCLE_1)
	s_and_b32 s4, s4, 0xffff
	v_writelane_b32 v54, s7, 11
	s_bfe_u32 s7, s40, 0x30005
	s_cmp_gt_u32 s4, 6
	s_cselect_b32 s96, -1, 0
	s_and_b32 s97, s3, 0x7f8
	v_writelane_b32 v54, s7, 12
	s_cmp_lg_u32 s7, 0
	s_cselect_b32 s98, -1, 0
	s_lshl_b64 s[10:11], s[30:31], 2
	s_and_b64 s[68:69], s[36:37], 0xffffffff00000000
	v_writelane_b32 v54, s10, 13
	v_writelane_b32 v54, s11, 14
	;; [unrolled: 1-line block ×3, first 2 shown]
	v_add_nc_u64_e32 v[30:31], s[8:9], v[6:7]
	v_writelane_b32 v54, s9, 16
	s_branch .LBB141_31
.LBB141_29:                             ;   in Loop: Header=BB141_31 Depth=1
	s_or_b32 exec_lo, exec_lo, s4
	v_mov_b64_e32 v[32:33], v[4:5]
	s_and_not1_b32 s3, s55, exec_lo
	s_and_b32 s4, s9, exec_lo
	s_and_not1_b32 s56, s56, exec_lo
	s_or_b32 s55, s3, s4
	s_and_not1_b32 s54, s54, exec_lo
	s_and_not1_b32 s58, s58, exec_lo
	;; [unrolled: 1-line block ×3, first 2 shown]
	s_or_not1_b32 s8, s8, exec_lo
.LBB141_30:                             ;   in Loop: Header=BB141_31 Depth=1
	s_or_b32 exec_lo, exec_lo, s7
	s_delay_alu instid0(SALU_CYCLE_1) | instskip(NEXT) | instid1(SALU_CYCLE_1)
	s_and_b32 s3, exec_lo, s8
	s_or_b32 s101, s3, s101
	s_and_not1_b32 s3, s104, exec_lo
	s_and_b32 s4, s55, exec_lo
	s_and_not1_b32 s7, s53, exec_lo
	s_or_b32 s104, s3, s4
	s_and_b32 s3, s56, exec_lo
	s_and_not1_b32 s4, vcc_hi, exec_lo
	s_and_b32 s8, s54, exec_lo
	s_or_b32 s53, s7, s3
	s_or_b32 vcc_hi, s4, s8
	s_and_not1_b32 s3, s52, exec_lo
	s_and_b32 s4, s58, exec_lo
	s_and_not1_b32 s7, s102, exec_lo
	s_and_b32 s8, s57, exec_lo
	s_or_b32 s52, s3, s4
	s_or_b32 s102, s7, s8
	s_and_not1_b32 exec_lo, exec_lo, s101
	s_cbranch_execz .LBB141_493
.LBB141_31:                             ; =>This Loop Header: Depth=1
                                        ;     Child Loop BB141_36 Depth 2
                                        ;     Child Loop BB141_50 Depth 2
                                        ;     Child Loop BB141_54 Depth 2
                                        ;     Child Loop BB141_89 Depth 2
                                        ;     Child Loop BB141_93 Depth 2
                                        ;     Child Loop BB141_78 Depth 2
                                        ;     Child Loop BB141_83 Depth 2
                                        ;     Child Loop BB141_71 Depth 2
                                        ;     Child Loop BB141_99 Depth 2
                                        ;     Child Loop BB141_113 Depth 2
                                        ;     Child Loop BB141_130 Depth 2
                                        ;     Child Loop BB141_159 Depth 2
                                        ;     Child Loop BB141_175 Depth 2
                                        ;     Child Loop BB141_204 Depth 2
                                        ;     Child Loop BB141_220 Depth 2
                                        ;     Child Loop BB141_253 Depth 2
                                        ;     Child Loop BB141_269 Depth 2
                                        ;     Child Loop BB141_308 Depth 2
                                        ;     Child Loop BB141_323 Depth 2
                                        ;     Child Loop BB141_349 Depth 2
                                        ;     Child Loop BB141_368 Depth 2
                                        ;     Child Loop BB141_397 Depth 2
                                        ;     Child Loop BB141_413 Depth 2
                                        ;     Child Loop BB141_446 Depth 2
                                        ;     Child Loop BB141_462 Depth 2
	ds_load_b128 v[4:7], v3 offset:5120
	s_wait_dscnt 0x0
	v_readfirstlane_b32 s73, v5
	v_readfirstlane_b32 s72, v4
	s_cmp_lg_u64 s[72:73], 0
	s_cbranch_scc1 .LBB141_63
; %bb.32:                               ;   in Loop: Header=BB141_31 Depth=1
	s_and_b32 vcc_lo, exec_lo, s33
	s_cbranch_vccz .LBB141_44
; %bb.33:                               ;   in Loop: Header=BB141_31 Depth=1
	v_cmp_gt_u64_e32 vcc_lo, 0xc01, v[6:7]
	s_mov_b32 s8, 0
	s_mov_b32 s7, 0
	s_cbranch_vccz .LBB141_45
; %bb.34:                               ;   in Loop: Header=BB141_31 Depth=1
	global_load_u16 v2, v3, s[70:71]
	global_load_u8 v10, v[14:15], off
	v_readlane_b32 s10, v54, 15
	v_readlane_b32 s11, v54, 16
	s_wait_loadcnt 0x1
	v_and_b32_e32 v2, 0xffff, v2
	s_delay_alu instid0(VALU_DEP_1) | instskip(SKIP_1) | instid1(VALU_DEP_1)
	v_mul_u64_e32 v[4:5], s[30:31], v[2:3]
	v_add_nc_u32_e32 v8, v0, v2
	v_mad_nc_u64_u32 v[6:7], s30, v8, s[10:11]
	s_mov_b32 s11, 0
	s_delay_alu instid0(VALU_DEP_1)
	v_mad_u32 v7, s31, v8, v7
	v_mov_b64_e32 v[8:9], v[0:1]
	s_branch .LBB141_36
.LBB141_35:                             ;   in Loop: Header=BB141_36 Depth=2
	s_or_b32 exec_lo, exec_lo, s4
	v_add_nc_u64_e32 v[6:7], v[6:7], v[4:5]
	v_mov_b32_e32 v10, v11
	s_and_not1_b32 exec_lo, exec_lo, s11
	s_cbranch_execz .LBB141_117
.LBB141_36:                             ;   Parent Loop BB141_31 Depth=1
                                        ; =>  This Inner Loop Header: Depth=2
	s_delay_alu instid0(VALU_DEP_1) | instskip(SKIP_3) | instid1(VALU_DEP_2)
	v_add_nc_u64_e32 v[8:9], v[8:9], v[2:3]
	s_wait_dscnt 0x0
	v_dual_mov_b32 v34, 0 :: v_dual_mov_b32 v11, 0
	s_mov_b32 s4, exec_lo
	v_cmp_le_u64_e32 vcc_lo, s[36:37], v[8:9]
	s_wait_xcnt 0x0
	v_cmpx_gt_u64_e64 s[36:37], v[8:9]
	s_cbranch_execz .LBB141_38
; %bb.37:                               ;   in Loop: Header=BB141_36 Depth=2
	global_load_u8 v11, v[6:7], off
.LBB141_38:                             ;   in Loop: Header=BB141_36 Depth=2
	s_wait_xcnt 0x0
	s_or_b32 exec_lo, exec_lo, s4
	s_wait_loadcnt 0x0
	v_bfe_i32 v35, v10, 0, 8
	s_delay_alu instid0(VALU_DEP_1) | instskip(NEXT) | instid1(VALU_DEP_1)
	v_add_nc_u32_e32 v35, 0x80, v35
	v_and_b32_e32 v35, v35, v43
	s_delay_alu instid0(VALU_DEP_1) | instskip(SKIP_2) | instid1(SALU_CYCLE_1)
	v_cmp_eq_u32_e64 s9, v35, v41
	s_cmp_lg_u32 s9, 0
	s_cselect_b32 s3, -1, 0
	s_and_b32 s3, s2, s3
	s_delay_alu instid0(SALU_CYCLE_1)
	s_and_saveexec_b32 s7, s3
	s_cbranch_execz .LBB141_42
; %bb.39:                               ;   in Loop: Header=BB141_36 Depth=2
	s_mov_b32 s13, exec_lo
	s_bcnt1_i32_b32 s4, s9
	v_mbcnt_lo_u32_b32 v34, s13, 0
	s_mov_b32 s12, exec_lo
                                        ; implicit-def: $vgpr35
	s_delay_alu instid0(VALU_DEP_1)
	v_cmpx_eq_u32_e32 0, v34
; %bb.40:                               ;   in Loop: Header=BB141_36 Depth=2
	s_bcnt1_i32_b32 s3, s13
	s_delay_alu instid0(SALU_CYCLE_1) | instskip(NEXT) | instid1(SALU_CYCLE_1)
	s_mul_i32 s3, s4, s3
	v_mov_b32_e32 v35, s3
	ds_add_rtn_u32 v35, v3, v35 offset:5144
; %bb.41:                               ;   in Loop: Header=BB141_36 Depth=2
	s_or_b32 exec_lo, exec_lo, s12
	s_wait_dscnt 0x0
	v_readfirstlane_b32 s3, v35
	s_delay_alu instid0(VALU_DEP_1)
	v_mad_u32_u24 v34, s4, v34, s3
.LBB141_42:                             ;   in Loop: Header=BB141_36 Depth=2
	s_or_b32 exec_lo, exec_lo, s7
	ds_bpermute_b32 v34, v3, v34
	s_and_b32 s3, exec_lo, vcc_lo
	s_delay_alu instid0(SALU_CYCLE_1)
	s_or_b32 s11, s3, s11
	s_and_saveexec_b32 s4, s9
	s_cbranch_execz .LBB141_35
; %bb.43:                               ;   in Loop: Header=BB141_36 Depth=2
	v_and_b32_e32 v35, s9, v12
	s_wait_dscnt 0x0
	s_delay_alu instid0(VALU_DEP_1)
	v_bcnt_u32_b32 v34, v35, v34
	ds_store_b8 v34, v10
	s_branch .LBB141_35
.LBB141_44:                             ;   in Loop: Header=BB141_31 Depth=1
	s_mov_b32 s8, -1
	s_mov_b32 s7, 0
.LBB141_45:                             ;   in Loop: Header=BB141_31 Depth=1
	s_and_b32 vcc_lo, exec_lo, s8
	s_cbranch_vccz .LBB141_61
.LBB141_46:                             ;   in Loop: Header=BB141_31 Depth=1
	s_mov_b32 s8, exec_lo
	v_readlane_b32 s3, v54, 8
	s_and_b32 s3, s8, s3
	s_delay_alu instid0(SALU_CYCLE_1)
	s_mov_b32 exec_lo, s3
	s_cbranch_execz .LBB141_58
; %bb.47:                               ;   in Loop: Header=BB141_31 Depth=1
	global_load_u16 v4, v3, s[70:71]
	global_load_u8 v36, v[14:15], off
	s_mov_b32 s9, exec_lo
	v_mov_b32_e32 v8, v0
	s_wait_loadcnt 0x1
	v_and_b32_e32 v2, 0xffff, v4
	v_readfirstlane_b32 s4, v4
	s_delay_alu instid0(VALU_DEP_2) | instskip(SKIP_1) | instid1(VALU_DEP_1)
	v_add_nc_u32_e32 v2, v2, v0
	s_wait_xcnt 0x0
	v_cmpx_gt_u64_e64 s[36:37], v[2:3]
	s_cbranch_execz .LBB141_57
; %bb.48:                               ;   in Loop: Header=BB141_31 Depth=1
	s_and_b32 s28, s4, 0xffff
	v_mov_b64_e32 v[6:7], v[0:1]
	v_mov_b64_e32 v[4:5], v[2:3]
	v_readlane_b32 s4, v54, 10
	s_cmp_eq_u32 s28, 1
                                        ; implicit-def: $vgpr8_vgpr9
	s_cselect_b32 s3, -1, 0
	s_delay_alu instid0(SALU_CYCLE_1)
	s_and_b32 s3, s4, s3
	s_mov_b32 s4, -1
	s_and_saveexec_b32 s10, s3
	s_cbranch_execz .LBB141_52
; %bb.49:                               ;   in Loop: Header=BB141_31 Depth=1
	v_add_nc_u64_e32 v[8:9], 3, v[2:3]
	v_add_nc_u64_e32 v[6:7], 2, v[2:3]
	;; [unrolled: 1-line block ×3, first 2 shown]
	v_mov_b64_e32 v[34:35], v[18:19]
	s_wait_loadcnt 0x0
	v_dual_mov_b32 v37, v0 :: v_dual_lshlrev_b32 v38, 24, v36
	s_mov_b32 s11, 0
	v_mov_b64_e32 v[10:11], v[8:9]
	v_mov_b64_e32 v[8:9], v[6:7]
	;; [unrolled: 1-line block ×4, first 2 shown]
.LBB141_50:                             ;   Parent Loop BB141_31 Depth=1
                                        ; =>  This Inner Loop Header: Depth=2
	s_delay_alu instid0(VALU_DEP_2) | instskip(NEXT) | instid1(VALU_DEP_2)
	v_mad_nc_u64_u32 v[46:47], v6, s30, s[60:61]
	v_mad_nc_u64_u32 v[48:49], v4, s89, s[60:61]
	;; [unrolled: 1-line block ×4, first 2 shown]
	v_add_nc_u64_e32 v[34:35], -4, v[34:35]
	s_delay_alu instid0(VALU_DEP_1)
	v_cmp_eq_u64_e32 vcc_lo, 0, v[34:35]
	v_mad_u32 v36, v7, s30, v47
	v_mad_u32 v39, v5, s89, v49
	;; [unrolled: 1-line block ×4, first 2 shown]
	s_or_b32 s11, vcc_lo, s11
	s_delay_alu instid0(VALU_DEP_4) | instskip(NEXT) | instid1(VALU_DEP_4)
	v_mad_u32 v47, v6, s31, v36
	v_mad_u32 v49, v4, s90, v39
	s_delay_alu instid0(VALU_DEP_4) | instskip(NEXT) | instid1(VALU_DEP_4)
	v_mad_u32 v51, v8, s92, v45
	v_mad_u32 v53, v10, s94, v53
	v_add_nc_u64_e32 v[10:11], 4, v[10:11]
	v_add_nc_u64_e32 v[8:9], 4, v[8:9]
	;; [unrolled: 1-line block ×4, first 2 shown]
	s_clause 0x3
	global_load_u8 v39, v[46:47], off
	global_load_u8 v45, v[48:49], off
	;; [unrolled: 1-line block ×4, first 2 shown]
	s_wait_loadcnt 0x2
	v_perm_b32 v38, v38, v45, 0xc0c0007
	s_wait_loadcnt 0x1
	v_perm_b32 v47, v39, v46, 0xc0c0004
	v_perm_b32 v39, v45, v39, 0xc0c0004
	s_wait_loadcnt 0x0
	v_perm_b32 v45, v46, v36, 0xc0c0004
	s_delay_alu instid0(VALU_DEP_3) | instskip(NEXT) | instid1(VALU_DEP_2)
	v_lshl_or_b32 v38, v47, 16, v38
	v_lshl_or_b32 v39, v45, 16, v39
	ds_store_b32 v37, v38
	v_dual_mov_b32 v38, v39 :: v_dual_add_nc_u32 v37, 4, v37
	s_wait_xcnt 0x0
	s_and_not1_b32 exec_lo, exec_lo, s11
	s_cbranch_execnz .LBB141_50
; %bb.51:                               ;   in Loop: Header=BB141_31 Depth=1
	s_or_b32 exec_lo, exec_lo, s11
	v_add_nc_u64_e32 v[4:5], v[2:3], v[18:19]
	v_mov_b64_e32 v[6:7], v[20:21]
	v_readlane_b32 s3, v54, 11
	s_or_not1_b32 s4, s3, exec_lo
	v_add_nc_u64_e32 v[8:9], -1, v[4:5]
.LBB141_52:                             ;   in Loop: Header=BB141_31 Depth=1
	s_or_b32 exec_lo, exec_lo, s10
	s_and_saveexec_b32 s7, s4
	s_cbranch_execz .LBB141_56
; %bb.53:                               ;   in Loop: Header=BB141_31 Depth=1
	v_readlane_b32 s10, v54, 15
	v_readlane_b32 s11, v54, 16
	s_mul_u64 s[12:13], s[30:31], s[28:29]
	s_mov_b32 s14, 0
	v_mad_nc_u64_u32 v[8:9], s30, v4, s[10:11]
	s_sub_nc_u64 s[10:11], 0, s[28:29]
	s_delay_alu instid0(VALU_DEP_1) | instskip(NEXT) | instid1(VALU_DEP_1)
	v_mad_u32 v2, s31, v4, v9
	v_mad_u32 v9, s30, v5, v2
.LBB141_54:                             ;   Parent Loop BB141_31 Depth=1
                                        ; =>  This Inner Loop Header: Depth=2
	global_load_u8 v2, v[8:9], off
	v_mov_b64_e32 v[10:11], v[4:5]
	s_wait_loadcnt 0x1
	ds_store_b8 v6, v36
	s_wait_xcnt 0x0
	v_add_nc_u64_e32 v[8:9], s[12:13], v[8:9]
	v_add_nc_u64_e32 v[4:5], s[28:29], v[10:11]
	v_mov_b64_e32 v[6:7], v[10:11]
	s_delay_alu instid0(VALU_DEP_2)
	v_cmp_le_u64_e32 vcc_lo, s[36:37], v[4:5]
	s_or_b32 s14, vcc_lo, s14
	s_wait_loadcnt 0x0
	v_mov_b32_e32 v36, v2
	s_and_not1_b32 exec_lo, exec_lo, s14
	s_cbranch_execnz .LBB141_54
; %bb.55:                               ;   in Loop: Header=BB141_31 Depth=1
	s_or_b32 exec_lo, exec_lo, s14
	v_add_nc_u64_e32 v[8:9], s[10:11], v[4:5]
	v_mov_b32_e32 v36, v2
.LBB141_56:                             ;   in Loop: Header=BB141_31 Depth=1
	s_or_b32 exec_lo, exec_lo, s7
.LBB141_57:                             ;   in Loop: Header=BB141_31 Depth=1
	s_delay_alu instid0(SALU_CYCLE_1)
	s_or_b32 exec_lo, exec_lo, s9
	s_wait_loadcnt 0x0
	ds_store_b8 v8, v36
.LBB141_58:                             ;   in Loop: Header=BB141_31 Depth=1
	s_or_b32 exec_lo, exec_lo, s8
	s_wait_dscnt 0x0
	s_barrier_signal -1
	s_barrier_wait -1
	s_and_saveexec_b32 s4, s5
; %bb.59:                               ;   in Loop: Header=BB141_31 Depth=1
	v_mov_b64_e32 v[4:5], s[36:37]
	ds_store_b64 v3, v[4:5] offset:5120
; %bb.60:                               ;   in Loop: Header=BB141_31 Depth=1
	s_or_b32 exec_lo, exec_lo, s4
	s_wait_dscnt 0x0
	s_barrier_signal -1
	s_mov_b32 s7, -1
	s_barrier_wait -1
.LBB141_61:                             ;   in Loop: Header=BB141_31 Depth=1
	s_and_b32 vcc_lo, exec_lo, s7
	s_mov_b64 s[72:73], 0
	s_cbranch_vccz .LBB141_63
; %bb.62:                               ;   in Loop: Header=BB141_31 Depth=1
	ds_load_b64 v[4:5], v3 offset:5120
	s_wait_dscnt 0x0
	v_readfirstlane_b32 s72, v4
	v_readfirstlane_b32 s73, v5
.LBB141_63:                             ;   in Loop: Header=BB141_31 Depth=1
	s_delay_alu instid0(VALU_DEP_2)
	s_cmp_lt_i32 s72, 1
	s_mov_b32 s4, -1
                                        ; implicit-def: $vgpr10_vgpr11
                                        ; implicit-def: $vgpr6_vgpr7
	s_cbranch_scc1 .LBB141_73
; %bb.64:                               ;   in Loop: Header=BB141_31 Depth=1
	s_and_b32 vcc_lo, exec_lo, s4
	s_cbranch_vccnz .LBB141_87
.LBB141_65:                             ;   in Loop: Header=BB141_31 Depth=1
	s_lshl_b32 s8, s103, 7
	s_and_saveexec_b32 s4, s2
	s_cbranch_execz .LBB141_67
.LBB141_66:                             ;   in Loop: Header=BB141_31 Depth=1
	v_lshl_add_u32 v2, s8, 3, v40
	ds_store_b128 v2, v[4:7]
	ds_store_b128 v2, v[8:11] offset:16
.LBB141_67:                             ;   in Loop: Header=BB141_31 Depth=1
	s_or_b32 exec_lo, exec_lo, s4
	s_wait_dscnt 0x0
	s_barrier_signal -1
	s_barrier_wait -1
	s_and_saveexec_b32 s9, s86
	s_cbranch_execz .LBB141_101
; %bb.68:                               ;   in Loop: Header=BB141_31 Depth=1
	v_mov_b64_e32 v[4:5], 0
	s_and_not1_b32 vcc_lo, exec_lo, s88
	s_cbranch_vccnz .LBB141_100
; %bb.69:                               ;   in Loop: Header=BB141_31 Depth=1
	v_mov_b64_e32 v[4:5], 0
	s_and_not1_b32 vcc_lo, exec_lo, s96
	s_cbranch_vccnz .LBB141_97
; %bb.70:                               ;   in Loop: Header=BB141_31 Depth=1
	v_lshl_add_u32 v2, s103, 10, v42
	s_mov_b32 s7, 0
.LBB141_71:                             ;   Parent Loop BB141_31 Depth=1
                                        ; =>  This Inner Loop Header: Depth=2
	ds_load_2addr_b64 v[6:9], v2 offset1:4
	ds_load_2addr_b64 v[34:37], v2 offset0:8 offset1:12
	s_add_co_i32 s7, s7, 8
	s_delay_alu instid0(SALU_CYCLE_1) | instskip(SKIP_2) | instid1(VALU_DEP_1)
	s_cmp_eq_u32 s97, s7
	s_wait_dscnt 0x1
	v_add_nc_u64_e32 v[4:5], v[6:7], v[4:5]
	v_add_nc_u64_e32 v[8:9], v[8:9], v[4:5]
	ds_load_2addr_b64 v[4:7], v2 offset0:16 offset1:20
	s_wait_dscnt 0x1
	v_add_nc_u64_e32 v[8:9], v[34:35], v[8:9]
	s_delay_alu instid0(VALU_DEP_1) | instskip(SKIP_4) | instid1(VALU_DEP_1)
	v_add_nc_u64_e32 v[34:35], v[36:37], v[8:9]
	ds_load_2addr_b64 v[8:11], v2 offset0:24 offset1:28
	v_add_nc_u32_e32 v2, 0x100, v2
	s_wait_dscnt 0x1
	v_add_nc_u64_e32 v[4:5], v[4:5], v[34:35]
	v_add_nc_u64_e32 v[4:5], v[6:7], v[4:5]
	s_wait_dscnt 0x0
	s_delay_alu instid0(VALU_DEP_1) | instskip(NEXT) | instid1(VALU_DEP_1)
	v_add_nc_u64_e32 v[4:5], v[8:9], v[4:5]
	v_add_nc_u64_e32 v[4:5], v[10:11], v[4:5]
	s_cbranch_scc0 .LBB141_71
; %bb.72:                               ;   in Loop: Header=BB141_31 Depth=1
	s_mov_b32 s7, s97
	s_and_not1_b32 vcc_lo, exec_lo, s98
	s_cbranch_vccz .LBB141_98
	s_branch .LBB141_100
.LBB141_73:                             ;   in Loop: Header=BB141_31 Depth=1
	global_load_u16 v2, v3, s[70:71]
	s_mov_b32 s75, s29
	s_wait_loadcnt 0x0
	v_readfirstlane_b32 s3, v2
	s_and_b32 s3, 0xffff, s3
	s_delay_alu instid0(SALU_CYCLE_1)
	s_lshl_b32 s74, s3, 2
	s_cmp_lg_u64 s[68:69], 0
	s_cbranch_scc0 .LBB141_96
; %bb.74:                               ;   in Loop: Header=BB141_31 Depth=1
	s_cvt_f32_u32 s3, s74
	s_sub_nc_u64 s[10:11], 0, s[74:75]
	s_delay_alu instid0(SALU_CYCLE_2) | instskip(NEXT) | instid1(SALU_CYCLE_3)
	s_fmamk_f32 s3, s100, 0x0, s3
	v_s_rcp_f32 s3, s3
	s_delay_alu instid0(TRANS32_DEP_1) | instskip(NEXT) | instid1(SALU_CYCLE_3)
	s_mul_f32 s3, s3, 0x5f7ffffc
	s_mul_f32 s4, s3, 0x2f800000
	s_delay_alu instid0(SALU_CYCLE_3) | instskip(NEXT) | instid1(SALU_CYCLE_3)
	s_trunc_f32 s4, s4
	s_fmamk_f32 s3, s4, 0xcf800000, s3
	s_cvt_u32_f32 s9, s4
	s_delay_alu instid0(SALU_CYCLE_2) | instskip(NEXT) | instid1(SALU_CYCLE_3)
	s_cvt_u32_f32 s8, s3
	s_mul_u64 s[12:13], s[10:11], s[8:9]
	s_delay_alu instid0(SALU_CYCLE_1)
	s_mul_hi_u32 s15, s8, s13
	s_mul_i32 s14, s8, s13
	s_mul_hi_u32 s28, s8, s12
	s_mul_i32 s4, s9, s12
	s_add_nc_u64 s[14:15], s[28:29], s[14:15]
	s_mul_hi_u32 s3, s9, s12
	s_mul_hi_u32 s7, s9, s13
	s_add_co_u32 s4, s14, s4
	s_add_co_ci_u32 s28, s15, s3
	s_mul_i32 s12, s9, s13
	s_add_co_ci_u32 s13, s7, 0
	s_delay_alu instid0(SALU_CYCLE_1) | instskip(NEXT) | instid1(SALU_CYCLE_1)
	s_add_nc_u64 s[12:13], s[28:29], s[12:13]
	s_add_co_u32 s8, s8, s12
	s_cselect_b32 s3, -1, 0
	s_delay_alu instid0(SALU_CYCLE_1) | instskip(SKIP_1) | instid1(SALU_CYCLE_1)
	s_cmp_lg_u32 s3, 0
	s_add_co_ci_u32 s9, s9, s13
	s_mul_u64 s[10:11], s[10:11], s[8:9]
	s_delay_alu instid0(SALU_CYCLE_1)
	s_mul_hi_u32 s13, s8, s11
	s_mul_i32 s12, s8, s11
	s_mul_hi_u32 s28, s8, s10
	s_mul_i32 s4, s9, s10
	s_add_nc_u64 s[12:13], s[28:29], s[12:13]
	s_mul_hi_u32 s3, s9, s10
	s_mul_hi_u32 s7, s9, s11
	s_add_co_u32 s4, s12, s4
	s_add_co_ci_u32 s28, s13, s3
	s_mul_i32 s10, s9, s11
	s_add_co_ci_u32 s11, s7, 0
	s_delay_alu instid0(SALU_CYCLE_1) | instskip(NEXT) | instid1(SALU_CYCLE_1)
	s_add_nc_u64 s[10:11], s[28:29], s[10:11]
	s_add_co_u32 s3, s8, s10
	s_cselect_b32 s4, -1, 0
	s_mul_hi_u32 s28, s36, s3
	s_cmp_lg_u32 s4, 0
	s_mul_hi_u32 s4, s37, s3
	s_add_co_ci_u32 s7, s9, s11
	s_mul_i32 s3, s37, s3
	s_mul_hi_u32 s9, s36, s7
	s_mul_i32 s8, s36, s7
	s_mul_hi_u32 s11, s37, s7
	s_add_nc_u64 s[8:9], s[28:29], s[8:9]
	s_mul_i32 s10, s37, s7
	s_add_co_u32 s3, s8, s3
	s_add_co_ci_u32 s28, s9, s4
	s_add_co_ci_u32 s11, s11, 0
	s_delay_alu instid0(SALU_CYCLE_1) | instskip(NEXT) | instid1(SALU_CYCLE_1)
	s_add_nc_u64 s[8:9], s[28:29], s[10:11]
	s_and_b64 s[10:11], s[8:9], 0xffffffff00000000
	s_delay_alu instid0(SALU_CYCLE_1) | instskip(NEXT) | instid1(SALU_CYCLE_1)
	s_or_b32 s10, s10, s8
	s_mul_u64 s[8:9], s[74:75], s[10:11]
	s_delay_alu instid0(SALU_CYCLE_1) | instskip(SKIP_1) | instid1(SALU_CYCLE_1)
	s_sub_co_u32 s3, s36, s8
	s_cselect_b32 s4, -1, 0
	s_cmp_lg_u32 s4, 0
	s_sub_co_ci_u32 s4, s37, s9
	s_sub_co_u32 s7, s3, s74
	s_cselect_b32 s8, -1, 0
	s_delay_alu instid0(SALU_CYCLE_1) | instskip(SKIP_3) | instid1(SALU_CYCLE_1)
	s_cmp_lg_u32 s8, 0
	s_sub_co_ci_u32 s8, s4, 0
	s_sub_co_u32 s9, s7, s74
	s_cselect_b32 s10, -1, 0
	s_cmp_lg_u32 s10, 0
	s_sub_co_ci_u32 s10, s8, 0
	s_cmp_ge_u32 s7, s74
	s_cselect_b32 s11, -1, 0
	s_cmp_eq_u32 s8, 0
	s_cselect_b32 s11, s11, -1
	s_delay_alu instid0(SALU_CYCLE_1)
	s_cmp_lg_u32 s11, 0
	s_cselect_b32 s8, s10, s8
	s_cselect_b32 s7, s9, s7
	s_cmp_ge_u32 s3, s74
	s_cselect_b32 s9, -1, 0
	s_cmp_eq_u32 s4, 0
	s_cselect_b32 s9, s9, -1
	s_delay_alu instid0(SALU_CYCLE_1)
	s_cmp_lg_u32 s9, 0
	s_cselect_b32 s11, s8, s4
	s_cselect_b32 s10, s7, s3
	s_cbranch_execnz .LBB141_76
.LBB141_75:                             ;   in Loop: Header=BB141_31 Depth=1
	v_cvt_f32_u32_e32 v4, s74
	s_sub_co_i32 s4, 0, s74
	s_delay_alu instid0(VALU_DEP_1) | instskip(SKIP_1) | instid1(TRANS32_DEP_1)
	v_rcp_iflag_f32_e32 v4, v4
	v_nop
	v_mul_f32_e32 v4, 0x4f7ffffe, v4
	s_delay_alu instid0(VALU_DEP_1) | instskip(NEXT) | instid1(VALU_DEP_1)
	v_cvt_u32_f32_e32 v4, v4
	v_readfirstlane_b32 s3, v4
	s_mul_i32 s4, s4, s3
	s_delay_alu instid0(SALU_CYCLE_1) | instskip(NEXT) | instid1(SALU_CYCLE_1)
	s_mul_hi_u32 s4, s3, s4
	s_add_co_i32 s3, s3, s4
	s_delay_alu instid0(SALU_CYCLE_1) | instskip(NEXT) | instid1(SALU_CYCLE_1)
	s_mul_hi_u32 s3, s36, s3
	s_mul_i32 s3, s3, s74
	s_delay_alu instid0(SALU_CYCLE_1) | instskip(NEXT) | instid1(SALU_CYCLE_1)
	s_sub_co_i32 s3, s36, s3
	s_sub_co_i32 s4, s3, s74
	s_cmp_ge_u32 s3, s74
	s_cselect_b32 s3, s4, s3
	s_delay_alu instid0(SALU_CYCLE_1) | instskip(SKIP_2) | instid1(SALU_CYCLE_1)
	s_sub_co_i32 s4, s3, s74
	s_cmp_ge_u32 s3, s74
	s_cselect_b32 s28, s4, s3
	s_mov_b64 s[10:11], s[28:29]
.LBB141_76:                             ;   in Loop: Header=BB141_31 Depth=1
	v_mov_b64_e32 v[4:5], 0
	v_mov_b64_e32 v[6:7], 0
	;; [unrolled: 1-line block ×4, first 2 shown]
	v_and_b32_e32 v2, 0xffff, v2
	s_sub_nc_u64 s[76:77], s[36:37], s[10:11]
	s_mov_b32 s8, exec_lo
	v_cmpx_gt_u64_e64 s[76:77], v[16:17]
	s_cbranch_execz .LBB141_80
; %bb.77:                               ;   in Loop: Header=BB141_31 Depth=1
	v_readlane_b32 s10, v54, 13
	v_readlane_b32 s11, v54, 14
	v_mov_b64_e32 v[36:37], s[60:61]
	v_mov_b64_e32 v[38:39], v[16:17]
	s_mov_b64 s[78:79], 0
	s_mov_b32 s59, 0
	v_mul_u64_e32 v[34:35], s[10:11], v[2:3]
	s_mov_b64 s[80:81], 0
	s_mov_b64 s[82:83], 0
	;; [unrolled: 1-line block ×3, first 2 shown]
.LBB141_78:                             ;   Parent Loop BB141_31 Depth=1
                                        ; =>  This Inner Loop Header: Depth=2
	v_add_nc_u64_e32 v[4:5], v[36:37], v[28:29]
	v_add_nc_u64_e32 v[6:7], v[36:37], v[26:27]
	;; [unrolled: 1-line block ×6, first 2 shown]
	s_clause 0x3
	global_load_i8 v4, v[4:5], off
	global_load_i8 v5, v[6:7], off
	;; [unrolled: 1-line block ×4, first 2 shown]
	v_cmp_le_u64_e32 vcc_lo, s[76:77], v[38:39]
	s_wait_loadcnt 0x3
	v_add_nc_u32_e32 v4, 0x80, v4
	s_wait_loadcnt 0x2
	v_add_nc_u32_e32 v5, 0x80, v5
	;; [unrolled: 2-line block ×4, first 2 shown]
	v_and_b32_e32 v8, v4, v43
	v_and_b32_e32 v9, v5, v43
	v_bfe_u32 v4, v4, s99, 2
	v_bfe_u32 v5, v5, s99, 2
	v_and_b32_e32 v10, v6, v43
	v_bfe_u32 v6, v6, s99, 2
	v_and_b32_e32 v11, v7, v43
	v_bfe_u32 v7, v7, s99, 2
	v_cmp_eq_u32_e64 s9, v8, v41
	v_cmp_eq_u32_e64 s10, v9, v41
	;; [unrolled: 1-line block ×15, first 2 shown]
	s_and_b32 s3, s9, s13
	s_and_b32 s4, s10, s14
	v_cmp_eq_u32_e64 s20, 1, v7
	v_cmp_eq_u32_e64 s23, 2, v6
	;; [unrolled: 1-line block ×3, first 2 shown]
	s_and_b32 s7, s11, s15
	s_and_b32 s14, s9, s17
	;; [unrolled: 1-line block ×3, first 2 shown]
	v_cndmask_b32_e64 v4, 0, 1, s3
	v_cndmask_b32_e64 v5, 0, 1, s4
	v_cmp_eq_u32_e64 s24, 2, v7
	v_cmp_eq_u32_e64 s28, 3, v7
	s_and_b32 s13, s12, s16
	s_and_b32 s16, s11, s19
	s_and_b32 s18, s9, s21
	s_and_b32 s19, s10, s22
	v_cndmask_b32_e64 v6, 0, 1, s7
	v_cndmask_b32_e64 v8, 0, 1, s14
	;; [unrolled: 1-line block ×3, first 2 shown]
	s_and_b32 s9, s9, s25
	s_and_b32 s10, s10, s26
	s_and_b32 s17, s12, s20
	s_and_b32 s20, s11, s23
	v_cndmask_b32_e64 v7, 0, 1, s13
	v_cndmask_b32_e64 v10, 0, 1, s16
	;; [unrolled: 1-line block ×4, first 2 shown]
	s_and_b32 s11, s11, s27
	v_cndmask_b32_e64 v49, 0, 1, s9
	v_cndmask_b32_e64 v50, 0, 1, s10
	v_cmp_ne_u32_e64 s9, 0, v4
	v_cmp_ne_u32_e64 s10, 0, v5
	s_and_b32 s21, s12, s24
	v_cndmask_b32_e64 v11, 0, 1, s17
	v_cndmask_b32_e64 v47, 0, 1, s20
	s_and_b32 s12, s12, s28
	v_cndmask_b32_e64 v51, 0, 1, s11
	v_cmp_ne_u32_e64 s11, 0, v6
	v_cmp_ne_u32_e64 s13, 0, v8
	;; [unrolled: 1-line block ×3, first 2 shown]
	v_cndmask_b32_e64 v48, 0, 1, s21
	v_cndmask_b32_e64 v52, 0, 1, s12
	v_cmp_ne_u32_e64 s12, 0, v7
	v_cmp_ne_u32_e64 s15, 0, v10
	;; [unrolled: 1-line block ×4, first 2 shown]
	s_bcnt1_i32_b32 s3, s9
	s_bcnt1_i32_b32 s4, s10
	v_cmp_ne_u32_e64 s16, 0, v11
	v_cmp_ne_u32_e64 s19, 0, v47
	;; [unrolled: 1-line block ×4, first 2 shown]
	s_bcnt1_i32_b32 s7, s11
	s_bcnt1_i32_b32 s10, s13
	;; [unrolled: 1-line block ×3, first 2 shown]
	s_add_co_i32 s3, s4, s3
	v_cmp_ne_u32_e64 s20, 0, v48
	v_cmp_ne_u32_e64 s23, 0, v51
	s_bcnt1_i32_b32 s9, s12
	s_bcnt1_i32_b32 s12, s15
	;; [unrolled: 1-line block ×4, first 2 shown]
	s_add_co_i32 s4, s11, s10
	s_add_co_i32 s3, s3, s7
	v_cmp_ne_u32_e64 s24, 0, v52
	s_bcnt1_i32_b32 s13, s16
	s_bcnt1_i32_b32 s16, s19
	s_bcnt1_i32_b32 s18, s21
	s_bcnt1_i32_b32 s19, s22
	s_add_co_i32 s10, s15, s14
	s_add_co_i32 s4, s4, s12
	s_add_co_i32 s28, s3, s9
	s_bcnt1_i32_b32 s17, s20
	s_bcnt1_i32_b32 s20, s23
	s_add_co_i32 s11, s19, s18
	s_add_co_i32 s7, s10, s16
	s_add_nc_u64 s[84:85], s[84:85], s[28:29]
	s_add_co_i32 s28, s4, s13
	s_bcnt1_i32_b32 s21, s24
	s_add_co_i32 s10, s11, s20
	s_add_nc_u64 s[82:83], s[82:83], s[28:29]
	s_add_co_i32 s28, s7, s17
	v_mov_b64_e32 v[4:5], s[84:85]
	s_add_nc_u64 s[80:81], s[80:81], s[28:29]
	s_add_co_i32 s28, s10, s21
	v_mov_b64_e32 v[6:7], s[82:83]
	s_add_nc_u64 s[78:79], s[78:79], s[28:29]
	v_mov_b64_e32 v[8:9], s[80:81]
	v_mov_b64_e32 v[10:11], s[78:79]
	s_or_b32 s59, vcc_lo, s59
	s_delay_alu instid0(SALU_CYCLE_1)
	s_and_not1_b32 exec_lo, exec_lo, s59
	s_cbranch_execnz .LBB141_78
; %bb.79:                               ;   in Loop: Header=BB141_31 Depth=1
	s_or_b32 exec_lo, exec_lo, s59
.LBB141_80:                             ;   in Loop: Header=BB141_31 Depth=1
	s_delay_alu instid0(SALU_CYCLE_1) | instskip(SKIP_2) | instid1(VALU_DEP_1)
	s_or_b32 exec_lo, exec_lo, s8
	v_add_nc_u64_e32 v[34:35], s[76:77], v[0:1]
	s_mov_b32 s8, exec_lo
	v_cmpx_gt_u64_e64 s[36:37], v[34:35]
	s_cbranch_execz .LBB141_86
; %bb.81:                               ;   in Loop: Header=BB141_31 Depth=1
	v_mad_nc_u64_u32 v[36:37], v34, s30, s[60:61]
	s_mov_b32 s12, 0
	s_delay_alu instid0(VALU_DEP_1) | instskip(NEXT) | instid1(VALU_DEP_1)
	v_mad_u32 v37, v35, s30, v37
	v_mad_u32 v37, v34, s31, v37
	global_load_u8 v37, v[36:37], off
	s_branch .LBB141_83
.LBB141_82:                             ;   in Loop: Header=BB141_83 Depth=2
	s_wait_xcnt 0x0
	s_or_b32 exec_lo, exec_lo, s4
	s_wait_loadcnt 0x0
	v_bfe_i32 v37, v37, 0, 8
	s_and_b32 s3, exec_lo, vcc_lo
	s_delay_alu instid0(SALU_CYCLE_1) | instskip(NEXT) | instid1(VALU_DEP_1)
	s_or_b32 s12, s3, s12
	v_add_nc_u32_e32 v37, 0x80, v37
	s_delay_alu instid0(VALU_DEP_1) | instskip(SKIP_1) | instid1(VALU_DEP_2)
	v_and_b32_e32 v38, v37, v43
	v_bfe_u32 v37, v37, s99, 2
	v_cmp_eq_u32_e64 s9, v38, v41
	s_delay_alu instid0(VALU_DEP_2)
	v_cmp_eq_u32_e64 s10, 0, v37
	v_cmp_eq_u32_e32 vcc_lo, 1, v37
	s_and_b32 s3, s9, s10
	v_cmp_eq_u32_e64 s10, 2, v37
	v_cndmask_b32_e64 v38, 0, 1, s3
	s_and_b32 s3, s9, vcc_lo
	v_cmp_eq_u32_e32 vcc_lo, 3, v37
	v_cndmask_b32_e64 v39, 0, 1, s3
	s_and_b32 s3, s9, s10
	v_cmp_ne_u32_e64 s11, 0, v38
	v_cndmask_b32_e64 v37, 0, 1, s3
	s_and_b32 s3, s9, vcc_lo
	v_cmp_ne_u32_e64 s10, 0, v39
	v_cndmask_b32_e64 v38, 0, 1, s3
	s_bcnt1_i32_b32 s28, s11
	v_cmp_ne_u32_e32 vcc_lo, 0, v37
	v_add_nc_u64_e32 v[4:5], s[28:29], v[4:5]
	s_bcnt1_i32_b32 s28, s10
	v_cmp_ne_u32_e64 s9, 0, v38
	v_add_nc_u64_e32 v[6:7], s[28:29], v[6:7]
	s_bcnt1_i32_b32 s28, vcc_lo
	v_mov_b32_e32 v37, v36
	v_add_nc_u64_e32 v[8:9], s[28:29], v[8:9]
	s_bcnt1_i32_b32 s28, s9
	s_delay_alu instid0(SALU_CYCLE_1)
	v_add_nc_u64_e32 v[10:11], s[28:29], v[10:11]
	s_and_not1_b32 exec_lo, exec_lo, s12
	s_cbranch_execz .LBB141_85
.LBB141_83:                             ;   Parent Loop BB141_31 Depth=1
                                        ; =>  This Inner Loop Header: Depth=2
	v_add_nc_u64_e32 v[34:35], v[34:35], v[2:3]
	s_wait_xcnt 0x0
	v_mov_b32_e32 v36, 0
	s_mov_b32 s4, exec_lo
	s_delay_alu instid0(VALU_DEP_2)
	v_cmp_le_u64_e32 vcc_lo, s[36:37], v[34:35]
	v_cmpx_gt_u64_e64 s[36:37], v[34:35]
	s_cbranch_execz .LBB141_82
; %bb.84:                               ;   in Loop: Header=BB141_83 Depth=2
	v_mad_nc_u64_u32 v[38:39], v34, s30, s[60:61]
	s_delay_alu instid0(VALU_DEP_1) | instskip(NEXT) | instid1(VALU_DEP_1)
	v_mad_u32 v36, v35, s30, v39
	v_mad_u32 v39, v34, s31, v36
	global_load_u8 v36, v[38:39], off
	s_branch .LBB141_82
.LBB141_85:                             ;   in Loop: Header=BB141_31 Depth=1
	s_or_b32 exec_lo, exec_lo, s12
.LBB141_86:                             ;   in Loop: Header=BB141_31 Depth=1
	s_delay_alu instid0(SALU_CYCLE_1)
	s_or_b32 exec_lo, exec_lo, s8
	s_branch .LBB141_65
.LBB141_87:                             ;   in Loop: Header=BB141_31 Depth=1
	global_load_u16 v2, v3, s[70:71]
	s_mov_b32 s75, s29
	v_mov_b64_e32 v[6:7], 0
	v_mov_b64_e32 v[8:9], 0
	;; [unrolled: 1-line block ×3, first 2 shown]
	s_mov_b32 s59, exec_lo
	s_wait_loadcnt 0x0
	v_readfirstlane_b32 s3, v2
	v_and_b32_e32 v2, 0xffff, v2
	s_and_b32 s8, 0xffff, s3
	s_delay_alu instid0(SALU_CYCLE_1) | instskip(NEXT) | instid1(SALU_CYCLE_1)
	s_lshl_b32 s76, s8, 2
	s_cvt_f32_u32 s3, s76
	s_sub_co_i32 s4, 0, s76
	s_delay_alu instid0(SALU_CYCLE_2) | instskip(SKIP_1) | instid1(TRANS32_DEP_1)
	v_rcp_iflag_f32_e32 v4, s3
	v_nop
	v_readfirstlane_b32 s3, v4
	s_mul_f32 s3, s3, 0x4f7ffffe
	s_delay_alu instid0(SALU_CYCLE_3) | instskip(NEXT) | instid1(SALU_CYCLE_3)
	s_cvt_u32_f32 s3, s3
	s_mul_i32 s4, s4, s3
	s_delay_alu instid0(SALU_CYCLE_1) | instskip(NEXT) | instid1(SALU_CYCLE_1)
	s_mul_hi_u32 s4, s3, s4
	s_add_co_i32 s3, s3, s4
	s_delay_alu instid0(SALU_CYCLE_1) | instskip(NEXT) | instid1(SALU_CYCLE_1)
	s_mul_hi_u32 s3, s72, s3
	s_mul_i32 s4, s3, s76
	s_add_co_i32 s7, s3, 1
	s_sub_co_i32 s4, s72, s4
	s_delay_alu instid0(SALU_CYCLE_1)
	s_sub_co_i32 s9, s4, s76
	s_cmp_ge_u32 s4, s76
	s_cselect_b32 s3, s7, s3
	s_cselect_b32 s4, s9, s4
	s_add_co_i32 s7, s3, 1
	s_cmp_ge_u32 s4, s76
	s_cselect_b32 s74, s7, s3
	s_delay_alu instid0(SALU_CYCLE_1) | instskip(NEXT) | instid1(VALU_DEP_1)
	v_mul_u64_e32 v[4:5], s[74:75], v[2:3]
	v_lshlrev_b64_e32 v[34:35], 2, v[4:5]
	v_mov_b64_e32 v[4:5], 0
	s_delay_alu instid0(VALU_DEP_2)
	v_cmpx_gt_u64_e64 v[34:35], v[16:17]
	s_cbranch_execz .LBB141_91
; %bb.88:                               ;   in Loop: Header=BB141_31 Depth=1
	v_mov_b64_e32 v[36:37], v[16:17]
	v_mov_b32_e32 v38, v16
	s_mov_b32 s77, s29
	s_mov_b64 s[78:79], 0
	s_mov_b32 s75, 0
	s_mov_b64 s[80:81], 0
	s_mov_b64 s[82:83], 0
	;; [unrolled: 1-line block ×3, first 2 shown]
.LBB141_89:                             ;   Parent Loop BB141_31 Depth=1
                                        ; =>  This Inner Loop Header: Depth=2
	ds_load_b32 v4, v38
	v_add_nc_u32_e32 v38, s76, v38
	v_add_nc_u64_e32 v[36:37], s[76:77], v[36:37]
	s_delay_alu instid0(VALU_DEP_1)
	v_cmp_ge_u64_e32 vcc_lo, v[36:37], v[34:35]
	s_wait_dscnt 0x0
	v_bfe_i32 v5, v4, 0, 8
	v_bfe_i32 v6, v4, 8, 8
	;; [unrolled: 1-line block ×3, first 2 shown]
	v_ashrrev_i32_e32 v4, 24, v4
	s_delay_alu instid0(VALU_DEP_4) | instskip(NEXT) | instid1(VALU_DEP_4)
	v_add_nc_u32_e32 v5, 0x80, v5
	v_add_nc_u32_e32 v6, 0x80, v6
	s_delay_alu instid0(VALU_DEP_4) | instskip(NEXT) | instid1(VALU_DEP_4)
	v_add_nc_u32_e32 v7, 0x80, v7
	v_add_nc_u32_e32 v4, 0x80, v4
	s_delay_alu instid0(VALU_DEP_4) | instskip(NEXT) | instid1(VALU_DEP_4)
	v_and_b32_e32 v8, v5, v43
	v_and_b32_e32 v9, v6, v43
	v_bfe_u32 v5, v5, s99, 2
	v_bfe_u32 v6, v6, s99, 2
	v_and_b32_e32 v10, v7, v43
	v_bfe_u32 v7, v7, s99, 2
	v_and_b32_e32 v11, v4, v43
	v_bfe_u32 v4, v4, s99, 2
	v_cmp_eq_u32_e64 s9, v8, v41
	v_cmp_eq_u32_e64 s10, v9, v41
	;; [unrolled: 1-line block ×15, first 2 shown]
	s_and_b32 s3, s9, s13
	s_and_b32 s4, s10, s14
	v_cmp_eq_u32_e64 s20, 1, v4
	v_cmp_eq_u32_e64 s23, 2, v7
	;; [unrolled: 1-line block ×5, first 2 shown]
	s_and_b32 s7, s11, s15
	s_and_b32 s14, s9, s17
	;; [unrolled: 1-line block ×3, first 2 shown]
	v_cndmask_b32_e64 v4, 0, 1, s3
	v_cndmask_b32_e64 v5, 0, 1, s4
	s_and_b32 s13, s12, s16
	s_and_b32 s16, s11, s19
	;; [unrolled: 1-line block ×4, first 2 shown]
	v_cndmask_b32_e64 v6, 0, 1, s7
	v_cndmask_b32_e64 v8, 0, 1, s14
	v_cndmask_b32_e64 v9, 0, 1, s15
	s_and_b32 s9, s9, s25
	s_and_b32 s10, s10, s26
	s_and_b32 s17, s12, s20
	s_and_b32 s20, s11, s23
	v_cndmask_b32_e64 v7, 0, 1, s13
	v_cndmask_b32_e64 v10, 0, 1, s16
	;; [unrolled: 1-line block ×4, first 2 shown]
	s_and_b32 s11, s11, s27
	v_cndmask_b32_e64 v48, 0, 1, s9
	v_cndmask_b32_e64 v49, 0, 1, s10
	v_cmp_ne_u32_e64 s9, 0, v4
	v_cmp_ne_u32_e64 s10, 0, v5
	s_and_b32 s21, s12, s24
	v_cndmask_b32_e64 v11, 0, 1, s17
	v_cndmask_b32_e64 v46, 0, 1, s20
	s_and_b32 s12, s12, s28
	v_cndmask_b32_e64 v50, 0, 1, s11
	v_cmp_ne_u32_e64 s11, 0, v6
	v_cmp_ne_u32_e64 s13, 0, v8
	;; [unrolled: 1-line block ×3, first 2 shown]
	v_cndmask_b32_e64 v47, 0, 1, s21
	v_cndmask_b32_e64 v51, 0, 1, s12
	v_cmp_ne_u32_e64 s12, 0, v7
	v_cmp_ne_u32_e64 s15, 0, v10
	;; [unrolled: 1-line block ×4, first 2 shown]
	s_bcnt1_i32_b32 s3, s9
	s_bcnt1_i32_b32 s4, s10
	v_cmp_ne_u32_e64 s16, 0, v11
	v_cmp_ne_u32_e64 s19, 0, v46
	;; [unrolled: 1-line block ×4, first 2 shown]
	s_bcnt1_i32_b32 s7, s11
	s_bcnt1_i32_b32 s10, s13
	;; [unrolled: 1-line block ×3, first 2 shown]
	s_add_co_i32 s3, s4, s3
	v_cmp_ne_u32_e64 s20, 0, v47
	v_cmp_ne_u32_e64 s23, 0, v50
	s_bcnt1_i32_b32 s9, s12
	s_bcnt1_i32_b32 s12, s15
	;; [unrolled: 1-line block ×4, first 2 shown]
	s_add_co_i32 s4, s11, s10
	s_add_co_i32 s3, s3, s7
	v_cmp_ne_u32_e64 s24, 0, v51
	s_bcnt1_i32_b32 s13, s16
	s_bcnt1_i32_b32 s16, s19
	;; [unrolled: 1-line block ×4, first 2 shown]
	s_add_co_i32 s10, s15, s14
	s_add_co_i32 s4, s4, s12
	;; [unrolled: 1-line block ×3, first 2 shown]
	s_bcnt1_i32_b32 s17, s20
	s_bcnt1_i32_b32 s20, s23
	s_add_co_i32 s11, s19, s18
	s_add_co_i32 s7, s10, s16
	s_add_nc_u64 s[84:85], s[84:85], s[28:29]
	s_add_co_i32 s28, s4, s13
	s_bcnt1_i32_b32 s21, s24
	s_add_co_i32 s10, s11, s20
	s_add_nc_u64 s[82:83], s[82:83], s[28:29]
	s_add_co_i32 s28, s7, s17
	v_mov_b64_e32 v[4:5], s[84:85]
	s_add_nc_u64 s[80:81], s[80:81], s[28:29]
	s_add_co_i32 s28, s10, s21
	v_mov_b64_e32 v[6:7], s[82:83]
	s_add_nc_u64 s[78:79], s[78:79], s[28:29]
	v_mov_b64_e32 v[8:9], s[80:81]
	v_mov_b64_e32 v[10:11], s[78:79]
	s_or_b32 s75, vcc_lo, s75
	s_delay_alu instid0(SALU_CYCLE_1)
	s_and_not1_b32 exec_lo, exec_lo, s75
	s_cbranch_execnz .LBB141_89
; %bb.90:                               ;   in Loop: Header=BB141_31 Depth=1
	s_or_b32 exec_lo, exec_lo, s75
.LBB141_91:                             ;   in Loop: Header=BB141_31 Depth=1
	s_delay_alu instid0(SALU_CYCLE_1) | instskip(SKIP_3) | instid1(VALU_DEP_1)
	s_or_b32 exec_lo, exec_lo, s59
	v_add_nc_u64_e32 v[34:35], v[34:35], v[0:1]
	s_and_b64 s[14:15], s[72:73], 0x7fffffff
	s_mov_b32 s16, exec_lo
	v_cmpx_gt_u64_e64 s[14:15], v[34:35]
	s_cbranch_execz .LBB141_95
; %bb.92:                               ;   in Loop: Header=BB141_31 Depth=1
	s_mul_i32 s3, s74, s8
	s_mov_b32 s17, 0
	v_lshl_add_u32 v36, s3, 2, v0
.LBB141_93:                             ;   Parent Loop BB141_31 Depth=1
                                        ; =>  This Inner Loop Header: Depth=2
	ds_load_i8 v37, v36
	v_add_nc_u64_e32 v[34:35], v[34:35], v[2:3]
	v_add_nc_u32_e32 v36, s8, v36
	s_delay_alu instid0(VALU_DEP_2) | instskip(SKIP_2) | instid1(VALU_DEP_1)
	v_cmp_le_u64_e32 vcc_lo, s[14:15], v[34:35]
	s_wait_dscnt 0x0
	v_add_nc_u32_e32 v37, 0x80, v37
	v_and_b32_e32 v38, v37, v43
	v_bfe_u32 v37, v37, s99, 2
	s_delay_alu instid0(VALU_DEP_2) | instskip(NEXT) | instid1(VALU_DEP_2)
	v_cmp_eq_u32_e64 s9, v38, v41
	v_cmp_eq_u32_e64 s10, 0, v37
	;; [unrolled: 1-line block ×5, first 2 shown]
	s_and_b32 s3, s9, s10
	s_delay_alu instid0(SALU_CYCLE_1) | instskip(SKIP_1) | instid1(SALU_CYCLE_1)
	v_cndmask_b32_e64 v37, 0, 1, s3
	s_and_b32 s3, s9, s11
	v_cndmask_b32_e64 v38, 0, 1, s3
	s_and_b32 s3, s9, s12
	s_delay_alu instid0(SALU_CYCLE_1)
	v_cndmask_b32_e64 v39, 0, 1, s3
	s_and_b32 s3, s9, s13
	v_cmp_ne_u32_e64 s9, 0, v37
	v_cndmask_b32_e64 v45, 0, 1, s3
	v_cmp_ne_u32_e64 s10, 0, v38
	v_cmp_ne_u32_e64 s11, 0, v39
	s_bcnt1_i32_b32 s28, s9
	v_cmp_ne_u32_e64 s12, 0, v45
	v_add_nc_u64_e32 v[4:5], s[28:29], v[4:5]
	s_bcnt1_i32_b32 s28, s10
	s_delay_alu instid0(SALU_CYCLE_1) | instskip(SKIP_1) | instid1(SALU_CYCLE_1)
	v_add_nc_u64_e32 v[6:7], s[28:29], v[6:7]
	s_bcnt1_i32_b32 s28, s11
	v_add_nc_u64_e32 v[8:9], s[28:29], v[8:9]
	s_bcnt1_i32_b32 s28, s12
	s_or_b32 s17, vcc_lo, s17
	v_add_nc_u64_e32 v[10:11], s[28:29], v[10:11]
	s_and_not1_b32 exec_lo, exec_lo, s17
	s_cbranch_execnz .LBB141_93
; %bb.94:                               ;   in Loop: Header=BB141_31 Depth=1
	s_or_b32 exec_lo, exec_lo, s17
.LBB141_95:                             ;   in Loop: Header=BB141_31 Depth=1
	s_delay_alu instid0(SALU_CYCLE_1)
	s_or_b32 exec_lo, exec_lo, s16
	s_lshl_b32 s8, s103, 7
	s_and_saveexec_b32 s4, s2
	s_cbranch_execnz .LBB141_66
	s_branch .LBB141_67
.LBB141_96:                             ;   in Loop: Header=BB141_31 Depth=1
                                        ; implicit-def: $sgpr10_sgpr11
	s_and_not1_b32 vcc_lo, exec_lo, s4
	s_cbranch_vccz .LBB141_75
	s_branch .LBB141_76
.LBB141_97:                             ;   in Loop: Header=BB141_31 Depth=1
	s_mov_b32 s7, 0
	s_and_not1_b32 vcc_lo, exec_lo, s98
	s_cbranch_vccnz .LBB141_100
.LBB141_98:                             ;   in Loop: Header=BB141_31 Depth=1
	s_lshl_b32 s3, s103, 10
	s_lshl_b32 s4, s7, 5
	s_delay_alu instid0(SALU_CYCLE_1)
	v_add3_u32 v2, s3, s4, v42
	v_readlane_b32 s4, v54, 12
.LBB141_99:                             ;   Parent Loop BB141_31 Depth=1
                                        ; =>  This Inner Loop Header: Depth=2
	ds_load_b64 v[6:7], v2
	v_add_nc_u32_e32 v2, 32, v2
	s_add_co_i32 s4, s4, -1
	s_delay_alu instid0(SALU_CYCLE_1)
	s_cmp_lg_u32 s4, 0
	s_wait_dscnt 0x0
	v_add_nc_u64_e32 v[4:5], v[6:7], v[4:5]
	s_cbranch_scc1 .LBB141_99
.LBB141_100:                            ;   in Loop: Header=BB141_31 Depth=1
	v_add_lshl_u32 v2, s8, v13, 3
	ds_store_b64 v2, v[4:5] offset:3072
.LBB141_101:                            ;   in Loop: Header=BB141_31 Depth=1
	s_or_b32 exec_lo, exec_lo, s9
	s_lshl_b32 s3, s8, 3
	s_wait_dscnt 0x0
	v_mov_b32_e32 v2, s3
	s_barrier_signal -1
	s_barrier_wait -1
	v_cmp_eq_u64_e64 s9, 1, v[32:33]
	ds_load_b128 v[4:7], v2 offset:3072
	ds_load_b128 v[8:11], v2 offset:3088
	s_lshl_b32 s24, 3, s99
	s_mov_b32 s74, -1
	s_not_b32 s25, s24
	s_mov_b32 s26, 0
	s_and_not1_b32 vcc_lo, exec_lo, s87
	s_mov_b32 s59, 0
	s_mov_b32 s27, 0
                                        ; implicit-def: $sgpr72
                                        ; implicit-def: $sgpr73
                                        ; implicit-def: $vgpr2
	s_wait_dscnt 0x1
	v_readfirstlane_b32 s13, v5
	v_readfirstlane_b32 s12, v4
	;; [unrolled: 1-line block ×4, first 2 shown]
	s_wait_dscnt 0x0
	v_readfirstlane_b32 s17, v9
	v_readfirstlane_b32 s16, v8
	;; [unrolled: 1-line block ×4, first 2 shown]
                                        ; implicit-def: $vgpr4_vgpr5
                                        ; implicit-def: $vgpr10
                                        ; implicit-def: $vgpr11
                                        ; implicit-def: $vgpr8
	s_cbranch_vccnz .LBB141_296
; %bb.102:                              ;   in Loop: Header=BB141_31 Depth=1
	s_cmp_eq_u64 s[12:13], 1
	v_dual_mov_b32 v10, v41 :: v_dual_mov_b32 v11, v43
	v_mov_b32_e32 v8, v44
	s_cselect_b32 s3, -1, 0
	s_mov_b32 s7, -1
	s_and_b32 s76, s3, s9
                                        ; implicit-def: $sgpr73
                                        ; implicit-def: $sgpr72
	s_delay_alu instid0(SALU_CYCLE_1)
	s_and_saveexec_b32 s27, s76
	s_cbranch_execz .LBB141_137
; %bb.103:                              ;   in Loop: Header=BB141_31 Depth=1
	ds_load_b64 v[4:5], v3 offset:5120
	s_wait_dscnt 0x0
	s_barrier_signal -1
	s_barrier_wait -1
	v_readfirstlane_b32 s10, v4
	v_readfirstlane_b32 s11, v5
	s_and_saveexec_b32 s4, s6
; %bb.104:                              ;   in Loop: Header=BB141_31 Depth=1
	ds_store_b8 v0, v3 offset:3072
; %bb.105:                              ;   in Loop: Header=BB141_31 Depth=1
	s_or_b32 exec_lo, exec_lo, s4
	v_and_b32_e32 v10, s25, v41
	v_or_b32_e32 v11, s24, v43
	s_mov_b32 s72, -1
	s_mov_b32 s73, 0
	s_cmp_eq_u64 s[10:11], 0
	s_mov_b32 s8, 0
	s_mov_b32 s22, -1
	s_wait_dscnt 0x0
	s_barrier_signal -1
	s_barrier_wait -1
                                        ; implicit-def: $vgpr8
	s_cbranch_scc1 .LBB141_122
; %bb.106:                              ;   in Loop: Header=BB141_31 Depth=1
	s_add_nc_u64 s[20:21], s[10:11], s[62:63]
	s_delay_alu instid0(SALU_CYCLE_1) | instskip(NEXT) | instid1(SALU_CYCLE_1)
	s_and_b64 s[22:23], s[20:21], 0xffffffff00000000
	s_cmp_lg_u64 s[22:23], 0
	s_cbranch_scc0 .LBB141_163
; %bb.107:                              ;   in Loop: Header=BB141_31 Depth=1
	s_cvt_f32_u32 s3, s40
	s_sub_nc_u64 s[48:49], 0, s[40:41]
	s_delay_alu instid0(SALU_CYCLE_2) | instskip(NEXT) | instid1(SALU_CYCLE_3)
	s_fmamk_f32 s3, s100, 0x0, s3
	v_s_rcp_f32 s3, s3
	s_delay_alu instid0(TRANS32_DEP_1) | instskip(NEXT) | instid1(SALU_CYCLE_3)
	s_mul_f32 s3, s3, 0x5f7ffffc
	s_mul_f32 s4, s3, 0x2f800000
	s_delay_alu instid0(SALU_CYCLE_3) | instskip(NEXT) | instid1(SALU_CYCLE_3)
	s_trunc_f32 s4, s4
	s_fmamk_f32 s3, s4, 0xcf800000, s3
	s_cvt_u32_f32 s23, s4
	s_delay_alu instid0(SALU_CYCLE_2) | instskip(NEXT) | instid1(SALU_CYCLE_3)
	s_cvt_u32_f32 s22, s3
	s_mul_u64 s[66:67], s[48:49], s[22:23]
	s_delay_alu instid0(SALU_CYCLE_1)
	s_mul_hi_u32 s75, s22, s67
	s_mul_i32 s74, s22, s67
	s_mul_hi_u32 s28, s22, s66
	s_mul_i32 s4, s23, s66
	s_add_nc_u64 s[74:75], s[28:29], s[74:75]
	s_mul_hi_u32 s3, s23, s66
	s_mul_hi_u32 s7, s23, s67
	s_add_co_u32 s4, s74, s4
	s_add_co_ci_u32 s28, s75, s3
	s_mul_i32 s66, s23, s67
	s_add_co_ci_u32 s67, s7, 0
	s_delay_alu instid0(SALU_CYCLE_1) | instskip(NEXT) | instid1(SALU_CYCLE_1)
	s_add_nc_u64 s[66:67], s[28:29], s[66:67]
	s_add_co_u32 s22, s22, s66
	s_cselect_b32 s3, -1, 0
	s_delay_alu instid0(SALU_CYCLE_1) | instskip(SKIP_1) | instid1(SALU_CYCLE_1)
	s_cmp_lg_u32 s3, 0
	s_add_co_ci_u32 s23, s23, s67
	s_mul_u64 s[48:49], s[48:49], s[22:23]
	s_delay_alu instid0(SALU_CYCLE_1)
	s_mul_hi_u32 s67, s22, s49
	s_mul_i32 s66, s22, s49
	s_mul_hi_u32 s28, s22, s48
	s_mul_i32 s4, s23, s48
	s_add_nc_u64 s[66:67], s[28:29], s[66:67]
	s_mul_hi_u32 s3, s23, s48
	s_mul_hi_u32 s7, s23, s49
	s_add_co_u32 s4, s66, s4
	s_add_co_ci_u32 s28, s67, s3
	s_mul_i32 s48, s23, s49
	s_add_co_ci_u32 s49, s7, 0
	s_delay_alu instid0(SALU_CYCLE_1) | instskip(NEXT) | instid1(SALU_CYCLE_1)
	s_add_nc_u64 s[48:49], s[28:29], s[48:49]
	s_add_co_u32 s3, s22, s48
	s_cselect_b32 s4, -1, 0
	s_mul_hi_u32 s28, s20, s3
	s_cmp_lg_u32 s4, 0
	s_mul_hi_u32 s4, s21, s3
	s_add_co_ci_u32 s7, s23, s49
	s_mul_i32 s3, s21, s3
	s_mul_hi_u32 s23, s20, s7
	s_mul_i32 s22, s20, s7
	s_mul_hi_u32 s8, s21, s7
	s_add_nc_u64 s[22:23], s[28:29], s[22:23]
	s_mul_i32 s48, s21, s7
	s_add_co_u32 s3, s22, s3
	s_add_co_ci_u32 s28, s23, s4
	s_add_co_ci_u32 s49, s8, 0
	s_delay_alu instid0(SALU_CYCLE_1) | instskip(NEXT) | instid1(SALU_CYCLE_1)
	s_add_nc_u64 s[22:23], s[28:29], s[48:49]
	s_and_b64 s[48:49], s[22:23], 0xffffffff00000000
	s_delay_alu instid0(SALU_CYCLE_1) | instskip(NEXT) | instid1(SALU_CYCLE_1)
	s_or_b32 s48, s48, s22
	s_mul_u64 s[22:23], s[40:41], s[48:49]
	s_delay_alu instid0(SALU_CYCLE_1) | instskip(SKIP_1) | instid1(SALU_CYCLE_1)
	s_sub_co_u32 s3, s20, s22
	s_cselect_b32 s4, -1, 0
	s_cmp_lg_u32 s4, 0
	s_sub_co_ci_u32 s4, s21, s23
	s_sub_co_u32 s7, s3, s40
	s_cselect_b32 s8, -1, 0
	s_delay_alu instid0(SALU_CYCLE_1) | instskip(SKIP_3) | instid1(SALU_CYCLE_1)
	s_cmp_lg_u32 s8, 0
	s_sub_co_ci_u32 s8, s4, 0
	s_sub_co_u32 s22, s7, s40
	s_cselect_b32 s23, -1, 0
	s_cmp_lg_u32 s23, 0
	s_sub_co_ci_u32 s23, s8, 0
	s_cmp_ge_u32 s7, s40
	s_cselect_b32 s28, -1, 0
	s_cmp_eq_u32 s8, 0
	s_cselect_b32 s28, s28, -1
	s_delay_alu instid0(SALU_CYCLE_1)
	s_cmp_lg_u32 s28, 0
	s_cselect_b32 s8, s23, s8
	s_cselect_b32 s7, s22, s7
	s_cmp_ge_u32 s3, s40
	s_cselect_b32 s22, -1, 0
	s_cmp_eq_u32 s4, 0
	s_cselect_b32 s22, s22, -1
	s_delay_alu instid0(SALU_CYCLE_1)
	s_cmp_lg_u32 s22, 0
	s_cselect_b32 s23, s8, s4
	s_cselect_b32 s22, s7, s3
	s_cbranch_execnz .LBB141_109
.LBB141_108:                            ;   in Loop: Header=BB141_31 Depth=1
	v_cvt_f32_u32_e32 v2, s40
	s_sub_co_i32 s4, 0, s40
	s_delay_alu instid0(VALU_DEP_1) | instskip(SKIP_1) | instid1(TRANS32_DEP_1)
	v_rcp_iflag_f32_e32 v2, v2
	v_nop
	v_mul_f32_e32 v2, 0x4f7ffffe, v2
	s_delay_alu instid0(VALU_DEP_1) | instskip(NEXT) | instid1(VALU_DEP_1)
	v_cvt_u32_f32_e32 v2, v2
	v_readfirstlane_b32 s3, v2
	s_mul_i32 s4, s4, s3
	s_delay_alu instid0(SALU_CYCLE_1) | instskip(NEXT) | instid1(SALU_CYCLE_1)
	s_mul_hi_u32 s4, s3, s4
	s_add_co_i32 s3, s3, s4
	s_delay_alu instid0(SALU_CYCLE_1) | instskip(NEXT) | instid1(SALU_CYCLE_1)
	s_mul_hi_u32 s3, s20, s3
	s_mul_i32 s3, s3, s40
	s_delay_alu instid0(SALU_CYCLE_1) | instskip(NEXT) | instid1(SALU_CYCLE_1)
	s_sub_co_i32 s3, s20, s3
	s_sub_co_i32 s4, s3, s40
	s_cmp_ge_u32 s3, s40
	s_cselect_b32 s3, s4, s3
	s_delay_alu instid0(SALU_CYCLE_1) | instskip(SKIP_2) | instid1(SALU_CYCLE_1)
	s_sub_co_i32 s4, s3, s40
	s_cmp_ge_u32 s3, s40
	s_cselect_b32 s28, s4, s3
	s_mov_b64 s[22:23], s[28:29]
.LBB141_109:                            ;   in Loop: Header=BB141_31 Depth=1
	s_delay_alu instid0(SALU_CYCLE_1)
	s_sub_nc_u64 s[20:21], s[20:21], s[22:23]
	s_mov_b32 s22, 0
	s_mov_b32 s8, 0
	s_mov_b32 s23, exec_lo
                                        ; implicit-def: $vgpr8
	v_cmpx_gt_u64_e64 s[20:21], v[0:1]
	s_cbranch_execz .LBB141_121
; %bb.110:                              ;   in Loop: Header=BB141_31 Depth=1
	v_mov_b64_e32 v[4:5], v[0:1]
	v_mov_b32_e32 v2, v0
                                        ; implicit-def: $sgpr7
	s_branch .LBB141_113
.LBB141_111:                            ;   in Loop: Header=BB141_113 Depth=2
	s_or_b32 exec_lo, exec_lo, s4
	s_wait_dscnt 0x0
	s_barrier_signal -1
	s_barrier_wait -1
	ds_load_u16 v6, v3 offset:3072
	s_mov_b32 s4, -1
	s_mov_b32 s28, -1
	s_wait_dscnt 0x0
	s_barrier_signal -1
	s_barrier_wait -1
	v_and_b32_e32 v7, 0xff, v6
	s_delay_alu instid0(VALU_DEP_1)
	v_cmp_ne_u32_e32 vcc_lo, 0, v7
	s_cbranch_vccz .LBB141_116
.LBB141_112:                            ;   in Loop: Header=BB141_113 Depth=2
	s_and_b32 s3, exec_lo, s4
	s_delay_alu instid0(SALU_CYCLE_1) | instskip(SKIP_2) | instid1(SALU_CYCLE_1)
	s_or_b32 s8, s3, s8
	s_and_not1_b32 s3, s7, exec_lo
	s_and_b32 s4, s28, exec_lo
	s_or_b32 s7, s3, s4
	s_and_not1_b32 exec_lo, exec_lo, s8
	s_cbranch_execz .LBB141_120
.LBB141_113:                            ;   Parent Loop BB141_31 Depth=1
                                        ; =>  This Inner Loop Header: Depth=2
	s_mov_b32 s4, exec_lo
	s_delay_alu instid0(VALU_DEP_2)
	v_cmpx_gt_u64_e64 s[10:11], v[4:5]
	s_cbranch_execz .LBB141_111
; %bb.114:                              ;   in Loop: Header=BB141_113 Depth=2
	ds_load_u8 v6, v2
	s_wait_dscnt 0x0
	v_bfe_i32 v7, v6, 0, 8
	s_delay_alu instid0(VALU_DEP_1) | instskip(NEXT) | instid1(VALU_DEP_1)
	v_add_nc_u32_e32 v7, 0x80, v7
	v_and_b32_e32 v7, v7, v11
	s_delay_alu instid0(VALU_DEP_1)
	v_cmp_eq_u32_e32 vcc_lo, v7, v10
	s_and_b32 exec_lo, exec_lo, vcc_lo
	s_cbranch_execz .LBB141_111
; %bb.115:                              ;   in Loop: Header=BB141_113 Depth=2
	v_lshlrev_b16 v6, 8, v6
	s_delay_alu instid0(VALU_DEP_1)
	v_or_b32_e32 v6, 1, v6
	ds_store_b16 v3, v6 offset:3072
	s_branch .LBB141_111
.LBB141_116:                            ;   in Loop: Header=BB141_113 Depth=2
	v_add_nc_u64_e32 v[4:5], s[40:41], v[4:5]
	v_add_nc_u32_e32 v2, s40, v2
	s_mov_b32 s28, 0
	s_delay_alu instid0(VALU_DEP_2)
	v_cmp_le_u64_e32 vcc_lo, s[20:21], v[4:5]
	s_or_not1_b32 s4, vcc_lo, exec_lo
	s_branch .LBB141_112
.LBB141_117:                            ;   in Loop: Header=BB141_31 Depth=1
	s_or_b32 exec_lo, exec_lo, s11
	s_wait_dscnt 0x0
	s_barrier_signal -1
	s_barrier_wait -1
	s_and_saveexec_b32 s4, s5
	s_cbranch_execz .LBB141_119
; %bb.118:                              ;   in Loop: Header=BB141_31 Depth=1
	ds_load_b32 v4, v3 offset:5144
	s_wait_dscnt 0x0
	v_ashrrev_i32_e32 v5, 31, v4
	ds_store_b64 v3, v[4:5] offset:5120
.LBB141_119:                            ;   in Loop: Header=BB141_31 Depth=1
	s_or_b32 exec_lo, exec_lo, s4
	s_wait_dscnt 0x0
	s_barrier_signal -1
	s_mov_b32 s7, -1
	s_barrier_wait -1
	s_and_b32 vcc_lo, exec_lo, s8
	s_cbranch_vccnz .LBB141_46
	s_branch .LBB141_61
.LBB141_120:                            ;   in Loop: Header=BB141_31 Depth=1
	s_or_b32 exec_lo, exec_lo, s8
	v_and_b32_e32 v2, 0xffff, v6
	s_and_b32 s8, s7, exec_lo
	s_delay_alu instid0(VALU_DEP_1)
	v_lshrrev_b32_e32 v8, 8, v2
.LBB141_121:                            ;   in Loop: Header=BB141_31 Depth=1
	s_or_b32 exec_lo, exec_lo, s23
.LBB141_122:                            ;   in Loop: Header=BB141_31 Depth=1
	s_delay_alu instid0(SALU_CYCLE_1)
	s_and_b32 vcc_lo, exec_lo, s22
	s_cbranch_vccz .LBB141_136
; %bb.123:                              ;   in Loop: Header=BB141_31 Depth=1
	s_and_b64 s[10:11], s[64:65], 0xffffffff00000000
	s_delay_alu instid0(SALU_CYCLE_1)
	s_cmp_lg_u64 s[10:11], 0
	s_cbranch_scc0 .LBB141_164
; %bb.124:                              ;   in Loop: Header=BB141_31 Depth=1
	s_cvt_f32_u32 s3, s40
	s_sub_nc_u64 s[20:21], 0, s[40:41]
	s_delay_alu instid0(SALU_CYCLE_2) | instskip(NEXT) | instid1(SALU_CYCLE_3)
	s_fmamk_f32 s3, s100, 0x0, s3
	v_s_rcp_f32 s3, s3
	s_delay_alu instid0(TRANS32_DEP_1) | instskip(NEXT) | instid1(SALU_CYCLE_3)
	s_mul_f32 s3, s3, 0x5f7ffffc
	s_mul_f32 s4, s3, 0x2f800000
	s_delay_alu instid0(SALU_CYCLE_3) | instskip(NEXT) | instid1(SALU_CYCLE_3)
	s_trunc_f32 s4, s4
	s_fmamk_f32 s3, s4, 0xcf800000, s3
	s_cvt_u32_f32 s11, s4
	s_delay_alu instid0(SALU_CYCLE_2) | instskip(NEXT) | instid1(SALU_CYCLE_3)
	s_cvt_u32_f32 s10, s3
	s_mul_u64 s[22:23], s[20:21], s[10:11]
	s_delay_alu instid0(SALU_CYCLE_1)
	s_mul_hi_u32 s49, s10, s23
	s_mul_i32 s48, s10, s23
	s_mul_hi_u32 s28, s10, s22
	s_mul_i32 s4, s11, s22
	s_add_nc_u64 s[48:49], s[28:29], s[48:49]
	s_mul_hi_u32 s3, s11, s22
	s_mul_hi_u32 s7, s11, s23
	s_add_co_u32 s4, s48, s4
	s_add_co_ci_u32 s28, s49, s3
	s_mul_i32 s22, s11, s23
	s_add_co_ci_u32 s23, s7, 0
	s_delay_alu instid0(SALU_CYCLE_1) | instskip(NEXT) | instid1(SALU_CYCLE_1)
	s_add_nc_u64 s[22:23], s[28:29], s[22:23]
	s_add_co_u32 s10, s10, s22
	s_cselect_b32 s3, -1, 0
	s_delay_alu instid0(SALU_CYCLE_1) | instskip(SKIP_1) | instid1(SALU_CYCLE_1)
	s_cmp_lg_u32 s3, 0
	s_add_co_ci_u32 s11, s11, s23
	s_mul_u64 s[20:21], s[20:21], s[10:11]
	s_delay_alu instid0(SALU_CYCLE_1)
	s_mul_hi_u32 s23, s10, s21
	s_mul_i32 s22, s10, s21
	s_mul_hi_u32 s28, s10, s20
	s_mul_i32 s4, s11, s20
	s_add_nc_u64 s[22:23], s[28:29], s[22:23]
	s_mul_hi_u32 s3, s11, s20
	s_mul_hi_u32 s7, s11, s21
	s_add_co_u32 s4, s22, s4
	s_add_co_ci_u32 s28, s23, s3
	s_mul_i32 s20, s11, s21
	s_add_co_ci_u32 s21, s7, 0
	s_delay_alu instid0(SALU_CYCLE_1) | instskip(NEXT) | instid1(SALU_CYCLE_1)
	s_add_nc_u64 s[20:21], s[28:29], s[20:21]
	s_add_co_u32 s3, s10, s20
	s_cselect_b32 s4, -1, 0
	s_mul_hi_u32 s28, s64, s3
	s_cmp_lg_u32 s4, 0
	s_mul_hi_u32 s4, s65, s3
	s_add_co_ci_u32 s7, s11, s21
	s_mul_i32 s3, s65, s3
	s_mul_hi_u32 s11, s64, s7
	s_mul_i32 s10, s64, s7
	s_mul_hi_u32 s21, s65, s7
	s_add_nc_u64 s[10:11], s[28:29], s[10:11]
	s_mul_i32 s20, s65, s7
	s_add_co_u32 s3, s10, s3
	s_add_co_ci_u32 s28, s11, s4
	s_add_co_ci_u32 s21, s21, 0
	s_delay_alu instid0(SALU_CYCLE_1) | instskip(NEXT) | instid1(SALU_CYCLE_1)
	s_add_nc_u64 s[10:11], s[28:29], s[20:21]
	s_and_b64 s[20:21], s[10:11], 0xffffffff00000000
	s_delay_alu instid0(SALU_CYCLE_1) | instskip(NEXT) | instid1(SALU_CYCLE_1)
	s_or_b32 s20, s20, s10
	s_mul_u64 s[10:11], s[40:41], s[20:21]
	s_delay_alu instid0(SALU_CYCLE_1) | instskip(SKIP_1) | instid1(SALU_CYCLE_1)
	s_sub_co_u32 s3, s64, s10
	s_cselect_b32 s4, -1, 0
	s_cmp_lg_u32 s4, 0
	s_sub_co_ci_u32 s4, s65, s11
	s_sub_co_u32 s7, s3, s40
	s_cselect_b32 s10, -1, 0
	s_delay_alu instid0(SALU_CYCLE_1) | instskip(SKIP_3) | instid1(SALU_CYCLE_1)
	s_cmp_lg_u32 s10, 0
	s_sub_co_ci_u32 s10, s4, 0
	s_sub_co_u32 s11, s7, s40
	s_cselect_b32 s20, -1, 0
	s_cmp_lg_u32 s20, 0
	s_sub_co_ci_u32 s20, s10, 0
	s_cmp_ge_u32 s7, s40
	s_cselect_b32 s21, -1, 0
	s_cmp_eq_u32 s10, 0
	s_cselect_b32 s21, s21, -1
	s_delay_alu instid0(SALU_CYCLE_1)
	s_cmp_lg_u32 s21, 0
	s_cselect_b32 s10, s20, s10
	s_cselect_b32 s7, s11, s7
	s_cmp_ge_u32 s3, s40
	s_cselect_b32 s11, -1, 0
	s_cmp_eq_u32 s4, 0
	s_cselect_b32 s11, s11, -1
	s_delay_alu instid0(SALU_CYCLE_1)
	s_cmp_lg_u32 s11, 0
	s_cselect_b32 s11, s10, s4
	s_cselect_b32 s10, s7, s3
	s_cbranch_execnz .LBB141_126
.LBB141_125:                            ;   in Loop: Header=BB141_31 Depth=1
	v_cvt_f32_u32_e32 v2, s40
	s_sub_co_i32 s4, 0, s40
	s_delay_alu instid0(VALU_DEP_1) | instskip(SKIP_1) | instid1(TRANS32_DEP_1)
	v_rcp_iflag_f32_e32 v2, v2
	v_nop
	v_mul_f32_e32 v2, 0x4f7ffffe, v2
	s_delay_alu instid0(VALU_DEP_1) | instskip(NEXT) | instid1(VALU_DEP_1)
	v_cvt_u32_f32_e32 v2, v2
	v_readfirstlane_b32 s3, v2
	s_mul_i32 s4, s4, s3
	s_delay_alu instid0(SALU_CYCLE_1) | instskip(NEXT) | instid1(SALU_CYCLE_1)
	s_mul_hi_u32 s4, s3, s4
	s_add_co_i32 s3, s3, s4
	s_delay_alu instid0(SALU_CYCLE_1) | instskip(NEXT) | instid1(SALU_CYCLE_1)
	s_mul_hi_u32 s3, s64, s3
	s_mul_i32 s3, s3, s40
	s_delay_alu instid0(SALU_CYCLE_1) | instskip(NEXT) | instid1(SALU_CYCLE_1)
	s_sub_co_i32 s3, s64, s3
	s_sub_co_i32 s4, s3, s40
	s_cmp_ge_u32 s3, s40
	s_cselect_b32 s3, s4, s3
	s_delay_alu instid0(SALU_CYCLE_1) | instskip(SKIP_2) | instid1(SALU_CYCLE_1)
	s_sub_co_i32 s4, s3, s40
	s_cmp_ge_u32 s3, s40
	s_cselect_b32 s28, s4, s3
	s_mov_b64 s[10:11], s[28:29]
.LBB141_126:                            ;   in Loop: Header=BB141_31 Depth=1
	s_delay_alu instid0(SALU_CYCLE_1)
	s_sub_nc_u64 s[10:11], s[64:65], s[10:11]
	s_mov_b32 s20, exec_lo
                                        ; implicit-def: $vgpr8
	v_cmpx_gt_u64_e64 s[10:11], v[0:1]
	s_cbranch_execz .LBB141_135
; %bb.127:                              ;   in Loop: Header=BB141_31 Depth=1
	v_mov_b64_e32 v[4:5], v[30:31]
	v_mov_b64_e32 v[6:7], v[0:1]
	s_mov_b32 s22, 0
                                        ; implicit-def: $sgpr21
	s_branch .LBB141_130
.LBB141_128:                            ;   in Loop: Header=BB141_130 Depth=2
	s_or_b32 exec_lo, exec_lo, s4
	s_wait_dscnt 0x0
	s_barrier_signal -1
	s_barrier_wait -1
	ds_load_u16 v2, v3 offset:3072
	s_mov_b32 s4, -1
	s_mov_b32 s7, -1
	s_wait_dscnt 0x0
	s_barrier_signal -1
	s_barrier_wait -1
	v_and_b32_e32 v8, 0xff, v2
	s_delay_alu instid0(VALU_DEP_1)
	v_cmp_ne_u32_e32 vcc_lo, 0, v8
	s_cbranch_vccz .LBB141_133
.LBB141_129:                            ;   in Loop: Header=BB141_130 Depth=2
	s_and_b32 s3, exec_lo, s4
	s_delay_alu instid0(SALU_CYCLE_1) | instskip(SKIP_2) | instid1(SALU_CYCLE_1)
	s_or_b32 s22, s3, s22
	s_and_not1_b32 s3, s21, exec_lo
	s_and_b32 s4, s7, exec_lo
	s_or_b32 s21, s3, s4
	s_and_not1_b32 exec_lo, exec_lo, s22
	s_cbranch_execz .LBB141_134
.LBB141_130:                            ;   Parent Loop BB141_31 Depth=1
                                        ; =>  This Inner Loop Header: Depth=2
	s_mov_b32 s4, exec_lo
	s_delay_alu instid0(VALU_DEP_1)
	v_cmpx_gt_u64_e64 s[36:37], v[6:7]
	s_cbranch_execz .LBB141_128
; %bb.131:                              ;   in Loop: Header=BB141_130 Depth=2
	global_load_u8 v2, v[4:5], off
	s_wait_loadcnt 0x0
	v_bfe_i32 v8, v2, 0, 8
	s_delay_alu instid0(VALU_DEP_1) | instskip(NEXT) | instid1(VALU_DEP_1)
	v_add_nc_u32_e32 v8, 0x80, v8
	v_and_b32_e32 v8, v8, v11
	s_delay_alu instid0(VALU_DEP_1)
	v_cmp_eq_u32_e32 vcc_lo, v8, v10
	s_and_b32 exec_lo, exec_lo, vcc_lo
	s_cbranch_execz .LBB141_128
; %bb.132:                              ;   in Loop: Header=BB141_130 Depth=2
	v_lshlrev_b16 v2, 8, v2
	s_delay_alu instid0(VALU_DEP_1)
	v_or_b32_e32 v2, 1, v2
	ds_store_b16 v3, v2 offset:3072
	s_branch .LBB141_128
.LBB141_133:                            ;   in Loop: Header=BB141_130 Depth=2
	v_add_nc_u64_e32 v[6:7], s[40:41], v[6:7]
	v_add_nc_u64_e32 v[4:5], s[44:45], v[4:5]
	s_mov_b32 s7, 0
	s_delay_alu instid0(VALU_DEP_2)
	v_cmp_le_u64_e32 vcc_lo, s[10:11], v[6:7]
	s_or_not1_b32 s4, vcc_lo, exec_lo
	s_branch .LBB141_129
.LBB141_134:                            ;   in Loop: Header=BB141_31 Depth=1
	s_or_b32 exec_lo, exec_lo, s22
	v_and_b32_e32 v2, 0xffff, v2
	s_and_not1_b32 s3, s8, exec_lo
	s_and_b32 s4, s21, exec_lo
	s_delay_alu instid0(SALU_CYCLE_1) | instskip(NEXT) | instid1(VALU_DEP_1)
	s_or_b32 s8, s3, s4
	v_lshrrev_b32_e32 v8, 8, v2
.LBB141_135:                            ;   in Loop: Header=BB141_31 Depth=1
	s_or_b32 exec_lo, exec_lo, s20
	s_mov_b32 s72, 0
	s_mov_b32 s73, -1
.LBB141_136:                            ;   in Loop: Header=BB141_31 Depth=1
	s_or_not1_b32 s7, s8, exec_lo
.LBB141_137:                            ;   in Loop: Header=BB141_31 Depth=1
	s_or_b32 exec_lo, exec_lo, s27
	s_mov_b32 s74, 0
	s_mov_b32 s59, 0
	;; [unrolled: 1-line block ×3, first 2 shown]
                                        ; implicit-def: $vgpr4_vgpr5
                                        ; implicit-def: $vgpr2
	s_and_saveexec_b32 s75, s7
	s_cbranch_execz .LBB141_295
; %bb.138:                              ;   in Loop: Header=BB141_31 Depth=1
	v_mov_b64_e32 v[4:5], 1
	v_mov_b32_e32 v2, 1
	s_xor_b32 s3, s76, -1
	s_mov_b32 s10, 0
	s_and_saveexec_b32 s8, s3
	s_cbranch_execz .LBB141_147
; %bb.139:                              ;   in Loop: Header=BB141_31 Depth=1
	s_mov_b32 s3, exec_lo
	v_cmpx_ge_u64_e64 s[12:13], v[32:33]
	s_xor_b32 s7, exec_lo, s3
	s_cbranch_execz .LBB141_144
; %bb.140:                              ;   in Loop: Header=BB141_31 Depth=1
	ds_load_b64 v[4:5], v3 offset:5120
	v_and_b32_e32 v10, s25, v10
	v_or_b32_e32 v11, s24, v11
	s_wait_dscnt 0x0
	v_cmp_ne_u64_e32 vcc_lo, 0, v[4:5]
	s_cbranch_vccnz .LBB141_144
; %bb.141:                              ;   in Loop: Header=BB141_31 Depth=1
	s_and_saveexec_b32 s4, s5
; %bb.142:                              ;   in Loop: Header=BB141_31 Depth=1
	v_mov_b64_e32 v[4:5], s[12:13]
	ds_store_b64 v3, v[4:5] offset:5128
; %bb.143:                              ;   in Loop: Header=BB141_31 Depth=1
	s_or_b32 exec_lo, exec_lo, s4
	s_wait_dscnt 0x0
	s_barrier_signal -1
	s_barrier_wait -1
.LBB141_144:                            ;   in Loop: Header=BB141_31 Depth=1
	s_or_saveexec_b32 s7, s7
	v_mov_b64_e32 v[4:5], v[32:33]
	v_mov_b32_e32 v2, 8
	s_mov_b32 s4, 0
	s_xor_b32 exec_lo, exec_lo, s7
; %bb.145:                              ;   in Loop: Header=BB141_31 Depth=1
	v_sub_nc_u64_e64 v[4:5], v[32:33], s[12:13]
	v_mov_b32_e32 v2, 0
	s_mov_b32 s4, exec_lo
; %bb.146:                              ;   in Loop: Header=BB141_31 Depth=1
	s_or_b32 exec_lo, exec_lo, s7
	s_delay_alu instid0(SALU_CYCLE_1)
	s_and_b32 s10, s4, exec_lo
.LBB141_147:                            ;   in Loop: Header=BB141_31 Depth=1
	s_or_b32 exec_lo, exec_lo, s8
	s_mov_b32 s7, -1
                                        ; implicit-def: $sgpr59
                                        ; implicit-def: $sgpr76
	s_and_saveexec_b32 s3, s10
	s_delay_alu instid0(SALU_CYCLE_1)
	s_xor_b32 s27, exec_lo, s3
	s_cbranch_execz .LBB141_292
; %bb.148:                              ;   in Loop: Header=BB141_31 Depth=1
	v_cmp_eq_u64_e32 vcc_lo, 1, v[4:5]
	s_cmp_eq_u64 s[14:15], 1
                                        ; implicit-def: $sgpr76
                                        ; implicit-def: $sgpr59
	s_cselect_b32 s3, -1, 0
	s_delay_alu instid0(SALU_CYCLE_1) | instskip(NEXT) | instid1(SALU_CYCLE_1)
	s_and_b32 s78, s3, vcc_lo
	s_and_saveexec_b32 s77, s78
	s_cbranch_execz .LBB141_182
; %bb.149:                              ;   in Loop: Header=BB141_31 Depth=1
	ds_load_b64 v[6:7], v3 offset:5120
	s_wait_dscnt 0x0
	s_barrier_signal -1
	s_barrier_wait -1
	v_readfirstlane_b32 s10, v6
	v_readfirstlane_b32 s11, v7
	s_and_saveexec_b32 s4, s6
; %bb.150:                              ;   in Loop: Header=BB141_31 Depth=1
	ds_store_b8 v0, v3 offset:3072
; %bb.151:                              ;   in Loop: Header=BB141_31 Depth=1
	s_or_b32 exec_lo, exec_lo, s4
	s_lshl_b32 s3, 1, s99
	v_or_b32_e32 v11, s24, v11
	v_and_or_b32 v10, v10, s25, s3
	s_mov_b32 s59, -1
	s_mov_b32 s76, 0
	s_cmp_eq_u64 s[10:11], 0
	s_mov_b32 s8, 0
	s_mov_b32 s22, -1
	s_wait_dscnt 0x0
	s_barrier_signal -1
	s_barrier_wait -1
                                        ; implicit-def: $vgpr8
	s_cbranch_scc1 .LBB141_167
; %bb.152:                              ;   in Loop: Header=BB141_31 Depth=1
	s_add_nc_u64 s[20:21], s[10:11], s[62:63]
	s_delay_alu instid0(SALU_CYCLE_1) | instskip(NEXT) | instid1(SALU_CYCLE_1)
	s_and_b64 s[22:23], s[20:21], 0xffffffff00000000
	s_cmp_lg_u64 s[22:23], 0
	s_cbranch_scc0 .LBB141_208
; %bb.153:                              ;   in Loop: Header=BB141_31 Depth=1
	s_cvt_f32_u32 s3, s40
	s_sub_nc_u64 s[48:49], 0, s[40:41]
	s_delay_alu instid0(SALU_CYCLE_2) | instskip(NEXT) | instid1(SALU_CYCLE_3)
	s_fmamk_f32 s3, s100, 0x0, s3
	v_s_rcp_f32 s3, s3
	s_delay_alu instid0(TRANS32_DEP_1) | instskip(NEXT) | instid1(SALU_CYCLE_3)
	s_mul_f32 s3, s3, 0x5f7ffffc
	s_mul_f32 s4, s3, 0x2f800000
	s_delay_alu instid0(SALU_CYCLE_3) | instskip(NEXT) | instid1(SALU_CYCLE_3)
	s_trunc_f32 s4, s4
	s_fmamk_f32 s3, s4, 0xcf800000, s3
	s_cvt_u32_f32 s23, s4
	s_delay_alu instid0(SALU_CYCLE_2) | instskip(NEXT) | instid1(SALU_CYCLE_3)
	s_cvt_u32_f32 s22, s3
	s_mul_u64 s[80:81], s[48:49], s[22:23]
	s_delay_alu instid0(SALU_CYCLE_1)
	s_mul_hi_u32 s83, s22, s81
	s_mul_i32 s82, s22, s81
	s_mul_hi_u32 s28, s22, s80
	s_mul_i32 s4, s23, s80
	s_add_nc_u64 s[82:83], s[28:29], s[82:83]
	s_mul_hi_u32 s3, s23, s80
	s_mul_hi_u32 s7, s23, s81
	s_add_co_u32 s4, s82, s4
	s_add_co_ci_u32 s28, s83, s3
	s_mul_i32 s80, s23, s81
	s_add_co_ci_u32 s81, s7, 0
	s_delay_alu instid0(SALU_CYCLE_1) | instskip(NEXT) | instid1(SALU_CYCLE_1)
	s_add_nc_u64 s[80:81], s[28:29], s[80:81]
	s_add_co_u32 s22, s22, s80
	s_cselect_b32 s3, -1, 0
	s_delay_alu instid0(SALU_CYCLE_1) | instskip(SKIP_1) | instid1(SALU_CYCLE_1)
	s_cmp_lg_u32 s3, 0
	s_add_co_ci_u32 s23, s23, s81
	s_mul_u64 s[48:49], s[48:49], s[22:23]
	s_delay_alu instid0(SALU_CYCLE_1)
	s_mul_hi_u32 s81, s22, s49
	s_mul_i32 s80, s22, s49
	s_mul_hi_u32 s28, s22, s48
	s_mul_i32 s4, s23, s48
	s_add_nc_u64 s[80:81], s[28:29], s[80:81]
	s_mul_hi_u32 s3, s23, s48
	s_mul_hi_u32 s7, s23, s49
	s_add_co_u32 s4, s80, s4
	s_add_co_ci_u32 s28, s81, s3
	s_mul_i32 s48, s23, s49
	s_add_co_ci_u32 s49, s7, 0
	s_delay_alu instid0(SALU_CYCLE_1) | instskip(NEXT) | instid1(SALU_CYCLE_1)
	s_add_nc_u64 s[48:49], s[28:29], s[48:49]
	s_add_co_u32 s3, s22, s48
	s_cselect_b32 s4, -1, 0
	s_mul_hi_u32 s28, s20, s3
	s_cmp_lg_u32 s4, 0
	s_mul_hi_u32 s4, s21, s3
	s_add_co_ci_u32 s7, s23, s49
	s_mul_i32 s3, s21, s3
	s_mul_hi_u32 s23, s20, s7
	s_mul_i32 s22, s20, s7
	s_mul_hi_u32 s8, s21, s7
	s_add_nc_u64 s[22:23], s[28:29], s[22:23]
	s_mul_i32 s48, s21, s7
	s_add_co_u32 s3, s22, s3
	s_add_co_ci_u32 s28, s23, s4
	s_add_co_ci_u32 s49, s8, 0
	s_delay_alu instid0(SALU_CYCLE_1) | instskip(NEXT) | instid1(SALU_CYCLE_1)
	s_add_nc_u64 s[22:23], s[28:29], s[48:49]
	s_and_b64 s[48:49], s[22:23], 0xffffffff00000000
	s_delay_alu instid0(SALU_CYCLE_1) | instskip(NEXT) | instid1(SALU_CYCLE_1)
	s_or_b32 s48, s48, s22
	s_mul_u64 s[22:23], s[40:41], s[48:49]
	s_delay_alu instid0(SALU_CYCLE_1) | instskip(SKIP_1) | instid1(SALU_CYCLE_1)
	s_sub_co_u32 s3, s20, s22
	s_cselect_b32 s4, -1, 0
	s_cmp_lg_u32 s4, 0
	s_sub_co_ci_u32 s4, s21, s23
	s_sub_co_u32 s7, s3, s40
	s_cselect_b32 s8, -1, 0
	s_delay_alu instid0(SALU_CYCLE_1) | instskip(SKIP_3) | instid1(SALU_CYCLE_1)
	s_cmp_lg_u32 s8, 0
	s_sub_co_ci_u32 s8, s4, 0
	s_sub_co_u32 s22, s7, s40
	s_cselect_b32 s23, -1, 0
	s_cmp_lg_u32 s23, 0
	s_sub_co_ci_u32 s23, s8, 0
	s_cmp_ge_u32 s7, s40
	s_cselect_b32 s28, -1, 0
	s_cmp_eq_u32 s8, 0
	s_cselect_b32 s28, s28, -1
	s_delay_alu instid0(SALU_CYCLE_1)
	s_cmp_lg_u32 s28, 0
	s_cselect_b32 s8, s23, s8
	s_cselect_b32 s7, s22, s7
	s_cmp_ge_u32 s3, s40
	s_cselect_b32 s22, -1, 0
	s_cmp_eq_u32 s4, 0
	s_cselect_b32 s22, s22, -1
	s_delay_alu instid0(SALU_CYCLE_1)
	s_cmp_lg_u32 s22, 0
	s_cselect_b32 s23, s8, s4
	s_cselect_b32 s22, s7, s3
	s_cbranch_execnz .LBB141_155
.LBB141_154:                            ;   in Loop: Header=BB141_31 Depth=1
	v_cvt_f32_u32_e32 v6, s40
	s_sub_co_i32 s4, 0, s40
	s_delay_alu instid0(VALU_DEP_1) | instskip(SKIP_1) | instid1(TRANS32_DEP_1)
	v_rcp_iflag_f32_e32 v6, v6
	v_nop
	v_mul_f32_e32 v6, 0x4f7ffffe, v6
	s_delay_alu instid0(VALU_DEP_1) | instskip(NEXT) | instid1(VALU_DEP_1)
	v_cvt_u32_f32_e32 v6, v6
	v_readfirstlane_b32 s3, v6
	s_mul_i32 s4, s4, s3
	s_delay_alu instid0(SALU_CYCLE_1) | instskip(NEXT) | instid1(SALU_CYCLE_1)
	s_mul_hi_u32 s4, s3, s4
	s_add_co_i32 s3, s3, s4
	s_delay_alu instid0(SALU_CYCLE_1) | instskip(NEXT) | instid1(SALU_CYCLE_1)
	s_mul_hi_u32 s3, s20, s3
	s_mul_i32 s3, s3, s40
	s_delay_alu instid0(SALU_CYCLE_1) | instskip(NEXT) | instid1(SALU_CYCLE_1)
	s_sub_co_i32 s3, s20, s3
	s_sub_co_i32 s4, s3, s40
	s_cmp_ge_u32 s3, s40
	s_cselect_b32 s3, s4, s3
	s_delay_alu instid0(SALU_CYCLE_1) | instskip(SKIP_2) | instid1(SALU_CYCLE_1)
	s_sub_co_i32 s4, s3, s40
	s_cmp_ge_u32 s3, s40
	s_cselect_b32 s28, s4, s3
	s_mov_b64 s[22:23], s[28:29]
.LBB141_155:                            ;   in Loop: Header=BB141_31 Depth=1
	s_delay_alu instid0(SALU_CYCLE_1)
	s_sub_nc_u64 s[20:21], s[20:21], s[22:23]
	s_mov_b32 s22, 0
	s_mov_b32 s8, 0
	s_mov_b32 s23, exec_lo
                                        ; implicit-def: $vgpr8
	v_cmpx_gt_u64_e64 s[20:21], v[0:1]
	s_cbranch_execz .LBB141_166
; %bb.156:                              ;   in Loop: Header=BB141_31 Depth=1
	v_mov_b64_e32 v[6:7], v[0:1]
	v_mov_b32_e32 v8, v0
                                        ; implicit-def: $sgpr28
	s_branch .LBB141_159
.LBB141_157:                            ;   in Loop: Header=BB141_159 Depth=2
	s_or_b32 exec_lo, exec_lo, s7
	s_wait_dscnt 0x0
	s_barrier_signal -1
	s_barrier_wait -1
	ds_load_u16 v9, v3 offset:3072
	s_mov_b32 s4, -1
	s_mov_b32 s7, -1
	s_wait_dscnt 0x0
	s_barrier_signal -1
	s_barrier_wait -1
	v_and_b32_e32 v34, 0xff, v9
	s_delay_alu instid0(VALU_DEP_1)
	v_cmp_ne_u32_e32 vcc_lo, 0, v34
	s_cbranch_vccz .LBB141_162
.LBB141_158:                            ;   in Loop: Header=BB141_159 Depth=2
	s_and_b32 s3, exec_lo, s4
	s_delay_alu instid0(SALU_CYCLE_1) | instskip(SKIP_2) | instid1(SALU_CYCLE_1)
	s_or_b32 s8, s3, s8
	s_and_not1_b32 s3, s28, exec_lo
	s_and_b32 s4, s7, exec_lo
	s_or_b32 s28, s3, s4
	s_and_not1_b32 exec_lo, exec_lo, s8
	s_cbranch_execz .LBB141_165
.LBB141_159:                            ;   Parent Loop BB141_31 Depth=1
                                        ; =>  This Inner Loop Header: Depth=2
	s_mov_b32 s7, exec_lo
	s_delay_alu instid0(VALU_DEP_2)
	v_cmpx_gt_u64_e64 s[10:11], v[6:7]
	s_cbranch_execz .LBB141_157
; %bb.160:                              ;   in Loop: Header=BB141_159 Depth=2
	ds_load_u8 v9, v8
	s_wait_dscnt 0x0
	v_bfe_i32 v34, v9, 0, 8
	s_delay_alu instid0(VALU_DEP_1) | instskip(NEXT) | instid1(VALU_DEP_1)
	v_add_nc_u32_e32 v34, 0x80, v34
	v_and_b32_e32 v34, v34, v11
	s_delay_alu instid0(VALU_DEP_1)
	v_cmp_eq_u32_e32 vcc_lo, v34, v10
	s_and_b32 exec_lo, exec_lo, vcc_lo
	s_cbranch_execz .LBB141_157
; %bb.161:                              ;   in Loop: Header=BB141_159 Depth=2
	v_lshlrev_b16 v9, 8, v9
	s_delay_alu instid0(VALU_DEP_1)
	v_or_b32_e32 v9, 1, v9
	ds_store_b16 v3, v9 offset:3072
	s_branch .LBB141_157
.LBB141_162:                            ;   in Loop: Header=BB141_159 Depth=2
	v_add_nc_u64_e32 v[6:7], s[40:41], v[6:7]
	v_add_nc_u32_e32 v8, s40, v8
	s_mov_b32 s7, 0
	s_delay_alu instid0(VALU_DEP_2)
	v_cmp_le_u64_e32 vcc_lo, s[20:21], v[6:7]
	s_or_not1_b32 s4, vcc_lo, exec_lo
	s_branch .LBB141_158
.LBB141_163:                            ;   in Loop: Header=BB141_31 Depth=1
                                        ; implicit-def: $sgpr22_sgpr23
	s_branch .LBB141_108
.LBB141_164:                            ;   in Loop: Header=BB141_31 Depth=1
                                        ; implicit-def: $sgpr10_sgpr11
	s_branch .LBB141_125
.LBB141_165:                            ;   in Loop: Header=BB141_31 Depth=1
	s_or_b32 exec_lo, exec_lo, s8
	v_and_b32_e32 v6, 0xffff, v9
	s_and_b32 s8, s28, exec_lo
	s_delay_alu instid0(VALU_DEP_1)
	v_lshrrev_b32_e32 v8, 8, v6
.LBB141_166:                            ;   in Loop: Header=BB141_31 Depth=1
	s_or_b32 exec_lo, exec_lo, s23
.LBB141_167:                            ;   in Loop: Header=BB141_31 Depth=1
	s_delay_alu instid0(SALU_CYCLE_1)
	s_and_b32 vcc_lo, exec_lo, s22
	s_cbranch_vccz .LBB141_181
; %bb.168:                              ;   in Loop: Header=BB141_31 Depth=1
	s_and_b64 s[10:11], s[64:65], 0xffffffff00000000
	s_delay_alu instid0(SALU_CYCLE_1)
	s_cmp_lg_u64 s[10:11], 0
	s_cbranch_scc0 .LBB141_209
; %bb.169:                              ;   in Loop: Header=BB141_31 Depth=1
	s_cvt_f32_u32 s3, s40
	s_sub_nc_u64 s[20:21], 0, s[40:41]
	s_delay_alu instid0(SALU_CYCLE_2) | instskip(NEXT) | instid1(SALU_CYCLE_3)
	s_fmamk_f32 s3, s100, 0x0, s3
	v_s_rcp_f32 s3, s3
	s_delay_alu instid0(TRANS32_DEP_1) | instskip(NEXT) | instid1(SALU_CYCLE_3)
	s_mul_f32 s3, s3, 0x5f7ffffc
	s_mul_f32 s4, s3, 0x2f800000
	s_delay_alu instid0(SALU_CYCLE_3) | instskip(NEXT) | instid1(SALU_CYCLE_3)
	s_trunc_f32 s4, s4
	s_fmamk_f32 s3, s4, 0xcf800000, s3
	s_cvt_u32_f32 s11, s4
	s_delay_alu instid0(SALU_CYCLE_2) | instskip(NEXT) | instid1(SALU_CYCLE_3)
	s_cvt_u32_f32 s10, s3
	s_mul_u64 s[22:23], s[20:21], s[10:11]
	s_delay_alu instid0(SALU_CYCLE_1)
	s_mul_hi_u32 s49, s10, s23
	s_mul_i32 s48, s10, s23
	s_mul_hi_u32 s28, s10, s22
	s_mul_i32 s4, s11, s22
	s_add_nc_u64 s[48:49], s[28:29], s[48:49]
	s_mul_hi_u32 s3, s11, s22
	s_mul_hi_u32 s7, s11, s23
	s_add_co_u32 s4, s48, s4
	s_add_co_ci_u32 s28, s49, s3
	s_mul_i32 s22, s11, s23
	s_add_co_ci_u32 s23, s7, 0
	s_delay_alu instid0(SALU_CYCLE_1) | instskip(NEXT) | instid1(SALU_CYCLE_1)
	s_add_nc_u64 s[22:23], s[28:29], s[22:23]
	s_add_co_u32 s10, s10, s22
	s_cselect_b32 s3, -1, 0
	s_delay_alu instid0(SALU_CYCLE_1) | instskip(SKIP_1) | instid1(SALU_CYCLE_1)
	s_cmp_lg_u32 s3, 0
	s_add_co_ci_u32 s11, s11, s23
	s_mul_u64 s[20:21], s[20:21], s[10:11]
	s_delay_alu instid0(SALU_CYCLE_1)
	s_mul_hi_u32 s23, s10, s21
	s_mul_i32 s22, s10, s21
	s_mul_hi_u32 s28, s10, s20
	s_mul_i32 s4, s11, s20
	s_add_nc_u64 s[22:23], s[28:29], s[22:23]
	s_mul_hi_u32 s3, s11, s20
	s_mul_hi_u32 s7, s11, s21
	s_add_co_u32 s4, s22, s4
	s_add_co_ci_u32 s28, s23, s3
	s_mul_i32 s20, s11, s21
	s_add_co_ci_u32 s21, s7, 0
	s_delay_alu instid0(SALU_CYCLE_1) | instskip(NEXT) | instid1(SALU_CYCLE_1)
	s_add_nc_u64 s[20:21], s[28:29], s[20:21]
	s_add_co_u32 s3, s10, s20
	s_cselect_b32 s4, -1, 0
	s_mul_hi_u32 s28, s64, s3
	s_cmp_lg_u32 s4, 0
	s_mul_hi_u32 s4, s65, s3
	s_add_co_ci_u32 s7, s11, s21
	s_mul_i32 s3, s65, s3
	s_mul_hi_u32 s11, s64, s7
	s_mul_i32 s10, s64, s7
	s_mul_hi_u32 s21, s65, s7
	s_add_nc_u64 s[10:11], s[28:29], s[10:11]
	s_mul_i32 s20, s65, s7
	s_add_co_u32 s3, s10, s3
	s_add_co_ci_u32 s28, s11, s4
	s_add_co_ci_u32 s21, s21, 0
	s_delay_alu instid0(SALU_CYCLE_1) | instskip(NEXT) | instid1(SALU_CYCLE_1)
	s_add_nc_u64 s[10:11], s[28:29], s[20:21]
	s_and_b64 s[20:21], s[10:11], 0xffffffff00000000
	s_delay_alu instid0(SALU_CYCLE_1) | instskip(NEXT) | instid1(SALU_CYCLE_1)
	s_or_b32 s20, s20, s10
	s_mul_u64 s[10:11], s[40:41], s[20:21]
	s_delay_alu instid0(SALU_CYCLE_1) | instskip(SKIP_1) | instid1(SALU_CYCLE_1)
	s_sub_co_u32 s3, s64, s10
	s_cselect_b32 s4, -1, 0
	s_cmp_lg_u32 s4, 0
	s_sub_co_ci_u32 s4, s65, s11
	s_sub_co_u32 s7, s3, s40
	s_cselect_b32 s10, -1, 0
	s_delay_alu instid0(SALU_CYCLE_1) | instskip(SKIP_3) | instid1(SALU_CYCLE_1)
	s_cmp_lg_u32 s10, 0
	s_sub_co_ci_u32 s10, s4, 0
	s_sub_co_u32 s11, s7, s40
	s_cselect_b32 s20, -1, 0
	s_cmp_lg_u32 s20, 0
	s_sub_co_ci_u32 s20, s10, 0
	s_cmp_ge_u32 s7, s40
	s_cselect_b32 s21, -1, 0
	s_cmp_eq_u32 s10, 0
	s_cselect_b32 s21, s21, -1
	s_delay_alu instid0(SALU_CYCLE_1)
	s_cmp_lg_u32 s21, 0
	s_cselect_b32 s10, s20, s10
	s_cselect_b32 s7, s11, s7
	s_cmp_ge_u32 s3, s40
	s_cselect_b32 s11, -1, 0
	s_cmp_eq_u32 s4, 0
	s_cselect_b32 s11, s11, -1
	s_delay_alu instid0(SALU_CYCLE_1)
	s_cmp_lg_u32 s11, 0
	s_cselect_b32 s11, s10, s4
	s_cselect_b32 s10, s7, s3
	s_cbranch_execnz .LBB141_171
.LBB141_170:                            ;   in Loop: Header=BB141_31 Depth=1
	v_cvt_f32_u32_e32 v6, s40
	s_sub_co_i32 s4, 0, s40
	s_delay_alu instid0(VALU_DEP_1) | instskip(SKIP_1) | instid1(TRANS32_DEP_1)
	v_rcp_iflag_f32_e32 v6, v6
	v_nop
	v_mul_f32_e32 v6, 0x4f7ffffe, v6
	s_delay_alu instid0(VALU_DEP_1) | instskip(NEXT) | instid1(VALU_DEP_1)
	v_cvt_u32_f32_e32 v6, v6
	v_readfirstlane_b32 s3, v6
	s_mul_i32 s4, s4, s3
	s_delay_alu instid0(SALU_CYCLE_1) | instskip(NEXT) | instid1(SALU_CYCLE_1)
	s_mul_hi_u32 s4, s3, s4
	s_add_co_i32 s3, s3, s4
	s_delay_alu instid0(SALU_CYCLE_1) | instskip(NEXT) | instid1(SALU_CYCLE_1)
	s_mul_hi_u32 s3, s64, s3
	s_mul_i32 s3, s3, s40
	s_delay_alu instid0(SALU_CYCLE_1) | instskip(NEXT) | instid1(SALU_CYCLE_1)
	s_sub_co_i32 s3, s64, s3
	s_sub_co_i32 s4, s3, s40
	s_cmp_ge_u32 s3, s40
	s_cselect_b32 s3, s4, s3
	s_delay_alu instid0(SALU_CYCLE_1) | instskip(SKIP_2) | instid1(SALU_CYCLE_1)
	s_sub_co_i32 s4, s3, s40
	s_cmp_ge_u32 s3, s40
	s_cselect_b32 s28, s4, s3
	s_mov_b64 s[10:11], s[28:29]
.LBB141_171:                            ;   in Loop: Header=BB141_31 Depth=1
	s_delay_alu instid0(SALU_CYCLE_1)
	s_sub_nc_u64 s[10:11], s[64:65], s[10:11]
	s_mov_b32 s20, exec_lo
                                        ; implicit-def: $vgpr8
	v_cmpx_gt_u64_e64 s[10:11], v[0:1]
	s_cbranch_execz .LBB141_180
; %bb.172:                              ;   in Loop: Header=BB141_31 Depth=1
	v_mov_b64_e32 v[6:7], v[30:31]
	v_mov_b64_e32 v[8:9], v[0:1]
	s_mov_b32 s21, 0
                                        ; implicit-def: $sgpr22
	s_branch .LBB141_175
.LBB141_173:                            ;   in Loop: Header=BB141_175 Depth=2
	s_or_b32 exec_lo, exec_lo, s7
	s_wait_dscnt 0x0
	s_barrier_signal -1
	s_barrier_wait -1
	ds_load_u16 v34, v3 offset:3072
	s_mov_b32 s4, -1
	s_mov_b32 s7, -1
	s_wait_dscnt 0x0
	s_barrier_signal -1
	s_barrier_wait -1
	v_and_b32_e32 v35, 0xff, v34
	s_delay_alu instid0(VALU_DEP_1)
	v_cmp_eq_u32_e32 vcc_lo, 0, v35
	s_cbranch_vccnz .LBB141_178
.LBB141_174:                            ;   in Loop: Header=BB141_175 Depth=2
	s_and_b32 s3, exec_lo, s4
	s_delay_alu instid0(SALU_CYCLE_1) | instskip(SKIP_2) | instid1(SALU_CYCLE_1)
	s_or_b32 s21, s3, s21
	s_and_not1_b32 s3, s22, exec_lo
	s_and_b32 s4, s7, exec_lo
	s_or_b32 s22, s3, s4
	s_and_not1_b32 exec_lo, exec_lo, s21
	s_cbranch_execz .LBB141_179
.LBB141_175:                            ;   Parent Loop BB141_31 Depth=1
                                        ; =>  This Inner Loop Header: Depth=2
	s_mov_b32 s7, exec_lo
	s_delay_alu instid0(VALU_DEP_1)
	v_cmpx_gt_u64_e64 s[36:37], v[8:9]
	s_cbranch_execz .LBB141_173
; %bb.176:                              ;   in Loop: Header=BB141_175 Depth=2
	global_load_u8 v34, v[6:7], off
	s_wait_loadcnt 0x0
	v_bfe_i32 v35, v34, 0, 8
	s_delay_alu instid0(VALU_DEP_1) | instskip(NEXT) | instid1(VALU_DEP_1)
	v_add_nc_u32_e32 v35, 0x80, v35
	v_and_b32_e32 v35, v35, v11
	s_delay_alu instid0(VALU_DEP_1)
	v_cmp_eq_u32_e32 vcc_lo, v35, v10
	s_and_b32 exec_lo, exec_lo, vcc_lo
	s_cbranch_execz .LBB141_173
; %bb.177:                              ;   in Loop: Header=BB141_175 Depth=2
	v_lshlrev_b16 v34, 8, v34
	s_delay_alu instid0(VALU_DEP_1)
	v_or_b32_e32 v34, 1, v34
	ds_store_b16 v3, v34 offset:3072
	s_branch .LBB141_173
.LBB141_178:                            ;   in Loop: Header=BB141_175 Depth=2
	v_add_nc_u64_e32 v[8:9], s[40:41], v[8:9]
	v_add_nc_u64_e32 v[6:7], s[44:45], v[6:7]
	s_mov_b32 s7, 0
	s_delay_alu instid0(VALU_DEP_2)
	v_cmp_le_u64_e32 vcc_lo, s[10:11], v[8:9]
	s_or_not1_b32 s4, vcc_lo, exec_lo
	s_branch .LBB141_174
.LBB141_179:                            ;   in Loop: Header=BB141_31 Depth=1
	s_or_b32 exec_lo, exec_lo, s21
	v_and_b32_e32 v6, 0xffff, v34
	s_and_not1_b32 s3, s8, exec_lo
	s_and_b32 s4, s22, exec_lo
	s_delay_alu instid0(SALU_CYCLE_1) | instskip(NEXT) | instid1(VALU_DEP_1)
	s_or_b32 s8, s3, s4
	v_lshrrev_b32_e32 v8, 8, v6
.LBB141_180:                            ;   in Loop: Header=BB141_31 Depth=1
	s_or_b32 exec_lo, exec_lo, s20
	s_mov_b32 s59, 0
	s_mov_b32 s76, -1
.LBB141_181:                            ;   in Loop: Header=BB141_31 Depth=1
	s_or_not1_b32 s7, s8, exec_lo
.LBB141_182:                            ;   in Loop: Header=BB141_31 Depth=1
	s_or_b32 exec_lo, exec_lo, s77
	s_mov_b32 s8, 0
	s_and_saveexec_b32 s77, s7
	s_cbranch_execz .LBB141_291
; %bb.183:                              ;   in Loop: Header=BB141_31 Depth=1
	v_mov_b64_e32 v[6:7], 1
	v_mov_b32_e32 v2, 1
	s_xor_b32 s3, s78, -1
	s_mov_b32 s10, 0
	s_and_saveexec_b32 s8, s3
	s_cbranch_execz .LBB141_192
; %bb.184:                              ;   in Loop: Header=BB141_31 Depth=1
	s_mov_b32 s3, exec_lo
	v_cmpx_ge_u64_e64 s[14:15], v[4:5]
	s_xor_b32 s7, exec_lo, s3
	s_cbranch_execz .LBB141_189
; %bb.185:                              ;   in Loop: Header=BB141_31 Depth=1
	ds_load_b64 v[6:7], v3 offset:5120
	s_lshl_b32 s3, 1, s99
	v_or_b32_e32 v11, s24, v11
	v_and_or_b32 v10, v10, s25, s3
	s_wait_dscnt 0x0
	v_cmp_ne_u64_e32 vcc_lo, 0, v[6:7]
	s_cbranch_vccnz .LBB141_189
; %bb.186:                              ;   in Loop: Header=BB141_31 Depth=1
	s_and_saveexec_b32 s4, s5
; %bb.187:                              ;   in Loop: Header=BB141_31 Depth=1
	v_mov_b64_e32 v[6:7], s[14:15]
	ds_store_b64 v3, v[6:7] offset:5128
; %bb.188:                              ;   in Loop: Header=BB141_31 Depth=1
	s_or_b32 exec_lo, exec_lo, s4
	s_wait_dscnt 0x0
	s_barrier_signal -1
	s_barrier_wait -1
.LBB141_189:                            ;   in Loop: Header=BB141_31 Depth=1
	s_or_saveexec_b32 s7, s7
	v_mov_b32_e32 v2, 8
	s_xor_b32 exec_lo, exec_lo, s7
; %bb.190:                              ;   in Loop: Header=BB141_31 Depth=1
	v_sub_nc_u64_e64 v[4:5], v[4:5], s[14:15]
	v_mov_b32_e32 v2, 0
	s_mov_b32 s10, exec_lo
; %bb.191:                              ;   in Loop: Header=BB141_31 Depth=1
	s_or_b32 exec_lo, exec_lo, s7
	s_delay_alu instid0(VALU_DEP_2)
	v_mov_b64_e32 v[6:7], v[4:5]
	s_and_b32 s10, s10, exec_lo
.LBB141_192:                            ;   in Loop: Header=BB141_31 Depth=1
	s_or_b32 exec_lo, exec_lo, s8
	s_mov_b32 s7, -1
                                        ; implicit-def: $sgpr79
                                        ; implicit-def: $sgpr80
	s_and_saveexec_b32 s78, s10
	s_cbranch_execz .LBB141_290
; %bb.193:                              ;   in Loop: Header=BB141_31 Depth=1
	s_delay_alu instid0(VALU_DEP_1) | instskip(SKIP_2) | instid1(SALU_CYCLE_1)
	v_cmp_eq_u64_e32 vcc_lo, 1, v[6:7]
	s_cmp_eq_u64 s[16:17], 1
                                        ; implicit-def: $sgpr80
                                        ; implicit-def: $sgpr79
	s_cselect_b32 s3, -1, 0
	s_and_b32 s82, s3, vcc_lo
	s_delay_alu instid0(SALU_CYCLE_1)
	s_and_saveexec_b32 s81, s82
	s_cbranch_execz .LBB141_227
; %bb.194:                              ;   in Loop: Header=BB141_31 Depth=1
	ds_load_b64 v[4:5], v3 offset:5120
	s_wait_dscnt 0x0
	s_barrier_signal -1
	s_barrier_wait -1
	v_readfirstlane_b32 s10, v4
	v_readfirstlane_b32 s11, v5
	s_and_saveexec_b32 s4, s6
; %bb.195:                              ;   in Loop: Header=BB141_31 Depth=1
	ds_store_b8 v0, v3 offset:3072
; %bb.196:                              ;   in Loop: Header=BB141_31 Depth=1
	s_or_b32 exec_lo, exec_lo, s4
	s_lshl_b32 s3, 2, s99
	v_or_b32_e32 v11, s24, v11
	v_and_or_b32 v10, v10, s25, s3
	s_mov_b32 s79, -1
	s_mov_b32 s80, 0
	s_cmp_eq_u64 s[10:11], 0
	s_mov_b32 s8, 0
	s_mov_b32 s22, -1
	s_wait_dscnt 0x0
	s_barrier_signal -1
	s_barrier_wait -1
                                        ; implicit-def: $vgpr8
	s_cbranch_scc1 .LBB141_212
; %bb.197:                              ;   in Loop: Header=BB141_31 Depth=1
	s_add_nc_u64 s[20:21], s[10:11], s[62:63]
	s_delay_alu instid0(SALU_CYCLE_1) | instskip(NEXT) | instid1(SALU_CYCLE_1)
	s_and_b64 s[22:23], s[20:21], 0xffffffff00000000
	s_cmp_lg_u64 s[22:23], 0
	s_cbranch_scc0 .LBB141_244
; %bb.198:                              ;   in Loop: Header=BB141_31 Depth=1
	s_cvt_f32_u32 s3, s40
	s_sub_nc_u64 s[48:49], 0, s[40:41]
	s_delay_alu instid0(SALU_CYCLE_2) | instskip(NEXT) | instid1(SALU_CYCLE_3)
	s_fmamk_f32 s3, s100, 0x0, s3
	v_s_rcp_f32 s3, s3
	s_delay_alu instid0(TRANS32_DEP_1) | instskip(NEXT) | instid1(SALU_CYCLE_3)
	s_mul_f32 s3, s3, 0x5f7ffffc
	s_mul_f32 s4, s3, 0x2f800000
	s_delay_alu instid0(SALU_CYCLE_3) | instskip(NEXT) | instid1(SALU_CYCLE_3)
	s_trunc_f32 s4, s4
	s_fmamk_f32 s3, s4, 0xcf800000, s3
	s_cvt_u32_f32 s23, s4
	s_delay_alu instid0(SALU_CYCLE_2) | instskip(NEXT) | instid1(SALU_CYCLE_3)
	s_cvt_u32_f32 s22, s3
	s_mul_u64 s[84:85], s[48:49], s[22:23]
	s_delay_alu instid0(SALU_CYCLE_1)
	s_mul_hi_u32 s67, s22, s85
	s_mul_i32 s66, s22, s85
	s_mul_hi_u32 s28, s22, s84
	s_mul_i32 s4, s23, s84
	s_add_nc_u64 s[66:67], s[28:29], s[66:67]
	s_mul_hi_u32 s3, s23, s84
	s_mul_hi_u32 s7, s23, s85
	s_add_co_u32 s4, s66, s4
	s_add_co_ci_u32 s28, s67, s3
	s_mul_i32 s84, s23, s85
	s_add_co_ci_u32 s85, s7, 0
	s_delay_alu instid0(SALU_CYCLE_1) | instskip(NEXT) | instid1(SALU_CYCLE_1)
	s_add_nc_u64 s[66:67], s[28:29], s[84:85]
	s_add_co_u32 s22, s22, s66
	s_cselect_b32 s3, -1, 0
	s_delay_alu instid0(SALU_CYCLE_1) | instskip(SKIP_1) | instid1(SALU_CYCLE_1)
	s_cmp_lg_u32 s3, 0
	s_add_co_ci_u32 s23, s23, s67
	s_mul_u64 s[48:49], s[48:49], s[22:23]
	s_delay_alu instid0(SALU_CYCLE_1)
	s_mul_hi_u32 s67, s22, s49
	s_mul_i32 s66, s22, s49
	s_mul_hi_u32 s28, s22, s48
	s_mul_i32 s4, s23, s48
	s_add_nc_u64 s[66:67], s[28:29], s[66:67]
	s_mul_hi_u32 s3, s23, s48
	s_mul_hi_u32 s7, s23, s49
	s_add_co_u32 s4, s66, s4
	s_add_co_ci_u32 s28, s67, s3
	s_mul_i32 s48, s23, s49
	s_add_co_ci_u32 s49, s7, 0
	s_delay_alu instid0(SALU_CYCLE_1) | instskip(NEXT) | instid1(SALU_CYCLE_1)
	s_add_nc_u64 s[48:49], s[28:29], s[48:49]
	s_add_co_u32 s3, s22, s48
	s_cselect_b32 s4, -1, 0
	s_mul_hi_u32 s28, s20, s3
	s_cmp_lg_u32 s4, 0
	s_mul_hi_u32 s4, s21, s3
	s_add_co_ci_u32 s7, s23, s49
	s_mul_i32 s3, s21, s3
	s_mul_hi_u32 s23, s20, s7
	s_mul_i32 s22, s20, s7
	s_mul_hi_u32 s8, s21, s7
	s_add_nc_u64 s[22:23], s[28:29], s[22:23]
	s_mul_i32 s48, s21, s7
	s_add_co_u32 s3, s22, s3
	s_add_co_ci_u32 s28, s23, s4
	s_add_co_ci_u32 s49, s8, 0
	s_delay_alu instid0(SALU_CYCLE_1) | instskip(NEXT) | instid1(SALU_CYCLE_1)
	s_add_nc_u64 s[22:23], s[28:29], s[48:49]
	s_and_b64 s[48:49], s[22:23], 0xffffffff00000000
	s_delay_alu instid0(SALU_CYCLE_1) | instskip(NEXT) | instid1(SALU_CYCLE_1)
	s_or_b32 s48, s48, s22
	s_mul_u64 s[22:23], s[40:41], s[48:49]
	s_delay_alu instid0(SALU_CYCLE_1) | instskip(SKIP_1) | instid1(SALU_CYCLE_1)
	s_sub_co_u32 s3, s20, s22
	s_cselect_b32 s4, -1, 0
	s_cmp_lg_u32 s4, 0
	s_sub_co_ci_u32 s4, s21, s23
	s_sub_co_u32 s7, s3, s40
	s_cselect_b32 s8, -1, 0
	s_delay_alu instid0(SALU_CYCLE_1) | instskip(SKIP_3) | instid1(SALU_CYCLE_1)
	s_cmp_lg_u32 s8, 0
	s_sub_co_ci_u32 s8, s4, 0
	s_sub_co_u32 s22, s7, s40
	s_cselect_b32 s23, -1, 0
	s_cmp_lg_u32 s23, 0
	s_sub_co_ci_u32 s23, s8, 0
	s_cmp_ge_u32 s7, s40
	s_cselect_b32 s28, -1, 0
	s_cmp_eq_u32 s8, 0
	s_cselect_b32 s28, s28, -1
	s_delay_alu instid0(SALU_CYCLE_1)
	s_cmp_lg_u32 s28, 0
	s_cselect_b32 s8, s23, s8
	s_cselect_b32 s7, s22, s7
	s_cmp_ge_u32 s3, s40
	s_cselect_b32 s22, -1, 0
	s_cmp_eq_u32 s4, 0
	s_cselect_b32 s22, s22, -1
	s_delay_alu instid0(SALU_CYCLE_1)
	s_cmp_lg_u32 s22, 0
	s_cselect_b32 s23, s8, s4
	s_cselect_b32 s22, s7, s3
	s_cbranch_execnz .LBB141_200
.LBB141_199:                            ;   in Loop: Header=BB141_31 Depth=1
	v_cvt_f32_u32_e32 v4, s40
	s_sub_co_i32 s4, 0, s40
	s_delay_alu instid0(VALU_DEP_1) | instskip(SKIP_1) | instid1(TRANS32_DEP_1)
	v_rcp_iflag_f32_e32 v4, v4
	v_nop
	v_mul_f32_e32 v4, 0x4f7ffffe, v4
	s_delay_alu instid0(VALU_DEP_1) | instskip(NEXT) | instid1(VALU_DEP_1)
	v_cvt_u32_f32_e32 v4, v4
	v_readfirstlane_b32 s3, v4
	s_mul_i32 s4, s4, s3
	s_delay_alu instid0(SALU_CYCLE_1) | instskip(NEXT) | instid1(SALU_CYCLE_1)
	s_mul_hi_u32 s4, s3, s4
	s_add_co_i32 s3, s3, s4
	s_delay_alu instid0(SALU_CYCLE_1) | instskip(NEXT) | instid1(SALU_CYCLE_1)
	s_mul_hi_u32 s3, s20, s3
	s_mul_i32 s3, s3, s40
	s_delay_alu instid0(SALU_CYCLE_1) | instskip(NEXT) | instid1(SALU_CYCLE_1)
	s_sub_co_i32 s3, s20, s3
	s_sub_co_i32 s4, s3, s40
	s_cmp_ge_u32 s3, s40
	s_cselect_b32 s3, s4, s3
	s_delay_alu instid0(SALU_CYCLE_1) | instskip(SKIP_2) | instid1(SALU_CYCLE_1)
	s_sub_co_i32 s4, s3, s40
	s_cmp_ge_u32 s3, s40
	s_cselect_b32 s28, s4, s3
	s_mov_b64 s[22:23], s[28:29]
.LBB141_200:                            ;   in Loop: Header=BB141_31 Depth=1
	s_delay_alu instid0(SALU_CYCLE_1)
	s_sub_nc_u64 s[20:21], s[20:21], s[22:23]
	s_mov_b32 s22, 0
	s_mov_b32 s8, 0
	s_mov_b32 s23, exec_lo
                                        ; implicit-def: $vgpr8
	v_cmpx_gt_u64_e64 s[20:21], v[0:1]
	s_cbranch_execz .LBB141_211
; %bb.201:                              ;   in Loop: Header=BB141_31 Depth=1
	v_mov_b64_e32 v[4:5], v[0:1]
	v_mov_b32_e32 v8, v0
                                        ; implicit-def: $sgpr28
	s_branch .LBB141_204
.LBB141_202:                            ;   in Loop: Header=BB141_204 Depth=2
	s_or_b32 exec_lo, exec_lo, s7
	s_wait_dscnt 0x0
	s_barrier_signal -1
	s_barrier_wait -1
	ds_load_u16 v9, v3 offset:3072
	s_mov_b32 s4, -1
	s_mov_b32 s7, -1
	s_wait_dscnt 0x0
	s_barrier_signal -1
	s_barrier_wait -1
	v_and_b32_e32 v34, 0xff, v9
	s_delay_alu instid0(VALU_DEP_1)
	v_cmp_ne_u32_e32 vcc_lo, 0, v34
	s_cbranch_vccz .LBB141_207
.LBB141_203:                            ;   in Loop: Header=BB141_204 Depth=2
	s_and_b32 s3, exec_lo, s4
	s_delay_alu instid0(SALU_CYCLE_1) | instskip(SKIP_2) | instid1(SALU_CYCLE_1)
	s_or_b32 s8, s3, s8
	s_and_not1_b32 s3, s28, exec_lo
	s_and_b32 s4, s7, exec_lo
	s_or_b32 s28, s3, s4
	s_and_not1_b32 exec_lo, exec_lo, s8
	s_cbranch_execz .LBB141_210
.LBB141_204:                            ;   Parent Loop BB141_31 Depth=1
                                        ; =>  This Inner Loop Header: Depth=2
	s_mov_b32 s7, exec_lo
	s_delay_alu instid0(VALU_DEP_2)
	v_cmpx_gt_u64_e64 s[10:11], v[4:5]
	s_cbranch_execz .LBB141_202
; %bb.205:                              ;   in Loop: Header=BB141_204 Depth=2
	ds_load_u8 v9, v8
	s_wait_dscnt 0x0
	v_bfe_i32 v34, v9, 0, 8
	s_delay_alu instid0(VALU_DEP_1) | instskip(NEXT) | instid1(VALU_DEP_1)
	v_add_nc_u32_e32 v34, 0x80, v34
	v_and_b32_e32 v34, v34, v11
	s_delay_alu instid0(VALU_DEP_1)
	v_cmp_eq_u32_e32 vcc_lo, v34, v10
	s_and_b32 exec_lo, exec_lo, vcc_lo
	s_cbranch_execz .LBB141_202
; %bb.206:                              ;   in Loop: Header=BB141_204 Depth=2
	v_lshlrev_b16 v9, 8, v9
	s_delay_alu instid0(VALU_DEP_1)
	v_or_b32_e32 v9, 1, v9
	ds_store_b16 v3, v9 offset:3072
	s_branch .LBB141_202
.LBB141_207:                            ;   in Loop: Header=BB141_204 Depth=2
	v_add_nc_u64_e32 v[4:5], s[40:41], v[4:5]
	v_add_nc_u32_e32 v8, s40, v8
	s_mov_b32 s7, 0
	s_delay_alu instid0(VALU_DEP_2)
	v_cmp_le_u64_e32 vcc_lo, s[20:21], v[4:5]
	s_or_not1_b32 s4, vcc_lo, exec_lo
	s_branch .LBB141_203
.LBB141_208:                            ;   in Loop: Header=BB141_31 Depth=1
                                        ; implicit-def: $sgpr22_sgpr23
	s_branch .LBB141_154
.LBB141_209:                            ;   in Loop: Header=BB141_31 Depth=1
                                        ; implicit-def: $sgpr10_sgpr11
	s_branch .LBB141_170
.LBB141_210:                            ;   in Loop: Header=BB141_31 Depth=1
	s_or_b32 exec_lo, exec_lo, s8
	v_and_b32_e32 v4, 0xffff, v9
	s_and_b32 s8, s28, exec_lo
	s_delay_alu instid0(VALU_DEP_1)
	v_lshrrev_b32_e32 v8, 8, v4
.LBB141_211:                            ;   in Loop: Header=BB141_31 Depth=1
	s_or_b32 exec_lo, exec_lo, s23
.LBB141_212:                            ;   in Loop: Header=BB141_31 Depth=1
	s_delay_alu instid0(SALU_CYCLE_1)
	s_and_b32 vcc_lo, exec_lo, s22
	s_cbranch_vccz .LBB141_226
; %bb.213:                              ;   in Loop: Header=BB141_31 Depth=1
	s_and_b64 s[10:11], s[64:65], 0xffffffff00000000
	s_delay_alu instid0(SALU_CYCLE_1)
	s_cmp_lg_u64 s[10:11], 0
	s_cbranch_scc0 .LBB141_245
; %bb.214:                              ;   in Loop: Header=BB141_31 Depth=1
	s_cvt_f32_u32 s3, s40
	s_sub_nc_u64 s[20:21], 0, s[40:41]
	s_delay_alu instid0(SALU_CYCLE_2) | instskip(NEXT) | instid1(SALU_CYCLE_3)
	s_fmamk_f32 s3, s100, 0x0, s3
	v_s_rcp_f32 s3, s3
	s_delay_alu instid0(TRANS32_DEP_1) | instskip(NEXT) | instid1(SALU_CYCLE_3)
	s_mul_f32 s3, s3, 0x5f7ffffc
	s_mul_f32 s4, s3, 0x2f800000
	s_delay_alu instid0(SALU_CYCLE_3) | instskip(NEXT) | instid1(SALU_CYCLE_3)
	s_trunc_f32 s4, s4
	s_fmamk_f32 s3, s4, 0xcf800000, s3
	s_cvt_u32_f32 s11, s4
	s_delay_alu instid0(SALU_CYCLE_2) | instskip(NEXT) | instid1(SALU_CYCLE_3)
	s_cvt_u32_f32 s10, s3
	s_mul_u64 s[22:23], s[20:21], s[10:11]
	s_delay_alu instid0(SALU_CYCLE_1)
	s_mul_hi_u32 s49, s10, s23
	s_mul_i32 s48, s10, s23
	s_mul_hi_u32 s28, s10, s22
	s_mul_i32 s4, s11, s22
	s_add_nc_u64 s[48:49], s[28:29], s[48:49]
	s_mul_hi_u32 s3, s11, s22
	s_mul_hi_u32 s7, s11, s23
	s_add_co_u32 s4, s48, s4
	s_add_co_ci_u32 s28, s49, s3
	s_mul_i32 s22, s11, s23
	s_add_co_ci_u32 s23, s7, 0
	s_delay_alu instid0(SALU_CYCLE_1) | instskip(NEXT) | instid1(SALU_CYCLE_1)
	s_add_nc_u64 s[22:23], s[28:29], s[22:23]
	s_add_co_u32 s10, s10, s22
	s_cselect_b32 s3, -1, 0
	s_delay_alu instid0(SALU_CYCLE_1) | instskip(SKIP_1) | instid1(SALU_CYCLE_1)
	s_cmp_lg_u32 s3, 0
	s_add_co_ci_u32 s11, s11, s23
	s_mul_u64 s[20:21], s[20:21], s[10:11]
	s_delay_alu instid0(SALU_CYCLE_1)
	s_mul_hi_u32 s23, s10, s21
	s_mul_i32 s22, s10, s21
	s_mul_hi_u32 s28, s10, s20
	s_mul_i32 s4, s11, s20
	s_add_nc_u64 s[22:23], s[28:29], s[22:23]
	s_mul_hi_u32 s3, s11, s20
	s_mul_hi_u32 s7, s11, s21
	s_add_co_u32 s4, s22, s4
	s_add_co_ci_u32 s28, s23, s3
	s_mul_i32 s20, s11, s21
	s_add_co_ci_u32 s21, s7, 0
	s_delay_alu instid0(SALU_CYCLE_1) | instskip(NEXT) | instid1(SALU_CYCLE_1)
	s_add_nc_u64 s[20:21], s[28:29], s[20:21]
	s_add_co_u32 s3, s10, s20
	s_cselect_b32 s4, -1, 0
	s_mul_hi_u32 s28, s64, s3
	s_cmp_lg_u32 s4, 0
	s_mul_hi_u32 s4, s65, s3
	s_add_co_ci_u32 s7, s11, s21
	s_mul_i32 s3, s65, s3
	s_mul_hi_u32 s11, s64, s7
	s_mul_i32 s10, s64, s7
	s_mul_hi_u32 s21, s65, s7
	s_add_nc_u64 s[10:11], s[28:29], s[10:11]
	s_mul_i32 s20, s65, s7
	s_add_co_u32 s3, s10, s3
	s_add_co_ci_u32 s28, s11, s4
	s_add_co_ci_u32 s21, s21, 0
	s_delay_alu instid0(SALU_CYCLE_1) | instskip(NEXT) | instid1(SALU_CYCLE_1)
	s_add_nc_u64 s[10:11], s[28:29], s[20:21]
	s_and_b64 s[20:21], s[10:11], 0xffffffff00000000
	s_delay_alu instid0(SALU_CYCLE_1) | instskip(NEXT) | instid1(SALU_CYCLE_1)
	s_or_b32 s20, s20, s10
	s_mul_u64 s[10:11], s[40:41], s[20:21]
	s_delay_alu instid0(SALU_CYCLE_1) | instskip(SKIP_1) | instid1(SALU_CYCLE_1)
	s_sub_co_u32 s3, s64, s10
	s_cselect_b32 s4, -1, 0
	s_cmp_lg_u32 s4, 0
	s_sub_co_ci_u32 s4, s65, s11
	s_sub_co_u32 s7, s3, s40
	s_cselect_b32 s10, -1, 0
	s_delay_alu instid0(SALU_CYCLE_1) | instskip(SKIP_3) | instid1(SALU_CYCLE_1)
	s_cmp_lg_u32 s10, 0
	s_sub_co_ci_u32 s10, s4, 0
	s_sub_co_u32 s11, s7, s40
	s_cselect_b32 s20, -1, 0
	s_cmp_lg_u32 s20, 0
	s_sub_co_ci_u32 s20, s10, 0
	s_cmp_ge_u32 s7, s40
	s_cselect_b32 s21, -1, 0
	s_cmp_eq_u32 s10, 0
	s_cselect_b32 s21, s21, -1
	s_delay_alu instid0(SALU_CYCLE_1)
	s_cmp_lg_u32 s21, 0
	s_cselect_b32 s10, s20, s10
	s_cselect_b32 s7, s11, s7
	s_cmp_ge_u32 s3, s40
	s_cselect_b32 s11, -1, 0
	s_cmp_eq_u32 s4, 0
	s_cselect_b32 s11, s11, -1
	s_delay_alu instid0(SALU_CYCLE_1)
	s_cmp_lg_u32 s11, 0
	s_cselect_b32 s11, s10, s4
	s_cselect_b32 s10, s7, s3
	s_cbranch_execnz .LBB141_216
.LBB141_215:                            ;   in Loop: Header=BB141_31 Depth=1
	v_cvt_f32_u32_e32 v4, s40
	s_sub_co_i32 s4, 0, s40
	s_delay_alu instid0(VALU_DEP_1) | instskip(SKIP_1) | instid1(TRANS32_DEP_1)
	v_rcp_iflag_f32_e32 v4, v4
	v_nop
	v_mul_f32_e32 v4, 0x4f7ffffe, v4
	s_delay_alu instid0(VALU_DEP_1) | instskip(NEXT) | instid1(VALU_DEP_1)
	v_cvt_u32_f32_e32 v4, v4
	v_readfirstlane_b32 s3, v4
	s_mul_i32 s4, s4, s3
	s_delay_alu instid0(SALU_CYCLE_1) | instskip(NEXT) | instid1(SALU_CYCLE_1)
	s_mul_hi_u32 s4, s3, s4
	s_add_co_i32 s3, s3, s4
	s_delay_alu instid0(SALU_CYCLE_1) | instskip(NEXT) | instid1(SALU_CYCLE_1)
	s_mul_hi_u32 s3, s64, s3
	s_mul_i32 s3, s3, s40
	s_delay_alu instid0(SALU_CYCLE_1) | instskip(NEXT) | instid1(SALU_CYCLE_1)
	s_sub_co_i32 s3, s64, s3
	s_sub_co_i32 s4, s3, s40
	s_cmp_ge_u32 s3, s40
	s_cselect_b32 s3, s4, s3
	s_delay_alu instid0(SALU_CYCLE_1) | instskip(SKIP_2) | instid1(SALU_CYCLE_1)
	s_sub_co_i32 s4, s3, s40
	s_cmp_ge_u32 s3, s40
	s_cselect_b32 s28, s4, s3
	s_mov_b64 s[10:11], s[28:29]
.LBB141_216:                            ;   in Loop: Header=BB141_31 Depth=1
	s_delay_alu instid0(SALU_CYCLE_1)
	s_sub_nc_u64 s[10:11], s[64:65], s[10:11]
	s_mov_b32 s20, exec_lo
                                        ; implicit-def: $vgpr8
	v_cmpx_gt_u64_e64 s[10:11], v[0:1]
	s_cbranch_execz .LBB141_225
; %bb.217:                              ;   in Loop: Header=BB141_31 Depth=1
	v_mov_b64_e32 v[4:5], v[30:31]
	v_mov_b64_e32 v[8:9], v[0:1]
	s_mov_b32 s21, 0
                                        ; implicit-def: $sgpr22
	s_branch .LBB141_220
.LBB141_218:                            ;   in Loop: Header=BB141_220 Depth=2
	s_or_b32 exec_lo, exec_lo, s7
	s_wait_dscnt 0x0
	s_barrier_signal -1
	s_barrier_wait -1
	ds_load_u16 v34, v3 offset:3072
	s_mov_b32 s4, -1
	s_mov_b32 s7, -1
	s_wait_dscnt 0x0
	s_barrier_signal -1
	s_barrier_wait -1
	v_and_b32_e32 v35, 0xff, v34
	s_delay_alu instid0(VALU_DEP_1)
	v_cmp_eq_u32_e32 vcc_lo, 0, v35
	s_cbranch_vccnz .LBB141_223
.LBB141_219:                            ;   in Loop: Header=BB141_220 Depth=2
	s_and_b32 s3, exec_lo, s4
	s_delay_alu instid0(SALU_CYCLE_1) | instskip(SKIP_2) | instid1(SALU_CYCLE_1)
	s_or_b32 s21, s3, s21
	s_and_not1_b32 s3, s22, exec_lo
	s_and_b32 s4, s7, exec_lo
	s_or_b32 s22, s3, s4
	s_and_not1_b32 exec_lo, exec_lo, s21
	s_cbranch_execz .LBB141_224
.LBB141_220:                            ;   Parent Loop BB141_31 Depth=1
                                        ; =>  This Inner Loop Header: Depth=2
	s_mov_b32 s7, exec_lo
	s_delay_alu instid0(VALU_DEP_1)
	v_cmpx_gt_u64_e64 s[36:37], v[8:9]
	s_cbranch_execz .LBB141_218
; %bb.221:                              ;   in Loop: Header=BB141_220 Depth=2
	global_load_u8 v34, v[4:5], off
	s_wait_loadcnt 0x0
	v_bfe_i32 v35, v34, 0, 8
	s_delay_alu instid0(VALU_DEP_1) | instskip(NEXT) | instid1(VALU_DEP_1)
	v_add_nc_u32_e32 v35, 0x80, v35
	v_and_b32_e32 v35, v35, v11
	s_delay_alu instid0(VALU_DEP_1)
	v_cmp_eq_u32_e32 vcc_lo, v35, v10
	s_and_b32 exec_lo, exec_lo, vcc_lo
	s_cbranch_execz .LBB141_218
; %bb.222:                              ;   in Loop: Header=BB141_220 Depth=2
	v_lshlrev_b16 v34, 8, v34
	s_delay_alu instid0(VALU_DEP_1)
	v_or_b32_e32 v34, 1, v34
	ds_store_b16 v3, v34 offset:3072
	s_branch .LBB141_218
.LBB141_223:                            ;   in Loop: Header=BB141_220 Depth=2
	v_add_nc_u64_e32 v[8:9], s[40:41], v[8:9]
	v_add_nc_u64_e32 v[4:5], s[44:45], v[4:5]
	s_mov_b32 s7, 0
	s_delay_alu instid0(VALU_DEP_2)
	v_cmp_le_u64_e32 vcc_lo, s[10:11], v[8:9]
	s_or_not1_b32 s4, vcc_lo, exec_lo
	s_branch .LBB141_219
.LBB141_224:                            ;   in Loop: Header=BB141_31 Depth=1
	s_or_b32 exec_lo, exec_lo, s21
	v_and_b32_e32 v4, 0xffff, v34
	s_and_not1_b32 s3, s8, exec_lo
	s_and_b32 s4, s22, exec_lo
	s_delay_alu instid0(SALU_CYCLE_1) | instskip(NEXT) | instid1(VALU_DEP_1)
	s_or_b32 s8, s3, s4
	v_lshrrev_b32_e32 v8, 8, v4
.LBB141_225:                            ;   in Loop: Header=BB141_31 Depth=1
	s_or_b32 exec_lo, exec_lo, s20
	s_mov_b32 s79, 0
	s_mov_b32 s80, -1
.LBB141_226:                            ;   in Loop: Header=BB141_31 Depth=1
	s_or_not1_b32 s7, s8, exec_lo
.LBB141_227:                            ;   in Loop: Header=BB141_31 Depth=1
	s_or_b32 exec_lo, exec_lo, s81
	s_mov_b32 s8, 0
	s_and_saveexec_b32 s81, s7
	s_cbranch_execz .LBB141_289
; %bb.228:                              ;   in Loop: Header=BB141_31 Depth=1
	v_mov_b64_e32 v[4:5], 1
	v_mov_b32_e32 v2, 1
	s_xor_b32 s3, s82, -1
	s_mov_b32 s10, 0
	s_and_saveexec_b32 s8, s3
	s_cbranch_execz .LBB141_237
; %bb.229:                              ;   in Loop: Header=BB141_31 Depth=1
	s_mov_b32 s3, exec_lo
	v_cmpx_ge_u64_e64 s[16:17], v[6:7]
	s_xor_b32 s7, exec_lo, s3
	s_cbranch_execz .LBB141_234
; %bb.230:                              ;   in Loop: Header=BB141_31 Depth=1
	ds_load_b64 v[4:5], v3 offset:5120
	s_lshl_b32 s3, 2, s99
	v_or_b32_e32 v11, s24, v11
	v_and_or_b32 v10, v10, s25, s3
	s_wait_dscnt 0x0
	v_cmp_ne_u64_e32 vcc_lo, 0, v[4:5]
	s_cbranch_vccnz .LBB141_234
; %bb.231:                              ;   in Loop: Header=BB141_31 Depth=1
	s_and_saveexec_b32 s4, s5
; %bb.232:                              ;   in Loop: Header=BB141_31 Depth=1
	v_mov_b64_e32 v[4:5], s[16:17]
	ds_store_b64 v3, v[4:5] offset:5128
; %bb.233:                              ;   in Loop: Header=BB141_31 Depth=1
	s_or_b32 exec_lo, exec_lo, s4
	s_wait_dscnt 0x0
	s_barrier_signal -1
	s_barrier_wait -1
.LBB141_234:                            ;   in Loop: Header=BB141_31 Depth=1
	s_or_saveexec_b32 s7, s7
	v_mov_b32_e32 v2, 8
	s_xor_b32 exec_lo, exec_lo, s7
; %bb.235:                              ;   in Loop: Header=BB141_31 Depth=1
	v_sub_nc_u64_e64 v[6:7], v[6:7], s[16:17]
	v_mov_b32_e32 v2, 0
	s_mov_b32 s10, exec_lo
; %bb.236:                              ;   in Loop: Header=BB141_31 Depth=1
	s_or_b32 exec_lo, exec_lo, s7
	s_delay_alu instid0(VALU_DEP_2)
	v_mov_b64_e32 v[4:5], v[6:7]
	s_and_b32 s10, s10, exec_lo
.LBB141_237:                            ;   in Loop: Header=BB141_31 Depth=1
	s_or_b32 exec_lo, exec_lo, s8
	s_mov_b32 s7, -1
                                        ; implicit-def: $sgpr8
                                        ; implicit-def: $sgpr95
	s_and_saveexec_b32 s82, s10
	s_cbranch_execz .LBB141_288
; %bb.238:                              ;   in Loop: Header=BB141_31 Depth=1
	s_delay_alu instid0(VALU_DEP_1) | instskip(SKIP_2) | instid1(SALU_CYCLE_1)
	v_cmp_eq_u64_e32 vcc_lo, 1, v[4:5]
	s_cmp_eq_u64 s[18:19], 1
                                        ; implicit-def: $sgpr8
                                        ; implicit-def: $sgpr95
	s_cselect_b32 s3, -1, 0
	s_and_b32 s83, s3, vcc_lo
	s_delay_alu instid0(SALU_CYCLE_1)
	s_and_saveexec_b32 s3, s83
	s_cbranch_execz .LBB141_276
; %bb.239:                              ;   in Loop: Header=BB141_31 Depth=1
	ds_load_b64 v[6:7], v3 offset:5120
	s_wait_dscnt 0x0
	s_barrier_signal -1
	s_barrier_wait -1
	v_readfirstlane_b32 s10, v6
	v_readfirstlane_b32 s11, v7
	s_and_saveexec_b32 s4, s6
; %bb.240:                              ;   in Loop: Header=BB141_31 Depth=1
	ds_store_b8 v0, v3 offset:3072
; %bb.241:                              ;   in Loop: Header=BB141_31 Depth=1
	s_or_b32 exec_lo, exec_lo, s4
	v_or_b32_e32 v10, s24, v10
	v_or_b32_e32 v11, s24, v11
	s_mov_b32 s95, -1
	s_mov_b32 s8, 0
	s_cmp_eq_u64 s[10:11], 0
	s_mov_b32 s22, 0
	s_mov_b32 s23, -1
	s_wait_dscnt 0x0
	s_barrier_signal -1
	s_barrier_wait -1
                                        ; implicit-def: $vgpr8
	s_cbranch_scc1 .LBB141_259
; %bb.242:                              ;   in Loop: Header=BB141_31 Depth=1
	s_add_nc_u64 s[20:21], s[10:11], s[62:63]
	s_delay_alu instid0(SALU_CYCLE_1) | instskip(NEXT) | instid1(SALU_CYCLE_1)
	s_and_b64 s[22:23], s[20:21], 0xffffffff00000000
	s_cmp_lg_u64 s[22:23], 0
	s_cbranch_scc0 .LBB141_246
; %bb.243:                              ;   in Loop: Header=BB141_31 Depth=1
	s_cvt_f32_u32 s4, s40
	s_sub_nc_u64 s[48:49], 0, s[40:41]
	s_delay_alu instid0(SALU_CYCLE_2) | instskip(NEXT) | instid1(SALU_CYCLE_3)
	s_fmamk_f32 s4, s100, 0x0, s4
	v_s_rcp_f32 s4, s4
	s_delay_alu instid0(TRANS32_DEP_1) | instskip(NEXT) | instid1(SALU_CYCLE_3)
	s_mul_f32 s4, s4, 0x5f7ffffc
	s_mul_f32 s7, s4, 0x2f800000
	s_delay_alu instid0(SALU_CYCLE_3) | instskip(NEXT) | instid1(SALU_CYCLE_3)
	s_trunc_f32 s7, s7
	s_fmamk_f32 s4, s7, 0xcf800000, s4
	s_cvt_u32_f32 s23, s7
	s_delay_alu instid0(SALU_CYCLE_2) | instskip(NEXT) | instid1(SALU_CYCLE_3)
	s_cvt_u32_f32 s22, s4
	s_mul_u64 s[66:67], s[48:49], s[22:23]
	s_delay_alu instid0(SALU_CYCLE_1)
	s_mul_hi_u32 s85, s22, s67
	s_mul_i32 s84, s22, s67
	s_mul_hi_u32 s28, s22, s66
	s_mul_i32 s7, s23, s66
	s_add_nc_u64 s[84:85], s[28:29], s[84:85]
	s_mul_hi_u32 s4, s23, s66
	s_mul_hi_u32 vcc_lo, s23, s67
	s_add_co_u32 s7, s84, s7
	s_add_co_ci_u32 s28, s85, s4
	s_mul_i32 s66, s23, s67
	s_add_co_ci_u32 s67, vcc_lo, 0
	s_delay_alu instid0(SALU_CYCLE_1) | instskip(NEXT) | instid1(SALU_CYCLE_1)
	s_add_nc_u64 s[66:67], s[28:29], s[66:67]
	s_add_co_u32 s22, s22, s66
	s_cselect_b32 s4, -1, 0
	s_delay_alu instid0(SALU_CYCLE_1) | instskip(SKIP_1) | instid1(SALU_CYCLE_1)
	s_cmp_lg_u32 s4, 0
	s_add_co_ci_u32 s23, s23, s67
	s_mul_u64 s[48:49], s[48:49], s[22:23]
	s_delay_alu instid0(SALU_CYCLE_1)
	s_mul_hi_u32 s67, s22, s49
	s_mul_i32 s66, s22, s49
	s_mul_hi_u32 s28, s22, s48
	s_mul_i32 s7, s23, s48
	s_add_nc_u64 s[66:67], s[28:29], s[66:67]
	s_mul_hi_u32 s4, s23, s48
	s_mul_hi_u32 s84, s23, s49
	s_add_co_u32 s7, s66, s7
	s_add_co_ci_u32 s28, s67, s4
	s_mul_i32 s48, s23, s49
	s_add_co_ci_u32 s49, s84, 0
	s_delay_alu instid0(SALU_CYCLE_1) | instskip(NEXT) | instid1(SALU_CYCLE_1)
	s_add_nc_u64 s[48:49], s[28:29], s[48:49]
	s_add_co_u32 s4, s22, s48
	s_cselect_b32 s7, -1, 0
	s_mul_hi_u32 s28, s20, s4
	s_cmp_lg_u32 s7, 0
	s_mul_hi_u32 s7, s21, s4
	s_add_co_ci_u32 s48, s23, s49
	s_mul_i32 s4, s21, s4
	s_mul_hi_u32 s23, s20, s48
	s_mul_i32 s22, s20, s48
	s_mul_hi_u32 s49, s21, s48
	s_add_nc_u64 s[22:23], s[28:29], s[22:23]
	s_mul_i32 s48, s21, s48
	s_add_co_u32 s4, s22, s4
	s_add_co_ci_u32 s28, s23, s7
	s_add_co_ci_u32 s49, s49, 0
	s_delay_alu instid0(SALU_CYCLE_1) | instskip(NEXT) | instid1(SALU_CYCLE_1)
	s_add_nc_u64 s[22:23], s[28:29], s[48:49]
	s_and_b64 s[48:49], s[22:23], 0xffffffff00000000
	s_delay_alu instid0(SALU_CYCLE_1) | instskip(NEXT) | instid1(SALU_CYCLE_1)
	s_or_b32 s48, s48, s22
	s_mul_u64 s[22:23], s[40:41], s[48:49]
	s_delay_alu instid0(SALU_CYCLE_1) | instskip(SKIP_1) | instid1(SALU_CYCLE_1)
	s_sub_co_u32 s4, s20, s22
	s_cselect_b32 s7, -1, 0
	s_cmp_lg_u32 s7, 0
	s_sub_co_ci_u32 s7, s21, s23
	s_sub_co_u32 s22, s4, s40
	s_cselect_b32 s23, -1, 0
	s_delay_alu instid0(SALU_CYCLE_1) | instskip(SKIP_3) | instid1(SALU_CYCLE_1)
	s_cmp_lg_u32 s23, 0
	s_sub_co_ci_u32 s23, s7, 0
	s_sub_co_u32 s28, s22, s40
	s_cselect_b32 s48, -1, 0
	s_cmp_lg_u32 s48, 0
	s_sub_co_ci_u32 s48, s23, 0
	s_cmp_ge_u32 s22, s40
	s_cselect_b32 s49, -1, 0
	s_cmp_eq_u32 s23, 0
	s_cselect_b32 s49, s49, -1
	s_delay_alu instid0(SALU_CYCLE_1)
	s_cmp_lg_u32 s49, 0
	s_cselect_b32 s23, s48, s23
	s_cselect_b32 s22, s28, s22
	s_cmp_ge_u32 s4, s40
	s_cselect_b32 s28, -1, 0
	s_cmp_eq_u32 s7, 0
	s_cselect_b32 s28, s28, -1
	s_delay_alu instid0(SALU_CYCLE_1)
	s_cmp_lg_u32 s28, 0
	s_cselect_b32 s23, s23, s7
	s_cselect_b32 s22, s22, s4
	s_mov_b32 s4, 0
	s_branch .LBB141_247
.LBB141_244:                            ;   in Loop: Header=BB141_31 Depth=1
                                        ; implicit-def: $sgpr22_sgpr23
	s_branch .LBB141_199
.LBB141_245:                            ;   in Loop: Header=BB141_31 Depth=1
                                        ; implicit-def: $sgpr10_sgpr11
	s_branch .LBB141_215
.LBB141_246:                            ;   in Loop: Header=BB141_31 Depth=1
	s_mov_b32 s4, -1
                                        ; implicit-def: $sgpr22_sgpr23
.LBB141_247:                            ;   in Loop: Header=BB141_31 Depth=1
	s_delay_alu instid0(SALU_CYCLE_1)
	s_and_not1_b32 vcc_lo, exec_lo, s4
	s_cbranch_vccnz .LBB141_249
; %bb.248:                              ;   in Loop: Header=BB141_31 Depth=1
	v_cvt_f32_u32_e32 v6, s40
	s_sub_co_i32 s7, 0, s40
	s_delay_alu instid0(VALU_DEP_1) | instskip(SKIP_1) | instid1(TRANS32_DEP_1)
	v_rcp_iflag_f32_e32 v6, v6
	v_nop
	v_mul_f32_e32 v6, 0x4f7ffffe, v6
	s_delay_alu instid0(VALU_DEP_1) | instskip(NEXT) | instid1(VALU_DEP_1)
	v_cvt_u32_f32_e32 v6, v6
	v_readfirstlane_b32 s4, v6
	s_mul_i32 s7, s7, s4
	s_delay_alu instid0(SALU_CYCLE_1) | instskip(NEXT) | instid1(SALU_CYCLE_1)
	s_mul_hi_u32 s7, s4, s7
	s_add_co_i32 s4, s4, s7
	s_delay_alu instid0(SALU_CYCLE_1) | instskip(NEXT) | instid1(SALU_CYCLE_1)
	s_mul_hi_u32 s4, s20, s4
	s_mul_i32 s4, s4, s40
	s_delay_alu instid0(SALU_CYCLE_1) | instskip(NEXT) | instid1(SALU_CYCLE_1)
	s_sub_co_i32 s4, s20, s4
	s_sub_co_i32 s7, s4, s40
	s_cmp_ge_u32 s4, s40
	s_cselect_b32 s4, s7, s4
	s_delay_alu instid0(SALU_CYCLE_1) | instskip(SKIP_2) | instid1(SALU_CYCLE_1)
	s_sub_co_i32 s7, s4, s40
	s_cmp_ge_u32 s4, s40
	s_cselect_b32 s28, s7, s4
	s_mov_b64 s[22:23], s[28:29]
.LBB141_249:                            ;   in Loop: Header=BB141_31 Depth=1
	s_delay_alu instid0(SALU_CYCLE_1)
	s_sub_nc_u64 s[20:21], s[20:21], s[22:23]
	s_mov_b32 s23, 0
	s_mov_b32 s22, 0
	s_mov_b32 s28, exec_lo
                                        ; implicit-def: $vgpr8
	v_cmpx_gt_u64_e64 s[20:21], v[0:1]
	s_cbranch_execz .LBB141_258
; %bb.250:                              ;   in Loop: Header=BB141_31 Depth=1
	v_mov_b64_e32 v[6:7], v[0:1]
	v_mov_b32_e32 v8, v0
                                        ; implicit-def: $sgpr7
	s_branch .LBB141_253
.LBB141_251:                            ;   in Loop: Header=BB141_253 Depth=2
	s_or_b32 exec_lo, exec_lo, s4
	s_wait_dscnt 0x0
	s_barrier_signal -1
	s_barrier_wait -1
	ds_load_u16 v9, v3 offset:3072
	s_mov_b32 s4, -1
	s_mov_b32 s48, -1
	s_wait_dscnt 0x0
	s_barrier_signal -1
	s_barrier_wait -1
	v_and_b32_e32 v34, 0xff, v9
	s_delay_alu instid0(VALU_DEP_1)
	v_cmp_ne_u32_e32 vcc_lo, 0, v34
	s_cbranch_vccz .LBB141_256
.LBB141_252:                            ;   in Loop: Header=BB141_253 Depth=2
	s_and_b32 s4, exec_lo, s4
	s_delay_alu instid0(SALU_CYCLE_1) | instskip(SKIP_2) | instid1(SALU_CYCLE_1)
	s_or_b32 s22, s4, s22
	s_and_not1_b32 s4, s7, exec_lo
	s_and_b32 s7, s48, exec_lo
	s_or_b32 s7, s4, s7
	s_and_not1_b32 exec_lo, exec_lo, s22
	s_cbranch_execz .LBB141_257
.LBB141_253:                            ;   Parent Loop BB141_31 Depth=1
                                        ; =>  This Inner Loop Header: Depth=2
	s_mov_b32 s4, exec_lo
	s_delay_alu instid0(VALU_DEP_2)
	v_cmpx_gt_u64_e64 s[10:11], v[6:7]
	s_cbranch_execz .LBB141_251
; %bb.254:                              ;   in Loop: Header=BB141_253 Depth=2
	ds_load_u8 v9, v8
	s_wait_dscnt 0x0
	v_bfe_i32 v34, v9, 0, 8
	s_delay_alu instid0(VALU_DEP_1) | instskip(NEXT) | instid1(VALU_DEP_1)
	v_add_nc_u32_e32 v34, 0x80, v34
	v_and_b32_e32 v34, v34, v11
	s_delay_alu instid0(VALU_DEP_1)
	v_cmp_eq_u32_e32 vcc_lo, v34, v10
	s_and_b32 exec_lo, exec_lo, vcc_lo
	s_cbranch_execz .LBB141_251
; %bb.255:                              ;   in Loop: Header=BB141_253 Depth=2
	v_lshlrev_b16 v9, 8, v9
	s_delay_alu instid0(VALU_DEP_1)
	v_or_b32_e32 v9, 1, v9
	ds_store_b16 v3, v9 offset:3072
	s_branch .LBB141_251
.LBB141_256:                            ;   in Loop: Header=BB141_253 Depth=2
	v_add_nc_u64_e32 v[6:7], s[40:41], v[6:7]
	v_add_nc_u32_e32 v8, s40, v8
	s_mov_b32 s48, 0
	s_delay_alu instid0(VALU_DEP_2)
	v_cmp_le_u64_e32 vcc_lo, s[20:21], v[6:7]
	s_or_not1_b32 s4, vcc_lo, exec_lo
	s_branch .LBB141_252
.LBB141_257:                            ;   in Loop: Header=BB141_31 Depth=1
	s_or_b32 exec_lo, exec_lo, s22
	v_and_b32_e32 v6, 0xffff, v9
	s_and_b32 s22, s7, exec_lo
	s_delay_alu instid0(VALU_DEP_1)
	v_lshrrev_b32_e32 v8, 8, v6
.LBB141_258:                            ;   in Loop: Header=BB141_31 Depth=1
	s_or_b32 exec_lo, exec_lo, s28
.LBB141_259:                            ;   in Loop: Header=BB141_31 Depth=1
	s_delay_alu instid0(SALU_CYCLE_1)
	s_and_b32 vcc_lo, exec_lo, s23
	s_cbranch_vccz .LBB141_275
; %bb.260:                              ;   in Loop: Header=BB141_31 Depth=1
	s_and_b64 s[10:11], s[64:65], 0xffffffff00000000
	s_delay_alu instid0(SALU_CYCLE_1)
	s_cmp_lg_u64 s[10:11], 0
	s_cbranch_scc0 .LBB141_262
; %bb.261:                              ;   in Loop: Header=BB141_31 Depth=1
	s_cvt_f32_u32 s4, s40
	s_sub_nc_u64 s[20:21], 0, s[40:41]
	s_delay_alu instid0(SALU_CYCLE_2) | instskip(NEXT) | instid1(SALU_CYCLE_3)
	s_fmamk_f32 s4, s100, 0x0, s4
	v_s_rcp_f32 s4, s4
	s_delay_alu instid0(TRANS32_DEP_1) | instskip(NEXT) | instid1(SALU_CYCLE_3)
	s_mul_f32 s4, s4, 0x5f7ffffc
	s_mul_f32 s7, s4, 0x2f800000
	s_delay_alu instid0(SALU_CYCLE_3) | instskip(NEXT) | instid1(SALU_CYCLE_3)
	s_trunc_f32 s7, s7
	s_fmamk_f32 s4, s7, 0xcf800000, s4
	s_cvt_u32_f32 s11, s7
	s_delay_alu instid0(SALU_CYCLE_2) | instskip(NEXT) | instid1(SALU_CYCLE_3)
	s_cvt_u32_f32 s10, s4
	s_mul_u64 s[48:49], s[20:21], s[10:11]
	s_delay_alu instid0(SALU_CYCLE_1)
	s_mul_hi_u32 s67, s10, s49
	s_mul_i32 s66, s10, s49
	s_mul_hi_u32 s28, s10, s48
	s_mul_i32 s7, s11, s48
	s_add_nc_u64 s[66:67], s[28:29], s[66:67]
	s_mul_hi_u32 s4, s11, s48
	s_mul_hi_u32 s8, s11, s49
	s_add_co_u32 s7, s66, s7
	s_add_co_ci_u32 s28, s67, s4
	s_mul_i32 s48, s11, s49
	s_add_co_ci_u32 s49, s8, 0
	s_delay_alu instid0(SALU_CYCLE_1) | instskip(NEXT) | instid1(SALU_CYCLE_1)
	s_add_nc_u64 s[48:49], s[28:29], s[48:49]
	s_add_co_u32 s10, s10, s48
	s_cselect_b32 s4, -1, 0
	s_delay_alu instid0(SALU_CYCLE_1) | instskip(SKIP_1) | instid1(SALU_CYCLE_1)
	s_cmp_lg_u32 s4, 0
	s_add_co_ci_u32 s11, s11, s49
	s_mul_u64 s[20:21], s[20:21], s[10:11]
	s_delay_alu instid0(SALU_CYCLE_1)
	s_mul_hi_u32 s49, s10, s21
	s_mul_i32 s48, s10, s21
	s_mul_hi_u32 s28, s10, s20
	s_mul_i32 s7, s11, s20
	s_add_nc_u64 s[48:49], s[28:29], s[48:49]
	s_mul_hi_u32 s4, s11, s20
	s_mul_hi_u32 s8, s11, s21
	s_add_co_u32 s7, s48, s7
	s_add_co_ci_u32 s28, s49, s4
	s_mul_i32 s20, s11, s21
	s_add_co_ci_u32 s21, s8, 0
	s_delay_alu instid0(SALU_CYCLE_1) | instskip(NEXT) | instid1(SALU_CYCLE_1)
	s_add_nc_u64 s[20:21], s[28:29], s[20:21]
	s_add_co_u32 s4, s10, s20
	s_cselect_b32 s7, -1, 0
	s_mul_hi_u32 s28, s64, s4
	s_cmp_lg_u32 s7, 0
	s_mul_hi_u32 s7, s65, s4
	s_add_co_ci_u32 s8, s11, s21
	s_mul_i32 s4, s65, s4
	s_mul_hi_u32 s11, s64, s8
	s_mul_i32 s10, s64, s8
	s_mul_hi_u32 s21, s65, s8
	s_add_nc_u64 s[10:11], s[28:29], s[10:11]
	s_mul_i32 s20, s65, s8
	s_add_co_u32 s4, s10, s4
	s_add_co_ci_u32 s28, s11, s7
	s_add_co_ci_u32 s21, s21, 0
	s_delay_alu instid0(SALU_CYCLE_1) | instskip(NEXT) | instid1(SALU_CYCLE_1)
	s_add_nc_u64 s[10:11], s[28:29], s[20:21]
	s_and_b64 s[20:21], s[10:11], 0xffffffff00000000
	s_delay_alu instid0(SALU_CYCLE_1) | instskip(NEXT) | instid1(SALU_CYCLE_1)
	s_or_b32 s20, s20, s10
	s_mul_u64 s[10:11], s[40:41], s[20:21]
	s_delay_alu instid0(SALU_CYCLE_1) | instskip(SKIP_1) | instid1(SALU_CYCLE_1)
	s_sub_co_u32 s4, s64, s10
	s_cselect_b32 s7, -1, 0
	s_cmp_lg_u32 s7, 0
	s_sub_co_ci_u32 s7, s65, s11
	s_sub_co_u32 s8, s4, s40
	s_cselect_b32 s10, -1, 0
	s_delay_alu instid0(SALU_CYCLE_1) | instskip(SKIP_3) | instid1(SALU_CYCLE_1)
	s_cmp_lg_u32 s10, 0
	s_sub_co_ci_u32 s10, s7, 0
	s_sub_co_u32 s11, s8, s40
	s_cselect_b32 s20, -1, 0
	s_cmp_lg_u32 s20, 0
	s_sub_co_ci_u32 s20, s10, 0
	s_cmp_ge_u32 s8, s40
	s_cselect_b32 s21, -1, 0
	s_cmp_eq_u32 s10, 0
	s_cselect_b32 s21, s21, -1
	s_delay_alu instid0(SALU_CYCLE_1)
	s_cmp_lg_u32 s21, 0
	s_cselect_b32 s10, s20, s10
	s_cselect_b32 s8, s11, s8
	s_cmp_ge_u32 s4, s40
	s_cselect_b32 s11, -1, 0
	s_cmp_eq_u32 s7, 0
	s_cselect_b32 s11, s11, -1
	s_delay_alu instid0(SALU_CYCLE_1)
	s_cmp_lg_u32 s11, 0
	s_cselect_b32 s11, s10, s7
	s_cselect_b32 s10, s8, s4
	s_mov_b32 s4, 0
	s_branch .LBB141_263
.LBB141_262:                            ;   in Loop: Header=BB141_31 Depth=1
	s_mov_b32 s4, -1
                                        ; implicit-def: $sgpr10_sgpr11
.LBB141_263:                            ;   in Loop: Header=BB141_31 Depth=1
	s_delay_alu instid0(SALU_CYCLE_1)
	s_and_not1_b32 vcc_lo, exec_lo, s4
	s_cbranch_vccnz .LBB141_265
; %bb.264:                              ;   in Loop: Header=BB141_31 Depth=1
	v_cvt_f32_u32_e32 v6, s40
	s_sub_co_i32 s7, 0, s40
	s_delay_alu instid0(VALU_DEP_1) | instskip(SKIP_1) | instid1(TRANS32_DEP_1)
	v_rcp_iflag_f32_e32 v6, v6
	v_nop
	v_mul_f32_e32 v6, 0x4f7ffffe, v6
	s_delay_alu instid0(VALU_DEP_1) | instskip(NEXT) | instid1(VALU_DEP_1)
	v_cvt_u32_f32_e32 v6, v6
	v_readfirstlane_b32 s4, v6
	s_mul_i32 s7, s7, s4
	s_delay_alu instid0(SALU_CYCLE_1) | instskip(NEXT) | instid1(SALU_CYCLE_1)
	s_mul_hi_u32 s7, s4, s7
	s_add_co_i32 s4, s4, s7
	s_delay_alu instid0(SALU_CYCLE_1) | instskip(NEXT) | instid1(SALU_CYCLE_1)
	s_mul_hi_u32 s4, s64, s4
	s_mul_i32 s4, s4, s40
	s_delay_alu instid0(SALU_CYCLE_1) | instskip(NEXT) | instid1(SALU_CYCLE_1)
	s_sub_co_i32 s4, s64, s4
	s_sub_co_i32 s7, s4, s40
	s_cmp_ge_u32 s4, s40
	s_cselect_b32 s4, s7, s4
	s_delay_alu instid0(SALU_CYCLE_1) | instskip(SKIP_2) | instid1(SALU_CYCLE_1)
	s_sub_co_i32 s7, s4, s40
	s_cmp_ge_u32 s4, s40
	s_cselect_b32 s28, s7, s4
	s_mov_b64 s[10:11], s[28:29]
.LBB141_265:                            ;   in Loop: Header=BB141_31 Depth=1
	s_delay_alu instid0(SALU_CYCLE_1)
	s_sub_nc_u64 s[10:11], s[64:65], s[10:11]
	s_mov_b32 s8, exec_lo
                                        ; implicit-def: $vgpr8
	v_cmpx_gt_u64_e64 s[10:11], v[0:1]
	s_cbranch_execz .LBB141_274
; %bb.266:                              ;   in Loop: Header=BB141_31 Depth=1
	v_mov_b64_e32 v[6:7], v[30:31]
	v_mov_b64_e32 v[8:9], v[0:1]
	s_mov_b32 s20, 0
                                        ; implicit-def: $sgpr21
	s_branch .LBB141_269
.LBB141_267:                            ;   in Loop: Header=BB141_269 Depth=2
	s_or_b32 exec_lo, exec_lo, s4
	s_wait_dscnt 0x0
	s_barrier_signal -1
	s_barrier_wait -1
	ds_load_u16 v34, v3 offset:3072
	s_mov_b32 s4, -1
	s_mov_b32 s7, -1
	s_wait_dscnt 0x0
	s_barrier_signal -1
	s_barrier_wait -1
	v_and_b32_e32 v35, 0xff, v34
	s_delay_alu instid0(VALU_DEP_1)
	v_cmp_eq_u32_e32 vcc_lo, 0, v35
	s_cbranch_vccnz .LBB141_272
.LBB141_268:                            ;   in Loop: Header=BB141_269 Depth=2
	s_and_b32 s4, exec_lo, s4
	s_delay_alu instid0(SALU_CYCLE_1) | instskip(SKIP_2) | instid1(SALU_CYCLE_1)
	s_or_b32 s20, s4, s20
	s_and_not1_b32 s4, s21, exec_lo
	s_and_b32 s7, s7, exec_lo
	s_or_b32 s21, s4, s7
	s_and_not1_b32 exec_lo, exec_lo, s20
	s_cbranch_execz .LBB141_273
.LBB141_269:                            ;   Parent Loop BB141_31 Depth=1
                                        ; =>  This Inner Loop Header: Depth=2
	s_mov_b32 s4, exec_lo
	s_delay_alu instid0(VALU_DEP_1)
	v_cmpx_gt_u64_e64 s[36:37], v[8:9]
	s_cbranch_execz .LBB141_267
; %bb.270:                              ;   in Loop: Header=BB141_269 Depth=2
	global_load_u8 v34, v[6:7], off
	s_wait_loadcnt 0x0
	v_bfe_i32 v35, v34, 0, 8
	s_delay_alu instid0(VALU_DEP_1) | instskip(NEXT) | instid1(VALU_DEP_1)
	v_add_nc_u32_e32 v35, 0x80, v35
	v_and_b32_e32 v35, v35, v11
	s_delay_alu instid0(VALU_DEP_1)
	v_cmp_eq_u32_e32 vcc_lo, v35, v10
	s_and_b32 exec_lo, exec_lo, vcc_lo
	s_cbranch_execz .LBB141_267
; %bb.271:                              ;   in Loop: Header=BB141_269 Depth=2
	v_lshlrev_b16 v34, 8, v34
	s_delay_alu instid0(VALU_DEP_1)
	v_or_b32_e32 v34, 1, v34
	ds_store_b16 v3, v34 offset:3072
	s_branch .LBB141_267
.LBB141_272:                            ;   in Loop: Header=BB141_269 Depth=2
	v_add_nc_u64_e32 v[8:9], s[40:41], v[8:9]
	v_add_nc_u64_e32 v[6:7], s[44:45], v[6:7]
	s_mov_b32 s7, 0
	s_delay_alu instid0(VALU_DEP_2)
	v_cmp_le_u64_e32 vcc_lo, s[10:11], v[8:9]
	s_or_not1_b32 s4, vcc_lo, exec_lo
	s_branch .LBB141_268
.LBB141_273:                            ;   in Loop: Header=BB141_31 Depth=1
	s_or_b32 exec_lo, exec_lo, s20
	v_and_b32_e32 v6, 0xffff, v34
	s_and_not1_b32 s4, s22, exec_lo
	s_and_b32 s7, s21, exec_lo
	s_delay_alu instid0(SALU_CYCLE_1) | instskip(NEXT) | instid1(VALU_DEP_1)
	s_or_b32 s22, s4, s7
	v_lshrrev_b32_e32 v8, 8, v6
.LBB141_274:                            ;   in Loop: Header=BB141_31 Depth=1
	s_or_b32 exec_lo, exec_lo, s8
	s_mov_b32 s95, 0
	s_mov_b32 s8, -1
.LBB141_275:                            ;   in Loop: Header=BB141_31 Depth=1
	s_or_not1_b32 s7, s22, exec_lo
.LBB141_276:                            ;   in Loop: Header=BB141_31 Depth=1
	s_or_b32 exec_lo, exec_lo, s3
	s_mov_b32 s11, 0
	s_and_saveexec_b32 s10, s7
	s_cbranch_execz .LBB141_287
; %bb.277:                              ;   in Loop: Header=BB141_31 Depth=1
	v_mov_b64_e32 v[6:7], 1
	v_mov_b32_e32 v2, 1
	s_xor_b32 s3, s83, -1
	s_delay_alu instid0(SALU_CYCLE_1)
	s_and_saveexec_b32 s7, s3
	s_cbranch_execz .LBB141_286
; %bb.278:                              ;   in Loop: Header=BB141_31 Depth=1
	s_mov_b32 s3, exec_lo
	v_cmpx_ge_u64_e64 s[18:19], v[4:5]
	s_xor_b32 s11, exec_lo, s3
	s_cbranch_execz .LBB141_283
; %bb.279:                              ;   in Loop: Header=BB141_31 Depth=1
	ds_load_b64 v[6:7], v3 offset:5120
	v_or_b32_e32 v10, s24, v10
	v_or_b32_e32 v11, s24, v11
	s_wait_dscnt 0x0
	v_cmp_ne_u64_e32 vcc_lo, 0, v[6:7]
	s_cbranch_vccnz .LBB141_283
; %bb.280:                              ;   in Loop: Header=BB141_31 Depth=1
	s_and_saveexec_b32 s4, s5
; %bb.281:                              ;   in Loop: Header=BB141_31 Depth=1
	v_mov_b64_e32 v[6:7], s[18:19]
	ds_store_b64 v3, v[6:7] offset:5128
; %bb.282:                              ;   in Loop: Header=BB141_31 Depth=1
	s_or_b32 exec_lo, exec_lo, s4
	s_wait_dscnt 0x0
	s_barrier_signal -1
	s_barrier_wait -1
.LBB141_283:                            ;   in Loop: Header=BB141_31 Depth=1
	s_and_not1_saveexec_b32 s4, s11
; %bb.284:                              ;   in Loop: Header=BB141_31 Depth=1
	v_sub_nc_u64_e64 v[4:5], v[4:5], s[18:19]
; %bb.285:                              ;   in Loop: Header=BB141_31 Depth=1
	s_or_b32 exec_lo, exec_lo, s4
	s_delay_alu instid0(VALU_DEP_1)
	v_mov_b64_e32 v[6:7], v[4:5]
	v_mov_b32_e32 v2, 8
.LBB141_286:                            ;   in Loop: Header=BB141_31 Depth=1
	s_or_b32 exec_lo, exec_lo, s7
	s_delay_alu instid0(VALU_DEP_2)
	v_mov_b64_e32 v[4:5], v[6:7]
	s_mov_b32 s11, exec_lo
.LBB141_287:                            ;   in Loop: Header=BB141_31 Depth=1
	s_or_b32 exec_lo, exec_lo, s10
	s_delay_alu instid0(SALU_CYCLE_1)
	s_or_not1_b32 s7, s11, exec_lo
.LBB141_288:                            ;   in Loop: Header=BB141_31 Depth=1
	s_or_b32 exec_lo, exec_lo, s82
	s_delay_alu instid0(VALU_DEP_1)
	v_mov_b64_e32 v[6:7], v[4:5]
	s_and_not1_b32 s3, s80, exec_lo
	s_and_b32 s4, s8, exec_lo
	s_and_not1_b32 s8, s79, exec_lo
	s_and_b32 s10, s95, exec_lo
	s_or_b32 s80, s3, s4
	s_or_b32 s79, s8, s10
	s_and_b32 s8, s7, exec_lo
.LBB141_289:                            ;   in Loop: Header=BB141_31 Depth=1
	s_or_b32 exec_lo, exec_lo, s81
	s_delay_alu instid0(SALU_CYCLE_1)
	s_or_not1_b32 s7, s8, exec_lo
.LBB141_290:                            ;   in Loop: Header=BB141_31 Depth=1
	s_or_b32 exec_lo, exec_lo, s78
	v_mov_b64_e32 v[4:5], v[6:7]
	s_and_not1_b32 s3, s76, exec_lo
	s_and_b32 s4, s80, exec_lo
	s_and_not1_b32 s8, s59, exec_lo
	s_and_b32 s10, s79, exec_lo
	s_or_b32 s76, s3, s4
	s_or_b32 s59, s8, s10
	s_and_b32 s8, s7, exec_lo
.LBB141_291:                            ;   in Loop: Header=BB141_31 Depth=1
	s_or_b32 exec_lo, exec_lo, s77
	s_delay_alu instid0(SALU_CYCLE_1)
	s_or_not1_b32 s7, s8, exec_lo
.LBB141_292:                            ;   in Loop: Header=BB141_31 Depth=1
	s_or_b32 exec_lo, exec_lo, s27
	s_mov_b32 s8, 0
	s_mov_b32 s11, 0
	s_and_saveexec_b32 s3, s7
	s_delay_alu instid0(SALU_CYCLE_1)
	s_xor_b32 s4, exec_lo, s3
; %bb.293:                              ;   in Loop: Header=BB141_31 Depth=1
	v_cmp_ne_u32_e32 vcc_lo, 8, v2
	v_cmp_eq_u32_e64 s10, 8, v2
	s_and_b32 s11, vcc_lo, exec_lo
	s_and_b32 s8, s10, exec_lo
; %bb.294:                              ;   in Loop: Header=BB141_31 Depth=1
	s_or_b32 exec_lo, exec_lo, s4
	s_delay_alu instid0(SALU_CYCLE_1)
	s_and_not1_b32 s3, s73, exec_lo
	s_and_b32 s4, s76, exec_lo
	s_and_not1_b32 s7, s72, exec_lo
	s_and_b32 s10, s59, exec_lo
	s_or_b32 s73, s3, s4
	s_or_b32 s72, s7, s10
	s_and_b32 s27, s11, exec_lo
	s_and_b32 s59, s8, exec_lo
.LBB141_295:                            ;   in Loop: Header=BB141_31 Depth=1
	s_or_b32 exec_lo, exec_lo, s75
.LBB141_296:                            ;   in Loop: Header=BB141_31 Depth=1
	s_delay_alu instid0(SALU_CYCLE_1)
	s_and_b32 vcc_lo, exec_lo, s74
	s_cbranch_vccz .LBB141_312
; %bb.297:                              ;   in Loop: Header=BB141_31 Depth=1
	s_cmp_eq_u64 s[18:19], 1
	s_mov_b32 s7, -1
	s_cselect_b32 s3, -1, 0
                                        ; implicit-def: $sgpr74
                                        ; implicit-def: $sgpr26
	s_delay_alu instid0(SALU_CYCLE_1) | instskip(NEXT) | instid1(SALU_CYCLE_1)
	s_and_b32 s9, s3, s9
	s_and_saveexec_b32 s72, s9
	s_cbranch_execz .LBB141_330
; %bb.298:                              ;   in Loop: Header=BB141_31 Depth=1
	ds_load_b64 v[4:5], v3 offset:5120
	s_wait_dscnt 0x0
	s_barrier_signal -1
	s_barrier_wait -1
	v_readfirstlane_b32 s10, v4
	v_readfirstlane_b32 s11, v5
	s_and_saveexec_b32 s4, s6
; %bb.299:                              ;   in Loop: Header=BB141_31 Depth=1
	ds_store_b8 v0, v3 offset:3072
; %bb.300:                              ;   in Loop: Header=BB141_31 Depth=1
	s_or_b32 exec_lo, exec_lo, s4
	v_or_b32_e32 v41, s24, v41
	v_or_b32_e32 v43, s24, v43
	s_mov_b32 s26, -1
	s_mov_b32 s74, 0
	s_cmp_eq_u64 s[10:11], 0
	s_mov_b32 s8, 0
	s_mov_b32 s22, -1
	s_wait_dscnt 0x0
	s_barrier_signal -1
	s_barrier_wait -1
                                        ; implicit-def: $vgpr44
	s_cbranch_scc1 .LBB141_315
; %bb.301:                              ;   in Loop: Header=BB141_31 Depth=1
	s_add_nc_u64 s[20:21], s[10:11], s[62:63]
	s_delay_alu instid0(SALU_CYCLE_1) | instskip(NEXT) | instid1(SALU_CYCLE_1)
	s_and_b64 s[22:23], s[20:21], 0xffffffff00000000
	s_cmp_lg_u64 s[22:23], 0
	s_cbranch_scc0 .LBB141_353
; %bb.302:                              ;   in Loop: Header=BB141_31 Depth=1
	s_cvt_f32_u32 s3, s40
	s_sub_nc_u64 s[48:49], 0, s[40:41]
	s_delay_alu instid0(SALU_CYCLE_2) | instskip(NEXT) | instid1(SALU_CYCLE_3)
	s_fmamk_f32 s3, s100, 0x0, s3
	v_s_rcp_f32 s3, s3
	s_delay_alu instid0(TRANS32_DEP_1) | instskip(NEXT) | instid1(SALU_CYCLE_3)
	s_mul_f32 s3, s3, 0x5f7ffffc
	s_mul_f32 s4, s3, 0x2f800000
	s_delay_alu instid0(SALU_CYCLE_3) | instskip(NEXT) | instid1(SALU_CYCLE_3)
	s_trunc_f32 s4, s4
	s_fmamk_f32 s3, s4, 0xcf800000, s3
	s_cvt_u32_f32 s23, s4
	s_delay_alu instid0(SALU_CYCLE_2) | instskip(NEXT) | instid1(SALU_CYCLE_3)
	s_cvt_u32_f32 s22, s3
	s_mul_u64 s[76:77], s[48:49], s[22:23]
	s_delay_alu instid0(SALU_CYCLE_1)
	s_mul_hi_u32 s79, s22, s77
	s_mul_i32 s78, s22, s77
	s_mul_hi_u32 s28, s22, s76
	s_mul_i32 s4, s23, s76
	s_add_nc_u64 s[78:79], s[28:29], s[78:79]
	s_mul_hi_u32 s3, s23, s76
	s_mul_hi_u32 s7, s23, s77
	s_add_co_u32 s4, s78, s4
	s_add_co_ci_u32 s28, s79, s3
	s_mul_i32 s76, s23, s77
	s_add_co_ci_u32 s77, s7, 0
	s_delay_alu instid0(SALU_CYCLE_1) | instskip(NEXT) | instid1(SALU_CYCLE_1)
	s_add_nc_u64 s[76:77], s[28:29], s[76:77]
	s_add_co_u32 s22, s22, s76
	s_cselect_b32 s3, -1, 0
	s_delay_alu instid0(SALU_CYCLE_1) | instskip(SKIP_1) | instid1(SALU_CYCLE_1)
	s_cmp_lg_u32 s3, 0
	s_add_co_ci_u32 s23, s23, s77
	s_mul_u64 s[48:49], s[48:49], s[22:23]
	s_delay_alu instid0(SALU_CYCLE_1)
	s_mul_hi_u32 s77, s22, s49
	s_mul_i32 s76, s22, s49
	s_mul_hi_u32 s28, s22, s48
	s_mul_i32 s4, s23, s48
	s_add_nc_u64 s[76:77], s[28:29], s[76:77]
	s_mul_hi_u32 s3, s23, s48
	s_mul_hi_u32 s7, s23, s49
	s_add_co_u32 s4, s76, s4
	s_add_co_ci_u32 s28, s77, s3
	s_mul_i32 s48, s23, s49
	s_add_co_ci_u32 s49, s7, 0
	s_delay_alu instid0(SALU_CYCLE_1) | instskip(NEXT) | instid1(SALU_CYCLE_1)
	s_add_nc_u64 s[48:49], s[28:29], s[48:49]
	s_add_co_u32 s3, s22, s48
	s_cselect_b32 s4, -1, 0
	s_mul_hi_u32 s28, s20, s3
	s_cmp_lg_u32 s4, 0
	s_mul_hi_u32 s4, s21, s3
	s_add_co_ci_u32 s7, s23, s49
	s_mul_i32 s3, s21, s3
	s_mul_hi_u32 s23, s20, s7
	s_mul_i32 s22, s20, s7
	s_mul_hi_u32 s8, s21, s7
	s_add_nc_u64 s[22:23], s[28:29], s[22:23]
	s_mul_i32 s48, s21, s7
	s_add_co_u32 s3, s22, s3
	s_add_co_ci_u32 s28, s23, s4
	s_add_co_ci_u32 s49, s8, 0
	s_delay_alu instid0(SALU_CYCLE_1) | instskip(NEXT) | instid1(SALU_CYCLE_1)
	s_add_nc_u64 s[22:23], s[28:29], s[48:49]
	s_and_b64 s[48:49], s[22:23], 0xffffffff00000000
	s_delay_alu instid0(SALU_CYCLE_1) | instskip(NEXT) | instid1(SALU_CYCLE_1)
	s_or_b32 s48, s48, s22
	s_mul_u64 s[22:23], s[40:41], s[48:49]
	s_delay_alu instid0(SALU_CYCLE_1) | instskip(SKIP_1) | instid1(SALU_CYCLE_1)
	s_sub_co_u32 s3, s20, s22
	s_cselect_b32 s4, -1, 0
	s_cmp_lg_u32 s4, 0
	s_sub_co_ci_u32 s4, s21, s23
	s_sub_co_u32 s7, s3, s40
	s_cselect_b32 s8, -1, 0
	s_delay_alu instid0(SALU_CYCLE_1) | instskip(SKIP_3) | instid1(SALU_CYCLE_1)
	s_cmp_lg_u32 s8, 0
	s_sub_co_ci_u32 s8, s4, 0
	s_sub_co_u32 s22, s7, s40
	s_cselect_b32 s23, -1, 0
	s_cmp_lg_u32 s23, 0
	s_sub_co_ci_u32 s23, s8, 0
	s_cmp_ge_u32 s7, s40
	s_cselect_b32 s28, -1, 0
	s_cmp_eq_u32 s8, 0
	s_cselect_b32 s28, s28, -1
	s_delay_alu instid0(SALU_CYCLE_1)
	s_cmp_lg_u32 s28, 0
	s_cselect_b32 s8, s23, s8
	s_cselect_b32 s7, s22, s7
	s_cmp_ge_u32 s3, s40
	s_cselect_b32 s22, -1, 0
	s_cmp_eq_u32 s4, 0
	s_cselect_b32 s22, s22, -1
	s_delay_alu instid0(SALU_CYCLE_1)
	s_cmp_lg_u32 s22, 0
	s_cselect_b32 s23, s8, s4
	s_cselect_b32 s22, s7, s3
	s_cbranch_execnz .LBB141_304
.LBB141_303:                            ;   in Loop: Header=BB141_31 Depth=1
	v_cvt_f32_u32_e32 v2, s40
	s_sub_co_i32 s4, 0, s40
	s_delay_alu instid0(VALU_DEP_1) | instskip(SKIP_1) | instid1(TRANS32_DEP_1)
	v_rcp_iflag_f32_e32 v2, v2
	v_nop
	v_mul_f32_e32 v2, 0x4f7ffffe, v2
	s_delay_alu instid0(VALU_DEP_1) | instskip(NEXT) | instid1(VALU_DEP_1)
	v_cvt_u32_f32_e32 v2, v2
	v_readfirstlane_b32 s3, v2
	s_mul_i32 s4, s4, s3
	s_delay_alu instid0(SALU_CYCLE_1) | instskip(NEXT) | instid1(SALU_CYCLE_1)
	s_mul_hi_u32 s4, s3, s4
	s_add_co_i32 s3, s3, s4
	s_delay_alu instid0(SALU_CYCLE_1) | instskip(NEXT) | instid1(SALU_CYCLE_1)
	s_mul_hi_u32 s3, s20, s3
	s_mul_i32 s3, s3, s40
	s_delay_alu instid0(SALU_CYCLE_1) | instskip(NEXT) | instid1(SALU_CYCLE_1)
	s_sub_co_i32 s3, s20, s3
	s_sub_co_i32 s4, s3, s40
	s_cmp_ge_u32 s3, s40
	s_cselect_b32 s3, s4, s3
	s_delay_alu instid0(SALU_CYCLE_1) | instskip(SKIP_2) | instid1(SALU_CYCLE_1)
	s_sub_co_i32 s4, s3, s40
	s_cmp_ge_u32 s3, s40
	s_cselect_b32 s28, s4, s3
	s_mov_b64 s[22:23], s[28:29]
.LBB141_304:                            ;   in Loop: Header=BB141_31 Depth=1
	s_delay_alu instid0(SALU_CYCLE_1)
	s_sub_nc_u64 s[20:21], s[20:21], s[22:23]
	s_mov_b32 s22, 0
	s_mov_b32 s8, 0
	s_mov_b32 s23, exec_lo
                                        ; implicit-def: $vgpr44
	v_cmpx_gt_u64_e64 s[20:21], v[0:1]
	s_cbranch_execz .LBB141_314
; %bb.305:                              ;   in Loop: Header=BB141_31 Depth=1
	v_mov_b64_e32 v[4:5], v[0:1]
	v_mov_b32_e32 v2, v0
                                        ; implicit-def: $sgpr28
	s_branch .LBB141_308
.LBB141_306:                            ;   in Loop: Header=BB141_308 Depth=2
	s_or_b32 exec_lo, exec_lo, s7
	s_wait_dscnt 0x0
	s_barrier_signal -1
	s_barrier_wait -1
	ds_load_u16 v6, v3 offset:3072
	s_mov_b32 s4, -1
	s_mov_b32 s7, -1
	s_wait_dscnt 0x0
	s_barrier_signal -1
	s_barrier_wait -1
	v_and_b32_e32 v7, 0xff, v6
	s_delay_alu instid0(VALU_DEP_1)
	v_cmp_ne_u32_e32 vcc_lo, 0, v7
	s_cbranch_vccz .LBB141_311
.LBB141_307:                            ;   in Loop: Header=BB141_308 Depth=2
	s_and_b32 s3, exec_lo, s4
	s_delay_alu instid0(SALU_CYCLE_1) | instskip(SKIP_2) | instid1(SALU_CYCLE_1)
	s_or_b32 s8, s3, s8
	s_and_not1_b32 s3, s28, exec_lo
	s_and_b32 s4, s7, exec_lo
	s_or_b32 s28, s3, s4
	s_and_not1_b32 exec_lo, exec_lo, s8
	s_cbranch_execz .LBB141_313
.LBB141_308:                            ;   Parent Loop BB141_31 Depth=1
                                        ; =>  This Inner Loop Header: Depth=2
	s_mov_b32 s7, exec_lo
	s_delay_alu instid0(VALU_DEP_2)
	v_cmpx_gt_u64_e64 s[10:11], v[4:5]
	s_cbranch_execz .LBB141_306
; %bb.309:                              ;   in Loop: Header=BB141_308 Depth=2
	ds_load_u8 v6, v2
	s_wait_dscnt 0x0
	v_bfe_i32 v7, v6, 0, 8
	s_delay_alu instid0(VALU_DEP_1) | instskip(NEXT) | instid1(VALU_DEP_1)
	v_add_nc_u32_e32 v7, 0x80, v7
	v_and_b32_e32 v7, v7, v43
	s_delay_alu instid0(VALU_DEP_1)
	v_cmp_eq_u32_e32 vcc_lo, v7, v41
	s_and_b32 exec_lo, exec_lo, vcc_lo
	s_cbranch_execz .LBB141_306
; %bb.310:                              ;   in Loop: Header=BB141_308 Depth=2
	v_lshlrev_b16 v6, 8, v6
	s_delay_alu instid0(VALU_DEP_1)
	v_or_b32_e32 v6, 1, v6
	ds_store_b16 v3, v6 offset:3072
	s_branch .LBB141_306
.LBB141_311:                            ;   in Loop: Header=BB141_308 Depth=2
	v_add_nc_u64_e32 v[4:5], s[40:41], v[4:5]
	v_add_nc_u32_e32 v2, s40, v2
	s_mov_b32 s7, 0
	s_delay_alu instid0(VALU_DEP_2)
	v_cmp_le_u64_e32 vcc_lo, s[20:21], v[4:5]
	s_or_not1_b32 s4, vcc_lo, exec_lo
	s_branch .LBB141_307
.LBB141_312:                            ;   in Loop: Header=BB141_31 Depth=1
	v_dual_mov_b32 v41, v10 :: v_dual_mov_b32 v43, v11
	v_mov_b32_e32 v44, v8
	s_mov_b32 s74, 0
	s_and_saveexec_b32 s4, s59
	s_cbranch_execnz .LBB141_489
	s_branch .LBB141_490
.LBB141_313:                            ;   in Loop: Header=BB141_31 Depth=1
	s_or_b32 exec_lo, exec_lo, s8
	v_and_b32_e32 v2, 0xffff, v6
	s_and_b32 s8, s28, exec_lo
	s_delay_alu instid0(VALU_DEP_1)
	v_lshrrev_b32_e32 v44, 8, v2
.LBB141_314:                            ;   in Loop: Header=BB141_31 Depth=1
	s_or_b32 exec_lo, exec_lo, s23
.LBB141_315:                            ;   in Loop: Header=BB141_31 Depth=1
	s_delay_alu instid0(SALU_CYCLE_1)
	s_and_b32 vcc_lo, exec_lo, s22
	s_cbranch_vccz .LBB141_329
; %bb.316:                              ;   in Loop: Header=BB141_31 Depth=1
	s_and_b64 s[10:11], s[64:65], 0xffffffff00000000
	s_delay_alu instid0(SALU_CYCLE_1)
	s_cmp_lg_u64 s[10:11], 0
	s_cbranch_scc0 .LBB141_354
; %bb.317:                              ;   in Loop: Header=BB141_31 Depth=1
	s_cvt_f32_u32 s3, s40
	s_sub_nc_u64 s[20:21], 0, s[40:41]
	s_delay_alu instid0(SALU_CYCLE_2) | instskip(NEXT) | instid1(SALU_CYCLE_3)
	s_fmamk_f32 s3, s100, 0x0, s3
	v_s_rcp_f32 s3, s3
	s_delay_alu instid0(TRANS32_DEP_1) | instskip(NEXT) | instid1(SALU_CYCLE_3)
	s_mul_f32 s3, s3, 0x5f7ffffc
	s_mul_f32 s4, s3, 0x2f800000
	s_delay_alu instid0(SALU_CYCLE_3) | instskip(NEXT) | instid1(SALU_CYCLE_3)
	s_trunc_f32 s4, s4
	s_fmamk_f32 s3, s4, 0xcf800000, s3
	s_cvt_u32_f32 s11, s4
	s_delay_alu instid0(SALU_CYCLE_2) | instskip(NEXT) | instid1(SALU_CYCLE_3)
	s_cvt_u32_f32 s10, s3
	s_mul_u64 s[22:23], s[20:21], s[10:11]
	s_delay_alu instid0(SALU_CYCLE_1)
	s_mul_hi_u32 s49, s10, s23
	s_mul_i32 s48, s10, s23
	s_mul_hi_u32 s28, s10, s22
	s_mul_i32 s4, s11, s22
	s_add_nc_u64 s[48:49], s[28:29], s[48:49]
	s_mul_hi_u32 s3, s11, s22
	s_mul_hi_u32 s7, s11, s23
	s_add_co_u32 s4, s48, s4
	s_add_co_ci_u32 s28, s49, s3
	s_mul_i32 s22, s11, s23
	s_add_co_ci_u32 s23, s7, 0
	s_delay_alu instid0(SALU_CYCLE_1) | instskip(NEXT) | instid1(SALU_CYCLE_1)
	s_add_nc_u64 s[22:23], s[28:29], s[22:23]
	s_add_co_u32 s10, s10, s22
	s_cselect_b32 s3, -1, 0
	s_delay_alu instid0(SALU_CYCLE_1) | instskip(SKIP_1) | instid1(SALU_CYCLE_1)
	s_cmp_lg_u32 s3, 0
	s_add_co_ci_u32 s11, s11, s23
	s_mul_u64 s[20:21], s[20:21], s[10:11]
	s_delay_alu instid0(SALU_CYCLE_1)
	s_mul_hi_u32 s23, s10, s21
	s_mul_i32 s22, s10, s21
	s_mul_hi_u32 s28, s10, s20
	s_mul_i32 s4, s11, s20
	s_add_nc_u64 s[22:23], s[28:29], s[22:23]
	s_mul_hi_u32 s3, s11, s20
	s_mul_hi_u32 s7, s11, s21
	s_add_co_u32 s4, s22, s4
	s_add_co_ci_u32 s28, s23, s3
	s_mul_i32 s20, s11, s21
	s_add_co_ci_u32 s21, s7, 0
	s_delay_alu instid0(SALU_CYCLE_1) | instskip(NEXT) | instid1(SALU_CYCLE_1)
	s_add_nc_u64 s[20:21], s[28:29], s[20:21]
	s_add_co_u32 s3, s10, s20
	s_cselect_b32 s4, -1, 0
	s_mul_hi_u32 s28, s64, s3
	s_cmp_lg_u32 s4, 0
	s_mul_hi_u32 s4, s65, s3
	s_add_co_ci_u32 s7, s11, s21
	s_mul_i32 s3, s65, s3
	s_mul_hi_u32 s11, s64, s7
	s_mul_i32 s10, s64, s7
	s_mul_hi_u32 s21, s65, s7
	s_add_nc_u64 s[10:11], s[28:29], s[10:11]
	s_mul_i32 s20, s65, s7
	s_add_co_u32 s3, s10, s3
	s_add_co_ci_u32 s28, s11, s4
	s_add_co_ci_u32 s21, s21, 0
	s_delay_alu instid0(SALU_CYCLE_1) | instskip(NEXT) | instid1(SALU_CYCLE_1)
	s_add_nc_u64 s[10:11], s[28:29], s[20:21]
	s_and_b64 s[20:21], s[10:11], 0xffffffff00000000
	s_delay_alu instid0(SALU_CYCLE_1) | instskip(NEXT) | instid1(SALU_CYCLE_1)
	s_or_b32 s20, s20, s10
	s_mul_u64 s[10:11], s[40:41], s[20:21]
	s_delay_alu instid0(SALU_CYCLE_1) | instskip(SKIP_1) | instid1(SALU_CYCLE_1)
	s_sub_co_u32 s3, s64, s10
	s_cselect_b32 s4, -1, 0
	s_cmp_lg_u32 s4, 0
	s_sub_co_ci_u32 s4, s65, s11
	s_sub_co_u32 s7, s3, s40
	s_cselect_b32 s10, -1, 0
	s_delay_alu instid0(SALU_CYCLE_1) | instskip(SKIP_3) | instid1(SALU_CYCLE_1)
	s_cmp_lg_u32 s10, 0
	s_sub_co_ci_u32 s10, s4, 0
	s_sub_co_u32 s11, s7, s40
	s_cselect_b32 s20, -1, 0
	s_cmp_lg_u32 s20, 0
	s_sub_co_ci_u32 s20, s10, 0
	s_cmp_ge_u32 s7, s40
	s_cselect_b32 s21, -1, 0
	s_cmp_eq_u32 s10, 0
	s_cselect_b32 s21, s21, -1
	s_delay_alu instid0(SALU_CYCLE_1)
	s_cmp_lg_u32 s21, 0
	s_cselect_b32 s10, s20, s10
	s_cselect_b32 s7, s11, s7
	s_cmp_ge_u32 s3, s40
	s_cselect_b32 s11, -1, 0
	s_cmp_eq_u32 s4, 0
	s_cselect_b32 s11, s11, -1
	s_delay_alu instid0(SALU_CYCLE_1)
	s_cmp_lg_u32 s11, 0
	s_cselect_b32 s11, s10, s4
	s_cselect_b32 s10, s7, s3
	s_cbranch_execnz .LBB141_319
.LBB141_318:                            ;   in Loop: Header=BB141_31 Depth=1
	v_cvt_f32_u32_e32 v2, s40
	s_sub_co_i32 s4, 0, s40
	s_delay_alu instid0(VALU_DEP_1) | instskip(SKIP_1) | instid1(TRANS32_DEP_1)
	v_rcp_iflag_f32_e32 v2, v2
	v_nop
	v_mul_f32_e32 v2, 0x4f7ffffe, v2
	s_delay_alu instid0(VALU_DEP_1) | instskip(NEXT) | instid1(VALU_DEP_1)
	v_cvt_u32_f32_e32 v2, v2
	v_readfirstlane_b32 s3, v2
	s_mul_i32 s4, s4, s3
	s_delay_alu instid0(SALU_CYCLE_1) | instskip(NEXT) | instid1(SALU_CYCLE_1)
	s_mul_hi_u32 s4, s3, s4
	s_add_co_i32 s3, s3, s4
	s_delay_alu instid0(SALU_CYCLE_1) | instskip(NEXT) | instid1(SALU_CYCLE_1)
	s_mul_hi_u32 s3, s64, s3
	s_mul_i32 s3, s3, s40
	s_delay_alu instid0(SALU_CYCLE_1) | instskip(NEXT) | instid1(SALU_CYCLE_1)
	s_sub_co_i32 s3, s64, s3
	s_sub_co_i32 s4, s3, s40
	s_cmp_ge_u32 s3, s40
	s_cselect_b32 s3, s4, s3
	s_delay_alu instid0(SALU_CYCLE_1) | instskip(SKIP_2) | instid1(SALU_CYCLE_1)
	s_sub_co_i32 s4, s3, s40
	s_cmp_ge_u32 s3, s40
	s_cselect_b32 s28, s4, s3
	s_mov_b64 s[10:11], s[28:29]
.LBB141_319:                            ;   in Loop: Header=BB141_31 Depth=1
	s_delay_alu instid0(SALU_CYCLE_1)
	s_sub_nc_u64 s[10:11], s[64:65], s[10:11]
	s_mov_b32 s20, exec_lo
                                        ; implicit-def: $vgpr44
	v_cmpx_gt_u64_e64 s[10:11], v[0:1]
	s_cbranch_execz .LBB141_328
; %bb.320:                              ;   in Loop: Header=BB141_31 Depth=1
	v_mov_b64_e32 v[4:5], v[30:31]
	v_mov_b64_e32 v[6:7], v[0:1]
	s_mov_b32 s22, 0
                                        ; implicit-def: $sgpr21
	s_branch .LBB141_323
.LBB141_321:                            ;   in Loop: Header=BB141_323 Depth=2
	s_or_b32 exec_lo, exec_lo, s7
	s_wait_dscnt 0x0
	s_barrier_signal -1
	s_barrier_wait -1
	ds_load_u16 v2, v3 offset:3072
	s_mov_b32 s4, -1
	s_mov_b32 s7, -1
	s_wait_dscnt 0x0
	s_barrier_signal -1
	s_barrier_wait -1
	v_and_b32_e32 v8, 0xff, v2
	s_delay_alu instid0(VALU_DEP_1)
	v_cmp_ne_u32_e32 vcc_lo, 0, v8
	s_cbranch_vccz .LBB141_326
.LBB141_322:                            ;   in Loop: Header=BB141_323 Depth=2
	s_and_b32 s3, exec_lo, s4
	s_delay_alu instid0(SALU_CYCLE_1) | instskip(SKIP_2) | instid1(SALU_CYCLE_1)
	s_or_b32 s22, s3, s22
	s_and_not1_b32 s3, s21, exec_lo
	s_and_b32 s4, s7, exec_lo
	s_or_b32 s21, s3, s4
	s_and_not1_b32 exec_lo, exec_lo, s22
	s_cbranch_execz .LBB141_327
.LBB141_323:                            ;   Parent Loop BB141_31 Depth=1
                                        ; =>  This Inner Loop Header: Depth=2
	s_mov_b32 s7, exec_lo
	s_delay_alu instid0(VALU_DEP_1)
	v_cmpx_gt_u64_e64 s[36:37], v[6:7]
	s_cbranch_execz .LBB141_321
; %bb.324:                              ;   in Loop: Header=BB141_323 Depth=2
	global_load_u8 v2, v[4:5], off
	s_wait_loadcnt 0x0
	v_bfe_i32 v8, v2, 0, 8
	s_delay_alu instid0(VALU_DEP_1) | instskip(NEXT) | instid1(VALU_DEP_1)
	v_add_nc_u32_e32 v8, 0x80, v8
	v_and_b32_e32 v8, v8, v43
	s_delay_alu instid0(VALU_DEP_1)
	v_cmp_eq_u32_e32 vcc_lo, v8, v41
	s_and_b32 exec_lo, exec_lo, vcc_lo
	s_cbranch_execz .LBB141_321
; %bb.325:                              ;   in Loop: Header=BB141_323 Depth=2
	v_lshlrev_b16 v2, 8, v2
	s_delay_alu instid0(VALU_DEP_1)
	v_or_b32_e32 v2, 1, v2
	ds_store_b16 v3, v2 offset:3072
	s_branch .LBB141_321
.LBB141_326:                            ;   in Loop: Header=BB141_323 Depth=2
	v_add_nc_u64_e32 v[6:7], s[40:41], v[6:7]
	v_add_nc_u64_e32 v[4:5], s[44:45], v[4:5]
	s_mov_b32 s7, 0
	s_delay_alu instid0(VALU_DEP_2)
	v_cmp_le_u64_e32 vcc_lo, s[10:11], v[6:7]
	s_or_not1_b32 s4, vcc_lo, exec_lo
	s_branch .LBB141_322
.LBB141_327:                            ;   in Loop: Header=BB141_31 Depth=1
	s_or_b32 exec_lo, exec_lo, s22
	v_and_b32_e32 v2, 0xffff, v2
	s_and_not1_b32 s3, s8, exec_lo
	s_and_b32 s4, s21, exec_lo
	s_delay_alu instid0(SALU_CYCLE_1) | instskip(NEXT) | instid1(VALU_DEP_1)
	s_or_b32 s8, s3, s4
	v_lshrrev_b32_e32 v44, 8, v2
.LBB141_328:                            ;   in Loop: Header=BB141_31 Depth=1
	s_or_b32 exec_lo, exec_lo, s20
	s_mov_b32 s26, 0
	s_mov_b32 s74, -1
.LBB141_329:                            ;   in Loop: Header=BB141_31 Depth=1
	s_or_not1_b32 s7, s8, exec_lo
.LBB141_330:                            ;   in Loop: Header=BB141_31 Depth=1
	s_or_b32 exec_lo, exec_lo, s72
                                        ; implicit-def: $vgpr4_vgpr5
                                        ; implicit-def: $vgpr2
	s_and_saveexec_b32 s22, s7
	s_cbranch_execz .LBB141_488
; %bb.331:                              ;   in Loop: Header=BB141_31 Depth=1
	v_mov_b64_e32 v[4:5], 1
	v_mov_b32_e32 v2, 1
	s_xor_b32 s3, s9, -1
	s_mov_b32 s9, 0
	s_and_saveexec_b32 s8, s3
	s_cbranch_execz .LBB141_337
; %bb.332:                              ;   in Loop: Header=BB141_31 Depth=1
	s_mov_b32 s3, exec_lo
	v_cmpx_ge_u64_e64 s[18:19], v[32:33]
	s_xor_b32 s7, exec_lo, s3
	s_cbranch_execz .LBB141_334
; %bb.333:                              ;   in Loop: Header=BB141_31 Depth=1
	ds_load_b64 v[4:5], v3 offset:5120
	v_or_b32_e32 v41, s24, v41
	v_or_b32_e32 v43, s24, v43
	s_wait_dscnt 0x0
	v_cmp_ne_u64_e32 vcc_lo, 0, v[4:5]
	s_cbranch_vccz .LBB141_355
.LBB141_334:                            ;   in Loop: Header=BB141_31 Depth=1
	s_or_saveexec_b32 s7, s7
	v_mov_b32_e32 v2, 5
	s_xor_b32 exec_lo, exec_lo, s7
.LBB141_335:                            ;   in Loop: Header=BB141_31 Depth=1
	v_sub_nc_u64_e64 v[32:33], v[32:33], s[18:19]
	v_mov_b32_e32 v2, 0
	s_mov_b32 s9, exec_lo
.LBB141_336:                            ;   in Loop: Header=BB141_31 Depth=1
	s_or_b32 exec_lo, exec_lo, s7
	s_delay_alu instid0(VALU_DEP_2)
	v_mov_b64_e32 v[4:5], v[32:33]
	s_and_b32 s9, s9, exec_lo
.LBB141_337:                            ;   in Loop: Header=BB141_31 Depth=1
	s_or_b32 exec_lo, exec_lo, s8
	s_mov_b32 s7, -1
                                        ; implicit-def: $sgpr23
                                        ; implicit-def: $sgpr72
	s_and_saveexec_b32 s3, s9
	s_delay_alu instid0(SALU_CYCLE_1)
	s_xor_b32 s9, exec_lo, s3
	s_cbranch_execz .LBB141_485
; %bb.338:                              ;   in Loop: Header=BB141_31 Depth=1
	v_cmp_eq_u64_e32 vcc_lo, 1, v[4:5]
	s_cmp_eq_u64 s[16:17], 1
                                        ; implicit-def: $sgpr72
                                        ; implicit-def: $sgpr23
	s_cselect_b32 s3, -1, 0
	s_delay_alu instid0(SALU_CYCLE_1) | instskip(NEXT) | instid1(SALU_CYCLE_1)
	s_and_b32 s73, s3, vcc_lo
	s_and_saveexec_b32 s75, s73
	s_cbranch_execz .LBB141_375
; %bb.339:                              ;   in Loop: Header=BB141_31 Depth=1
	ds_load_b64 v[6:7], v3 offset:5120
	s_wait_dscnt 0x0
	s_barrier_signal -1
	s_barrier_wait -1
	v_readfirstlane_b32 s10, v6
	v_readfirstlane_b32 s11, v7
	s_and_saveexec_b32 s4, s6
; %bb.340:                              ;   in Loop: Header=BB141_31 Depth=1
	ds_store_b8 v0, v3 offset:3072
; %bb.341:                              ;   in Loop: Header=BB141_31 Depth=1
	s_or_b32 exec_lo, exec_lo, s4
	s_lshl_b32 s3, 2, s99
	v_or_b32_e32 v43, s24, v43
	v_and_or_b32 v41, v41, s25, s3
	s_mov_b32 s23, -1
	s_mov_b32 s72, 0
	s_cmp_eq_u64 s[10:11], 0
	s_mov_b32 s8, 0
	s_mov_b32 s20, -1
	s_wait_dscnt 0x0
	s_barrier_signal -1
	s_barrier_wait -1
                                        ; implicit-def: $vgpr44
	s_cbranch_scc1 .LBB141_360
; %bb.342:                              ;   in Loop: Header=BB141_31 Depth=1
	s_add_nc_u64 s[18:19], s[10:11], s[62:63]
	s_delay_alu instid0(SALU_CYCLE_1) | instskip(NEXT) | instid1(SALU_CYCLE_1)
	s_and_b64 s[20:21], s[18:19], 0xffffffff00000000
	s_cmp_lg_u64 s[20:21], 0
	s_cbranch_scc0 .LBB141_401
; %bb.343:                              ;   in Loop: Header=BB141_31 Depth=1
	s_cvt_f32_u32 s3, s40
	s_sub_nc_u64 s[48:49], 0, s[40:41]
	s_delay_alu instid0(SALU_CYCLE_2) | instskip(NEXT) | instid1(SALU_CYCLE_3)
	s_fmamk_f32 s3, s100, 0x0, s3
	v_s_rcp_f32 s3, s3
	s_delay_alu instid0(TRANS32_DEP_1) | instskip(NEXT) | instid1(SALU_CYCLE_3)
	s_mul_f32 s3, s3, 0x5f7ffffc
	s_mul_f32 s4, s3, 0x2f800000
	s_delay_alu instid0(SALU_CYCLE_3) | instskip(NEXT) | instid1(SALU_CYCLE_3)
	s_trunc_f32 s4, s4
	s_fmamk_f32 s3, s4, 0xcf800000, s3
	s_cvt_u32_f32 s21, s4
	s_delay_alu instid0(SALU_CYCLE_2) | instskip(NEXT) | instid1(SALU_CYCLE_3)
	s_cvt_u32_f32 s20, s3
	s_mul_u64 s[76:77], s[48:49], s[20:21]
	s_delay_alu instid0(SALU_CYCLE_1)
	s_mul_hi_u32 s79, s20, s77
	s_mul_i32 s78, s20, s77
	s_mul_hi_u32 s28, s20, s76
	s_mul_i32 s4, s21, s76
	s_add_nc_u64 s[78:79], s[28:29], s[78:79]
	s_mul_hi_u32 s3, s21, s76
	s_mul_hi_u32 s7, s21, s77
	s_add_co_u32 s4, s78, s4
	s_add_co_ci_u32 s28, s79, s3
	s_mul_i32 s76, s21, s77
	s_add_co_ci_u32 s77, s7, 0
	s_delay_alu instid0(SALU_CYCLE_1) | instskip(NEXT) | instid1(SALU_CYCLE_1)
	s_add_nc_u64 s[76:77], s[28:29], s[76:77]
	s_add_co_u32 s20, s20, s76
	s_cselect_b32 s3, -1, 0
	s_delay_alu instid0(SALU_CYCLE_1) | instskip(SKIP_1) | instid1(SALU_CYCLE_1)
	s_cmp_lg_u32 s3, 0
	s_add_co_ci_u32 s21, s21, s77
	s_mul_u64 s[48:49], s[48:49], s[20:21]
	s_delay_alu instid0(SALU_CYCLE_1)
	s_mul_hi_u32 s77, s20, s49
	s_mul_i32 s76, s20, s49
	s_mul_hi_u32 s28, s20, s48
	s_mul_i32 s4, s21, s48
	s_add_nc_u64 s[76:77], s[28:29], s[76:77]
	s_mul_hi_u32 s3, s21, s48
	s_mul_hi_u32 s7, s21, s49
	s_add_co_u32 s4, s76, s4
	s_add_co_ci_u32 s28, s77, s3
	s_mul_i32 s48, s21, s49
	s_add_co_ci_u32 s49, s7, 0
	s_delay_alu instid0(SALU_CYCLE_1) | instskip(NEXT) | instid1(SALU_CYCLE_1)
	s_add_nc_u64 s[48:49], s[28:29], s[48:49]
	s_add_co_u32 s3, s20, s48
	s_cselect_b32 s4, -1, 0
	s_mul_hi_u32 s28, s18, s3
	s_cmp_lg_u32 s4, 0
	s_mul_hi_u32 s4, s19, s3
	s_add_co_ci_u32 s7, s21, s49
	s_mul_i32 s3, s19, s3
	s_mul_hi_u32 s21, s18, s7
	s_mul_i32 s20, s18, s7
	s_mul_hi_u32 s8, s19, s7
	s_add_nc_u64 s[20:21], s[28:29], s[20:21]
	s_mul_i32 s48, s19, s7
	s_add_co_u32 s3, s20, s3
	s_add_co_ci_u32 s28, s21, s4
	s_add_co_ci_u32 s49, s8, 0
	s_delay_alu instid0(SALU_CYCLE_1) | instskip(NEXT) | instid1(SALU_CYCLE_1)
	s_add_nc_u64 s[20:21], s[28:29], s[48:49]
	s_and_b64 s[48:49], s[20:21], 0xffffffff00000000
	s_delay_alu instid0(SALU_CYCLE_1) | instskip(NEXT) | instid1(SALU_CYCLE_1)
	s_or_b32 s48, s48, s20
	s_mul_u64 s[20:21], s[40:41], s[48:49]
	s_delay_alu instid0(SALU_CYCLE_1) | instskip(SKIP_1) | instid1(SALU_CYCLE_1)
	s_sub_co_u32 s3, s18, s20
	s_cselect_b32 s4, -1, 0
	s_cmp_lg_u32 s4, 0
	s_sub_co_ci_u32 s4, s19, s21
	s_sub_co_u32 s7, s3, s40
	s_cselect_b32 s8, -1, 0
	s_delay_alu instid0(SALU_CYCLE_1) | instskip(SKIP_3) | instid1(SALU_CYCLE_1)
	s_cmp_lg_u32 s8, 0
	s_sub_co_ci_u32 s8, s4, 0
	s_sub_co_u32 s20, s7, s40
	s_cselect_b32 s21, -1, 0
	s_cmp_lg_u32 s21, 0
	s_sub_co_ci_u32 s21, s8, 0
	s_cmp_ge_u32 s7, s40
	s_cselect_b32 s28, -1, 0
	s_cmp_eq_u32 s8, 0
	s_cselect_b32 s28, s28, -1
	s_delay_alu instid0(SALU_CYCLE_1)
	s_cmp_lg_u32 s28, 0
	s_cselect_b32 s8, s21, s8
	s_cselect_b32 s7, s20, s7
	s_cmp_ge_u32 s3, s40
	s_cselect_b32 s20, -1, 0
	s_cmp_eq_u32 s4, 0
	s_cselect_b32 s20, s20, -1
	s_delay_alu instid0(SALU_CYCLE_1)
	s_cmp_lg_u32 s20, 0
	s_cselect_b32 s21, s8, s4
	s_cselect_b32 s20, s7, s3
	s_cbranch_execnz .LBB141_345
.LBB141_344:                            ;   in Loop: Header=BB141_31 Depth=1
	v_cvt_f32_u32_e32 v6, s40
	s_sub_co_i32 s4, 0, s40
	s_delay_alu instid0(VALU_DEP_1) | instskip(SKIP_1) | instid1(TRANS32_DEP_1)
	v_rcp_iflag_f32_e32 v6, v6
	v_nop
	v_mul_f32_e32 v6, 0x4f7ffffe, v6
	s_delay_alu instid0(VALU_DEP_1) | instskip(NEXT) | instid1(VALU_DEP_1)
	v_cvt_u32_f32_e32 v6, v6
	v_readfirstlane_b32 s3, v6
	s_mul_i32 s4, s4, s3
	s_delay_alu instid0(SALU_CYCLE_1) | instskip(NEXT) | instid1(SALU_CYCLE_1)
	s_mul_hi_u32 s4, s3, s4
	s_add_co_i32 s3, s3, s4
	s_delay_alu instid0(SALU_CYCLE_1) | instskip(NEXT) | instid1(SALU_CYCLE_1)
	s_mul_hi_u32 s3, s18, s3
	s_mul_i32 s3, s3, s40
	s_delay_alu instid0(SALU_CYCLE_1) | instskip(NEXT) | instid1(SALU_CYCLE_1)
	s_sub_co_i32 s3, s18, s3
	s_sub_co_i32 s4, s3, s40
	s_cmp_ge_u32 s3, s40
	s_cselect_b32 s3, s4, s3
	s_delay_alu instid0(SALU_CYCLE_1) | instskip(SKIP_2) | instid1(SALU_CYCLE_1)
	s_sub_co_i32 s4, s3, s40
	s_cmp_ge_u32 s3, s40
	s_cselect_b32 s28, s4, s3
	s_mov_b64 s[20:21], s[28:29]
.LBB141_345:                            ;   in Loop: Header=BB141_31 Depth=1
	s_delay_alu instid0(SALU_CYCLE_1)
	s_sub_nc_u64 s[18:19], s[18:19], s[20:21]
	s_mov_b32 s20, 0
	s_mov_b32 s8, 0
	s_mov_b32 s21, exec_lo
                                        ; implicit-def: $vgpr44
	v_cmpx_gt_u64_e64 s[18:19], v[0:1]
	s_cbranch_execz .LBB141_359
; %bb.346:                              ;   in Loop: Header=BB141_31 Depth=1
	v_mov_b64_e32 v[6:7], v[0:1]
	v_mov_b32_e32 v8, v0
                                        ; implicit-def: $sgpr28
	s_branch .LBB141_349
.LBB141_347:                            ;   in Loop: Header=BB141_349 Depth=2
	s_or_b32 exec_lo, exec_lo, s7
	s_wait_dscnt 0x0
	s_barrier_signal -1
	s_barrier_wait -1
	ds_load_u16 v9, v3 offset:3072
	s_mov_b32 s4, -1
	s_mov_b32 s7, -1
	s_wait_dscnt 0x0
	s_barrier_signal -1
	s_barrier_wait -1
	v_and_b32_e32 v10, 0xff, v9
	s_delay_alu instid0(VALU_DEP_1)
	v_cmp_ne_u32_e32 vcc_lo, 0, v10
	s_cbranch_vccz .LBB141_352
.LBB141_348:                            ;   in Loop: Header=BB141_349 Depth=2
	s_and_b32 s3, exec_lo, s4
	s_delay_alu instid0(SALU_CYCLE_1) | instskip(SKIP_2) | instid1(SALU_CYCLE_1)
	s_or_b32 s8, s3, s8
	s_and_not1_b32 s3, s28, exec_lo
	s_and_b32 s4, s7, exec_lo
	s_or_b32 s28, s3, s4
	s_and_not1_b32 exec_lo, exec_lo, s8
	s_cbranch_execz .LBB141_358
.LBB141_349:                            ;   Parent Loop BB141_31 Depth=1
                                        ; =>  This Inner Loop Header: Depth=2
	s_mov_b32 s7, exec_lo
	s_delay_alu instid0(VALU_DEP_2)
	v_cmpx_gt_u64_e64 s[10:11], v[6:7]
	s_cbranch_execz .LBB141_347
; %bb.350:                              ;   in Loop: Header=BB141_349 Depth=2
	ds_load_u8 v9, v8
	s_wait_dscnt 0x0
	v_bfe_i32 v10, v9, 0, 8
	s_delay_alu instid0(VALU_DEP_1) | instskip(NEXT) | instid1(VALU_DEP_1)
	v_add_nc_u32_e32 v10, 0x80, v10
	v_and_b32_e32 v10, v10, v43
	s_delay_alu instid0(VALU_DEP_1)
	v_cmp_eq_u32_e32 vcc_lo, v10, v41
	s_and_b32 exec_lo, exec_lo, vcc_lo
	s_cbranch_execz .LBB141_347
; %bb.351:                              ;   in Loop: Header=BB141_349 Depth=2
	v_lshlrev_b16 v9, 8, v9
	s_delay_alu instid0(VALU_DEP_1)
	v_or_b32_e32 v9, 1, v9
	ds_store_b16 v3, v9 offset:3072
	s_branch .LBB141_347
.LBB141_352:                            ;   in Loop: Header=BB141_349 Depth=2
	v_add_nc_u64_e32 v[6:7], s[40:41], v[6:7]
	v_add_nc_u32_e32 v8, s40, v8
	s_mov_b32 s7, 0
	s_delay_alu instid0(VALU_DEP_2)
	v_cmp_le_u64_e32 vcc_lo, s[18:19], v[6:7]
	s_or_not1_b32 s4, vcc_lo, exec_lo
	s_branch .LBB141_348
.LBB141_353:                            ;   in Loop: Header=BB141_31 Depth=1
                                        ; implicit-def: $sgpr22_sgpr23
	s_branch .LBB141_303
.LBB141_354:                            ;   in Loop: Header=BB141_31 Depth=1
                                        ; implicit-def: $sgpr10_sgpr11
	s_branch .LBB141_318
.LBB141_355:                            ;   in Loop: Header=BB141_31 Depth=1
	s_and_saveexec_b32 s4, s5
; %bb.356:                              ;   in Loop: Header=BB141_31 Depth=1
	v_mov_b64_e32 v[4:5], s[18:19]
	ds_store_b64 v3, v[4:5] offset:5128
; %bb.357:                              ;   in Loop: Header=BB141_31 Depth=1
	s_or_b32 exec_lo, exec_lo, s4
	s_wait_dscnt 0x0
	s_barrier_signal -1
	s_barrier_wait -1
	s_or_saveexec_b32 s7, s7
	v_mov_b32_e32 v2, 5
	s_xor_b32 exec_lo, exec_lo, s7
	s_cbranch_execnz .LBB141_335
	s_branch .LBB141_336
.LBB141_358:                            ;   in Loop: Header=BB141_31 Depth=1
	s_or_b32 exec_lo, exec_lo, s8
	v_and_b32_e32 v6, 0xffff, v9
	s_and_b32 s8, s28, exec_lo
	s_delay_alu instid0(VALU_DEP_1)
	v_lshrrev_b32_e32 v44, 8, v6
.LBB141_359:                            ;   in Loop: Header=BB141_31 Depth=1
	s_or_b32 exec_lo, exec_lo, s21
.LBB141_360:                            ;   in Loop: Header=BB141_31 Depth=1
	s_delay_alu instid0(SALU_CYCLE_1)
	s_and_b32 vcc_lo, exec_lo, s20
	s_cbranch_vccz .LBB141_374
; %bb.361:                              ;   in Loop: Header=BB141_31 Depth=1
	s_and_b64 s[10:11], s[64:65], 0xffffffff00000000
	s_delay_alu instid0(SALU_CYCLE_1)
	s_cmp_lg_u64 s[10:11], 0
	s_cbranch_scc0 .LBB141_402
; %bb.362:                              ;   in Loop: Header=BB141_31 Depth=1
	s_cvt_f32_u32 s3, s40
	s_sub_nc_u64 s[18:19], 0, s[40:41]
	s_delay_alu instid0(SALU_CYCLE_2) | instskip(NEXT) | instid1(SALU_CYCLE_3)
	s_fmamk_f32 s3, s100, 0x0, s3
	v_s_rcp_f32 s3, s3
	s_delay_alu instid0(TRANS32_DEP_1) | instskip(NEXT) | instid1(SALU_CYCLE_3)
	s_mul_f32 s3, s3, 0x5f7ffffc
	s_mul_f32 s4, s3, 0x2f800000
	s_delay_alu instid0(SALU_CYCLE_3) | instskip(NEXT) | instid1(SALU_CYCLE_3)
	s_trunc_f32 s4, s4
	s_fmamk_f32 s3, s4, 0xcf800000, s3
	s_cvt_u32_f32 s11, s4
	s_delay_alu instid0(SALU_CYCLE_2) | instskip(NEXT) | instid1(SALU_CYCLE_3)
	s_cvt_u32_f32 s10, s3
	s_mul_u64 s[20:21], s[18:19], s[10:11]
	s_delay_alu instid0(SALU_CYCLE_1)
	s_mul_hi_u32 s49, s10, s21
	s_mul_i32 s48, s10, s21
	s_mul_hi_u32 s28, s10, s20
	s_mul_i32 s4, s11, s20
	s_add_nc_u64 s[48:49], s[28:29], s[48:49]
	s_mul_hi_u32 s3, s11, s20
	s_mul_hi_u32 s7, s11, s21
	s_add_co_u32 s4, s48, s4
	s_add_co_ci_u32 s28, s49, s3
	s_mul_i32 s20, s11, s21
	s_add_co_ci_u32 s21, s7, 0
	s_delay_alu instid0(SALU_CYCLE_1) | instskip(NEXT) | instid1(SALU_CYCLE_1)
	s_add_nc_u64 s[20:21], s[28:29], s[20:21]
	s_add_co_u32 s10, s10, s20
	s_cselect_b32 s3, -1, 0
	s_delay_alu instid0(SALU_CYCLE_1) | instskip(SKIP_1) | instid1(SALU_CYCLE_1)
	s_cmp_lg_u32 s3, 0
	s_add_co_ci_u32 s11, s11, s21
	s_mul_u64 s[18:19], s[18:19], s[10:11]
	s_delay_alu instid0(SALU_CYCLE_1)
	s_mul_hi_u32 s21, s10, s19
	s_mul_i32 s20, s10, s19
	s_mul_hi_u32 s28, s10, s18
	s_mul_i32 s4, s11, s18
	s_add_nc_u64 s[20:21], s[28:29], s[20:21]
	s_mul_hi_u32 s3, s11, s18
	s_mul_hi_u32 s7, s11, s19
	s_add_co_u32 s4, s20, s4
	s_add_co_ci_u32 s28, s21, s3
	s_mul_i32 s18, s11, s19
	s_add_co_ci_u32 s19, s7, 0
	s_delay_alu instid0(SALU_CYCLE_1) | instskip(NEXT) | instid1(SALU_CYCLE_1)
	s_add_nc_u64 s[18:19], s[28:29], s[18:19]
	s_add_co_u32 s3, s10, s18
	s_cselect_b32 s4, -1, 0
	s_mul_hi_u32 s28, s64, s3
	s_cmp_lg_u32 s4, 0
	s_mul_hi_u32 s4, s65, s3
	s_add_co_ci_u32 s7, s11, s19
	s_mul_i32 s3, s65, s3
	s_mul_hi_u32 s11, s64, s7
	s_mul_i32 s10, s64, s7
	s_mul_hi_u32 s19, s65, s7
	s_add_nc_u64 s[10:11], s[28:29], s[10:11]
	s_mul_i32 s18, s65, s7
	s_add_co_u32 s3, s10, s3
	s_add_co_ci_u32 s28, s11, s4
	s_add_co_ci_u32 s19, s19, 0
	s_delay_alu instid0(SALU_CYCLE_1) | instskip(NEXT) | instid1(SALU_CYCLE_1)
	s_add_nc_u64 s[10:11], s[28:29], s[18:19]
	s_and_b64 s[18:19], s[10:11], 0xffffffff00000000
	s_delay_alu instid0(SALU_CYCLE_1) | instskip(NEXT) | instid1(SALU_CYCLE_1)
	s_or_b32 s18, s18, s10
	s_mul_u64 s[10:11], s[40:41], s[18:19]
	s_delay_alu instid0(SALU_CYCLE_1) | instskip(SKIP_1) | instid1(SALU_CYCLE_1)
	s_sub_co_u32 s3, s64, s10
	s_cselect_b32 s4, -1, 0
	s_cmp_lg_u32 s4, 0
	s_sub_co_ci_u32 s4, s65, s11
	s_sub_co_u32 s7, s3, s40
	s_cselect_b32 s10, -1, 0
	s_delay_alu instid0(SALU_CYCLE_1) | instskip(SKIP_3) | instid1(SALU_CYCLE_1)
	s_cmp_lg_u32 s10, 0
	s_sub_co_ci_u32 s10, s4, 0
	s_sub_co_u32 s11, s7, s40
	s_cselect_b32 s18, -1, 0
	s_cmp_lg_u32 s18, 0
	s_sub_co_ci_u32 s18, s10, 0
	s_cmp_ge_u32 s7, s40
	s_cselect_b32 s19, -1, 0
	s_cmp_eq_u32 s10, 0
	s_cselect_b32 s19, s19, -1
	s_delay_alu instid0(SALU_CYCLE_1)
	s_cmp_lg_u32 s19, 0
	s_cselect_b32 s10, s18, s10
	s_cselect_b32 s7, s11, s7
	s_cmp_ge_u32 s3, s40
	s_cselect_b32 s11, -1, 0
	s_cmp_eq_u32 s4, 0
	s_cselect_b32 s11, s11, -1
	s_delay_alu instid0(SALU_CYCLE_1)
	s_cmp_lg_u32 s11, 0
	s_cselect_b32 s11, s10, s4
	s_cselect_b32 s10, s7, s3
	s_cbranch_execnz .LBB141_364
.LBB141_363:                            ;   in Loop: Header=BB141_31 Depth=1
	v_cvt_f32_u32_e32 v6, s40
	s_sub_co_i32 s4, 0, s40
	s_delay_alu instid0(VALU_DEP_1) | instskip(SKIP_1) | instid1(TRANS32_DEP_1)
	v_rcp_iflag_f32_e32 v6, v6
	v_nop
	v_mul_f32_e32 v6, 0x4f7ffffe, v6
	s_delay_alu instid0(VALU_DEP_1) | instskip(NEXT) | instid1(VALU_DEP_1)
	v_cvt_u32_f32_e32 v6, v6
	v_readfirstlane_b32 s3, v6
	s_mul_i32 s4, s4, s3
	s_delay_alu instid0(SALU_CYCLE_1) | instskip(NEXT) | instid1(SALU_CYCLE_1)
	s_mul_hi_u32 s4, s3, s4
	s_add_co_i32 s3, s3, s4
	s_delay_alu instid0(SALU_CYCLE_1) | instskip(NEXT) | instid1(SALU_CYCLE_1)
	s_mul_hi_u32 s3, s64, s3
	s_mul_i32 s3, s3, s40
	s_delay_alu instid0(SALU_CYCLE_1) | instskip(NEXT) | instid1(SALU_CYCLE_1)
	s_sub_co_i32 s3, s64, s3
	s_sub_co_i32 s4, s3, s40
	s_cmp_ge_u32 s3, s40
	s_cselect_b32 s3, s4, s3
	s_delay_alu instid0(SALU_CYCLE_1) | instskip(SKIP_2) | instid1(SALU_CYCLE_1)
	s_sub_co_i32 s4, s3, s40
	s_cmp_ge_u32 s3, s40
	s_cselect_b32 s28, s4, s3
	s_mov_b64 s[10:11], s[28:29]
.LBB141_364:                            ;   in Loop: Header=BB141_31 Depth=1
	s_delay_alu instid0(SALU_CYCLE_1)
	s_sub_nc_u64 s[10:11], s[64:65], s[10:11]
	s_mov_b32 s18, exec_lo
                                        ; implicit-def: $vgpr44
	v_cmpx_gt_u64_e64 s[10:11], v[0:1]
	s_cbranch_execz .LBB141_373
; %bb.365:                              ;   in Loop: Header=BB141_31 Depth=1
	v_mov_b64_e32 v[6:7], v[30:31]
	v_mov_b64_e32 v[8:9], v[0:1]
	s_mov_b32 s19, 0
                                        ; implicit-def: $sgpr20
	s_branch .LBB141_368
.LBB141_366:                            ;   in Loop: Header=BB141_368 Depth=2
	s_or_b32 exec_lo, exec_lo, s7
	s_wait_dscnt 0x0
	s_barrier_signal -1
	s_barrier_wait -1
	ds_load_u16 v10, v3 offset:3072
	s_mov_b32 s4, -1
	s_mov_b32 s7, -1
	s_wait_dscnt 0x0
	s_barrier_signal -1
	s_barrier_wait -1
	v_and_b32_e32 v11, 0xff, v10
	s_delay_alu instid0(VALU_DEP_1)
	v_cmp_eq_u32_e32 vcc_lo, 0, v11
	s_cbranch_vccnz .LBB141_371
.LBB141_367:                            ;   in Loop: Header=BB141_368 Depth=2
	s_and_b32 s3, exec_lo, s4
	s_delay_alu instid0(SALU_CYCLE_1) | instskip(SKIP_2) | instid1(SALU_CYCLE_1)
	s_or_b32 s19, s3, s19
	s_and_not1_b32 s3, s20, exec_lo
	s_and_b32 s4, s7, exec_lo
	s_or_b32 s20, s3, s4
	s_and_not1_b32 exec_lo, exec_lo, s19
	s_cbranch_execz .LBB141_372
.LBB141_368:                            ;   Parent Loop BB141_31 Depth=1
                                        ; =>  This Inner Loop Header: Depth=2
	s_mov_b32 s7, exec_lo
	s_delay_alu instid0(VALU_DEP_1)
	v_cmpx_gt_u64_e64 s[36:37], v[8:9]
	s_cbranch_execz .LBB141_366
; %bb.369:                              ;   in Loop: Header=BB141_368 Depth=2
	global_load_u8 v10, v[6:7], off
	s_wait_loadcnt 0x0
	v_bfe_i32 v11, v10, 0, 8
	s_delay_alu instid0(VALU_DEP_1) | instskip(NEXT) | instid1(VALU_DEP_1)
	v_add_nc_u32_e32 v11, 0x80, v11
	v_and_b32_e32 v11, v11, v43
	s_delay_alu instid0(VALU_DEP_1)
	v_cmp_eq_u32_e32 vcc_lo, v11, v41
	s_and_b32 exec_lo, exec_lo, vcc_lo
	s_cbranch_execz .LBB141_366
; %bb.370:                              ;   in Loop: Header=BB141_368 Depth=2
	v_lshlrev_b16 v10, 8, v10
	s_delay_alu instid0(VALU_DEP_1)
	v_or_b32_e32 v10, 1, v10
	ds_store_b16 v3, v10 offset:3072
	s_branch .LBB141_366
.LBB141_371:                            ;   in Loop: Header=BB141_368 Depth=2
	v_add_nc_u64_e32 v[8:9], s[40:41], v[8:9]
	v_add_nc_u64_e32 v[6:7], s[44:45], v[6:7]
	s_mov_b32 s7, 0
	s_delay_alu instid0(VALU_DEP_2)
	v_cmp_le_u64_e32 vcc_lo, s[10:11], v[8:9]
	s_or_not1_b32 s4, vcc_lo, exec_lo
	s_branch .LBB141_367
.LBB141_372:                            ;   in Loop: Header=BB141_31 Depth=1
	s_or_b32 exec_lo, exec_lo, s19
	v_and_b32_e32 v6, 0xffff, v10
	s_and_not1_b32 s3, s8, exec_lo
	s_and_b32 s4, s20, exec_lo
	s_delay_alu instid0(SALU_CYCLE_1) | instskip(NEXT) | instid1(VALU_DEP_1)
	s_or_b32 s8, s3, s4
	v_lshrrev_b32_e32 v44, 8, v6
.LBB141_373:                            ;   in Loop: Header=BB141_31 Depth=1
	s_or_b32 exec_lo, exec_lo, s18
	s_mov_b32 s23, 0
	s_mov_b32 s72, -1
.LBB141_374:                            ;   in Loop: Header=BB141_31 Depth=1
	s_or_not1_b32 s7, s8, exec_lo
.LBB141_375:                            ;   in Loop: Header=BB141_31 Depth=1
	s_or_b32 exec_lo, exec_lo, s75
	s_mov_b32 s8, 0
	s_and_saveexec_b32 s20, s7
	s_cbranch_execz .LBB141_484
; %bb.376:                              ;   in Loop: Header=BB141_31 Depth=1
	v_mov_b64_e32 v[6:7], 1
	v_mov_b32_e32 v2, 1
	s_xor_b32 s3, s73, -1
	s_mov_b32 s10, 0
	s_and_saveexec_b32 s8, s3
	s_cbranch_execz .LBB141_385
; %bb.377:                              ;   in Loop: Header=BB141_31 Depth=1
	s_mov_b32 s3, exec_lo
	v_cmpx_ge_u64_e64 s[16:17], v[4:5]
	s_xor_b32 s7, exec_lo, s3
	s_cbranch_execz .LBB141_382
; %bb.378:                              ;   in Loop: Header=BB141_31 Depth=1
	ds_load_b64 v[6:7], v3 offset:5120
	s_lshl_b32 s3, 2, s99
	v_or_b32_e32 v43, s24, v43
	v_and_or_b32 v41, v41, s25, s3
	s_wait_dscnt 0x0
	v_cmp_ne_u64_e32 vcc_lo, 0, v[6:7]
	s_cbranch_vccnz .LBB141_382
; %bb.379:                              ;   in Loop: Header=BB141_31 Depth=1
	s_and_saveexec_b32 s4, s5
; %bb.380:                              ;   in Loop: Header=BB141_31 Depth=1
	v_mov_b64_e32 v[6:7], s[16:17]
	ds_store_b64 v3, v[6:7] offset:5128
; %bb.381:                              ;   in Loop: Header=BB141_31 Depth=1
	s_or_b32 exec_lo, exec_lo, s4
	s_wait_dscnt 0x0
	s_barrier_signal -1
	s_barrier_wait -1
.LBB141_382:                            ;   in Loop: Header=BB141_31 Depth=1
	s_or_saveexec_b32 s7, s7
	v_mov_b32_e32 v2, 5
	s_xor_b32 exec_lo, exec_lo, s7
; %bb.383:                              ;   in Loop: Header=BB141_31 Depth=1
	v_sub_nc_u64_e64 v[4:5], v[4:5], s[16:17]
	v_mov_b32_e32 v2, 0
	s_mov_b32 s10, exec_lo
; %bb.384:                              ;   in Loop: Header=BB141_31 Depth=1
	s_or_b32 exec_lo, exec_lo, s7
	s_delay_alu instid0(VALU_DEP_2)
	v_mov_b64_e32 v[6:7], v[4:5]
	s_and_b32 s10, s10, exec_lo
.LBB141_385:                            ;   in Loop: Header=BB141_31 Depth=1
	s_or_b32 exec_lo, exec_lo, s8
	s_mov_b32 s7, -1
                                        ; implicit-def: $sgpr73
                                        ; implicit-def: $sgpr75
	s_and_saveexec_b32 s21, s10
	s_cbranch_execz .LBB141_483
; %bb.386:                              ;   in Loop: Header=BB141_31 Depth=1
	s_delay_alu instid0(VALU_DEP_1) | instskip(SKIP_2) | instid1(SALU_CYCLE_1)
	v_cmp_eq_u64_e32 vcc_lo, 1, v[6:7]
	s_cmp_eq_u64 s[14:15], 1
                                        ; implicit-def: $sgpr75
                                        ; implicit-def: $sgpr73
	s_cselect_b32 s3, -1, 0
	s_and_b32 s76, s3, vcc_lo
	s_delay_alu instid0(SALU_CYCLE_1)
	s_and_saveexec_b32 s77, s76
	s_cbranch_execz .LBB141_420
; %bb.387:                              ;   in Loop: Header=BB141_31 Depth=1
	ds_load_b64 v[4:5], v3 offset:5120
	s_wait_dscnt 0x0
	s_barrier_signal -1
	s_barrier_wait -1
	v_readfirstlane_b32 s10, v4
	v_readfirstlane_b32 s11, v5
	s_and_saveexec_b32 s4, s6
; %bb.388:                              ;   in Loop: Header=BB141_31 Depth=1
	ds_store_b8 v0, v3 offset:3072
; %bb.389:                              ;   in Loop: Header=BB141_31 Depth=1
	s_or_b32 exec_lo, exec_lo, s4
	s_lshl_b32 s3, 1, s99
	v_or_b32_e32 v43, s24, v43
	v_and_or_b32 v41, v41, s25, s3
	s_mov_b32 s73, -1
	s_mov_b32 s75, 0
	s_cmp_eq_u64 s[10:11], 0
	s_mov_b32 s8, 0
	s_mov_b32 s18, -1
	s_wait_dscnt 0x0
	s_barrier_signal -1
	s_barrier_wait -1
                                        ; implicit-def: $vgpr44
	s_cbranch_scc1 .LBB141_405
; %bb.390:                              ;   in Loop: Header=BB141_31 Depth=1
	s_add_nc_u64 s[16:17], s[10:11], s[62:63]
	s_delay_alu instid0(SALU_CYCLE_1) | instskip(NEXT) | instid1(SALU_CYCLE_1)
	s_and_b64 s[18:19], s[16:17], 0xffffffff00000000
	s_cmp_lg_u64 s[18:19], 0
	s_cbranch_scc0 .LBB141_437
; %bb.391:                              ;   in Loop: Header=BB141_31 Depth=1
	s_cvt_f32_u32 s3, s40
	s_sub_nc_u64 s[48:49], 0, s[40:41]
	s_delay_alu instid0(SALU_CYCLE_2) | instskip(NEXT) | instid1(SALU_CYCLE_3)
	s_fmamk_f32 s3, s100, 0x0, s3
	v_s_rcp_f32 s3, s3
	s_delay_alu instid0(TRANS32_DEP_1) | instskip(NEXT) | instid1(SALU_CYCLE_3)
	s_mul_f32 s3, s3, 0x5f7ffffc
	s_mul_f32 s4, s3, 0x2f800000
	s_delay_alu instid0(SALU_CYCLE_3) | instskip(NEXT) | instid1(SALU_CYCLE_3)
	s_trunc_f32 s4, s4
	s_fmamk_f32 s3, s4, 0xcf800000, s3
	s_cvt_u32_f32 s19, s4
	s_delay_alu instid0(SALU_CYCLE_2) | instskip(NEXT) | instid1(SALU_CYCLE_3)
	s_cvt_u32_f32 s18, s3
	s_mul_u64 s[78:79], s[48:49], s[18:19]
	s_delay_alu instid0(SALU_CYCLE_1)
	s_mul_hi_u32 s81, s18, s79
	s_mul_i32 s80, s18, s79
	s_mul_hi_u32 s28, s18, s78
	s_mul_i32 s4, s19, s78
	s_add_nc_u64 s[80:81], s[28:29], s[80:81]
	s_mul_hi_u32 s3, s19, s78
	s_mul_hi_u32 s7, s19, s79
	s_add_co_u32 s4, s80, s4
	s_add_co_ci_u32 s28, s81, s3
	s_mul_i32 s78, s19, s79
	s_add_co_ci_u32 s79, s7, 0
	s_delay_alu instid0(SALU_CYCLE_1) | instskip(NEXT) | instid1(SALU_CYCLE_1)
	s_add_nc_u64 s[78:79], s[28:29], s[78:79]
	s_add_co_u32 s18, s18, s78
	s_cselect_b32 s3, -1, 0
	s_delay_alu instid0(SALU_CYCLE_1) | instskip(SKIP_1) | instid1(SALU_CYCLE_1)
	s_cmp_lg_u32 s3, 0
	s_add_co_ci_u32 s19, s19, s79
	s_mul_u64 s[48:49], s[48:49], s[18:19]
	s_delay_alu instid0(SALU_CYCLE_1)
	s_mul_hi_u32 s79, s18, s49
	s_mul_i32 s78, s18, s49
	s_mul_hi_u32 s28, s18, s48
	s_mul_i32 s4, s19, s48
	s_add_nc_u64 s[78:79], s[28:29], s[78:79]
	s_mul_hi_u32 s3, s19, s48
	s_mul_hi_u32 s7, s19, s49
	s_add_co_u32 s4, s78, s4
	s_add_co_ci_u32 s28, s79, s3
	s_mul_i32 s48, s19, s49
	s_add_co_ci_u32 s49, s7, 0
	s_delay_alu instid0(SALU_CYCLE_1) | instskip(NEXT) | instid1(SALU_CYCLE_1)
	s_add_nc_u64 s[48:49], s[28:29], s[48:49]
	s_add_co_u32 s3, s18, s48
	s_cselect_b32 s4, -1, 0
	s_mul_hi_u32 s28, s16, s3
	s_cmp_lg_u32 s4, 0
	s_mul_hi_u32 s4, s17, s3
	s_add_co_ci_u32 s7, s19, s49
	s_mul_i32 s3, s17, s3
	s_mul_hi_u32 s19, s16, s7
	s_mul_i32 s18, s16, s7
	s_mul_hi_u32 s8, s17, s7
	s_add_nc_u64 s[18:19], s[28:29], s[18:19]
	s_mul_i32 s48, s17, s7
	s_add_co_u32 s3, s18, s3
	s_add_co_ci_u32 s28, s19, s4
	s_add_co_ci_u32 s49, s8, 0
	s_delay_alu instid0(SALU_CYCLE_1) | instskip(NEXT) | instid1(SALU_CYCLE_1)
	s_add_nc_u64 s[18:19], s[28:29], s[48:49]
	s_and_b64 s[48:49], s[18:19], 0xffffffff00000000
	s_delay_alu instid0(SALU_CYCLE_1) | instskip(NEXT) | instid1(SALU_CYCLE_1)
	s_or_b32 s48, s48, s18
	s_mul_u64 s[18:19], s[40:41], s[48:49]
	s_delay_alu instid0(SALU_CYCLE_1) | instskip(SKIP_1) | instid1(SALU_CYCLE_1)
	s_sub_co_u32 s3, s16, s18
	s_cselect_b32 s4, -1, 0
	s_cmp_lg_u32 s4, 0
	s_sub_co_ci_u32 s4, s17, s19
	s_sub_co_u32 s7, s3, s40
	s_cselect_b32 s8, -1, 0
	s_delay_alu instid0(SALU_CYCLE_1) | instskip(SKIP_3) | instid1(SALU_CYCLE_1)
	s_cmp_lg_u32 s8, 0
	s_sub_co_ci_u32 s8, s4, 0
	s_sub_co_u32 s18, s7, s40
	s_cselect_b32 s19, -1, 0
	s_cmp_lg_u32 s19, 0
	s_sub_co_ci_u32 s19, s8, 0
	s_cmp_ge_u32 s7, s40
	s_cselect_b32 s28, -1, 0
	s_cmp_eq_u32 s8, 0
	s_cselect_b32 s28, s28, -1
	s_delay_alu instid0(SALU_CYCLE_1)
	s_cmp_lg_u32 s28, 0
	s_cselect_b32 s8, s19, s8
	s_cselect_b32 s7, s18, s7
	s_cmp_ge_u32 s3, s40
	s_cselect_b32 s18, -1, 0
	s_cmp_eq_u32 s4, 0
	s_cselect_b32 s18, s18, -1
	s_delay_alu instid0(SALU_CYCLE_1)
	s_cmp_lg_u32 s18, 0
	s_cselect_b32 s19, s8, s4
	s_cselect_b32 s18, s7, s3
	s_cbranch_execnz .LBB141_393
.LBB141_392:                            ;   in Loop: Header=BB141_31 Depth=1
	v_cvt_f32_u32_e32 v4, s40
	s_sub_co_i32 s4, 0, s40
	s_delay_alu instid0(VALU_DEP_1) | instskip(SKIP_1) | instid1(TRANS32_DEP_1)
	v_rcp_iflag_f32_e32 v4, v4
	v_nop
	v_mul_f32_e32 v4, 0x4f7ffffe, v4
	s_delay_alu instid0(VALU_DEP_1) | instskip(NEXT) | instid1(VALU_DEP_1)
	v_cvt_u32_f32_e32 v4, v4
	v_readfirstlane_b32 s3, v4
	s_mul_i32 s4, s4, s3
	s_delay_alu instid0(SALU_CYCLE_1) | instskip(NEXT) | instid1(SALU_CYCLE_1)
	s_mul_hi_u32 s4, s3, s4
	s_add_co_i32 s3, s3, s4
	s_delay_alu instid0(SALU_CYCLE_1) | instskip(NEXT) | instid1(SALU_CYCLE_1)
	s_mul_hi_u32 s3, s16, s3
	s_mul_i32 s3, s3, s40
	s_delay_alu instid0(SALU_CYCLE_1) | instskip(NEXT) | instid1(SALU_CYCLE_1)
	s_sub_co_i32 s3, s16, s3
	s_sub_co_i32 s4, s3, s40
	s_cmp_ge_u32 s3, s40
	s_cselect_b32 s3, s4, s3
	s_delay_alu instid0(SALU_CYCLE_1) | instskip(SKIP_2) | instid1(SALU_CYCLE_1)
	s_sub_co_i32 s4, s3, s40
	s_cmp_ge_u32 s3, s40
	s_cselect_b32 s28, s4, s3
	s_mov_b64 s[18:19], s[28:29]
.LBB141_393:                            ;   in Loop: Header=BB141_31 Depth=1
	s_delay_alu instid0(SALU_CYCLE_1)
	s_sub_nc_u64 s[16:17], s[16:17], s[18:19]
	s_mov_b32 s18, 0
	s_mov_b32 s8, 0
	s_mov_b32 s19, exec_lo
                                        ; implicit-def: $vgpr44
	v_cmpx_gt_u64_e64 s[16:17], v[0:1]
	s_cbranch_execz .LBB141_404
; %bb.394:                              ;   in Loop: Header=BB141_31 Depth=1
	v_mov_b64_e32 v[4:5], v[0:1]
	v_mov_b32_e32 v8, v0
                                        ; implicit-def: $sgpr28
	s_branch .LBB141_397
.LBB141_395:                            ;   in Loop: Header=BB141_397 Depth=2
	s_or_b32 exec_lo, exec_lo, s7
	s_wait_dscnt 0x0
	s_barrier_signal -1
	s_barrier_wait -1
	ds_load_u16 v9, v3 offset:3072
	s_mov_b32 s4, -1
	s_mov_b32 s7, -1
	s_wait_dscnt 0x0
	s_barrier_signal -1
	s_barrier_wait -1
	v_and_b32_e32 v10, 0xff, v9
	s_delay_alu instid0(VALU_DEP_1)
	v_cmp_ne_u32_e32 vcc_lo, 0, v10
	s_cbranch_vccz .LBB141_400
.LBB141_396:                            ;   in Loop: Header=BB141_397 Depth=2
	s_and_b32 s3, exec_lo, s4
	s_delay_alu instid0(SALU_CYCLE_1) | instskip(SKIP_2) | instid1(SALU_CYCLE_1)
	s_or_b32 s8, s3, s8
	s_and_not1_b32 s3, s28, exec_lo
	s_and_b32 s4, s7, exec_lo
	s_or_b32 s28, s3, s4
	s_and_not1_b32 exec_lo, exec_lo, s8
	s_cbranch_execz .LBB141_403
.LBB141_397:                            ;   Parent Loop BB141_31 Depth=1
                                        ; =>  This Inner Loop Header: Depth=2
	s_mov_b32 s7, exec_lo
	s_delay_alu instid0(VALU_DEP_2)
	v_cmpx_gt_u64_e64 s[10:11], v[4:5]
	s_cbranch_execz .LBB141_395
; %bb.398:                              ;   in Loop: Header=BB141_397 Depth=2
	ds_load_u8 v9, v8
	s_wait_dscnt 0x0
	v_bfe_i32 v10, v9, 0, 8
	s_delay_alu instid0(VALU_DEP_1) | instskip(NEXT) | instid1(VALU_DEP_1)
	v_add_nc_u32_e32 v10, 0x80, v10
	v_and_b32_e32 v10, v10, v43
	s_delay_alu instid0(VALU_DEP_1)
	v_cmp_eq_u32_e32 vcc_lo, v10, v41
	s_and_b32 exec_lo, exec_lo, vcc_lo
	s_cbranch_execz .LBB141_395
; %bb.399:                              ;   in Loop: Header=BB141_397 Depth=2
	v_lshlrev_b16 v9, 8, v9
	s_delay_alu instid0(VALU_DEP_1)
	v_or_b32_e32 v9, 1, v9
	ds_store_b16 v3, v9 offset:3072
	s_branch .LBB141_395
.LBB141_400:                            ;   in Loop: Header=BB141_397 Depth=2
	v_add_nc_u64_e32 v[4:5], s[40:41], v[4:5]
	v_add_nc_u32_e32 v8, s40, v8
	s_mov_b32 s7, 0
	s_delay_alu instid0(VALU_DEP_2)
	v_cmp_le_u64_e32 vcc_lo, s[16:17], v[4:5]
	s_or_not1_b32 s4, vcc_lo, exec_lo
	s_branch .LBB141_396
.LBB141_401:                            ;   in Loop: Header=BB141_31 Depth=1
                                        ; implicit-def: $sgpr20_sgpr21
	s_branch .LBB141_344
.LBB141_402:                            ;   in Loop: Header=BB141_31 Depth=1
                                        ; implicit-def: $sgpr10_sgpr11
	s_branch .LBB141_363
.LBB141_403:                            ;   in Loop: Header=BB141_31 Depth=1
	s_or_b32 exec_lo, exec_lo, s8
	v_and_b32_e32 v4, 0xffff, v9
	s_and_b32 s8, s28, exec_lo
	s_delay_alu instid0(VALU_DEP_1)
	v_lshrrev_b32_e32 v44, 8, v4
.LBB141_404:                            ;   in Loop: Header=BB141_31 Depth=1
	s_or_b32 exec_lo, exec_lo, s19
.LBB141_405:                            ;   in Loop: Header=BB141_31 Depth=1
	s_delay_alu instid0(SALU_CYCLE_1)
	s_and_b32 vcc_lo, exec_lo, s18
	s_cbranch_vccz .LBB141_419
; %bb.406:                              ;   in Loop: Header=BB141_31 Depth=1
	s_and_b64 s[10:11], s[64:65], 0xffffffff00000000
	s_delay_alu instid0(SALU_CYCLE_1)
	s_cmp_lg_u64 s[10:11], 0
	s_cbranch_scc0 .LBB141_438
; %bb.407:                              ;   in Loop: Header=BB141_31 Depth=1
	s_cvt_f32_u32 s3, s40
	s_sub_nc_u64 s[16:17], 0, s[40:41]
	s_delay_alu instid0(SALU_CYCLE_2) | instskip(NEXT) | instid1(SALU_CYCLE_3)
	s_fmamk_f32 s3, s100, 0x0, s3
	v_s_rcp_f32 s3, s3
	s_delay_alu instid0(TRANS32_DEP_1) | instskip(NEXT) | instid1(SALU_CYCLE_3)
	s_mul_f32 s3, s3, 0x5f7ffffc
	s_mul_f32 s4, s3, 0x2f800000
	s_delay_alu instid0(SALU_CYCLE_3) | instskip(NEXT) | instid1(SALU_CYCLE_3)
	s_trunc_f32 s4, s4
	s_fmamk_f32 s3, s4, 0xcf800000, s3
	s_cvt_u32_f32 s11, s4
	s_delay_alu instid0(SALU_CYCLE_2) | instskip(NEXT) | instid1(SALU_CYCLE_3)
	s_cvt_u32_f32 s10, s3
	s_mul_u64 s[18:19], s[16:17], s[10:11]
	s_delay_alu instid0(SALU_CYCLE_1)
	s_mul_hi_u32 s49, s10, s19
	s_mul_i32 s48, s10, s19
	s_mul_hi_u32 s28, s10, s18
	s_mul_i32 s4, s11, s18
	s_add_nc_u64 s[48:49], s[28:29], s[48:49]
	s_mul_hi_u32 s3, s11, s18
	s_mul_hi_u32 s7, s11, s19
	s_add_co_u32 s4, s48, s4
	s_add_co_ci_u32 s28, s49, s3
	s_mul_i32 s18, s11, s19
	s_add_co_ci_u32 s19, s7, 0
	s_delay_alu instid0(SALU_CYCLE_1) | instskip(NEXT) | instid1(SALU_CYCLE_1)
	s_add_nc_u64 s[18:19], s[28:29], s[18:19]
	s_add_co_u32 s10, s10, s18
	s_cselect_b32 s3, -1, 0
	s_delay_alu instid0(SALU_CYCLE_1) | instskip(SKIP_1) | instid1(SALU_CYCLE_1)
	s_cmp_lg_u32 s3, 0
	s_add_co_ci_u32 s11, s11, s19
	s_mul_u64 s[16:17], s[16:17], s[10:11]
	s_delay_alu instid0(SALU_CYCLE_1)
	s_mul_hi_u32 s19, s10, s17
	s_mul_i32 s18, s10, s17
	s_mul_hi_u32 s28, s10, s16
	s_mul_i32 s4, s11, s16
	s_add_nc_u64 s[18:19], s[28:29], s[18:19]
	s_mul_hi_u32 s3, s11, s16
	s_mul_hi_u32 s7, s11, s17
	s_add_co_u32 s4, s18, s4
	s_add_co_ci_u32 s28, s19, s3
	s_mul_i32 s16, s11, s17
	s_add_co_ci_u32 s17, s7, 0
	s_delay_alu instid0(SALU_CYCLE_1) | instskip(NEXT) | instid1(SALU_CYCLE_1)
	s_add_nc_u64 s[16:17], s[28:29], s[16:17]
	s_add_co_u32 s3, s10, s16
	s_cselect_b32 s4, -1, 0
	s_mul_hi_u32 s28, s64, s3
	s_cmp_lg_u32 s4, 0
	s_mul_hi_u32 s4, s65, s3
	s_add_co_ci_u32 s7, s11, s17
	s_mul_i32 s3, s65, s3
	s_mul_hi_u32 s11, s64, s7
	s_mul_i32 s10, s64, s7
	s_mul_hi_u32 s17, s65, s7
	s_add_nc_u64 s[10:11], s[28:29], s[10:11]
	s_mul_i32 s16, s65, s7
	s_add_co_u32 s3, s10, s3
	s_add_co_ci_u32 s28, s11, s4
	s_add_co_ci_u32 s17, s17, 0
	s_delay_alu instid0(SALU_CYCLE_1) | instskip(NEXT) | instid1(SALU_CYCLE_1)
	s_add_nc_u64 s[10:11], s[28:29], s[16:17]
	s_and_b64 s[16:17], s[10:11], 0xffffffff00000000
	s_delay_alu instid0(SALU_CYCLE_1) | instskip(NEXT) | instid1(SALU_CYCLE_1)
	s_or_b32 s16, s16, s10
	s_mul_u64 s[10:11], s[40:41], s[16:17]
	s_delay_alu instid0(SALU_CYCLE_1) | instskip(SKIP_1) | instid1(SALU_CYCLE_1)
	s_sub_co_u32 s3, s64, s10
	s_cselect_b32 s4, -1, 0
	s_cmp_lg_u32 s4, 0
	s_sub_co_ci_u32 s4, s65, s11
	s_sub_co_u32 s7, s3, s40
	s_cselect_b32 s10, -1, 0
	s_delay_alu instid0(SALU_CYCLE_1) | instskip(SKIP_3) | instid1(SALU_CYCLE_1)
	s_cmp_lg_u32 s10, 0
	s_sub_co_ci_u32 s10, s4, 0
	s_sub_co_u32 s11, s7, s40
	s_cselect_b32 s16, -1, 0
	s_cmp_lg_u32 s16, 0
	s_sub_co_ci_u32 s16, s10, 0
	s_cmp_ge_u32 s7, s40
	s_cselect_b32 s17, -1, 0
	s_cmp_eq_u32 s10, 0
	s_cselect_b32 s17, s17, -1
	s_delay_alu instid0(SALU_CYCLE_1)
	s_cmp_lg_u32 s17, 0
	s_cselect_b32 s10, s16, s10
	s_cselect_b32 s7, s11, s7
	s_cmp_ge_u32 s3, s40
	s_cselect_b32 s11, -1, 0
	s_cmp_eq_u32 s4, 0
	s_cselect_b32 s11, s11, -1
	s_delay_alu instid0(SALU_CYCLE_1)
	s_cmp_lg_u32 s11, 0
	s_cselect_b32 s11, s10, s4
	s_cselect_b32 s10, s7, s3
	s_cbranch_execnz .LBB141_409
.LBB141_408:                            ;   in Loop: Header=BB141_31 Depth=1
	v_cvt_f32_u32_e32 v4, s40
	s_sub_co_i32 s4, 0, s40
	s_delay_alu instid0(VALU_DEP_1) | instskip(SKIP_1) | instid1(TRANS32_DEP_1)
	v_rcp_iflag_f32_e32 v4, v4
	v_nop
	v_mul_f32_e32 v4, 0x4f7ffffe, v4
	s_delay_alu instid0(VALU_DEP_1) | instskip(NEXT) | instid1(VALU_DEP_1)
	v_cvt_u32_f32_e32 v4, v4
	v_readfirstlane_b32 s3, v4
	s_mul_i32 s4, s4, s3
	s_delay_alu instid0(SALU_CYCLE_1) | instskip(NEXT) | instid1(SALU_CYCLE_1)
	s_mul_hi_u32 s4, s3, s4
	s_add_co_i32 s3, s3, s4
	s_delay_alu instid0(SALU_CYCLE_1) | instskip(NEXT) | instid1(SALU_CYCLE_1)
	s_mul_hi_u32 s3, s64, s3
	s_mul_i32 s3, s3, s40
	s_delay_alu instid0(SALU_CYCLE_1) | instskip(NEXT) | instid1(SALU_CYCLE_1)
	s_sub_co_i32 s3, s64, s3
	s_sub_co_i32 s4, s3, s40
	s_cmp_ge_u32 s3, s40
	s_cselect_b32 s3, s4, s3
	s_delay_alu instid0(SALU_CYCLE_1) | instskip(SKIP_2) | instid1(SALU_CYCLE_1)
	s_sub_co_i32 s4, s3, s40
	s_cmp_ge_u32 s3, s40
	s_cselect_b32 s28, s4, s3
	s_mov_b64 s[10:11], s[28:29]
.LBB141_409:                            ;   in Loop: Header=BB141_31 Depth=1
	s_delay_alu instid0(SALU_CYCLE_1)
	s_sub_nc_u64 s[10:11], s[64:65], s[10:11]
	s_mov_b32 s16, exec_lo
                                        ; implicit-def: $vgpr44
	v_cmpx_gt_u64_e64 s[10:11], v[0:1]
	s_cbranch_execz .LBB141_418
; %bb.410:                              ;   in Loop: Header=BB141_31 Depth=1
	v_mov_b64_e32 v[4:5], v[30:31]
	v_mov_b64_e32 v[8:9], v[0:1]
	s_mov_b32 s17, 0
                                        ; implicit-def: $sgpr18
	s_branch .LBB141_413
.LBB141_411:                            ;   in Loop: Header=BB141_413 Depth=2
	s_or_b32 exec_lo, exec_lo, s7
	s_wait_dscnt 0x0
	s_barrier_signal -1
	s_barrier_wait -1
	ds_load_u16 v10, v3 offset:3072
	s_mov_b32 s4, -1
	s_mov_b32 s7, -1
	s_wait_dscnt 0x0
	s_barrier_signal -1
	s_barrier_wait -1
	v_and_b32_e32 v11, 0xff, v10
	s_delay_alu instid0(VALU_DEP_1)
	v_cmp_eq_u32_e32 vcc_lo, 0, v11
	s_cbranch_vccnz .LBB141_416
.LBB141_412:                            ;   in Loop: Header=BB141_413 Depth=2
	s_and_b32 s3, exec_lo, s4
	s_delay_alu instid0(SALU_CYCLE_1) | instskip(SKIP_2) | instid1(SALU_CYCLE_1)
	s_or_b32 s17, s3, s17
	s_and_not1_b32 s3, s18, exec_lo
	s_and_b32 s4, s7, exec_lo
	s_or_b32 s18, s3, s4
	s_and_not1_b32 exec_lo, exec_lo, s17
	s_cbranch_execz .LBB141_417
.LBB141_413:                            ;   Parent Loop BB141_31 Depth=1
                                        ; =>  This Inner Loop Header: Depth=2
	s_mov_b32 s7, exec_lo
	s_delay_alu instid0(VALU_DEP_1)
	v_cmpx_gt_u64_e64 s[36:37], v[8:9]
	s_cbranch_execz .LBB141_411
; %bb.414:                              ;   in Loop: Header=BB141_413 Depth=2
	global_load_u8 v10, v[4:5], off
	s_wait_loadcnt 0x0
	v_bfe_i32 v11, v10, 0, 8
	s_delay_alu instid0(VALU_DEP_1) | instskip(NEXT) | instid1(VALU_DEP_1)
	v_add_nc_u32_e32 v11, 0x80, v11
	v_and_b32_e32 v11, v11, v43
	s_delay_alu instid0(VALU_DEP_1)
	v_cmp_eq_u32_e32 vcc_lo, v11, v41
	s_and_b32 exec_lo, exec_lo, vcc_lo
	s_cbranch_execz .LBB141_411
; %bb.415:                              ;   in Loop: Header=BB141_413 Depth=2
	v_lshlrev_b16 v10, 8, v10
	s_delay_alu instid0(VALU_DEP_1)
	v_or_b32_e32 v10, 1, v10
	ds_store_b16 v3, v10 offset:3072
	s_branch .LBB141_411
.LBB141_416:                            ;   in Loop: Header=BB141_413 Depth=2
	v_add_nc_u64_e32 v[8:9], s[40:41], v[8:9]
	v_add_nc_u64_e32 v[4:5], s[44:45], v[4:5]
	s_mov_b32 s7, 0
	s_delay_alu instid0(VALU_DEP_2)
	v_cmp_le_u64_e32 vcc_lo, s[10:11], v[8:9]
	s_or_not1_b32 s4, vcc_lo, exec_lo
	s_branch .LBB141_412
.LBB141_417:                            ;   in Loop: Header=BB141_31 Depth=1
	s_or_b32 exec_lo, exec_lo, s17
	v_and_b32_e32 v4, 0xffff, v10
	s_and_not1_b32 s3, s8, exec_lo
	s_and_b32 s4, s18, exec_lo
	s_delay_alu instid0(SALU_CYCLE_1) | instskip(NEXT) | instid1(VALU_DEP_1)
	s_or_b32 s8, s3, s4
	v_lshrrev_b32_e32 v44, 8, v4
.LBB141_418:                            ;   in Loop: Header=BB141_31 Depth=1
	s_or_b32 exec_lo, exec_lo, s16
	s_mov_b32 s73, 0
	s_mov_b32 s75, -1
.LBB141_419:                            ;   in Loop: Header=BB141_31 Depth=1
	s_or_not1_b32 s7, s8, exec_lo
.LBB141_420:                            ;   in Loop: Header=BB141_31 Depth=1
	s_or_b32 exec_lo, exec_lo, s77
	s_mov_b32 s8, 0
	s_and_saveexec_b32 s18, s7
	s_cbranch_execz .LBB141_482
; %bb.421:                              ;   in Loop: Header=BB141_31 Depth=1
	v_mov_b64_e32 v[4:5], 1
	v_mov_b32_e32 v2, 1
	s_xor_b32 s3, s76, -1
	s_mov_b32 s10, 0
	s_and_saveexec_b32 s8, s3
	s_cbranch_execz .LBB141_430
; %bb.422:                              ;   in Loop: Header=BB141_31 Depth=1
	s_mov_b32 s3, exec_lo
	v_cmpx_ge_u64_e64 s[14:15], v[6:7]
	s_xor_b32 s7, exec_lo, s3
	s_cbranch_execz .LBB141_427
; %bb.423:                              ;   in Loop: Header=BB141_31 Depth=1
	ds_load_b64 v[4:5], v3 offset:5120
	s_lshl_b32 s3, 1, s99
	v_or_b32_e32 v43, s24, v43
	v_and_or_b32 v41, v41, s25, s3
	s_wait_dscnt 0x0
	v_cmp_ne_u64_e32 vcc_lo, 0, v[4:5]
	s_cbranch_vccnz .LBB141_427
; %bb.424:                              ;   in Loop: Header=BB141_31 Depth=1
	s_and_saveexec_b32 s4, s5
; %bb.425:                              ;   in Loop: Header=BB141_31 Depth=1
	v_mov_b64_e32 v[4:5], s[14:15]
	ds_store_b64 v3, v[4:5] offset:5128
; %bb.426:                              ;   in Loop: Header=BB141_31 Depth=1
	s_or_b32 exec_lo, exec_lo, s4
	s_wait_dscnt 0x0
	s_barrier_signal -1
	s_barrier_wait -1
.LBB141_427:                            ;   in Loop: Header=BB141_31 Depth=1
	s_or_saveexec_b32 s7, s7
	v_mov_b32_e32 v2, 5
	s_xor_b32 exec_lo, exec_lo, s7
; %bb.428:                              ;   in Loop: Header=BB141_31 Depth=1
	v_sub_nc_u64_e64 v[6:7], v[6:7], s[14:15]
	v_mov_b32_e32 v2, 0
	s_mov_b32 s10, exec_lo
; %bb.429:                              ;   in Loop: Header=BB141_31 Depth=1
	s_or_b32 exec_lo, exec_lo, s7
	s_delay_alu instid0(VALU_DEP_2)
	v_mov_b64_e32 v[4:5], v[6:7]
	s_and_b32 s10, s10, exec_lo
.LBB141_430:                            ;   in Loop: Header=BB141_31 Depth=1
	s_or_b32 exec_lo, exec_lo, s8
	s_mov_b32 s7, -1
                                        ; implicit-def: $sgpr79
                                        ; implicit-def: $sgpr78
	s_and_saveexec_b32 s19, s10
	s_cbranch_execz .LBB141_481
; %bb.431:                              ;   in Loop: Header=BB141_31 Depth=1
	s_delay_alu instid0(VALU_DEP_1) | instskip(SKIP_2) | instid1(SALU_CYCLE_1)
	v_cmp_eq_u64_e32 vcc_lo, 1, v[4:5]
	s_cmp_eq_u64 s[12:13], 1
                                        ; implicit-def: $sgpr79
                                        ; implicit-def: $sgpr78
	s_cselect_b32 s3, -1, 0
	s_and_b32 s76, s3, vcc_lo
	s_delay_alu instid0(SALU_CYCLE_1)
	s_and_saveexec_b32 s77, s76
	s_cbranch_execz .LBB141_469
; %bb.432:                              ;   in Loop: Header=BB141_31 Depth=1
	ds_load_b64 v[6:7], v3 offset:5120
	s_wait_dscnt 0x0
	s_barrier_signal -1
	s_barrier_wait -1
	v_readfirstlane_b32 s10, v6
	v_readfirstlane_b32 s11, v7
	s_and_saveexec_b32 s4, s6
; %bb.433:                              ;   in Loop: Header=BB141_31 Depth=1
	ds_store_b8 v0, v3 offset:3072
; %bb.434:                              ;   in Loop: Header=BB141_31 Depth=1
	s_or_b32 exec_lo, exec_lo, s4
	v_and_b32_e32 v41, s25, v41
	v_or_b32_e32 v43, s24, v43
	s_mov_b32 s78, -1
	s_mov_b32 s79, 0
	s_cmp_eq_u64 s[10:11], 0
	s_mov_b32 s8, 0
	s_mov_b32 s16, -1
	s_wait_dscnt 0x0
	s_barrier_signal -1
	s_barrier_wait -1
                                        ; implicit-def: $vgpr44
	s_cbranch_scc1 .LBB141_452
; %bb.435:                              ;   in Loop: Header=BB141_31 Depth=1
	s_add_nc_u64 s[14:15], s[10:11], s[62:63]
	s_delay_alu instid0(SALU_CYCLE_1) | instskip(NEXT) | instid1(SALU_CYCLE_1)
	s_and_b64 s[16:17], s[14:15], 0xffffffff00000000
	s_cmp_lg_u64 s[16:17], 0
	s_cbranch_scc0 .LBB141_439
; %bb.436:                              ;   in Loop: Header=BB141_31 Depth=1
	s_cvt_f32_u32 s3, s40
	s_sub_nc_u64 s[48:49], 0, s[40:41]
	s_delay_alu instid0(SALU_CYCLE_2) | instskip(NEXT) | instid1(SALU_CYCLE_3)
	s_fmamk_f32 s3, s100, 0x0, s3
	v_s_rcp_f32 s3, s3
	s_delay_alu instid0(TRANS32_DEP_1) | instskip(NEXT) | instid1(SALU_CYCLE_3)
	s_mul_f32 s3, s3, 0x5f7ffffc
	s_mul_f32 s4, s3, 0x2f800000
	s_delay_alu instid0(SALU_CYCLE_3) | instskip(NEXT) | instid1(SALU_CYCLE_3)
	s_trunc_f32 s4, s4
	s_fmamk_f32 s3, s4, 0xcf800000, s3
	s_cvt_u32_f32 s17, s4
	s_delay_alu instid0(SALU_CYCLE_2) | instskip(NEXT) | instid1(SALU_CYCLE_3)
	s_cvt_u32_f32 s16, s3
	s_mul_u64 s[80:81], s[48:49], s[16:17]
	s_delay_alu instid0(SALU_CYCLE_1)
	s_mul_hi_u32 s83, s16, s81
	s_mul_i32 s82, s16, s81
	s_mul_hi_u32 s28, s16, s80
	s_mul_i32 s4, s17, s80
	s_add_nc_u64 s[82:83], s[28:29], s[82:83]
	s_mul_hi_u32 s3, s17, s80
	s_mul_hi_u32 s7, s17, s81
	s_add_co_u32 s4, s82, s4
	s_add_co_ci_u32 s28, s83, s3
	s_mul_i32 s80, s17, s81
	s_add_co_ci_u32 s81, s7, 0
	s_delay_alu instid0(SALU_CYCLE_1) | instskip(NEXT) | instid1(SALU_CYCLE_1)
	s_add_nc_u64 s[80:81], s[28:29], s[80:81]
	s_add_co_u32 s16, s16, s80
	s_cselect_b32 s3, -1, 0
	s_delay_alu instid0(SALU_CYCLE_1) | instskip(SKIP_1) | instid1(SALU_CYCLE_1)
	s_cmp_lg_u32 s3, 0
	s_add_co_ci_u32 s17, s17, s81
	s_mul_u64 s[48:49], s[48:49], s[16:17]
	s_delay_alu instid0(SALU_CYCLE_1)
	s_mul_hi_u32 s81, s16, s49
	s_mul_i32 s80, s16, s49
	s_mul_hi_u32 s28, s16, s48
	s_mul_i32 s4, s17, s48
	s_add_nc_u64 s[80:81], s[28:29], s[80:81]
	s_mul_hi_u32 s3, s17, s48
	s_mul_hi_u32 s7, s17, s49
	s_add_co_u32 s4, s80, s4
	s_add_co_ci_u32 s28, s81, s3
	s_mul_i32 s48, s17, s49
	s_add_co_ci_u32 s49, s7, 0
	s_delay_alu instid0(SALU_CYCLE_1) | instskip(NEXT) | instid1(SALU_CYCLE_1)
	s_add_nc_u64 s[48:49], s[28:29], s[48:49]
	s_add_co_u32 s3, s16, s48
	s_cselect_b32 s4, -1, 0
	s_mul_hi_u32 s28, s14, s3
	s_cmp_lg_u32 s4, 0
	s_mul_hi_u32 s4, s15, s3
	s_add_co_ci_u32 s7, s17, s49
	s_mul_i32 s3, s15, s3
	s_mul_hi_u32 s17, s14, s7
	s_mul_i32 s16, s14, s7
	s_mul_hi_u32 s8, s15, s7
	s_add_nc_u64 s[16:17], s[28:29], s[16:17]
	s_mul_i32 s48, s15, s7
	s_add_co_u32 s3, s16, s3
	s_add_co_ci_u32 s28, s17, s4
	s_add_co_ci_u32 s49, s8, 0
	s_delay_alu instid0(SALU_CYCLE_1) | instskip(NEXT) | instid1(SALU_CYCLE_1)
	s_add_nc_u64 s[16:17], s[28:29], s[48:49]
	s_and_b64 s[48:49], s[16:17], 0xffffffff00000000
	s_delay_alu instid0(SALU_CYCLE_1) | instskip(NEXT) | instid1(SALU_CYCLE_1)
	s_or_b32 s48, s48, s16
	s_mul_u64 s[16:17], s[40:41], s[48:49]
	s_delay_alu instid0(SALU_CYCLE_1) | instskip(SKIP_1) | instid1(SALU_CYCLE_1)
	s_sub_co_u32 s3, s14, s16
	s_cselect_b32 s4, -1, 0
	s_cmp_lg_u32 s4, 0
	s_sub_co_ci_u32 s4, s15, s17
	s_sub_co_u32 s7, s3, s40
	s_cselect_b32 s8, -1, 0
	s_delay_alu instid0(SALU_CYCLE_1) | instskip(SKIP_3) | instid1(SALU_CYCLE_1)
	s_cmp_lg_u32 s8, 0
	s_sub_co_ci_u32 s8, s4, 0
	s_sub_co_u32 s16, s7, s40
	s_cselect_b32 s17, -1, 0
	s_cmp_lg_u32 s17, 0
	s_sub_co_ci_u32 s17, s8, 0
	s_cmp_ge_u32 s7, s40
	s_cselect_b32 s28, -1, 0
	s_cmp_eq_u32 s8, 0
	s_cselect_b32 s28, s28, -1
	s_delay_alu instid0(SALU_CYCLE_1)
	s_cmp_lg_u32 s28, 0
	s_cselect_b32 s8, s17, s8
	s_cselect_b32 s7, s16, s7
	s_cmp_ge_u32 s3, s40
	s_cselect_b32 s16, -1, 0
	s_cmp_eq_u32 s4, 0
	s_cselect_b32 s16, s16, -1
	s_delay_alu instid0(SALU_CYCLE_1)
	s_cmp_lg_u32 s16, 0
	s_cselect_b32 s17, s8, s4
	s_cselect_b32 s16, s7, s3
	s_mov_b32 s4, 0
	s_branch .LBB141_440
.LBB141_437:                            ;   in Loop: Header=BB141_31 Depth=1
                                        ; implicit-def: $sgpr18_sgpr19
	s_branch .LBB141_392
.LBB141_438:                            ;   in Loop: Header=BB141_31 Depth=1
                                        ; implicit-def: $sgpr10_sgpr11
	s_branch .LBB141_408
.LBB141_439:                            ;   in Loop: Header=BB141_31 Depth=1
	s_mov_b32 s4, -1
                                        ; implicit-def: $sgpr16_sgpr17
.LBB141_440:                            ;   in Loop: Header=BB141_31 Depth=1
	s_delay_alu instid0(SALU_CYCLE_1)
	s_and_not1_b32 vcc_lo, exec_lo, s4
	s_cbranch_vccnz .LBB141_442
; %bb.441:                              ;   in Loop: Header=BB141_31 Depth=1
	v_cvt_f32_u32_e32 v6, s40
	s_sub_co_i32 s4, 0, s40
	s_delay_alu instid0(VALU_DEP_1) | instskip(SKIP_1) | instid1(TRANS32_DEP_1)
	v_rcp_iflag_f32_e32 v6, v6
	v_nop
	v_mul_f32_e32 v6, 0x4f7ffffe, v6
	s_delay_alu instid0(VALU_DEP_1) | instskip(NEXT) | instid1(VALU_DEP_1)
	v_cvt_u32_f32_e32 v6, v6
	v_readfirstlane_b32 s3, v6
	s_mul_i32 s4, s4, s3
	s_delay_alu instid0(SALU_CYCLE_1) | instskip(NEXT) | instid1(SALU_CYCLE_1)
	s_mul_hi_u32 s4, s3, s4
	s_add_co_i32 s3, s3, s4
	s_delay_alu instid0(SALU_CYCLE_1) | instskip(NEXT) | instid1(SALU_CYCLE_1)
	s_mul_hi_u32 s3, s14, s3
	s_mul_i32 s3, s3, s40
	s_delay_alu instid0(SALU_CYCLE_1) | instskip(NEXT) | instid1(SALU_CYCLE_1)
	s_sub_co_i32 s3, s14, s3
	s_sub_co_i32 s4, s3, s40
	s_cmp_ge_u32 s3, s40
	s_cselect_b32 s3, s4, s3
	s_delay_alu instid0(SALU_CYCLE_1) | instskip(SKIP_2) | instid1(SALU_CYCLE_1)
	s_sub_co_i32 s4, s3, s40
	s_cmp_ge_u32 s3, s40
	s_cselect_b32 s28, s4, s3
	s_mov_b64 s[16:17], s[28:29]
.LBB141_442:                            ;   in Loop: Header=BB141_31 Depth=1
	s_delay_alu instid0(SALU_CYCLE_1)
	s_sub_nc_u64 s[14:15], s[14:15], s[16:17]
	s_mov_b32 s16, 0
	s_mov_b32 s8, 0
	s_mov_b32 s17, exec_lo
                                        ; implicit-def: $vgpr44
	v_cmpx_gt_u64_e64 s[14:15], v[0:1]
	s_cbranch_execz .LBB141_451
; %bb.443:                              ;   in Loop: Header=BB141_31 Depth=1
	v_mov_b64_e32 v[6:7], v[0:1]
	v_mov_b32_e32 v8, v0
                                        ; implicit-def: $sgpr28
	s_branch .LBB141_446
.LBB141_444:                            ;   in Loop: Header=BB141_446 Depth=2
	s_or_b32 exec_lo, exec_lo, s7
	s_wait_dscnt 0x0
	s_barrier_signal -1
	s_barrier_wait -1
	ds_load_u16 v9, v3 offset:3072
	s_mov_b32 s4, -1
	s_mov_b32 s7, -1
	s_wait_dscnt 0x0
	s_barrier_signal -1
	s_barrier_wait -1
	v_and_b32_e32 v10, 0xff, v9
	s_delay_alu instid0(VALU_DEP_1)
	v_cmp_ne_u32_e32 vcc_lo, 0, v10
	s_cbranch_vccz .LBB141_449
.LBB141_445:                            ;   in Loop: Header=BB141_446 Depth=2
	s_and_b32 s3, exec_lo, s4
	s_delay_alu instid0(SALU_CYCLE_1) | instskip(SKIP_2) | instid1(SALU_CYCLE_1)
	s_or_b32 s8, s3, s8
	s_and_not1_b32 s3, s28, exec_lo
	s_and_b32 s4, s7, exec_lo
	s_or_b32 s28, s3, s4
	s_and_not1_b32 exec_lo, exec_lo, s8
	s_cbranch_execz .LBB141_450
.LBB141_446:                            ;   Parent Loop BB141_31 Depth=1
                                        ; =>  This Inner Loop Header: Depth=2
	s_mov_b32 s7, exec_lo
	s_delay_alu instid0(VALU_DEP_2)
	v_cmpx_gt_u64_e64 s[10:11], v[6:7]
	s_cbranch_execz .LBB141_444
; %bb.447:                              ;   in Loop: Header=BB141_446 Depth=2
	ds_load_u8 v9, v8
	s_wait_dscnt 0x0
	v_bfe_i32 v10, v9, 0, 8
	s_delay_alu instid0(VALU_DEP_1) | instskip(NEXT) | instid1(VALU_DEP_1)
	v_add_nc_u32_e32 v10, 0x80, v10
	v_and_b32_e32 v10, v10, v43
	s_delay_alu instid0(VALU_DEP_1)
	v_cmp_eq_u32_e32 vcc_lo, v10, v41
	s_and_b32 exec_lo, exec_lo, vcc_lo
	s_cbranch_execz .LBB141_444
; %bb.448:                              ;   in Loop: Header=BB141_446 Depth=2
	v_lshlrev_b16 v9, 8, v9
	s_delay_alu instid0(VALU_DEP_1)
	v_or_b32_e32 v9, 1, v9
	ds_store_b16 v3, v9 offset:3072
	s_branch .LBB141_444
.LBB141_449:                            ;   in Loop: Header=BB141_446 Depth=2
	v_add_nc_u64_e32 v[6:7], s[40:41], v[6:7]
	v_add_nc_u32_e32 v8, s40, v8
	s_mov_b32 s7, 0
	s_delay_alu instid0(VALU_DEP_2)
	v_cmp_le_u64_e32 vcc_lo, s[14:15], v[6:7]
	s_or_not1_b32 s4, vcc_lo, exec_lo
	s_branch .LBB141_445
.LBB141_450:                            ;   in Loop: Header=BB141_31 Depth=1
	s_or_b32 exec_lo, exec_lo, s8
	v_and_b32_e32 v6, 0xffff, v9
	s_and_b32 s8, s28, exec_lo
	s_delay_alu instid0(VALU_DEP_1)
	v_lshrrev_b32_e32 v44, 8, v6
.LBB141_451:                            ;   in Loop: Header=BB141_31 Depth=1
	s_or_b32 exec_lo, exec_lo, s17
.LBB141_452:                            ;   in Loop: Header=BB141_31 Depth=1
	s_delay_alu instid0(SALU_CYCLE_1)
	s_and_b32 vcc_lo, exec_lo, s16
	s_cbranch_vccz .LBB141_468
; %bb.453:                              ;   in Loop: Header=BB141_31 Depth=1
	s_and_b64 s[10:11], s[64:65], 0xffffffff00000000
	s_delay_alu instid0(SALU_CYCLE_1)
	s_cmp_lg_u64 s[10:11], 0
	s_cbranch_scc0 .LBB141_455
; %bb.454:                              ;   in Loop: Header=BB141_31 Depth=1
	s_cvt_f32_u32 s3, s40
	s_sub_nc_u64 s[14:15], 0, s[40:41]
	s_delay_alu instid0(SALU_CYCLE_2) | instskip(NEXT) | instid1(SALU_CYCLE_3)
	s_fmamk_f32 s3, s100, 0x0, s3
	v_s_rcp_f32 s3, s3
	s_delay_alu instid0(TRANS32_DEP_1) | instskip(NEXT) | instid1(SALU_CYCLE_3)
	s_mul_f32 s3, s3, 0x5f7ffffc
	s_mul_f32 s4, s3, 0x2f800000
	s_delay_alu instid0(SALU_CYCLE_3) | instskip(NEXT) | instid1(SALU_CYCLE_3)
	s_trunc_f32 s4, s4
	s_fmamk_f32 s3, s4, 0xcf800000, s3
	s_cvt_u32_f32 s11, s4
	s_delay_alu instid0(SALU_CYCLE_2) | instskip(NEXT) | instid1(SALU_CYCLE_3)
	s_cvt_u32_f32 s10, s3
	s_mul_u64 s[16:17], s[14:15], s[10:11]
	s_delay_alu instid0(SALU_CYCLE_1)
	s_mul_hi_u32 s49, s10, s17
	s_mul_i32 s48, s10, s17
	s_mul_hi_u32 s28, s10, s16
	s_mul_i32 s4, s11, s16
	s_add_nc_u64 s[48:49], s[28:29], s[48:49]
	s_mul_hi_u32 s3, s11, s16
	s_mul_hi_u32 s7, s11, s17
	s_add_co_u32 s4, s48, s4
	s_add_co_ci_u32 s28, s49, s3
	s_mul_i32 s16, s11, s17
	s_add_co_ci_u32 s17, s7, 0
	s_delay_alu instid0(SALU_CYCLE_1) | instskip(NEXT) | instid1(SALU_CYCLE_1)
	s_add_nc_u64 s[16:17], s[28:29], s[16:17]
	s_add_co_u32 s10, s10, s16
	s_cselect_b32 s3, -1, 0
	s_delay_alu instid0(SALU_CYCLE_1) | instskip(SKIP_1) | instid1(SALU_CYCLE_1)
	s_cmp_lg_u32 s3, 0
	s_add_co_ci_u32 s11, s11, s17
	s_mul_u64 s[14:15], s[14:15], s[10:11]
	s_delay_alu instid0(SALU_CYCLE_1)
	s_mul_hi_u32 s17, s10, s15
	s_mul_i32 s16, s10, s15
	s_mul_hi_u32 s28, s10, s14
	s_mul_i32 s4, s11, s14
	s_add_nc_u64 s[16:17], s[28:29], s[16:17]
	s_mul_hi_u32 s3, s11, s14
	s_mul_hi_u32 s7, s11, s15
	s_add_co_u32 s4, s16, s4
	s_add_co_ci_u32 s28, s17, s3
	s_mul_i32 s14, s11, s15
	s_add_co_ci_u32 s15, s7, 0
	s_delay_alu instid0(SALU_CYCLE_1) | instskip(NEXT) | instid1(SALU_CYCLE_1)
	s_add_nc_u64 s[14:15], s[28:29], s[14:15]
	s_add_co_u32 s3, s10, s14
	s_cselect_b32 s4, -1, 0
	s_mul_hi_u32 s28, s64, s3
	s_cmp_lg_u32 s4, 0
	s_mul_hi_u32 s4, s65, s3
	s_add_co_ci_u32 s7, s11, s15
	s_mul_i32 s3, s65, s3
	s_mul_hi_u32 s11, s64, s7
	s_mul_i32 s10, s64, s7
	s_mul_hi_u32 s15, s65, s7
	s_add_nc_u64 s[10:11], s[28:29], s[10:11]
	s_mul_i32 s14, s65, s7
	s_add_co_u32 s3, s10, s3
	s_add_co_ci_u32 s28, s11, s4
	s_add_co_ci_u32 s15, s15, 0
	s_delay_alu instid0(SALU_CYCLE_1) | instskip(NEXT) | instid1(SALU_CYCLE_1)
	s_add_nc_u64 s[10:11], s[28:29], s[14:15]
	s_and_b64 s[14:15], s[10:11], 0xffffffff00000000
	s_delay_alu instid0(SALU_CYCLE_1) | instskip(NEXT) | instid1(SALU_CYCLE_1)
	s_or_b32 s14, s14, s10
	s_mul_u64 s[10:11], s[40:41], s[14:15]
	s_delay_alu instid0(SALU_CYCLE_1) | instskip(SKIP_1) | instid1(SALU_CYCLE_1)
	s_sub_co_u32 s3, s64, s10
	s_cselect_b32 s4, -1, 0
	s_cmp_lg_u32 s4, 0
	s_sub_co_ci_u32 s4, s65, s11
	s_sub_co_u32 s7, s3, s40
	s_cselect_b32 s10, -1, 0
	s_delay_alu instid0(SALU_CYCLE_1) | instskip(SKIP_3) | instid1(SALU_CYCLE_1)
	s_cmp_lg_u32 s10, 0
	s_sub_co_ci_u32 s10, s4, 0
	s_sub_co_u32 s11, s7, s40
	s_cselect_b32 s14, -1, 0
	s_cmp_lg_u32 s14, 0
	s_sub_co_ci_u32 s14, s10, 0
	s_cmp_ge_u32 s7, s40
	s_cselect_b32 s15, -1, 0
	s_cmp_eq_u32 s10, 0
	s_cselect_b32 s15, s15, -1
	s_delay_alu instid0(SALU_CYCLE_1)
	s_cmp_lg_u32 s15, 0
	s_cselect_b32 s10, s14, s10
	s_cselect_b32 s7, s11, s7
	s_cmp_ge_u32 s3, s40
	s_cselect_b32 s11, -1, 0
	s_cmp_eq_u32 s4, 0
	s_cselect_b32 s11, s11, -1
	s_delay_alu instid0(SALU_CYCLE_1)
	s_cmp_lg_u32 s11, 0
	s_cselect_b32 s11, s10, s4
	s_cselect_b32 s10, s7, s3
	s_mov_b32 s4, 0
	s_branch .LBB141_456
.LBB141_455:                            ;   in Loop: Header=BB141_31 Depth=1
	s_mov_b32 s4, -1
                                        ; implicit-def: $sgpr10_sgpr11
.LBB141_456:                            ;   in Loop: Header=BB141_31 Depth=1
	s_delay_alu instid0(SALU_CYCLE_1)
	s_and_not1_b32 vcc_lo, exec_lo, s4
	s_cbranch_vccnz .LBB141_458
; %bb.457:                              ;   in Loop: Header=BB141_31 Depth=1
	v_cvt_f32_u32_e32 v6, s40
	s_sub_co_i32 s4, 0, s40
	s_delay_alu instid0(VALU_DEP_1) | instskip(SKIP_1) | instid1(TRANS32_DEP_1)
	v_rcp_iflag_f32_e32 v6, v6
	v_nop
	v_mul_f32_e32 v6, 0x4f7ffffe, v6
	s_delay_alu instid0(VALU_DEP_1) | instskip(NEXT) | instid1(VALU_DEP_1)
	v_cvt_u32_f32_e32 v6, v6
	v_readfirstlane_b32 s3, v6
	s_mul_i32 s4, s4, s3
	s_delay_alu instid0(SALU_CYCLE_1) | instskip(NEXT) | instid1(SALU_CYCLE_1)
	s_mul_hi_u32 s4, s3, s4
	s_add_co_i32 s3, s3, s4
	s_delay_alu instid0(SALU_CYCLE_1) | instskip(NEXT) | instid1(SALU_CYCLE_1)
	s_mul_hi_u32 s3, s64, s3
	s_mul_i32 s3, s3, s40
	s_delay_alu instid0(SALU_CYCLE_1) | instskip(NEXT) | instid1(SALU_CYCLE_1)
	s_sub_co_i32 s3, s64, s3
	s_sub_co_i32 s4, s3, s40
	s_cmp_ge_u32 s3, s40
	s_cselect_b32 s3, s4, s3
	s_delay_alu instid0(SALU_CYCLE_1) | instskip(SKIP_2) | instid1(SALU_CYCLE_1)
	s_sub_co_i32 s4, s3, s40
	s_cmp_ge_u32 s3, s40
	s_cselect_b32 s28, s4, s3
	s_mov_b64 s[10:11], s[28:29]
.LBB141_458:                            ;   in Loop: Header=BB141_31 Depth=1
	s_delay_alu instid0(SALU_CYCLE_1)
	s_sub_nc_u64 s[10:11], s[64:65], s[10:11]
	s_mov_b32 s14, exec_lo
                                        ; implicit-def: $vgpr44
	v_cmpx_gt_u64_e64 s[10:11], v[0:1]
	s_cbranch_execz .LBB141_467
; %bb.459:                              ;   in Loop: Header=BB141_31 Depth=1
	v_mov_b64_e32 v[6:7], v[30:31]
	v_mov_b64_e32 v[8:9], v[0:1]
	s_mov_b32 s15, 0
                                        ; implicit-def: $sgpr16
	s_branch .LBB141_462
.LBB141_460:                            ;   in Loop: Header=BB141_462 Depth=2
	s_or_b32 exec_lo, exec_lo, s7
	s_wait_dscnt 0x0
	s_barrier_signal -1
	s_barrier_wait -1
	ds_load_u16 v10, v3 offset:3072
	s_mov_b32 s4, -1
	s_mov_b32 s7, -1
	s_wait_dscnt 0x0
	s_barrier_signal -1
	s_barrier_wait -1
	v_and_b32_e32 v11, 0xff, v10
	s_delay_alu instid0(VALU_DEP_1)
	v_cmp_eq_u32_e32 vcc_lo, 0, v11
	s_cbranch_vccnz .LBB141_465
.LBB141_461:                            ;   in Loop: Header=BB141_462 Depth=2
	s_and_b32 s3, exec_lo, s4
	s_delay_alu instid0(SALU_CYCLE_1) | instskip(SKIP_2) | instid1(SALU_CYCLE_1)
	s_or_b32 s15, s3, s15
	s_and_not1_b32 s3, s16, exec_lo
	s_and_b32 s4, s7, exec_lo
	s_or_b32 s16, s3, s4
	s_and_not1_b32 exec_lo, exec_lo, s15
	s_cbranch_execz .LBB141_466
.LBB141_462:                            ;   Parent Loop BB141_31 Depth=1
                                        ; =>  This Inner Loop Header: Depth=2
	s_mov_b32 s7, exec_lo
	s_delay_alu instid0(VALU_DEP_1)
	v_cmpx_gt_u64_e64 s[36:37], v[8:9]
	s_cbranch_execz .LBB141_460
; %bb.463:                              ;   in Loop: Header=BB141_462 Depth=2
	global_load_u8 v10, v[6:7], off
	s_wait_loadcnt 0x0
	v_bfe_i32 v11, v10, 0, 8
	s_delay_alu instid0(VALU_DEP_1) | instskip(NEXT) | instid1(VALU_DEP_1)
	v_add_nc_u32_e32 v11, 0x80, v11
	v_and_b32_e32 v11, v11, v43
	s_delay_alu instid0(VALU_DEP_1)
	v_cmp_eq_u32_e32 vcc_lo, v11, v41
	s_and_b32 exec_lo, exec_lo, vcc_lo
	s_cbranch_execz .LBB141_460
; %bb.464:                              ;   in Loop: Header=BB141_462 Depth=2
	v_lshlrev_b16 v10, 8, v10
	s_delay_alu instid0(VALU_DEP_1)
	v_or_b32_e32 v10, 1, v10
	ds_store_b16 v3, v10 offset:3072
	s_branch .LBB141_460
.LBB141_465:                            ;   in Loop: Header=BB141_462 Depth=2
	v_add_nc_u64_e32 v[8:9], s[40:41], v[8:9]
	v_add_nc_u64_e32 v[6:7], s[44:45], v[6:7]
	s_mov_b32 s7, 0
	s_delay_alu instid0(VALU_DEP_2)
	v_cmp_le_u64_e32 vcc_lo, s[10:11], v[8:9]
	s_or_not1_b32 s4, vcc_lo, exec_lo
	s_branch .LBB141_461
.LBB141_466:                            ;   in Loop: Header=BB141_31 Depth=1
	s_or_b32 exec_lo, exec_lo, s15
	v_and_b32_e32 v6, 0xffff, v10
	s_and_not1_b32 s3, s8, exec_lo
	s_and_b32 s4, s16, exec_lo
	s_delay_alu instid0(SALU_CYCLE_1) | instskip(NEXT) | instid1(VALU_DEP_1)
	s_or_b32 s8, s3, s4
	v_lshrrev_b32_e32 v44, 8, v6
.LBB141_467:                            ;   in Loop: Header=BB141_31 Depth=1
	s_or_b32 exec_lo, exec_lo, s14
	s_mov_b32 s78, 0
	s_mov_b32 s79, -1
.LBB141_468:                            ;   in Loop: Header=BB141_31 Depth=1
	s_or_not1_b32 s7, s8, exec_lo
.LBB141_469:                            ;   in Loop: Header=BB141_31 Depth=1
	s_or_b32 exec_lo, exec_lo, s77
	s_mov_b32 s10, 0
	s_and_saveexec_b32 s8, s7
	s_cbranch_execz .LBB141_480
; %bb.470:                              ;   in Loop: Header=BB141_31 Depth=1
	v_mov_b64_e32 v[6:7], 1
	v_mov_b32_e32 v2, 1
	s_xor_b32 s3, s76, -1
	s_delay_alu instid0(SALU_CYCLE_1)
	s_and_saveexec_b32 s7, s3
	s_cbranch_execz .LBB141_479
; %bb.471:                              ;   in Loop: Header=BB141_31 Depth=1
	s_mov_b32 s3, exec_lo
	v_cmpx_ge_u64_e64 s[12:13], v[4:5]
	s_xor_b32 s10, exec_lo, s3
	s_cbranch_execz .LBB141_476
; %bb.472:                              ;   in Loop: Header=BB141_31 Depth=1
	ds_load_b64 v[6:7], v3 offset:5120
	v_and_b32_e32 v41, s25, v41
	v_or_b32_e32 v43, s24, v43
	s_wait_dscnt 0x0
	v_cmp_ne_u64_e32 vcc_lo, 0, v[6:7]
	s_cbranch_vccnz .LBB141_476
; %bb.473:                              ;   in Loop: Header=BB141_31 Depth=1
	s_and_saveexec_b32 s4, s5
; %bb.474:                              ;   in Loop: Header=BB141_31 Depth=1
	v_mov_b64_e32 v[6:7], s[12:13]
	ds_store_b64 v3, v[6:7] offset:5128
; %bb.475:                              ;   in Loop: Header=BB141_31 Depth=1
	s_or_b32 exec_lo, exec_lo, s4
	s_wait_dscnt 0x0
	s_barrier_signal -1
	s_barrier_wait -1
.LBB141_476:                            ;   in Loop: Header=BB141_31 Depth=1
	s_and_not1_saveexec_b32 s4, s10
; %bb.477:                              ;   in Loop: Header=BB141_31 Depth=1
	v_sub_nc_u64_e64 v[4:5], v[4:5], s[12:13]
; %bb.478:                              ;   in Loop: Header=BB141_31 Depth=1
	s_or_b32 exec_lo, exec_lo, s4
	s_delay_alu instid0(VALU_DEP_1)
	v_mov_b64_e32 v[6:7], v[4:5]
	v_mov_b32_e32 v2, 5
.LBB141_479:                            ;   in Loop: Header=BB141_31 Depth=1
	s_or_b32 exec_lo, exec_lo, s7
	s_delay_alu instid0(VALU_DEP_2)
	v_mov_b64_e32 v[4:5], v[6:7]
	s_mov_b32 s10, exec_lo
.LBB141_480:                            ;   in Loop: Header=BB141_31 Depth=1
	s_or_b32 exec_lo, exec_lo, s8
	s_delay_alu instid0(SALU_CYCLE_1)
	s_or_not1_b32 s7, s10, exec_lo
.LBB141_481:                            ;   in Loop: Header=BB141_31 Depth=1
	s_or_b32 exec_lo, exec_lo, s19
	s_delay_alu instid0(VALU_DEP_1)
	v_mov_b64_e32 v[6:7], v[4:5]
	s_and_not1_b32 s3, s75, exec_lo
	s_and_b32 s4, s79, exec_lo
	s_and_not1_b32 s8, s73, exec_lo
	s_and_b32 s10, s78, exec_lo
	s_or_b32 s75, s3, s4
	s_or_b32 s73, s8, s10
	s_and_b32 s8, s7, exec_lo
.LBB141_482:                            ;   in Loop: Header=BB141_31 Depth=1
	s_or_b32 exec_lo, exec_lo, s18
	s_delay_alu instid0(SALU_CYCLE_1)
	s_or_not1_b32 s7, s8, exec_lo
.LBB141_483:                            ;   in Loop: Header=BB141_31 Depth=1
	s_or_b32 exec_lo, exec_lo, s21
	v_mov_b64_e32 v[4:5], v[6:7]
	s_and_not1_b32 s3, s72, exec_lo
	s_and_b32 s4, s75, exec_lo
	s_and_not1_b32 s8, s23, exec_lo
	s_and_b32 s10, s73, exec_lo
	s_or_b32 s72, s3, s4
	s_or_b32 s23, s8, s10
	s_and_b32 s8, s7, exec_lo
.LBB141_484:                            ;   in Loop: Header=BB141_31 Depth=1
	s_or_b32 exec_lo, exec_lo, s20
	s_delay_alu instid0(SALU_CYCLE_1)
	s_or_not1_b32 s7, s8, exec_lo
.LBB141_485:                            ;   in Loop: Header=BB141_31 Depth=1
	s_or_b32 exec_lo, exec_lo, s9
	s_mov_b32 s8, s59
	s_mov_b32 s9, s27
	s_and_saveexec_b32 s10, s7
; %bb.486:                              ;   in Loop: Header=BB141_31 Depth=1
	v_cmp_ne_u32_e32 vcc_lo, 5, v2
	v_cmp_eq_u32_e64 s9, 5, v2
	s_and_not1_b32 s3, s27, exec_lo
	s_and_not1_b32 s4, s59, exec_lo
	s_and_b32 s7, vcc_lo, exec_lo
	s_and_b32 s8, s9, exec_lo
	s_or_b32 s9, s3, s7
	s_or_b32 s8, s4, s8
; %bb.487:                              ;   in Loop: Header=BB141_31 Depth=1
	s_or_b32 exec_lo, exec_lo, s10
	s_delay_alu instid0(SALU_CYCLE_1)
	s_and_not1_b32 s3, s74, exec_lo
	s_and_b32 s4, s72, exec_lo
	s_and_not1_b32 s7, s26, exec_lo
	s_and_b32 s10, s23, exec_lo
	s_or_b32 s74, s3, s4
	s_or_b32 s26, s7, s10
	s_and_not1_b32 s3, s27, exec_lo
	s_and_b32 s4, s9, exec_lo
	s_and_not1_b32 s7, s59, exec_lo
	s_and_b32 s8, s8, exec_lo
	s_or_b32 s27, s3, s4
	s_or_b32 s59, s7, s8
.LBB141_488:                            ;   in Loop: Header=BB141_31 Depth=1
	s_or_b32 exec_lo, exec_lo, s22
	s_mov_b32 s72, 0
	s_mov_b32 s73, 0
	s_and_saveexec_b32 s4, s59
.LBB141_489:                            ;   in Loop: Header=BB141_31 Depth=1
	v_mov_b32_e32 v2, 0
	s_or_b32 s27, s27, exec_lo
.LBB141_490:                            ;   in Loop: Header=BB141_31 Depth=1
	s_or_b32 exec_lo, exec_lo, s4
	v_mov_b64_e32 v[32:33], v[4:5]
	s_and_not1_b32 s3, s56, exec_lo
	s_and_b32 s4, s74, exec_lo
	s_and_not1_b32 s7, s54, exec_lo
	s_and_b32 s9, s26, exec_lo
	s_or_b32 s56, s3, s4
	s_or_b32 s54, s7, s9
	s_and_not1_b32 s3, s58, exec_lo
	s_and_b32 s4, s73, exec_lo
	s_and_not1_b32 s7, s57, exec_lo
	s_and_b32 s9, s72, exec_lo
	s_mov_b32 s8, -1
	s_and_not1_b32 s55, s55, exec_lo
	s_or_b32 s58, s3, s4
	s_or_b32 s57, s7, s9
	s_and_saveexec_b32 s3, s27
	s_delay_alu instid0(SALU_CYCLE_1)
	s_xor_b32 s7, exec_lo, s3
	s_cbranch_execz .LBB141_30
; %bb.491:                              ;   in Loop: Header=BB141_31 Depth=1
	s_mov_b32 s9, -1
	s_mov_b32 s4, exec_lo
	v_cmpx_eq_u32_e32 0, v2
	s_cbranch_execz .LBB141_29
; %bb.492:                              ;   in Loop: Header=BB141_31 Depth=1
	s_xor_b32 s103, s103, 1
	s_add_co_i32 s3, s99, -2
	s_cmp_eq_u32 s99, 0
	s_mov_b32 s99, s3
	s_cselect_b32 s8, -1, 0
	s_xor_b32 s9, exec_lo, -1
	s_or_not1_b32 s8, s8, exec_lo
	s_branch .LBB141_29
.LBB141_493:
	s_or_b32 exec_lo, exec_lo, s101
	s_xor_b32 s7, s53, -1
	s_xor_b32 s9, vcc_hi, -1
	s_xor_b32 s4, s52, -1
	s_xor_b32 s3, s102, -1
	;; [unrolled: 1-line block ×3, first 2 shown]
	s_mov_b32 s8, 0
	s_and_saveexec_b32 s10, s3
	s_delay_alu instid0(SALU_CYCLE_1)
	s_xor_b32 s16, exec_lo, s10
	s_cbranch_execnz .LBB141_498
; %bb.494:
	s_and_not1_saveexec_b32 s0, s16
	s_cbranch_execnz .LBB141_517
.LBB141_495:
	s_or_b32 exec_lo, exec_lo, s0
	s_and_saveexec_b32 s0, s8
.LBB141_496:
	; divergent unreachable
.LBB141_497:
	s_endpgm
.LBB141_498:
	s_and_saveexec_b32 s3, s4
	s_delay_alu instid0(SALU_CYCLE_1)
	s_xor_b32 s17, exec_lo, s3
	s_cbranch_execz .LBB141_515
; %bb.499:
	s_and_saveexec_b32 s3, s9
	s_delay_alu instid0(SALU_CYCLE_1)
	s_xor_b32 s18, exec_lo, s3
	s_cbranch_execz .LBB141_513
; %bb.500:
	;; [unrolled: 5-line block ×3, first 2 shown]
	s_and_saveexec_b32 s3, s6
	s_delay_alu instid0(SALU_CYCLE_1)
	s_xor_b32 s4, exec_lo, s3
; %bb.502:
	v_xor_b32_e32 v44, 0xffffff80, v41
; %bb.503:
	s_or_b32 exec_lo, exec_lo, s4
	s_and_saveexec_b32 s4, s5
	v_readlane_b32 s28, v54, 9
; %bb.504:
	v_mov_b64_e32 v[2:3], 0
	v_mov_b32_e32 v4, 0
	ds_store_b64 v4, v[2:3] offset:5136
; %bb.505:
	s_or_b32 exec_lo, exec_lo, s4
	v_mov_b32_e32 v13, 0
	s_wait_dscnt 0x0
	s_barrier_signal -1
	s_barrier_wait -1
	s_mov_b32 s4, exec_lo
	v_readlane_b32 s3, v54, 8
	s_and_b32 s3, s4, s3
	s_delay_alu instid0(SALU_CYCLE_1)
	s_mov_b32 exec_lo, s3
	s_cbranch_execz .LBB141_507
; %bb.506:
	global_load_u8 v13, v[14:15], off
.LBB141_507:
	s_wait_xcnt 0x0
	s_or_b32 exec_lo, exec_lo, s4
	s_clause 0x1
	s_load_b64 s[6:7], s[0:1], 0x368
	s_load_b64 s[8:9], s[0:1], 0x510
	s_wait_xcnt 0x0
	s_add_nc_u64 s[0:1], s[36:37], 31
	s_mov_b64 s[4:5], 0xffffffffffffffe0
	v_readlane_b32 s12, v54, 4
	s_and_b64 s[10:11], s[0:1], s[4:5]
	v_readlane_b32 s4, v54, 0
	v_readlane_b32 s5, v54, 1
	;; [unrolled: 1-line block ×5, first 2 shown]
	v_cmp_gt_u64_e32 vcc_lo, s[10:11], v[0:1]
	s_mul_u64 s[4:5], s[4:5], s[42:43]
	s_lshl_b64 s[14:15], s[46:47], 3
	s_add_nc_u64 s[4:5], s[12:13], s[4:5]
	v_readlane_b32 s12, v54, 6
	v_readlane_b32 s13, v54, 7
	s_mul_u64 s[0:1], s[0:1], s[50:51]
	s_delay_alu instid0(SALU_CYCLE_1) | instskip(NEXT) | instid1(SALU_CYCLE_1)
	s_lshl_b64 s[0:1], s[0:1], 3
	s_add_nc_u64 s[0:1], s[12:13], s[0:1]
	s_add_nc_u64 s[12:13], s[4:5], s[34:35]
	;; [unrolled: 1-line block ×3, first 2 shown]
	s_mov_b32 s0, -1
	s_mov_b32 s5, 0
	s_mov_b32 s1, 0
	s_and_saveexec_b32 s20, vcc_lo
	s_cbranch_execnz .LBB141_518
; %bb.508:
	s_or_b32 exec_lo, exec_lo, s20
	s_and_saveexec_b32 s4, s0
	s_cbranch_execnz .LBB141_533
.LBB141_509:
	s_or_b32 exec_lo, exec_lo, s4
	s_and_saveexec_b32 s0, s1
	s_delay_alu instid0(SALU_CYCLE_1)
	s_xor_b32 s0, exec_lo, s0
	s_cbranch_execnz .LBB141_556
.LBB141_510:
	s_or_b32 exec_lo, exec_lo, s0
	s_wait_kmcnt 0x0
	s_and_b32 s8, s5, exec_lo
.LBB141_511:
	s_and_not1_saveexec_b32 s0, s19
	s_cbranch_execnz .LBB141_558
.LBB141_512:
	s_or_b32 exec_lo, exec_lo, s0
	s_delay_alu instid0(SALU_CYCLE_1)
	s_and_b32 s8, s8, exec_lo
.LBB141_513:
	s_and_not1_saveexec_b32 s0, s18
	s_cbranch_execnz .LBB141_557
.LBB141_514:
	s_or_b32 exec_lo, exec_lo, s0
	s_delay_alu instid0(SALU_CYCLE_1)
	s_and_b32 s8, s8, exec_lo
.LBB141_515:
	s_and_not1_saveexec_b32 s0, s17
	s_cbranch_execnz .LBB141_552
.LBB141_516:
	s_or_b32 exec_lo, exec_lo, s0
	s_delay_alu instid0(SALU_CYCLE_1)
	s_and_b32 s8, s8, exec_lo
	s_and_not1_saveexec_b32 s0, s16
	s_cbranch_execz .LBB141_495
.LBB141_517:
	s_or_b32 s8, s8, exec_lo
	s_trap 2
	s_or_b32 exec_lo, exec_lo, s0
	s_and_saveexec_b32 s0, s8
	s_cbranch_execnz .LBB141_496
	s_branch .LBB141_497
.LBB141_518:
	v_readlane_b32 s0, v54, 15
	v_add_nc_u32_e32 v4, s40, v0
	v_readlane_b32 s1, v54, 16
	v_bfe_i32 v5, v44, 0, 8
	v_mov_b64_e32 v[10:11], v[0:1]
	s_mov_b32 s21, 0
                                        ; implicit-def: $sgpr22
                                        ; implicit-def: $vgpr8_vgpr9
	s_delay_alu instid0(VALU_DEP_2) | instskip(SKIP_1) | instid1(VALU_DEP_1)
	v_dual_mov_b32 v5, 0 :: v_dual_add_nc_u32 v18, 0x80, v5
	v_mad_nc_u64_u32 v[2:3], s30, v4, s[0:1]
	v_mad_u32 v3, s31, v4, v3
	s_branch .LBB141_520
.LBB141_519:                            ;   in Loop: Header=BB141_520 Depth=1
	s_or_b32 exec_lo, exec_lo, s23
	s_xor_b32 s0, s4, -1
	s_and_b32 s1, exec_lo, s1
	v_mov_b64_e32 v[10:11], v[6:7]
	v_mov_b32_e32 v13, v19
	s_or_b32 s21, s1, s21
	s_and_not1_b32 s1, s22, exec_lo
	s_and_b32 s0, s0, exec_lo
	s_delay_alu instid0(SALU_CYCLE_1)
	s_or_b32 s22, s1, s0
	s_and_not1_b32 exec_lo, exec_lo, s21
	s_cbranch_execz .LBB141_532
.LBB141_520:                            ; =>This Inner Loop Header: Depth=1
	s_delay_alu instid0(VALU_DEP_4) | instskip(SKIP_2) | instid1(VALU_DEP_2)
	v_add_nc_u64_e32 v[6:7], s[40:41], v[10:11]
	v_mov_b32_e32 v19, 0
	s_mov_b32 s1, exec_lo
	v_cmpx_gt_u64_e64 s[36:37], v[6:7]
	s_cbranch_execz .LBB141_522
; %bb.521:                              ;   in Loop: Header=BB141_520 Depth=1
	global_load_u8 v19, v[2:3], off
.LBB141_522:                            ;   in Loop: Header=BB141_520 Depth=1
	s_wait_xcnt 0x0
	s_or_b32 exec_lo, exec_lo, s1
	s_wait_loadcnt 0x0
	v_bfe_i32 v4, v13, 0, 8
	s_delay_alu instid0(VALU_DEP_1) | instskip(NEXT) | instid1(VALU_DEP_1)
	v_add_nc_u32_e32 v4, 0x80, v4
	v_cmp_gt_u32_e64 s0, v4, v18
	s_delay_alu instid0(VALU_DEP_1) | instskip(SKIP_1) | instid1(VALU_DEP_1)
	v_cndmask_b32_e64 v16, 0, 1, s0
	v_cmp_lt_u32_e64 s0, v4, v18
	v_cndmask_b32_e64 v4, 0, 1, s0
	v_cmp_gt_u64_e64 s0, s[36:37], v[10:11]
	s_delay_alu instid0(VALU_DEP_2) | instskip(NEXT) | instid1(VALU_DEP_1)
	v_cndmask_b32_e64 v4, v4, v16, s28
	v_and_b32_e32 v4, 1, v4
	s_delay_alu instid0(VALU_DEP_1) | instskip(SKIP_1) | instid1(SALU_CYCLE_1)
	v_cmp_eq_u32_e64 s1, 1, v4
	s_and_b32 s23, s0, s1
	v_cndmask_b32_e64 v4, 0, 1, s23
	s_delay_alu instid0(VALU_DEP_1) | instskip(SKIP_2) | instid1(SALU_CYCLE_1)
	v_cmp_ne_u32_e64 s0, 0, v4
	s_cmp_lg_u32 s0, 0
	s_cselect_b32 s1, -1, 0
	s_and_b32 s1, s2, s1
	s_delay_alu instid0(SALU_CYCLE_1)
	s_and_saveexec_b32 s24, s1
	s_cbranch_execz .LBB141_526
; %bb.523:                              ;   in Loop: Header=BB141_520 Depth=1
	s_mov_b32 s26, exec_lo
	s_bcnt1_i32_b32 s25, s0
	v_mbcnt_lo_u32_b32 v16, s26, 0
	s_mov_b32 s4, exec_lo
                                        ; implicit-def: $vgpr8_vgpr9
	s_delay_alu instid0(VALU_DEP_1)
	v_cmpx_eq_u32_e32 0, v16
	s_cbranch_execz .LBB141_525
; %bb.524:                              ;   in Loop: Header=BB141_520 Depth=1
	s_bcnt1_i32_b32 s1, s26
	s_delay_alu instid0(SALU_CYCLE_1) | instskip(NEXT) | instid1(SALU_CYCLE_1)
	s_mul_i32 s1, s25, s1
	v_mov_b32_e32 v4, s1
	s_wait_dscnt 0x0
	ds_add_rtn_u64 v[8:9], v5, v[4:5] offset:5136
.LBB141_525:                            ;   in Loop: Header=BB141_520 Depth=1
	s_or_b32 exec_lo, exec_lo, s4
	s_wait_dscnt 0x0
	v_readfirstlane_b32 s27, v9
	v_readfirstlane_b32 s26, v8
	s_delay_alu instid0(VALU_DEP_1)
	v_mad_nc_u64_u32 v[8:9], s25, v16, s[26:27]
.LBB141_526:                            ;   in Loop: Header=BB141_520 Depth=1
	s_or_b32 exec_lo, exec_lo, s24
	s_wait_dscnt 0x1
	ds_bpermute_b32 v8, v5, v8
	s_wait_dscnt 0x1
	ds_bpermute_b32 v9, v5, v9
	s_mov_b32 s1, -1
	s_mov_b32 s25, -1
	s_and_saveexec_b32 s24, s23
	s_cbranch_execz .LBB141_530
; %bb.527:                              ;   in Loop: Header=BB141_520 Depth=1
	v_and_b32_e32 v4, s0, v12
	s_mov_b32 s23, 0
	s_mov_b32 s4, exec_lo
	s_delay_alu instid0(VALU_DEP_1) | instskip(SKIP_1) | instid1(VALU_DEP_1)
	v_bcnt_u32_b32 v4, v4, 0
	s_wait_dscnt 0x0
	v_add_nc_u64_e32 v[16:17], v[8:9], v[4:5]
	s_delay_alu instid0(VALU_DEP_1)
	v_cmpx_gt_u64_e64 s[38:39], v[16:17]
	s_cbranch_execz .LBB141_529
; %bb.528:                              ;   in Loop: Header=BB141_520 Depth=1
	s_wait_kmcnt 0x0
	v_mul_u64_e32 v[20:21], s[8:9], v[16:17]
	v_mad_nc_u64_u32 v[22:23], v16, s6, s[12:13]
	s_mov_b32 s23, exec_lo
	s_delay_alu instid0(VALU_DEP_1) | instskip(NEXT) | instid1(VALU_DEP_1)
	v_mad_u32 v4, v17, s6, v23
	v_mad_u32 v23, v16, s7, v4
	s_delay_alu instid0(VALU_DEP_4)
	v_lshl_add_u64 v[16:17], v[20:21], 3, s[14:15]
	global_store_b8 v[22:23], v13, off
	global_store_b64 v[16:17], v[10:11], off
.LBB141_529:                            ;   in Loop: Header=BB141_520 Depth=1
	s_wait_xcnt 0x0
	s_or_b32 exec_lo, exec_lo, s4
	s_delay_alu instid0(SALU_CYCLE_1)
	s_or_not1_b32 s25, s23, exec_lo
.LBB141_530:                            ;   in Loop: Header=BB141_520 Depth=1
	s_or_b32 exec_lo, exec_lo, s24
	s_mov_b32 s4, -1
	s_and_saveexec_b32 s23, s25
	s_cbranch_execz .LBB141_519
; %bb.531:                              ;   in Loop: Header=BB141_520 Depth=1
	v_cmp_le_u64_e64 s0, s[10:11], v[6:7]
	v_add_nc_u64_e32 v[2:3], s[44:45], v[2:3]
	s_xor_b32 s4, exec_lo, -1
	s_or_not1_b32 s1, s0, exec_lo
	s_branch .LBB141_519
.LBB141_532:
	s_or_b32 exec_lo, exec_lo, s21
	s_delay_alu instid0(SALU_CYCLE_1)
	s_mov_b32 s1, exec_lo
	s_or_not1_b32 s0, s22, exec_lo
	s_or_b32 exec_lo, exec_lo, s20
	s_and_saveexec_b32 s4, s0
	s_cbranch_execz .LBB141_509
.LBB141_533:
	v_mov_b32_e32 v4, 0
	s_wait_storecnt 0x0
	s_wait_loadcnt_dscnt 0x0
	s_barrier_signal -1
	s_barrier_wait -1
	s_mov_b32 s0, exec_lo
	v_readlane_b32 s3, v54, 8
	s_and_b32 s3, s0, s3
	s_delay_alu instid0(SALU_CYCLE_1)
	s_mov_b32 exec_lo, s3
	s_cbranch_execz .LBB141_535
; %bb.534:
	global_load_u8 v4, v[14:15], off
.LBB141_535:
	s_wait_xcnt 0x0
	s_or_b32 exec_lo, exec_lo, s0
	s_mov_b32 s0, 0
	s_and_saveexec_b32 s3, vcc_lo
	s_cbranch_execz .LBB141_555
; %bb.536:
	v_readlane_b32 s20, v54, 15
	v_add_nc_u32_e32 v5, s40, v0
	v_readlane_b32 s21, v54, 16
	v_and_b32_e32 v13, 0xff, v44
	s_mov_b32 s5, 0
                                        ; implicit-def: $vgpr8_vgpr9
	v_mad_nc_u64_u32 v[2:3], s30, v5, s[20:21]
                                        ; implicit-def: $sgpr20
	s_delay_alu instid0(VALU_DEP_1)
	v_mad_u32 v3, s31, v5, v3
	v_mov_b32_e32 v5, 0
	s_branch .LBB141_539
.LBB141_537:                            ;   in Loop: Header=BB141_539 Depth=1
	s_or_b32 exec_lo, exec_lo, s21
	s_delay_alu instid0(SALU_CYCLE_1)
	s_or_not1_b32 s23, s23, exec_lo
	s_or_not1_b32 s22, s22, exec_lo
.LBB141_538:                            ;   in Loop: Header=BB141_539 Depth=1
	s_or_b32 exec_lo, exec_lo, s0
	s_xor_b32 s0, s23, -1
	s_and_b32 s21, exec_lo, s22
	v_mov_b64_e32 v[0:1], v[6:7]
	s_or_b32 s5, s21, s5
	v_mov_b32_e32 v4, v14
	s_and_not1_b32 s20, s20, exec_lo
	s_and_b32 s0, s0, exec_lo
	s_delay_alu instid0(SALU_CYCLE_1)
	s_or_b32 s20, s20, s0
	s_and_not1_b32 exec_lo, exec_lo, s5
	s_cbranch_execz .LBB141_553
.LBB141_539:                            ; =>This Inner Loop Header: Depth=1
	v_add_nc_u64_e32 v[6:7], s[40:41], v[0:1]
	v_mov_b32_e32 v14, 0
	s_mov_b32 s0, exec_lo
	s_delay_alu instid0(VALU_DEP_2)
	v_cmpx_gt_u64_e64 s[36:37], v[6:7]
	s_cbranch_execz .LBB141_541
; %bb.540:                              ;   in Loop: Header=BB141_539 Depth=1
	global_load_u8 v14, v[2:3], off
.LBB141_541:                            ;   in Loop: Header=BB141_539 Depth=1
	s_wait_xcnt 0x0
	s_or_b32 exec_lo, exec_lo, s0
	s_wait_loadcnt 0x0
	v_and_b32_e32 v4, 0xff, v4
	v_cmp_gt_u64_e32 vcc_lo, s[36:37], v[0:1]
	s_delay_alu instid0(VALU_DEP_2) | instskip(SKIP_1) | instid1(SALU_CYCLE_1)
	v_cmp_eq_u16_e64 s0, v4, v13
	s_and_b32 s21, vcc_lo, s0
	v_cndmask_b32_e64 v4, 0, 1, s21
	s_delay_alu instid0(VALU_DEP_1) | instskip(SKIP_2) | instid1(SALU_CYCLE_1)
	v_cmp_ne_u32_e32 vcc_lo, 0, v4
	s_cmp_lg_u32 vcc_lo, 0
	s_cselect_b32 s0, -1, 0
	s_and_b32 s0, s2, s0
	s_delay_alu instid0(SALU_CYCLE_1)
	s_and_saveexec_b32 s22, s0
	s_cbranch_execz .LBB141_545
; %bb.542:                              ;   in Loop: Header=BB141_539 Depth=1
	s_mov_b32 s25, exec_lo
	s_bcnt1_i32_b32 s23, vcc_lo
	v_mbcnt_lo_u32_b32 v10, s25, 0
	s_mov_b32 s24, exec_lo
                                        ; implicit-def: $vgpr8_vgpr9
	s_delay_alu instid0(VALU_DEP_1)
	v_cmpx_eq_u32_e32 0, v10
; %bb.543:                              ;   in Loop: Header=BB141_539 Depth=1
	s_bcnt1_i32_b32 s0, s25
	s_delay_alu instid0(SALU_CYCLE_1) | instskip(NEXT) | instid1(SALU_CYCLE_1)
	s_mul_i32 s0, s23, s0
	v_mov_b32_e32 v4, s0
	ds_add_rtn_u64 v[8:9], v5, v[4:5] offset:5136
; %bb.544:                              ;   in Loop: Header=BB141_539 Depth=1
	s_or_b32 exec_lo, exec_lo, s24
	s_wait_dscnt 0x0
	v_readfirstlane_b32 s25, v9
	v_readfirstlane_b32 s24, v8
	s_delay_alu instid0(VALU_DEP_1)
	v_mad_nc_u64_u32 v[8:9], s23, v10, s[24:25]
.LBB141_545:                            ;   in Loop: Header=BB141_539 Depth=1
	s_or_b32 exec_lo, exec_lo, s22
	ds_bpermute_b32 v8, v5, v8
	ds_bpermute_b32 v9, v5, v9
	s_cmp_eq_u32 vcc_lo, 0
	s_mov_b32 s22, -1
	s_cselect_b32 s23, -1, 0
	s_wait_dscnt 0x0
	v_cmp_gt_u64_e64 s0, s[38:39], v[8:9]
	s_or_b32 s24, s23, s0
	s_mov_b32 s23, -1
	s_and_saveexec_b32 s0, s24
	s_cbranch_execz .LBB141_538
; %bb.546:                              ;   in Loop: Header=BB141_539 Depth=1
	v_and_b32_e32 v4, vcc_lo, v12
	v_sub_nc_u64_e32 v[10:11], s[38:39], v[8:9]
	s_mov_b32 s24, -1
	s_delay_alu instid0(VALU_DEP_2) | instskip(NEXT) | instid1(VALU_DEP_1)
	v_bcnt_u32_b32 v4, v4, 0
	v_bcnt_u32_b32 v4, 0, v4
	s_delay_alu instid0(VALU_DEP_1) | instskip(SKIP_1) | instid1(SALU_CYCLE_1)
	v_cmp_gt_u64_e32 vcc_lo, v[10:11], v[4:5]
	s_and_b32 s25, s21, vcc_lo
	s_and_saveexec_b32 s21, s25
	s_cbranch_execz .LBB141_550
; %bb.547:                              ;   in Loop: Header=BB141_539 Depth=1
	v_add_nc_u64_e32 v[10:11], v[8:9], v[4:5]
	s_mov_b32 s24, 0
	s_mov_b32 s23, exec_lo
	s_delay_alu instid0(VALU_DEP_1)
	v_cmpx_gt_u64_e64 s[38:39], v[10:11]
	s_cbranch_execz .LBB141_549
; %bb.548:                              ;   in Loop: Header=BB141_539 Depth=1
	s_wait_kmcnt 0x0
	v_mul_u64_e32 v[16:17], s[8:9], v[10:11]
	v_mad_nc_u64_u32 v[18:19], v10, s6, s[12:13]
	s_mov_b32 s24, exec_lo
	s_delay_alu instid0(VALU_DEP_1) | instskip(NEXT) | instid1(VALU_DEP_1)
	v_mad_u32 v4, v11, s6, v19
	v_mad_u32 v19, v10, s7, v4
	s_delay_alu instid0(VALU_DEP_4)
	v_lshl_add_u64 v[10:11], v[16:17], 3, s[14:15]
	global_store_b8 v[18:19], v44, off
	global_store_b64 v[10:11], v[0:1], off
.LBB141_549:                            ;   in Loop: Header=BB141_539 Depth=1
	s_wait_xcnt 0x0
	s_or_b32 exec_lo, exec_lo, s23
	s_delay_alu instid0(SALU_CYCLE_1)
	s_xor_b32 s23, exec_lo, -1
	s_or_not1_b32 s24, s24, exec_lo
.LBB141_550:                            ;   in Loop: Header=BB141_539 Depth=1
	s_or_b32 exec_lo, exec_lo, s21
	s_and_saveexec_b32 s21, s24
	s_cbranch_execz .LBB141_537
; %bb.551:                              ;   in Loop: Header=BB141_539 Depth=1
	v_cmp_le_u64_e32 vcc_lo, s[10:11], v[6:7]
	v_add_nc_u64_e32 v[2:3], s[44:45], v[2:3]
	s_or_b32 s23, s23, exec_lo
	s_or_not1_b32 s22, vcc_lo, exec_lo
	s_branch .LBB141_537
.LBB141_552:
	s_or_b32 s8, s8, exec_lo
	s_trap 2
	s_branch .LBB141_516
.LBB141_553:
	s_or_b32 exec_lo, exec_lo, s5
	s_mov_b32 s0, 0
	s_and_saveexec_b32 s2, s20
	s_delay_alu instid0(SALU_CYCLE_1)
	s_xor_b32 s2, exec_lo, s2
	s_cbranch_execnz .LBB141_559
.LBB141_554:
	s_or_b32 exec_lo, exec_lo, s2
	s_delay_alu instid0(SALU_CYCLE_1)
	s_and_b32 s0, s0, exec_lo
.LBB141_555:
	s_or_b32 exec_lo, exec_lo, s3
	s_delay_alu instid0(SALU_CYCLE_1) | instskip(SKIP_3) | instid1(SALU_CYCLE_1)
	s_and_b32 s5, s0, exec_lo
	s_and_not1_b32 s1, s1, exec_lo
	s_or_b32 exec_lo, exec_lo, s4
	s_and_saveexec_b32 s0, s1
	s_xor_b32 s0, exec_lo, s0
	s_cbranch_execz .LBB141_510
.LBB141_556:
	s_or_b32 s5, s5, exec_lo
	s_trap 2
	s_branch .LBB141_510
.LBB141_557:
	s_or_b32 s8, s8, exec_lo
	s_trap 2
	s_branch .LBB141_514
.LBB141_558:
	s_or_b32 s8, s8, exec_lo
	s_trap 2
	s_branch .LBB141_512
.LBB141_559:
	s_mov_b32 s0, exec_lo
	s_trap 2
	s_branch .LBB141_554
	.section	.rodata,"a",@progbits
	.p2align	6, 0x0
	.amdhsa_kernel _ZN2at6native6sbtopk10gatherTopKIamLin1ELb0EEEvNS_4cuda6detail10TensorInfoIKT_T0_EES8_S8_bS8_S8_NS5_IS6_S8_EES8_NS5_IlS8_EES8_PS6_
		.amdhsa_group_segment_fixed_size 5152
		.amdhsa_private_segment_fixed_size 0
		.amdhsa_kernarg_size 1568
		.amdhsa_user_sgpr_count 2
		.amdhsa_user_sgpr_dispatch_ptr 0
		.amdhsa_user_sgpr_queue_ptr 0
		.amdhsa_user_sgpr_kernarg_segment_ptr 1
		.amdhsa_user_sgpr_dispatch_id 0
		.amdhsa_user_sgpr_kernarg_preload_length 0
		.amdhsa_user_sgpr_kernarg_preload_offset 0
		.amdhsa_user_sgpr_private_segment_size 0
		.amdhsa_wavefront_size32 1
		.amdhsa_uses_dynamic_stack 0
		.amdhsa_enable_private_segment 0
		.amdhsa_system_sgpr_workgroup_id_x 1
		.amdhsa_system_sgpr_workgroup_id_y 1
		.amdhsa_system_sgpr_workgroup_id_z 1
		.amdhsa_system_sgpr_workgroup_info 0
		.amdhsa_system_vgpr_workitem_id 0
		.amdhsa_next_free_vgpr 55
		.amdhsa_next_free_sgpr 105
		.amdhsa_named_barrier_count 0
		.amdhsa_reserve_vcc 1
		.amdhsa_float_round_mode_32 0
		.amdhsa_float_round_mode_16_64 0
		.amdhsa_float_denorm_mode_32 3
		.amdhsa_float_denorm_mode_16_64 3
		.amdhsa_fp16_overflow 0
		.amdhsa_memory_ordered 1
		.amdhsa_forward_progress 1
		.amdhsa_inst_pref_size 216
		.amdhsa_round_robin_scheduling 0
		.amdhsa_exception_fp_ieee_invalid_op 0
		.amdhsa_exception_fp_denorm_src 0
		.amdhsa_exception_fp_ieee_div_zero 0
		.amdhsa_exception_fp_ieee_overflow 0
		.amdhsa_exception_fp_ieee_underflow 0
		.amdhsa_exception_fp_ieee_inexact 0
		.amdhsa_exception_int_div_zero 0
	.end_amdhsa_kernel
	.section	.text._ZN2at6native6sbtopk10gatherTopKIamLin1ELb0EEEvNS_4cuda6detail10TensorInfoIKT_T0_EES8_S8_bS8_S8_NS5_IS6_S8_EES8_NS5_IlS8_EES8_PS6_,"axG",@progbits,_ZN2at6native6sbtopk10gatherTopKIamLin1ELb0EEEvNS_4cuda6detail10TensorInfoIKT_T0_EES8_S8_bS8_S8_NS5_IS6_S8_EES8_NS5_IlS8_EES8_PS6_,comdat
.Lfunc_end141:
	.size	_ZN2at6native6sbtopk10gatherTopKIamLin1ELb0EEEvNS_4cuda6detail10TensorInfoIKT_T0_EES8_S8_bS8_S8_NS5_IS6_S8_EES8_NS5_IlS8_EES8_PS6_, .Lfunc_end141-_ZN2at6native6sbtopk10gatherTopKIamLin1ELb0EEEvNS_4cuda6detail10TensorInfoIKT_T0_EES8_S8_bS8_S8_NS5_IS6_S8_EES8_NS5_IlS8_EES8_PS6_
                                        ; -- End function
	.set _ZN2at6native6sbtopk10gatherTopKIamLin1ELb0EEEvNS_4cuda6detail10TensorInfoIKT_T0_EES8_S8_bS8_S8_NS5_IS6_S8_EES8_NS5_IlS8_EES8_PS6_.num_vgpr, 55
	.set _ZN2at6native6sbtopk10gatherTopKIamLin1ELb0EEEvNS_4cuda6detail10TensorInfoIKT_T0_EES8_S8_bS8_S8_NS5_IS6_S8_EES8_NS5_IlS8_EES8_PS6_.num_agpr, 0
	.set _ZN2at6native6sbtopk10gatherTopKIamLin1ELb0EEEvNS_4cuda6detail10TensorInfoIKT_T0_EES8_S8_bS8_S8_NS5_IS6_S8_EES8_NS5_IlS8_EES8_PS6_.numbered_sgpr, 105
	.set _ZN2at6native6sbtopk10gatherTopKIamLin1ELb0EEEvNS_4cuda6detail10TensorInfoIKT_T0_EES8_S8_bS8_S8_NS5_IS6_S8_EES8_NS5_IlS8_EES8_PS6_.num_named_barrier, 0
	.set _ZN2at6native6sbtopk10gatherTopKIamLin1ELb0EEEvNS_4cuda6detail10TensorInfoIKT_T0_EES8_S8_bS8_S8_NS5_IS6_S8_EES8_NS5_IlS8_EES8_PS6_.private_seg_size, 0
	.set _ZN2at6native6sbtopk10gatherTopKIamLin1ELb0EEEvNS_4cuda6detail10TensorInfoIKT_T0_EES8_S8_bS8_S8_NS5_IS6_S8_EES8_NS5_IlS8_EES8_PS6_.uses_vcc, 1
	.set _ZN2at6native6sbtopk10gatherTopKIamLin1ELb0EEEvNS_4cuda6detail10TensorInfoIKT_T0_EES8_S8_bS8_S8_NS5_IS6_S8_EES8_NS5_IlS8_EES8_PS6_.uses_flat_scratch, 0
	.set _ZN2at6native6sbtopk10gatherTopKIamLin1ELb0EEEvNS_4cuda6detail10TensorInfoIKT_T0_EES8_S8_bS8_S8_NS5_IS6_S8_EES8_NS5_IlS8_EES8_PS6_.has_dyn_sized_stack, 0
	.set _ZN2at6native6sbtopk10gatherTopKIamLin1ELb0EEEvNS_4cuda6detail10TensorInfoIKT_T0_EES8_S8_bS8_S8_NS5_IS6_S8_EES8_NS5_IlS8_EES8_PS6_.has_recursion, 0
	.set _ZN2at6native6sbtopk10gatherTopKIamLin1ELb0EEEvNS_4cuda6detail10TensorInfoIKT_T0_EES8_S8_bS8_S8_NS5_IS6_S8_EES8_NS5_IlS8_EES8_PS6_.has_indirect_call, 0
	.section	.AMDGPU.csdata,"",@progbits
; Kernel info:
; codeLenInByte = 27592
; TotalNumSgprs: 107
; NumVgprs: 55
; ScratchSize: 0
; MemoryBound: 0
; FloatMode: 240
; IeeeMode: 1
; LDSByteSize: 5152 bytes/workgroup (compile time only)
; SGPRBlocks: 0
; VGPRBlocks: 3
; NumSGPRsForWavesPerEU: 107
; NumVGPRsForWavesPerEU: 55
; NamedBarCnt: 0
; Occupancy: 16
; WaveLimiterHint : 1
; COMPUTE_PGM_RSRC2:SCRATCH_EN: 0
; COMPUTE_PGM_RSRC2:USER_SGPR: 2
; COMPUTE_PGM_RSRC2:TRAP_HANDLER: 0
; COMPUTE_PGM_RSRC2:TGID_X_EN: 1
; COMPUTE_PGM_RSRC2:TGID_Y_EN: 1
; COMPUTE_PGM_RSRC2:TGID_Z_EN: 1
; COMPUTE_PGM_RSRC2:TIDIG_COMP_CNT: 0
	.section	.text._ZN2at6native6mbtopk23computeBlockDigitCountsIimjLi1EEEvNS_4cuda6detail10TensorInfoIKT_T0_EEjPjjS8_iijT1_PSB_Ps,"axG",@progbits,_ZN2at6native6mbtopk23computeBlockDigitCountsIimjLi1EEEvNS_4cuda6detail10TensorInfoIKT_T0_EEjPjjS8_iijT1_PSB_Ps,comdat
	.protected	_ZN2at6native6mbtopk23computeBlockDigitCountsIimjLi1EEEvNS_4cuda6detail10TensorInfoIKT_T0_EEjPjjS8_iijT1_PSB_Ps ; -- Begin function _ZN2at6native6mbtopk23computeBlockDigitCountsIimjLi1EEEvNS_4cuda6detail10TensorInfoIKT_T0_EEjPjjS8_iijT1_PSB_Ps
	.globl	_ZN2at6native6mbtopk23computeBlockDigitCountsIimjLi1EEEvNS_4cuda6detail10TensorInfoIKT_T0_EEjPjjS8_iijT1_PSB_Ps
	.p2align	8
	.type	_ZN2at6native6mbtopk23computeBlockDigitCountsIimjLi1EEEvNS_4cuda6detail10TensorInfoIKT_T0_EEjPjjS8_iijT1_PSB_Ps,@function
_ZN2at6native6mbtopk23computeBlockDigitCountsIimjLi1EEEvNS_4cuda6detail10TensorInfoIKT_T0_EEjPjjS8_iijT1_PSB_Ps: ; @_ZN2at6native6mbtopk23computeBlockDigitCountsIimjLi1EEEvNS_4cuda6detail10TensorInfoIKT_T0_EEjPjjS8_iijT1_PSB_Ps
; %bb.0:
	s_load_b128 s[4:7], s[0:1], 0x1c0
	s_bfe_u32 s2, ttmp6, 0x40010
	s_and_b32 s8, ttmp7, 0xffff
	s_add_co_i32 s9, s2, 1
	s_bfe_u32 s10, ttmp6, 0x40004
	s_mul_i32 s9, s8, s9
	s_load_b64 s[2:3], s[0:1], 0x1e0
	s_add_co_i32 s10, s10, s9
	s_bfe_u32 s11, ttmp6, 0x4000c
	s_bfe_u32 s13, ttmp6, 0x40014
	s_add_co_i32 s11, s11, 1
	s_and_b32 s12, ttmp6, 15
	s_mul_i32 s11, ttmp9, s11
	s_add_co_i32 s13, s13, 1
	s_add_co_i32 s12, s12, s11
	s_getreg_b32 s14, hwreg(HW_REG_IB_STS2, 6, 4)
	s_wait_kmcnt 0x0
	s_cvt_f32_u32 s9, s6
	s_delay_alu instid0(SALU_CYCLE_3) | instskip(SKIP_1) | instid1(SALU_CYCLE_1)
	v_rcp_iflag_f32_e32 v1, s9
	s_lshr_b32 s9, ttmp7, 16
	s_mul_i32 s11, s9, s13
	s_bfe_u32 s13, ttmp6, 0x40008
	s_delay_alu instid0(SALU_CYCLE_1) | instskip(SKIP_1) | instid1(TRANS32_DEP_1)
	s_add_co_i32 s13, s13, s11
	v_nop
	v_readfirstlane_b32 s15, v1
	s_cmp_eq_u32 s14, 0
	s_cselect_b32 s9, s9, s13
	s_load_b32 s13, s[0:1], 0x1b0
	s_mul_f32 s11, s15, 0x4f7ffffe
	s_mul_i32 s3, s3, s9
	s_cselect_b32 s9, ttmp9, s12
	s_cselect_b32 s8, s8, s10
	s_cvt_u32_f32 s11, s11
	s_sub_co_i32 s10, 0, s6
	s_add_co_i32 s3, s3, s8
	s_delay_alu instid0(SALU_CYCLE_1) | instskip(SKIP_3) | instid1(SALU_CYCLE_1)
	s_mul_i32 s16, s3, s2
	s_mul_i32 s10, s10, s11
	s_add_co_i32 s16, s16, s9
	s_mul_hi_u32 s2, s11, s10
	s_add_co_i32 s11, s11, s2
	s_delay_alu instid0(SALU_CYCLE_1) | instskip(NEXT) | instid1(SALU_CYCLE_1)
	s_mul_hi_u32 s2, s16, s11
	s_mul_i32 s3, s2, s6
	s_add_co_i32 s8, s2, 1
	s_sub_co_i32 s3, s16, s3
	s_delay_alu instid0(SALU_CYCLE_1)
	s_sub_co_i32 s9, s3, s6
	s_cmp_ge_u32 s3, s6
	s_cselect_b32 s2, s8, s2
	s_cselect_b32 s3, s9, s3
	s_add_co_i32 s8, s2, 1
	s_cmp_ge_u32 s3, s6
	s_cselect_b32 s12, s8, s2
	s_wait_kmcnt 0x0
	s_cmp_ge_u32 s12, s13
	s_mov_b32 s13, 0
	s_cbranch_scc1 .LBB142_21
; %bb.1:
	v_cmp_gt_u32_e32 vcc_lo, 0x100, v0
	v_lshlrev_b32_e32 v1, 2, v0
	s_and_saveexec_b32 s2, vcc_lo
; %bb.2:
	v_mov_b32_e32 v2, 0
	ds_store_b32 v1, v2
; %bb.3:
	s_or_b32 exec_lo, exec_lo, s2
	s_clause 0x1
	s_load_b32 s17, s[0:1], 0x1a0
	s_load_b128 s[8:11], s[0:1], 0x1d0
	s_mul_i32 s2, s12, s6
	s_mov_b32 s15, 0
	s_sub_co_i32 s19, s16, s2
	s_wait_dscnt 0x0
	s_mul_i32 s2, s5, s19
	s_add_co_i32 s19, s19, 1
	s_lshl_b32 s18, s2, 8
	s_barrier_signal -1
	s_barrier_wait -1
	s_wait_kmcnt 0x0
	s_sub_co_i32 s14, s17, s18
	s_delay_alu instid0(SALU_CYCLE_1) | instskip(NEXT) | instid1(SALU_CYCLE_1)
	s_add_nc_u64 s[2:3], s[14:15], 0xff
	s_lshr_b64 s[2:3], s[2:3], 8
	s_cmp_lt_u32 s19, s6
	s_cselect_b32 s6, s5, s2
	s_delay_alu instid0(SALU_CYCLE_1)
	s_cmp_lt_i32 s6, 1
	s_cbranch_scc1 .LBB142_19
; %bb.4:
	s_clause 0x2
	s_load_b64 s[20:21], s[0:1], 0xd0
	s_load_b64 s[2:3], s[0:1], 0x1b8
	;; [unrolled: 1-line block ×3, first 2 shown]
	s_load_b32 s14, s[8:9], s12 offset:0x0 scale_offset
	v_add_nc_u32_e32 v6, s18, v0
	s_wait_kmcnt 0x0
	s_mul_u64 s[0:1], s[20:21], s[12:13]
	s_delay_alu instid0(SALU_CYCLE_1)
	s_lshl_b64 s[8:9], s[0:1], 2
	s_and_b32 s1, s4, 0xff
	s_cmp_eq_u32 s6, 1
	s_add_nc_u64 s[4:5], s[22:23], s[8:9]
	s_cbranch_scc1 .LBB142_14
; %bb.5:
	v_dual_mov_b32 v3, 0 :: v_dual_mov_b32 v7, 1
	v_mov_b32_e32 v2, v6
	s_and_b32 s8, s6, 0x7ffffffe
	s_mov_b32 s9, 0
	s_branch .LBB142_7
.LBB142_6:                              ;   in Loop: Header=BB142_7 Depth=1
	s_or_b32 exec_lo, exec_lo, s12
	v_add_nc_u32_e32 v2, 0x200, v2
	s_add_co_i32 s9, s9, 2
	s_delay_alu instid0(SALU_CYCLE_1)
	s_cmp_eq_u32 s8, s9
	s_cbranch_scc1 .LBB142_13
.LBB142_7:                              ; =>This Inner Loop Header: Depth=1
	s_mov_b32 s12, exec_lo
	v_cmpx_gt_u32_e64 s17, v2
	s_cbranch_execz .LBB142_10
; %bb.8:                                ;   in Loop: Header=BB142_7 Depth=1
	v_mul_u64_e32 v[4:5], s[2:3], v[2:3]
	s_delay_alu instid0(VALU_DEP_1) | instskip(SKIP_4) | instid1(VALU_DEP_1)
	v_lshl_add_u64 v[4:5], v[4:5], 2, s[4:5]
	global_load_b32 v4, v[4:5], off
	s_wait_loadcnt 0x0
	s_wait_xcnt 0x0
	v_xor_b32_e32 v4, 0x80000000, v4
	v_bitop3_b32 v5, v4, s7, s14 bitop3:0x48
	s_delay_alu instid0(VALU_DEP_1)
	v_cmp_eq_u32_e64 s0, 0, v5
	s_and_b32 exec_lo, exec_lo, s0
; %bb.9:                                ;   in Loop: Header=BB142_7 Depth=1
	v_bfe_u32 v4, v4, s1, 8
	s_delay_alu instid0(VALU_DEP_1)
	v_lshlrev_b32_e32 v4, 2, v4
	ds_add_u32 v4, v7
.LBB142_10:                             ;   in Loop: Header=BB142_7 Depth=1
	s_or_b32 exec_lo, exec_lo, s12
	v_add_nc_u32_e32 v4, 0x100, v2
	s_mov_b32 s12, exec_lo
	s_delay_alu instid0(VALU_DEP_1)
	v_cmpx_gt_u32_e64 s17, v4
	s_cbranch_execz .LBB142_6
; %bb.11:                               ;   in Loop: Header=BB142_7 Depth=1
	v_mov_b32_e32 v5, v3
	s_delay_alu instid0(VALU_DEP_1) | instskip(NEXT) | instid1(VALU_DEP_1)
	v_mul_u64_e32 v[4:5], s[2:3], v[4:5]
	v_lshl_add_u64 v[4:5], v[4:5], 2, s[4:5]
	global_load_b32 v4, v[4:5], off
	s_wait_loadcnt 0x0
	v_xor_b32_e32 v4, 0x80000000, v4
	s_delay_alu instid0(VALU_DEP_1) | instskip(NEXT) | instid1(VALU_DEP_1)
	v_bitop3_b32 v5, v4, s7, s14 bitop3:0x48
	v_cmp_eq_u32_e64 s0, 0, v5
	s_and_b32 exec_lo, exec_lo, s0
	s_cbranch_execz .LBB142_6
; %bb.12:                               ;   in Loop: Header=BB142_7 Depth=1
	v_bfe_u32 v4, v4, s1, 8
	s_delay_alu instid0(VALU_DEP_1)
	v_lshlrev_b32_e32 v4, 2, v4
	ds_add_u32 v4, v7
	s_branch .LBB142_6
.LBB142_13:
	s_lshl_b32 s15, s8, 8
.LBB142_14:
	s_bitcmp0_b32 s6, 0
	s_cbranch_scc1 .LBB142_19
; %bb.15:
	v_add_nc_u32_e32 v2, s15, v6
	s_mov_b32 s6, exec_lo
	s_delay_alu instid0(VALU_DEP_1)
	v_cmpx_gt_u32_e64 s17, v2
	s_cbranch_execz .LBB142_18
; %bb.16:
	v_mov_b32_e32 v3, 0
	s_delay_alu instid0(VALU_DEP_1) | instskip(NEXT) | instid1(VALU_DEP_1)
	v_mul_u64_e32 v[2:3], s[2:3], v[2:3]
	v_lshl_add_u64 v[2:3], v[2:3], 2, s[4:5]
	global_load_b32 v2, v[2:3], off
	s_wait_loadcnt 0x0
	v_xor_b32_e32 v2, 0x80000000, v2
	s_delay_alu instid0(VALU_DEP_1) | instskip(NEXT) | instid1(VALU_DEP_1)
	v_bitop3_b32 v3, v2, s7, s14 bitop3:0x48
	v_cmp_eq_u32_e64 s0, 0, v3
	s_and_b32 exec_lo, exec_lo, s0
; %bb.17:
	v_bfe_u32 v2, v2, s1, 8
	s_delay_alu instid0(VALU_DEP_1)
	v_dual_mov_b32 v3, 1 :: v_dual_lshlrev_b32 v2, 2, v2
	ds_add_u32 v2, v3
.LBB142_18:
	s_or_b32 exec_lo, exec_lo, s6
.LBB142_19:
	s_wait_dscnt 0x0
	s_barrier_signal -1
	s_barrier_wait -1
	s_and_saveexec_b32 s0, vcc_lo
	s_cbranch_execz .LBB142_21
; %bb.20:
	ds_load_b32 v1, v1
	v_lshl_or_b32 v0, s16, 8, v0
	s_wait_dscnt 0x0
	global_store_b16 v0, v1, s[10:11] scale_offset
.LBB142_21:
	s_endpgm
	.section	.rodata,"a",@progbits
	.p2align	6, 0x0
	.amdhsa_kernel _ZN2at6native6mbtopk23computeBlockDigitCountsIimjLi1EEEvNS_4cuda6detail10TensorInfoIKT_T0_EEjPjjS8_iijT1_PSB_Ps
		.amdhsa_group_segment_fixed_size 1024
		.amdhsa_private_segment_fixed_size 0
		.amdhsa_kernarg_size 736
		.amdhsa_user_sgpr_count 2
		.amdhsa_user_sgpr_dispatch_ptr 0
		.amdhsa_user_sgpr_queue_ptr 0
		.amdhsa_user_sgpr_kernarg_segment_ptr 1
		.amdhsa_user_sgpr_dispatch_id 0
		.amdhsa_user_sgpr_kernarg_preload_length 0
		.amdhsa_user_sgpr_kernarg_preload_offset 0
		.amdhsa_user_sgpr_private_segment_size 0
		.amdhsa_wavefront_size32 1
		.amdhsa_uses_dynamic_stack 0
		.amdhsa_enable_private_segment 0
		.amdhsa_system_sgpr_workgroup_id_x 1
		.amdhsa_system_sgpr_workgroup_id_y 1
		.amdhsa_system_sgpr_workgroup_id_z 1
		.amdhsa_system_sgpr_workgroup_info 0
		.amdhsa_system_vgpr_workitem_id 0
		.amdhsa_next_free_vgpr 8
		.amdhsa_next_free_sgpr 24
		.amdhsa_named_barrier_count 0
		.amdhsa_reserve_vcc 1
		.amdhsa_float_round_mode_32 0
		.amdhsa_float_round_mode_16_64 0
		.amdhsa_float_denorm_mode_32 3
		.amdhsa_float_denorm_mode_16_64 3
		.amdhsa_fp16_overflow 0
		.amdhsa_memory_ordered 1
		.amdhsa_forward_progress 1
		.amdhsa_inst_pref_size 8
		.amdhsa_round_robin_scheduling 0
		.amdhsa_exception_fp_ieee_invalid_op 0
		.amdhsa_exception_fp_denorm_src 0
		.amdhsa_exception_fp_ieee_div_zero 0
		.amdhsa_exception_fp_ieee_overflow 0
		.amdhsa_exception_fp_ieee_underflow 0
		.amdhsa_exception_fp_ieee_inexact 0
		.amdhsa_exception_int_div_zero 0
	.end_amdhsa_kernel
	.section	.text._ZN2at6native6mbtopk23computeBlockDigitCountsIimjLi1EEEvNS_4cuda6detail10TensorInfoIKT_T0_EEjPjjS8_iijT1_PSB_Ps,"axG",@progbits,_ZN2at6native6mbtopk23computeBlockDigitCountsIimjLi1EEEvNS_4cuda6detail10TensorInfoIKT_T0_EEjPjjS8_iijT1_PSB_Ps,comdat
.Lfunc_end142:
	.size	_ZN2at6native6mbtopk23computeBlockDigitCountsIimjLi1EEEvNS_4cuda6detail10TensorInfoIKT_T0_EEjPjjS8_iijT1_PSB_Ps, .Lfunc_end142-_ZN2at6native6mbtopk23computeBlockDigitCountsIimjLi1EEEvNS_4cuda6detail10TensorInfoIKT_T0_EEjPjjS8_iijT1_PSB_Ps
                                        ; -- End function
	.set _ZN2at6native6mbtopk23computeBlockDigitCountsIimjLi1EEEvNS_4cuda6detail10TensorInfoIKT_T0_EEjPjjS8_iijT1_PSB_Ps.num_vgpr, 8
	.set _ZN2at6native6mbtopk23computeBlockDigitCountsIimjLi1EEEvNS_4cuda6detail10TensorInfoIKT_T0_EEjPjjS8_iijT1_PSB_Ps.num_agpr, 0
	.set _ZN2at6native6mbtopk23computeBlockDigitCountsIimjLi1EEEvNS_4cuda6detail10TensorInfoIKT_T0_EEjPjjS8_iijT1_PSB_Ps.numbered_sgpr, 24
	.set _ZN2at6native6mbtopk23computeBlockDigitCountsIimjLi1EEEvNS_4cuda6detail10TensorInfoIKT_T0_EEjPjjS8_iijT1_PSB_Ps.num_named_barrier, 0
	.set _ZN2at6native6mbtopk23computeBlockDigitCountsIimjLi1EEEvNS_4cuda6detail10TensorInfoIKT_T0_EEjPjjS8_iijT1_PSB_Ps.private_seg_size, 0
	.set _ZN2at6native6mbtopk23computeBlockDigitCountsIimjLi1EEEvNS_4cuda6detail10TensorInfoIKT_T0_EEjPjjS8_iijT1_PSB_Ps.uses_vcc, 1
	.set _ZN2at6native6mbtopk23computeBlockDigitCountsIimjLi1EEEvNS_4cuda6detail10TensorInfoIKT_T0_EEjPjjS8_iijT1_PSB_Ps.uses_flat_scratch, 0
	.set _ZN2at6native6mbtopk23computeBlockDigitCountsIimjLi1EEEvNS_4cuda6detail10TensorInfoIKT_T0_EEjPjjS8_iijT1_PSB_Ps.has_dyn_sized_stack, 0
	.set _ZN2at6native6mbtopk23computeBlockDigitCountsIimjLi1EEEvNS_4cuda6detail10TensorInfoIKT_T0_EEjPjjS8_iijT1_PSB_Ps.has_recursion, 0
	.set _ZN2at6native6mbtopk23computeBlockDigitCountsIimjLi1EEEvNS_4cuda6detail10TensorInfoIKT_T0_EEjPjjS8_iijT1_PSB_Ps.has_indirect_call, 0
	.section	.AMDGPU.csdata,"",@progbits
; Kernel info:
; codeLenInByte = 980
; TotalNumSgprs: 26
; NumVgprs: 8
; ScratchSize: 0
; MemoryBound: 0
; FloatMode: 240
; IeeeMode: 1
; LDSByteSize: 1024 bytes/workgroup (compile time only)
; SGPRBlocks: 0
; VGPRBlocks: 0
; NumSGPRsForWavesPerEU: 26
; NumVGPRsForWavesPerEU: 8
; NamedBarCnt: 0
; Occupancy: 16
; WaveLimiterHint : 1
; COMPUTE_PGM_RSRC2:SCRATCH_EN: 0
; COMPUTE_PGM_RSRC2:USER_SGPR: 2
; COMPUTE_PGM_RSRC2:TRAP_HANDLER: 0
; COMPUTE_PGM_RSRC2:TGID_X_EN: 1
; COMPUTE_PGM_RSRC2:TGID_Y_EN: 1
; COMPUTE_PGM_RSRC2:TGID_Z_EN: 1
; COMPUTE_PGM_RSRC2:TIDIG_COMP_CNT: 0
	.section	.text._ZN2at6native6mbtopk10gatherTopKIimLi1EEEvNS_4cuda6detail10TensorInfoIKT_T0_EES8_S8_bjS8_NS5_IS6_S8_EES8_NS5_IlS8_EES8_jjPS6_PjSD_j,"axG",@progbits,_ZN2at6native6mbtopk10gatherTopKIimLi1EEEvNS_4cuda6detail10TensorInfoIKT_T0_EES8_S8_bjS8_NS5_IS6_S8_EES8_NS5_IlS8_EES8_jjPS6_PjSD_j,comdat
	.protected	_ZN2at6native6mbtopk10gatherTopKIimLi1EEEvNS_4cuda6detail10TensorInfoIKT_T0_EES8_S8_bjS8_NS5_IS6_S8_EES8_NS5_IlS8_EES8_jjPS6_PjSD_j ; -- Begin function _ZN2at6native6mbtopk10gatherTopKIimLi1EEEvNS_4cuda6detail10TensorInfoIKT_T0_EES8_S8_bjS8_NS5_IS6_S8_EES8_NS5_IlS8_EES8_jjPS6_PjSD_j
	.globl	_ZN2at6native6mbtopk10gatherTopKIimLi1EEEvNS_4cuda6detail10TensorInfoIKT_T0_EES8_S8_bjS8_NS5_IS6_S8_EES8_NS5_IlS8_EES8_jjPS6_PjSD_j
	.p2align	8
	.type	_ZN2at6native6mbtopk10gatherTopKIimLi1EEEvNS_4cuda6detail10TensorInfoIKT_T0_EES8_S8_bjS8_NS5_IS6_S8_EES8_NS5_IlS8_EES8_jjPS6_PjSD_j,@function
_ZN2at6native6mbtopk10gatherTopKIimLi1EEEvNS_4cuda6detail10TensorInfoIKT_T0_EES8_S8_bjS8_NS5_IS6_S8_EES8_NS5_IlS8_EES8_jjPS6_PjSD_j: ; @_ZN2at6native6mbtopk10gatherTopKIimLi1EEEvNS_4cuda6detail10TensorInfoIKT_T0_EES8_S8_bjS8_NS5_IS6_S8_EES8_NS5_IlS8_EES8_jjPS6_PjSD_j
; %bb.0:
	s_bfe_u32 s2, ttmp6, 0x40010
	s_and_b32 s4, ttmp7, 0xffff
	s_add_co_i32 s5, s2, 1
	s_clause 0x1
	s_load_b32 s6, s[0:1], 0x530
	s_load_b64 s[2:3], s[0:1], 0x538
	s_bfe_u32 s8, ttmp6, 0x4000c
	s_mul_i32 s5, s4, s5
	s_bfe_u32 s7, ttmp6, 0x40004
	s_add_co_i32 s8, s8, 1
	s_bfe_u32 s9, ttmp6, 0x40014
	s_add_co_i32 s7, s7, s5
	s_and_b32 s5, ttmp6, 15
	s_mul_i32 s8, ttmp9, s8
	s_lshr_b32 s10, ttmp7, 16
	s_add_co_i32 s9, s9, 1
	s_add_co_i32 s5, s5, s8
	s_mul_i32 s8, s10, s9
	s_bfe_u32 s9, ttmp6, 0x40008
	s_getreg_b32 s11, hwreg(HW_REG_IB_STS2, 6, 4)
	s_add_co_i32 s9, s9, s8
	s_cmp_eq_u32 s11, 0
	s_cselect_b32 s8, s10, s9
	s_cselect_b32 s4, s4, s7
	s_wait_kmcnt 0x0
	s_mul_i32 s3, s3, s8
	s_cselect_b32 s5, ttmp9, s5
	s_add_co_i32 s3, s3, s4
	s_delay_alu instid0(SALU_CYCLE_1) | instskip(NEXT) | instid1(SALU_CYCLE_1)
	s_mul_i32 s2, s3, s2
	s_add_co_i32 s2, s2, s5
	s_delay_alu instid0(SALU_CYCLE_1)
	s_cmp_ge_u32 s2, s6
	s_cbranch_scc1 .LBB143_42
; %bb.1:
	s_load_b64 s[16:17], s[0:1], 0x510
	s_wait_kmcnt 0x0
	s_cvt_f32_u32 s3, s17
	s_sub_co_i32 s4, 0, s17
	s_lshl_b32 s29, s16, 8
	s_delay_alu instid0(SALU_CYCLE_1) | instskip(SKIP_1) | instid1(TRANS32_DEP_1)
	v_rcp_iflag_f32_e32 v1, s3
	v_nop
	v_readfirstlane_b32 s3, v1
	s_mul_f32 s3, s3, 0x4f7ffffe
	s_delay_alu instid0(SALU_CYCLE_3) | instskip(NEXT) | instid1(SALU_CYCLE_3)
	s_cvt_u32_f32 s3, s3
	s_mul_i32 s4, s4, s3
	s_delay_alu instid0(SALU_CYCLE_1) | instskip(NEXT) | instid1(SALU_CYCLE_1)
	s_mul_hi_u32 s4, s3, s4
	s_add_co_i32 s3, s3, s4
	s_load_b128 s[4:7], s[0:1], 0x1a0
	s_mul_hi_u32 s3, s2, s3
	s_delay_alu instid0(SALU_CYCLE_1) | instskip(SKIP_2) | instid1(SALU_CYCLE_1)
	s_mul_i32 s8, s3, s17
	s_add_co_i32 s9, s3, 1
	s_sub_co_i32 s8, s2, s8
	s_sub_co_i32 s10, s8, s17
	s_cmp_ge_u32 s8, s17
	s_cselect_b32 s3, s9, s3
	s_cselect_b32 s8, s10, s8
	s_add_co_i32 s9, s3, 1
	s_cmp_ge_u32 s8, s17
	s_cselect_b32 s18, s9, s3
	s_delay_alu instid0(SALU_CYCLE_1) | instskip(NEXT) | instid1(SALU_CYCLE_1)
	s_mul_i32 s12, s18, s17
	s_sub_co_i32 s30, s2, s12
	s_delay_alu instid0(SALU_CYCLE_1) | instskip(NEXT) | instid1(SALU_CYCLE_1)
	s_add_co_i32 s2, s30, 1
	s_cmp_lt_u32 s2, s17
	s_cbranch_scc1 .LBB143_3
; %bb.2:
	s_mul_i32 s2, s30, s29
	s_mov_b32 s3, 0
	s_wait_kmcnt 0x0
	s_sub_nc_u64 s[8:9], s[4:5], s[2:3]
	s_delay_alu instid0(SALU_CYCLE_1) | instskip(NEXT) | instid1(SALU_CYCLE_1)
	s_add_nc_u64 s[8:9], s[8:9], 0xff
	s_ashr_i32 s2, s9, 31
	s_delay_alu instid0(SALU_CYCLE_1) | instskip(NEXT) | instid1(SALU_CYCLE_1)
	s_lshr_b32 s2, s2, 24
	s_add_nc_u64 s[2:3], s[8:9], s[2:3]
	s_delay_alu instid0(SALU_CYCLE_1) | instskip(NEXT) | instid1(SALU_CYCLE_1)
	s_lshr_b64 s[2:3], s[2:3], 8
	s_mov_b32 s16, s2
.LBB143_3:
	s_load_b128 s[8:11], s[0:1], 0x518
	v_cmp_ne_u32_e64 s2, 0, v0
	v_cmp_eq_u32_e64 s3, 0, v0
	s_mov_b32 s19, 0
	s_wait_kmcnt 0x0
	s_load_b32 s28, s[8:9], s18 offset:0x0 scale_offset
	s_and_saveexec_b32 s26, s3
	s_cbranch_execz .LBB143_19
; %bb.4:
	s_load_b64 s[20:21], s[0:1], 0x528
	s_mov_b32 s13, s19
	s_delay_alu instid0(SALU_CYCLE_1)
	s_lshl_b64 s[22:23], s[12:13], 2
	s_cmp_lt_u32 s17, 4
	s_cbranch_scc1 .LBB143_16
; %bb.5:
	s_mov_b32 s27, 0
	s_wait_xcnt 0x0
	s_mov_b64 s[8:9], 0
	s_mov_b32 s31, 0
.LBB143_6:                              ; =>This Inner Loop Header: Depth=1
	s_add_nc_u64 s[24:25], s[10:11], s[22:23]
	s_cmp_ge_u32 s31, s30
	s_load_b128 s[12:15], s[24:25], 0x0
	s_wait_kmcnt 0x0
	s_add_nc_u64 s[24:25], s[20:21], s[22:23]
	s_cbranch_scc0 .LBB143_13
; %bb.7:                                ;   in Loop: Header=BB143_6 Depth=1
	s_add_co_i32 s33, s31, 1
	s_delay_alu instid0(SALU_CYCLE_1)
	s_cmp_ge_u32 s33, s30
	s_cbranch_scc0 .LBB143_14
.LBB143_8:                              ;   in Loop: Header=BB143_6 Depth=1
	s_add_co_i32 s33, s33, 1
	s_delay_alu instid0(SALU_CYCLE_1)
	s_cmp_ge_u32 s33, s30
	s_cbranch_scc0 .LBB143_15
.LBB143_9:                              ;   in Loop: Header=BB143_6 Depth=1
	s_add_co_i32 s33, s33, 1
	s_delay_alu instid0(SALU_CYCLE_1)
	s_cmp_ge_u32 s33, s30
	s_cbranch_scc1 .LBB143_11
.LBB143_10:                             ;   in Loop: Header=BB143_6 Depth=1
	s_load_b32 s24, s[24:25], 0xc
	s_add_co_i32 s9, s15, s9
	s_wait_kmcnt 0x0
	s_add_co_i32 s8, s24, s8
.LBB143_11:                             ;   in Loop: Header=BB143_6 Depth=1
	s_add_co_i32 s12, s12, s27
	s_add_nc_u64 s[10:11], s[10:11], 16
	s_add_co_i32 s12, s12, s13
	s_add_co_i32 s13, s33, 4
	s_add_co_i32 s12, s12, s14
	s_add_nc_u64 s[20:21], s[20:21], 16
	s_add_co_i32 s27, s12, s15
	s_add_co_i32 s12, s33, 1
	s_cmp_ge_u32 s13, s17
	s_cbranch_scc1 .LBB143_17
; %bb.12:                               ;   in Loop: Header=BB143_6 Depth=1
	s_mov_b32 s31, s12
	s_branch .LBB143_6
.LBB143_13:                             ;   in Loop: Header=BB143_6 Depth=1
	s_load_b32 s33, s[24:25], 0x0
	s_add_co_i32 s9, s12, s9
	s_wait_kmcnt 0x0
	s_add_co_i32 s8, s33, s8
	s_add_co_i32 s33, s31, 1
	s_delay_alu instid0(SALU_CYCLE_1)
	s_cmp_ge_u32 s33, s30
	s_cbranch_scc1 .LBB143_8
.LBB143_14:                             ;   in Loop: Header=BB143_6 Depth=1
	s_load_b32 s34, s[24:25], 0x4
	s_add_co_i32 s9, s13, s9
	s_wait_kmcnt 0x0
	s_add_co_i32 s8, s34, s8
	s_add_co_i32 s33, s33, 1
	s_delay_alu instid0(SALU_CYCLE_1)
	s_cmp_ge_u32 s33, s30
	s_cbranch_scc1 .LBB143_9
.LBB143_15:                             ;   in Loop: Header=BB143_6 Depth=1
	s_load_b32 s34, s[24:25], 0x8
	s_add_co_i32 s9, s14, s9
	s_wait_kmcnt 0x0
	s_add_co_i32 s8, s34, s8
	s_add_co_i32 s33, s33, 1
	s_delay_alu instid0(SALU_CYCLE_1)
	s_cmp_ge_u32 s33, s30
	s_cbranch_scc0 .LBB143_10
	s_branch .LBB143_11
.LBB143_16:
	s_wait_xcnt 0x0
	s_mov_b64 s[8:9], 0
	s_add_nc_u64 s[10:11], s[10:11], s[22:23]
	s_wait_kmcnt 0x0
	s_add_nc_u64 s[12:13], s[20:21], s[22:23]
	s_mov_b32 s27, s19
	s_mov_b32 s14, s19
	s_delay_alu instid0(SALU_CYCLE_1)
	s_cmp_ge_u32 s14, s17
	s_cbranch_scc0 .LBB143_40
	s_branch .LBB143_18
.LBB143_17:
	s_add_co_i32 s14, s31, 4
	s_add_nc_u64 s[12:13], s[20:21], s[22:23]
	s_add_nc_u64 s[10:11], s[10:11], s[22:23]
	s_cmp_ge_u32 s14, s17
	s_cbranch_scc0 .LBB143_40
.LBB143_18:
	v_dual_mov_b32 v2, s8 :: v_dual_mov_b32 v3, s27
	v_dual_mov_b32 v4, s9 :: v_dual_mov_b32 v1, 0
	ds_store_b96 v1, v[2:4] offset:1056
.LBB143_19:
	s_or_b32 exec_lo, exec_lo, s26
	s_clause 0x1
	s_load_b64 s[20:21], s[0:1], 0x0
	s_load_b64 s[22:23], s[0:1], 0xd0
	s_wait_xcnt 0x0
	s_clause 0x3
	s_load_b128 s[8:11], s[0:1], 0x1b8
	s_load_b64 s[24:25], s[0:1], 0x290
	s_load_b128 s[12:15], s[0:1], 0x360
	s_load_b64 s[26:27], s[0:1], 0x438
	s_cmp_eq_u32 s16, 0
	s_wait_dscnt 0x0
	s_barrier_signal -1
	s_barrier_wait -1
	s_cbranch_scc1 .LBB143_42
; %bb.20:
	v_dual_mov_b32 v7, 0 :: v_dual_lshrrev_b32 v1, 3, v0
	s_wait_kmcnt 0x0
	s_mul_u64 s[22:23], s[22:23], s[18:19]
	s_mul_u64 s[24:25], s[24:25], s[18:19]
	;; [unrolled: 1-line block ×3, first 2 shown]
	ds_load_b96 v[2:4], v7 offset:1056
	s_clause 0x1
	s_load_b32 s31, s[0:1], 0x1b0
	s_load_b64 s[18:19], s[0:1], 0x508
	v_dual_add_nc_u32 v9, -1, v0 :: v_dual_lshlrev_b32 v11, 5, v0
	v_mad_u32 v6, s30, s29, v0
	v_and_b32_e32 v10, 0xfc, v0
	v_mbcnt_lo_u32_b32 v5, -1, 0
	s_delay_alu instid0(VALU_DEP_4)
	v_lshrrev_b32_e32 v8, 3, v9
	v_and_b32_e32 v1, 28, v1
	s_xor_b32 s17, s28, 0x80000000
	s_wait_xcnt 0x0
	v_cmp_gt_u32_e64 s0, 32, v0
	s_lshl_b64 s[22:23], s[22:23], 2
	v_and_b32_e32 v12, 0x1ffffffc, v8
	s_lshl_b64 s[24:25], s[24:25], 2
	s_lshl_b64 s[26:27], s[26:27], 3
	v_add_nc_u32_e32 v10, v10, v11
	v_lshl_add_u32 v8, v0, 2, v1
	v_lshl_add_u32 v9, v9, 2, v12
	v_dual_add_nc_u32 v13, -1, v5 :: v_dual_bitop2_b32 v11, 15, v5 bitop3:0x40
	s_wait_dscnt 0x0
	v_add_nc_u32_e32 v0, v2, v3
	v_bfe_i32 v12, v5, 4, 1
	s_wait_kmcnt 0x0
	s_bitcmp1_b32 s31, 0
	s_add_nc_u64 s[20:21], s[20:21], s[22:23]
	s_add_nc_u64 s[10:11], s[10:11], s[24:25]
	;; [unrolled: 1-line block ×3, first 2 shown]
	s_cselect_b32 s1, -1, 0
                                        ; implicit-def: $vgpr14
	s_branch .LBB143_23
.LBB143_21:                             ;   in Loop: Header=BB143_23 Depth=1
	s_wait_xcnt 0x0
	s_or_b32 exec_lo, exec_lo, s22
	v_add_nc_u32_e32 v0, v1, v0
.LBB143_22:                             ;   in Loop: Header=BB143_23 Depth=1
	v_add_nc_u32_e32 v4, v15, v4
	v_add_nc_u32_e32 v6, 0x100, v6
	s_add_co_i32 s16, s16, -1
	s_delay_alu instid0(SALU_CYCLE_1)
	s_cmp_lg_u32 s16, 0
	s_cbranch_scc0 .LBB143_42
.LBB143_23:                             ; =>This Inner Loop Header: Depth=1
	v_dual_mov_b32 v1, v7 :: v_dual_mov_b32 v2, v7
	s_mov_b32 s22, exec_lo
	v_cmpx_gt_u64_e64 s[4:5], v[6:7]
	s_cbranch_execz .LBB143_25
; %bb.24:                               ;   in Loop: Header=BB143_23 Depth=1
	v_mul_u64_e32 v[2:3], s[8:9], v[6:7]
	s_delay_alu instid0(VALU_DEP_1) | instskip(SKIP_3) | instid1(VALU_DEP_1)
	v_lshl_add_u64 v[2:3], v[2:3], 2, s[20:21]
	global_load_b32 v14, v[2:3], off
	s_wait_loadcnt 0x0
	v_xor_b32_e32 v1, 0x80000000, v14
	v_cmp_lt_u32_e32 vcc_lo, s17, v1
	s_wait_xcnt 0x0
	v_cndmask_b32_e64 v2, 0, 1, vcc_lo
	v_cmp_gt_u32_e32 vcc_lo, s17, v1
	v_cndmask_b32_e64 v1, 0, 1, vcc_lo
	v_cmp_eq_u32_e32 vcc_lo, s28, v14
	s_delay_alu instid0(VALU_DEP_2) | instskip(SKIP_1) | instid1(VALU_DEP_2)
	v_cndmask_b32_e64 v1, v1, v2, s1
	v_cndmask_b32_e64 v2, 0, 1, vcc_lo
	v_and_b32_e32 v1, 1, v1
.LBB143_25:                             ;   in Loop: Header=BB143_23 Depth=1
	s_or_b32 exec_lo, exec_lo, s22
	ds_store_b32 v8, v1
	s_wait_dscnt 0x0
	s_barrier_signal -1
	s_barrier_wait -1
	s_and_saveexec_b32 s22, s0
	s_cbranch_execz .LBB143_27
; %bb.26:                               ;   in Loop: Header=BB143_23 Depth=1
	ds_load_2addr_b32 v[16:17], v10 offset1:1
	ds_load_2addr_b32 v[18:19], v10 offset0:2 offset1:3
	ds_load_2addr_b32 v[20:21], v10 offset0:4 offset1:5
	;; [unrolled: 1-line block ×3, first 2 shown]
	v_cmp_ne_u32_e32 vcc_lo, 0, v11
	; wave barrier
	s_wait_dscnt 0x3
	v_add_nc_u32_e32 v3, v17, v16
	s_wait_dscnt 0x2
	s_delay_alu instid0(VALU_DEP_1) | instskip(SKIP_1) | instid1(VALU_DEP_1)
	v_add3_u32 v3, v3, v18, v19
	s_wait_dscnt 0x1
	v_add3_u32 v3, v3, v20, v21
	s_wait_dscnt 0x0
	s_delay_alu instid0(VALU_DEP_1) | instskip(NEXT) | instid1(VALU_DEP_1)
	v_add3_u32 v3, v3, v22, v23
	v_mov_b32_dpp v15, v3 row_shr:1 row_mask:0xf bank_mask:0xf
	s_delay_alu instid0(VALU_DEP_1) | instskip(SKIP_1) | instid1(VALU_DEP_2)
	v_cndmask_b32_e32 v15, 0, v15, vcc_lo
	v_cmp_lt_u32_e32 vcc_lo, 1, v11
	v_add_nc_u32_e32 v3, v15, v3
	s_delay_alu instid0(VALU_DEP_1) | instskip(NEXT) | instid1(VALU_DEP_1)
	v_mov_b32_dpp v15, v3 row_shr:2 row_mask:0xf bank_mask:0xf
	v_cndmask_b32_e32 v15, 0, v15, vcc_lo
	v_cmp_lt_u32_e32 vcc_lo, 3, v11
	s_delay_alu instid0(VALU_DEP_2) | instskip(NEXT) | instid1(VALU_DEP_1)
	v_add_nc_u32_e32 v3, v3, v15
	v_mov_b32_dpp v15, v3 row_shr:4 row_mask:0xf bank_mask:0xf
	s_delay_alu instid0(VALU_DEP_1) | instskip(SKIP_1) | instid1(VALU_DEP_2)
	v_cndmask_b32_e32 v15, 0, v15, vcc_lo
	v_cmp_lt_u32_e32 vcc_lo, 7, v11
	v_add_nc_u32_e32 v3, v3, v15
	s_delay_alu instid0(VALU_DEP_1) | instskip(NEXT) | instid1(VALU_DEP_1)
	v_mov_b32_dpp v15, v3 row_shr:8 row_mask:0xf bank_mask:0xf
	v_cndmask_b32_e32 v15, 0, v15, vcc_lo
	v_cmp_gt_i32_e32 vcc_lo, 0, v13
	s_delay_alu instid0(VALU_DEP_2) | instskip(SKIP_3) | instid1(VALU_DEP_1)
	v_dual_add_nc_u32 v3, v3, v15 :: v_dual_cndmask_b32 v17, v13, v5, vcc_lo
	ds_swizzle_b32 v15, v3 offset:swizzle(BROADCAST,32,15)
	s_wait_dscnt 0x0
	v_dual_lshlrev_b32 v17, 2, v17 :: v_dual_bitop2_b32 v15, v12, v15 bitop3:0x40
	v_add_nc_u32_e32 v3, v3, v15
	ds_bpermute_b32 v3, v17, v3
	s_wait_dscnt 0x0
	v_add_nc_u32_e32 v3, v3, v16
	s_delay_alu instid0(VALU_DEP_1)
	v_cndmask_b32_e64 v3, v3, v1, s3
	ds_store_b32 v10, v3
	; wave barrier
	ds_load_2addr_b32 v[16:17], v10 offset0:1 offset1:2
	ds_load_2addr_b32 v[18:19], v10 offset0:3 offset1:4
	;; [unrolled: 1-line block ×3, first 2 shown]
	ds_load_b32 v15, v10 offset:28
	s_wait_dscnt 0x3
	v_add_nc_u32_e32 v3, v16, v3
	s_delay_alu instid0(VALU_DEP_1) | instskip(SKIP_1) | instid1(VALU_DEP_1)
	v_add_nc_u32_e32 v16, v17, v3
	s_wait_dscnt 0x2
	v_add_nc_u32_e32 v17, v18, v16
	s_delay_alu instid0(VALU_DEP_1) | instskip(SKIP_1) | instid1(VALU_DEP_1)
	v_add_nc_u32_e32 v18, v19, v17
	;; [unrolled: 4-line block ×3, first 2 shown]
	s_wait_dscnt 0x0
	v_add_nc_u32_e32 v15, v15, v20
	ds_store_2addr_b32 v10, v3, v16 offset0:1 offset1:2
	ds_store_2addr_b32 v10, v17, v18 offset0:3 offset1:4
	;; [unrolled: 1-line block ×3, first 2 shown]
	ds_store_b32 v10, v15 offset:28
.LBB143_27:                             ;   in Loop: Header=BB143_23 Depth=1
	s_or_b32 exec_lo, exec_lo, s22
	v_mov_b32_e32 v3, 0
	s_wait_dscnt 0x0
	s_barrier_signal -1
	s_barrier_wait -1
	s_and_saveexec_b32 s22, s2
; %bb.28:                               ;   in Loop: Header=BB143_23 Depth=1
	ds_load_b32 v3, v9
; %bb.29:                               ;   in Loop: Header=BB143_23 Depth=1
	s_or_b32 exec_lo, exec_lo, s22
	ds_load_b32 v15, v7 offset:1048
	s_mov_b32 s22, exec_lo
	s_wait_dscnt 0x0
	s_barrier_signal -1
	s_barrier_wait -1
	v_cmpx_ne_u32_e32 0, v1
	s_cbranch_execz .LBB143_31
; %bb.30:                               ;   in Loop: Header=BB143_23 Depth=1
	v_add_nc_u32_e32 v16, v3, v4
	v_mov_b32_e32 v17, v7
	s_delay_alu instid0(VALU_DEP_1) | instskip(SKIP_1) | instid1(VALU_DEP_2)
	v_mul_u64_e32 v[18:19], s[12:13], v[16:17]
	v_mul_u64_e32 v[16:17], s[18:19], v[16:17]
	v_lshl_add_u64 v[18:19], v[18:19], 2, s[10:11]
	s_delay_alu instid0(VALU_DEP_2)
	v_lshl_add_u64 v[16:17], v[16:17], 3, s[14:15]
	global_store_b32 v[18:19], v14, off
	global_store_b64 v[16:17], v[6:7], off
.LBB143_31:                             ;   in Loop: Header=BB143_23 Depth=1
	s_wait_xcnt 0x0
	s_or_b32 exec_lo, exec_lo, s22
	v_mov_b32_e32 v1, v7
	s_delay_alu instid0(VALU_DEP_1)
	v_cmp_le_u64_e32 vcc_lo, s[6:7], v[0:1]
	s_cbranch_vccnz .LBB143_22
; %bb.32:                               ;   in Loop: Header=BB143_23 Depth=1
	ds_store_b32 v8, v2
	s_wait_storecnt_dscnt 0x0
	s_barrier_signal -1
	s_barrier_wait -1
	s_and_saveexec_b32 s22, s0
	s_cbranch_execz .LBB143_34
; %bb.33:                               ;   in Loop: Header=BB143_23 Depth=1
	ds_load_2addr_b32 v[16:17], v10 offset1:1
	ds_load_2addr_b32 v[18:19], v10 offset0:2 offset1:3
	ds_load_2addr_b32 v[20:21], v10 offset0:4 offset1:5
	;; [unrolled: 1-line block ×3, first 2 shown]
	v_cmp_ne_u32_e32 vcc_lo, 0, v11
	; wave barrier
	s_wait_dscnt 0x3
	v_add_nc_u32_e32 v1, v17, v16
	s_wait_dscnt 0x2
	s_delay_alu instid0(VALU_DEP_1) | instskip(SKIP_1) | instid1(VALU_DEP_1)
	v_add3_u32 v1, v1, v18, v19
	s_wait_dscnt 0x1
	v_add3_u32 v1, v1, v20, v21
	s_wait_dscnt 0x0
	s_delay_alu instid0(VALU_DEP_1) | instskip(NEXT) | instid1(VALU_DEP_1)
	v_add3_u32 v1, v1, v22, v23
	v_mov_b32_dpp v3, v1 row_shr:1 row_mask:0xf bank_mask:0xf
	s_delay_alu instid0(VALU_DEP_1) | instskip(SKIP_1) | instid1(VALU_DEP_2)
	v_cndmask_b32_e32 v3, 0, v3, vcc_lo
	v_cmp_lt_u32_e32 vcc_lo, 1, v11
	v_add_nc_u32_e32 v1, v3, v1
	s_delay_alu instid0(VALU_DEP_1) | instskip(NEXT) | instid1(VALU_DEP_1)
	v_mov_b32_dpp v3, v1 row_shr:2 row_mask:0xf bank_mask:0xf
	v_cndmask_b32_e32 v3, 0, v3, vcc_lo
	v_cmp_lt_u32_e32 vcc_lo, 3, v11
	s_delay_alu instid0(VALU_DEP_2) | instskip(NEXT) | instid1(VALU_DEP_1)
	v_add_nc_u32_e32 v1, v1, v3
	v_mov_b32_dpp v3, v1 row_shr:4 row_mask:0xf bank_mask:0xf
	s_delay_alu instid0(VALU_DEP_1) | instskip(SKIP_1) | instid1(VALU_DEP_2)
	v_cndmask_b32_e32 v3, 0, v3, vcc_lo
	v_cmp_lt_u32_e32 vcc_lo, 7, v11
	v_add_nc_u32_e32 v1, v1, v3
	s_delay_alu instid0(VALU_DEP_1) | instskip(NEXT) | instid1(VALU_DEP_1)
	v_mov_b32_dpp v3, v1 row_shr:8 row_mask:0xf bank_mask:0xf
	v_cndmask_b32_e32 v3, 0, v3, vcc_lo
	v_cmp_gt_i32_e32 vcc_lo, 0, v13
	s_delay_alu instid0(VALU_DEP_2) | instskip(SKIP_4) | instid1(VALU_DEP_1)
	v_add_nc_u32_e32 v1, v1, v3
	v_cndmask_b32_e32 v17, v13, v5, vcc_lo
	ds_swizzle_b32 v3, v1 offset:swizzle(BROADCAST,32,15)
	s_wait_dscnt 0x0
	v_dual_lshlrev_b32 v17, 2, v17 :: v_dual_bitop2_b32 v3, v12, v3 bitop3:0x40
	v_add_nc_u32_e32 v1, v1, v3
	ds_bpermute_b32 v1, v17, v1
	s_wait_dscnt 0x0
	v_add_nc_u32_e32 v1, v1, v16
	s_delay_alu instid0(VALU_DEP_1)
	v_cndmask_b32_e64 v1, v1, v2, s3
	ds_store_b32 v10, v1
	; wave barrier
	ds_load_2addr_b32 v[16:17], v10 offset0:1 offset1:2
	ds_load_2addr_b32 v[18:19], v10 offset0:3 offset1:4
	;; [unrolled: 1-line block ×3, first 2 shown]
	ds_load_b32 v3, v10 offset:28
	s_wait_dscnt 0x3
	v_add_nc_u32_e32 v1, v16, v1
	s_delay_alu instid0(VALU_DEP_1) | instskip(SKIP_1) | instid1(VALU_DEP_1)
	v_add_nc_u32_e32 v16, v17, v1
	s_wait_dscnt 0x2
	v_add_nc_u32_e32 v17, v18, v16
	s_delay_alu instid0(VALU_DEP_1) | instskip(SKIP_1) | instid1(VALU_DEP_1)
	v_add_nc_u32_e32 v18, v19, v17
	;; [unrolled: 4-line block ×3, first 2 shown]
	s_wait_dscnt 0x0
	v_add_nc_u32_e32 v3, v3, v20
	ds_store_2addr_b32 v10, v1, v16 offset0:1 offset1:2
	ds_store_2addr_b32 v10, v17, v18 offset0:3 offset1:4
	;; [unrolled: 1-line block ×3, first 2 shown]
	ds_store_b32 v10, v3 offset:28
.LBB143_34:                             ;   in Loop: Header=BB143_23 Depth=1
	s_or_b32 exec_lo, exec_lo, s22
	v_mov_b32_e32 v3, 0
	s_wait_dscnt 0x0
	s_barrier_signal -1
	s_barrier_wait -1
	s_and_saveexec_b32 s22, s2
; %bb.35:                               ;   in Loop: Header=BB143_23 Depth=1
	ds_load_b32 v3, v9
; %bb.36:                               ;   in Loop: Header=BB143_23 Depth=1
	s_or_b32 exec_lo, exec_lo, s22
	ds_load_b32 v1, v7 offset:1048
	s_mov_b32 s22, exec_lo
	s_wait_dscnt 0x0
	s_barrier_signal -1
	s_barrier_wait -1
	v_cmpx_ne_u32_e32 0, v2
	s_cbranch_execz .LBB143_21
; %bb.37:                               ;   in Loop: Header=BB143_23 Depth=1
	v_add_nc_u32_e32 v2, v3, v0
	v_mov_b32_e32 v3, v7
	s_delay_alu instid0(VALU_DEP_1)
	v_cmp_gt_u64_e32 vcc_lo, s[6:7], v[2:3]
	s_and_b32 exec_lo, exec_lo, vcc_lo
	s_cbranch_execz .LBB143_21
; %bb.38:                               ;   in Loop: Header=BB143_23 Depth=1
	v_mul_u64_e32 v[16:17], s[12:13], v[2:3]
	v_mul_u64_e32 v[2:3], s[18:19], v[2:3]
	s_delay_alu instid0(VALU_DEP_2) | instskip(NEXT) | instid1(VALU_DEP_2)
	v_lshl_add_u64 v[16:17], v[16:17], 2, s[10:11]
	v_lshl_add_u64 v[2:3], v[2:3], 3, s[14:15]
	global_store_b32 v[16:17], v14, off
	global_store_b64 v[2:3], v[6:7], off
	s_branch .LBB143_21
.LBB143_39:                             ;   in Loop: Header=BB143_40 Depth=1
	s_add_co_i32 s14, s14, 1
	s_wait_kmcnt 0x0
	s_add_co_i32 s27, s15, s27
	s_add_nc_u64 s[10:11], s[10:11], 4
	s_cmp_lt_u32 s14, s17
	s_add_nc_u64 s[12:13], s[12:13], 4
	s_cbranch_scc0 .LBB143_18
.LBB143_40:                             ; =>This Inner Loop Header: Depth=1
	s_load_b32 s15, s[10:11], 0x0
	s_cmp_ge_u32 s14, s30
	s_cbranch_scc1 .LBB143_39
; %bb.41:                               ;   in Loop: Header=BB143_40 Depth=1
	s_load_b32 s20, s[12:13], 0x0
	s_wait_kmcnt 0x0
	s_add_co_i32 s9, s15, s9
	s_add_co_i32 s8, s20, s8
	s_branch .LBB143_39
.LBB143_42:
	s_endpgm
	.section	.rodata,"a",@progbits
	.p2align	6, 0x0
	.amdhsa_kernel _ZN2at6native6mbtopk10gatherTopKIimLi1EEEvNS_4cuda6detail10TensorInfoIKT_T0_EES8_S8_bjS8_NS5_IS6_S8_EES8_NS5_IlS8_EES8_jjPS6_PjSD_j
		.amdhsa_group_segment_fixed_size 1068
		.amdhsa_private_segment_fixed_size 0
		.amdhsa_kernarg_size 1592
		.amdhsa_user_sgpr_count 2
		.amdhsa_user_sgpr_dispatch_ptr 0
		.amdhsa_user_sgpr_queue_ptr 0
		.amdhsa_user_sgpr_kernarg_segment_ptr 1
		.amdhsa_user_sgpr_dispatch_id 0
		.amdhsa_user_sgpr_kernarg_preload_length 0
		.amdhsa_user_sgpr_kernarg_preload_offset 0
		.amdhsa_user_sgpr_private_segment_size 0
		.amdhsa_wavefront_size32 1
		.amdhsa_uses_dynamic_stack 0
		.amdhsa_enable_private_segment 0
		.amdhsa_system_sgpr_workgroup_id_x 1
		.amdhsa_system_sgpr_workgroup_id_y 1
		.amdhsa_system_sgpr_workgroup_id_z 1
		.amdhsa_system_sgpr_workgroup_info 0
		.amdhsa_system_vgpr_workitem_id 0
		.amdhsa_next_free_vgpr 24
		.amdhsa_next_free_sgpr 35
		.amdhsa_named_barrier_count 0
		.amdhsa_reserve_vcc 1
		.amdhsa_float_round_mode_32 0
		.amdhsa_float_round_mode_16_64 0
		.amdhsa_float_denorm_mode_32 3
		.amdhsa_float_denorm_mode_16_64 3
		.amdhsa_fp16_overflow 0
		.amdhsa_memory_ordered 1
		.amdhsa_forward_progress 1
		.amdhsa_inst_pref_size 20
		.amdhsa_round_robin_scheduling 0
		.amdhsa_exception_fp_ieee_invalid_op 0
		.amdhsa_exception_fp_denorm_src 0
		.amdhsa_exception_fp_ieee_div_zero 0
		.amdhsa_exception_fp_ieee_overflow 0
		.amdhsa_exception_fp_ieee_underflow 0
		.amdhsa_exception_fp_ieee_inexact 0
		.amdhsa_exception_int_div_zero 0
	.end_amdhsa_kernel
	.section	.text._ZN2at6native6mbtopk10gatherTopKIimLi1EEEvNS_4cuda6detail10TensorInfoIKT_T0_EES8_S8_bjS8_NS5_IS6_S8_EES8_NS5_IlS8_EES8_jjPS6_PjSD_j,"axG",@progbits,_ZN2at6native6mbtopk10gatherTopKIimLi1EEEvNS_4cuda6detail10TensorInfoIKT_T0_EES8_S8_bjS8_NS5_IS6_S8_EES8_NS5_IlS8_EES8_jjPS6_PjSD_j,comdat
.Lfunc_end143:
	.size	_ZN2at6native6mbtopk10gatherTopKIimLi1EEEvNS_4cuda6detail10TensorInfoIKT_T0_EES8_S8_bjS8_NS5_IS6_S8_EES8_NS5_IlS8_EES8_jjPS6_PjSD_j, .Lfunc_end143-_ZN2at6native6mbtopk10gatherTopKIimLi1EEEvNS_4cuda6detail10TensorInfoIKT_T0_EES8_S8_bjS8_NS5_IS6_S8_EES8_NS5_IlS8_EES8_jjPS6_PjSD_j
                                        ; -- End function
	.set _ZN2at6native6mbtopk10gatherTopKIimLi1EEEvNS_4cuda6detail10TensorInfoIKT_T0_EES8_S8_bjS8_NS5_IS6_S8_EES8_NS5_IlS8_EES8_jjPS6_PjSD_j.num_vgpr, 24
	.set _ZN2at6native6mbtopk10gatherTopKIimLi1EEEvNS_4cuda6detail10TensorInfoIKT_T0_EES8_S8_bjS8_NS5_IS6_S8_EES8_NS5_IlS8_EES8_jjPS6_PjSD_j.num_agpr, 0
	.set _ZN2at6native6mbtopk10gatherTopKIimLi1EEEvNS_4cuda6detail10TensorInfoIKT_T0_EES8_S8_bjS8_NS5_IS6_S8_EES8_NS5_IlS8_EES8_jjPS6_PjSD_j.numbered_sgpr, 35
	.set _ZN2at6native6mbtopk10gatherTopKIimLi1EEEvNS_4cuda6detail10TensorInfoIKT_T0_EES8_S8_bjS8_NS5_IS6_S8_EES8_NS5_IlS8_EES8_jjPS6_PjSD_j.num_named_barrier, 0
	.set _ZN2at6native6mbtopk10gatherTopKIimLi1EEEvNS_4cuda6detail10TensorInfoIKT_T0_EES8_S8_bjS8_NS5_IS6_S8_EES8_NS5_IlS8_EES8_jjPS6_PjSD_j.private_seg_size, 0
	.set _ZN2at6native6mbtopk10gatherTopKIimLi1EEEvNS_4cuda6detail10TensorInfoIKT_T0_EES8_S8_bjS8_NS5_IS6_S8_EES8_NS5_IlS8_EES8_jjPS6_PjSD_j.uses_vcc, 1
	.set _ZN2at6native6mbtopk10gatherTopKIimLi1EEEvNS_4cuda6detail10TensorInfoIKT_T0_EES8_S8_bjS8_NS5_IS6_S8_EES8_NS5_IlS8_EES8_jjPS6_PjSD_j.uses_flat_scratch, 0
	.set _ZN2at6native6mbtopk10gatherTopKIimLi1EEEvNS_4cuda6detail10TensorInfoIKT_T0_EES8_S8_bjS8_NS5_IS6_S8_EES8_NS5_IlS8_EES8_jjPS6_PjSD_j.has_dyn_sized_stack, 0
	.set _ZN2at6native6mbtopk10gatherTopKIimLi1EEEvNS_4cuda6detail10TensorInfoIKT_T0_EES8_S8_bjS8_NS5_IS6_S8_EES8_NS5_IlS8_EES8_jjPS6_PjSD_j.has_recursion, 0
	.set _ZN2at6native6mbtopk10gatherTopKIimLi1EEEvNS_4cuda6detail10TensorInfoIKT_T0_EES8_S8_bjS8_NS5_IS6_S8_EES8_NS5_IlS8_EES8_jjPS6_PjSD_j.has_indirect_call, 0
	.section	.AMDGPU.csdata,"",@progbits
; Kernel info:
; codeLenInByte = 2480
; TotalNumSgprs: 37
; NumVgprs: 24
; ScratchSize: 0
; MemoryBound: 0
; FloatMode: 240
; IeeeMode: 1
; LDSByteSize: 1068 bytes/workgroup (compile time only)
; SGPRBlocks: 0
; VGPRBlocks: 1
; NumSGPRsForWavesPerEU: 37
; NumVGPRsForWavesPerEU: 24
; NamedBarCnt: 0
; Occupancy: 16
; WaveLimiterHint : 1
; COMPUTE_PGM_RSRC2:SCRATCH_EN: 0
; COMPUTE_PGM_RSRC2:USER_SGPR: 2
; COMPUTE_PGM_RSRC2:TRAP_HANDLER: 0
; COMPUTE_PGM_RSRC2:TGID_X_EN: 1
; COMPUTE_PGM_RSRC2:TGID_Y_EN: 1
; COMPUTE_PGM_RSRC2:TGID_Z_EN: 1
; COMPUTE_PGM_RSRC2:TIDIG_COMP_CNT: 0
	.section	.text._ZN2at6native6sbtopk10gatherTopKIimLi1ELb0EEEvNS_4cuda6detail10TensorInfoIKT_T0_EES8_S8_bS8_S8_NS5_IS6_S8_EES8_NS5_IlS8_EES8_PS6_,"axG",@progbits,_ZN2at6native6sbtopk10gatherTopKIimLi1ELb0EEEvNS_4cuda6detail10TensorInfoIKT_T0_EES8_S8_bS8_S8_NS5_IS6_S8_EES8_NS5_IlS8_EES8_PS6_,comdat
	.protected	_ZN2at6native6sbtopk10gatherTopKIimLi1ELb0EEEvNS_4cuda6detail10TensorInfoIKT_T0_EES8_S8_bS8_S8_NS5_IS6_S8_EES8_NS5_IlS8_EES8_PS6_ ; -- Begin function _ZN2at6native6sbtopk10gatherTopKIimLi1ELb0EEEvNS_4cuda6detail10TensorInfoIKT_T0_EES8_S8_bS8_S8_NS5_IS6_S8_EES8_NS5_IlS8_EES8_PS6_
	.globl	_ZN2at6native6sbtopk10gatherTopKIimLi1ELb0EEEvNS_4cuda6detail10TensorInfoIKT_T0_EES8_S8_bS8_S8_NS5_IS6_S8_EES8_NS5_IlS8_EES8_PS6_
	.p2align	8
	.type	_ZN2at6native6sbtopk10gatherTopKIimLi1ELb0EEEvNS_4cuda6detail10TensorInfoIKT_T0_EES8_S8_bS8_S8_NS5_IS6_S8_EES8_NS5_IlS8_EES8_PS6_,@function
_ZN2at6native6sbtopk10gatherTopKIimLi1ELb0EEEvNS_4cuda6detail10TensorInfoIKT_T0_EES8_S8_bS8_S8_NS5_IS6_S8_EES8_NS5_IlS8_EES8_PS6_: ; @_ZN2at6native6sbtopk10gatherTopKIimLi1ELb0EEEvNS_4cuda6detail10TensorInfoIKT_T0_EES8_S8_bS8_S8_NS5_IS6_S8_EES8_NS5_IlS8_EES8_PS6_
; %bb.0:
	s_clause 0x1
	s_load_b128 s[28:31], s[0:1], 0x1b8
	s_load_b64 s[8:9], s[0:1], 0x520
	s_bfe_u32 s2, ttmp6, 0x40010
	s_and_b32 s3, ttmp7, 0xffff
	s_add_co_i32 s2, s2, 1
	s_bfe_u32 s5, ttmp6, 0x4000c
	s_mul_i32 s2, s3, s2
	s_bfe_u32 s4, ttmp6, 0x40004
	s_add_co_i32 s5, s5, 1
	s_bfe_u32 s6, ttmp6, 0x40014
	s_add_co_i32 s4, s4, s2
	s_and_b32 s2, ttmp6, 15
	s_mul_i32 s5, ttmp9, s5
	s_lshr_b32 s7, ttmp7, 16
	s_add_co_i32 s6, s6, 1
	s_add_co_i32 s2, s2, s5
	s_mul_i32 s5, s7, s6
	s_bfe_u32 s6, ttmp6, 0x40008
	s_getreg_b32 s10, hwreg(HW_REG_IB_STS2, 6, 4)
	s_add_co_i32 s6, s6, s5
	s_cmp_eq_u32 s10, 0
	s_mov_b32 s45, 0
	s_cselect_b32 s5, s7, s6
	s_cselect_b32 s3, s3, s4
	s_wait_kmcnt 0x0
	s_mul_i32 s5, s9, s5
	s_cselect_b32 s9, ttmp9, s2
	s_add_co_i32 s2, s5, s3
	s_delay_alu instid0(SALU_CYCLE_1) | instskip(NEXT) | instid1(SALU_CYCLE_1)
	s_mul_i32 s2, s2, s8
	s_add_co_i32 s44, s2, s9
	s_delay_alu instid0(SALU_CYCLE_1)
	v_cmp_le_u64_e64 s2, s[28:29], s[44:45]
	s_and_b32 vcc_lo, exec_lo, s2
	s_cbranch_vccnz .LBB144_473
; %bb.1:
	s_clause 0x2
	s_load_b128 s[36:39], s[0:1], 0x1a0
	s_load_b64 s[6:7], s[0:1], 0xd0
	s_load_b64 s[2:3], s[0:1], 0x0
	v_cmp_eq_u32_e64 s5, 0, v0
	s_add_nc_u64 s[10:11], s[0:1], 0x520
	s_and_saveexec_b32 s4, s5
	s_cbranch_execz .LBB144_3
; %bb.2:
	s_wait_kmcnt 0x0
	v_dual_mov_b32 v2, 0 :: v_dual_mov_b32 v4, s36
	s_delay_alu instid0(VALU_DEP_1)
	v_dual_mov_b32 v5, s37 :: v_dual_mov_b32 v3, v2
	ds_store_b32 v2, v2 offset:5144
	ds_store_b128 v2, v[2:5] offset:5120
.LBB144_3:
	s_or_b32 exec_lo, exec_lo, s4
	s_load_b64 s[12:13], s[0:1], 0x440
                                        ; implicit-def: $vgpr54 : SGPR spill to VGPR lane
	v_dual_mov_b32 v3, 0 :: v_dual_add_nc_u32 v2, 2, v0
	v_dual_mov_b32 v9, -1 :: v_dual_lshlrev_b32 v42, 4, v0
	v_not_b32_e32 v8, v0
	s_delay_alu instid0(VALU_DEP_3)
	v_mov_b32_e32 v17, v3
	s_wait_kmcnt 0x0
	v_max_u64 v[6:7], s[36:37], v[2:3]
	v_dual_mov_b32 v1, v3 :: v_dual_lshlrev_b32 v16, 2, v0
	v_or_b32_e32 v2, 12, v42
	s_wait_dscnt 0x0
	s_barrier_signal -1
	s_delay_alu instid0(VALU_DEP_2)
	v_mul_u64_e32 v[4:5], s[30:31], v[0:1]
	s_barrier_wait -1
	v_mul_u64_e32 v[18:19], s[30:31], v[2:3]
	s_load_b32 s14, s[10:11], 0xc
	v_mbcnt_lo_u32_b32 v13, -1, 0
	v_cmp_gt_u32_e32 vcc_lo, 32, v0
	v_writelane_b32 v54, s12, 0
	s_mov_b32 s29, 0
	v_cmp_lt_u64_e64 s33, 0x300, s[36:37]
	v_lshlrev_b64_e64 v[10:11], v13, -1
	v_mov_b64_e32 v[34:35], s[38:39]
	v_writelane_b32 v54, s13, 1
	s_mul_u64 s[12:13], s[6:7], s[44:45]
	s_load_b64 s[6:7], s[0:1], 0x370
	s_lshl_b64 s[12:13], s[12:13], 2
	s_mov_b32 s35, s29
	s_add_nc_u64 s[42:43], s[2:3], s[12:13]
	v_cmp_gt_u64_e64 s3, s[36:37], v[0:1]
	v_cmp_eq_u32_e64 s2, 0, v13
	v_dual_mov_b32 v30, 1 :: v_dual_add_nc_u32 v43, 0xc00, v16
	v_not_b32_e32 v12, v10
	v_lshl_or_b32 v46, v13, 3, 0xc00
	v_mov_b32_e32 v47, 0
	s_mov_b32 s58, s30
	v_add_nc_u64_e32 v[6:7], v[6:7], v[8:9]
	v_or_b32_e32 v2, 8, v42
	s_mov_b32 s59, s31
	s_mov_b32 s91, 30
	s_mov_b32 s90, 0x4f800000
	v_mov_b32_e32 v45, 0
	v_lshlrev_b64_e32 v[28:29], 4, v[4:5]
	v_mov_b32_e32 v21, v7
	s_wait_kmcnt 0x0
	v_writelane_b32 v54, s6, 2
	v_mul_u64_e32 v[22:23], s[30:31], v[2:3]
	v_or_b32_e32 v2, 4, v42
	v_dual_mov_b32 v33, 0 :: v_dual_bitop2_b32 v20, -2, v6 bitop3:0x40
	v_writelane_b32 v54, s7, 3
	s_load_b64 s[6:7], s[0:1], 0x298
	s_delay_alu instid0(VALU_DEP_3) | instskip(NEXT) | instid1(VALU_DEP_3)
	v_mul_u64_e32 v[24:25], s[30:31], v[2:3]
	v_add_nc_u64_e32 v[26:27], v[20:21], v[0:1]
	v_lshl_add_u64 v[14:15], v[4:5], 2, s[42:43]
	s_mov_b32 s92, 0
	s_mov_b32 s94, 0
                                        ; implicit-def: $sgpr93
                                        ; implicit-def: $sgpr97
                                        ; implicit-def: $sgpr96
                                        ; implicit-def: $sgpr98
                                        ; implicit-def: $sgpr95
                                        ; implicit-def: $sgpr102
                                        ; implicit-def: $sgpr103
                                        ; implicit-def: $sgpr99
                                        ; implicit-def: $sgpr101
                                        ; implicit-def: $sgpr100
	s_load_b32 s4, s[0:1], 0x1b0
	s_wait_kmcnt 0x0
	v_writelane_b32 v54, s6, 4
	v_writelane_b32 v54, s7, 5
	s_load_b64 s[6:7], s[0:1], 0x1c8
	s_bitcmp1_b32 s4, 0
	s_cselect_b32 s4, -1, 0
	s_and_b32 s34, s14, 0xffff
	s_bfe_u32 s12, s14, 0xb0005
	s_xor_b32 s83, s4, -1
	s_add_nc_u64 s[54:55], s[34:35], -1
	s_delay_alu instid0(SALU_CYCLE_1)
	s_add_nc_u64 s[56:57], s[54:55], s[36:37]
	s_wait_kmcnt 0x0
	v_writelane_b32 v54, s6, 6
	v_writelane_b32 v54, s7, 7
	v_cmp_gt_i32_e64 s7, 4, v13
	v_cmp_gt_u32_e64 s6, 2, v0
	s_and_b32 s82, vcc_lo, s7
	s_cmp_gt_u32 s34, 31
	s_movk_i32 s7, 0x3e0
	s_cselect_b32 s84, -1, 0
	s_cmp_lt_u32 s9, s8
	v_and_or_b32 v44, v0, s7, 0xc00
	s_cselect_b32 s28, 12, 18
	s_add_co_i32 s8, s12, -1
	s_bfe_u32 s85, s34, 0x30005
	s_and_b32 s8, s8, 0xffff
	v_cmp_lt_u64_e64 s7, 1, v[6:7]
	s_cmp_gt_u32 s8, 6
	v_cmp_ne_u64_e64 s8, v[6:7], v[20:21]
	s_cselect_b32 s86, -1, 0
	s_and_b32 s87, s12, 0x7f8
	s_cmp_lg_u32 s85, 0
	s_mul_u64 s[12:13], s[30:31], s[34:35]
	s_cselect_b32 s88, -1, 0
	s_lshl_b64 s[60:61], s[30:31], 2
	s_lshl_b64 s[62:63], s[30:31], 4
	s_lshl_b32 s89, s34, 2
	s_lshl_b64 s[40:41], s[12:13], 2
	s_and_b64 s[64:65], s[36:37], 0xffffffff00000000
	s_add_nc_u64 s[66:67], s[10:11], s[28:29]
	s_branch .LBB144_6
.LBB144_4:                              ;   in Loop: Header=BB144_6 Depth=1
	s_or_b32 exec_lo, exec_lo, s12
	v_mov_b64_e32 v[34:35], v[4:5]
	s_and_not1_b32 s12, s100, exec_lo
	s_and_b32 s11, s11, exec_lo
	s_and_not1_b32 s101, s101, exec_lo
	s_or_b32 s100, s12, s11
	s_and_not1_b32 s99, s99, exec_lo
	s_and_not1_b32 s103, s103, exec_lo
	;; [unrolled: 1-line block ×3, first 2 shown]
	s_or_not1_b32 s10, s10, exec_lo
.LBB144_5:                              ;   in Loop: Header=BB144_6 Depth=1
	s_or_b32 exec_lo, exec_lo, s9
	s_delay_alu instid0(SALU_CYCLE_1) | instskip(NEXT) | instid1(SALU_CYCLE_1)
	s_and_b32 s9, exec_lo, s10
	s_or_b32 s92, s9, s92
	s_and_not1_b32 s9, s95, exec_lo
	s_and_b32 s10, s100, exec_lo
	s_and_not1_b32 s11, s98, exec_lo
	s_or_b32 s95, s9, s10
	s_and_b32 s9, s101, exec_lo
	s_and_not1_b32 s10, s96, exec_lo
	s_and_b32 s12, s99, exec_lo
	s_or_b32 s98, s11, s9
	s_or_b32 s96, s10, s12
	s_and_not1_b32 s9, s97, exec_lo
	s_and_b32 s10, s103, exec_lo
	s_and_not1_b32 s11, s93, exec_lo
	s_and_b32 s12, s102, exec_lo
	s_or_b32 s97, s9, s10
	s_or_b32 s93, s11, s12
	s_and_not1_b32 exec_lo, exec_lo, s92
	s_cbranch_execz .LBB144_469
.LBB144_6:                              ; =>This Loop Header: Depth=1
                                        ;     Child Loop BB144_12 Depth 2
                                        ;     Child Loop BB144_26 Depth 2
	;; [unrolled: 1-line block ×25, first 2 shown]
	ds_load_b128 v[4:7], v3 offset:5120
	s_wait_dscnt 0x0
	v_readfirstlane_b32 s69, v5
	v_readfirstlane_b32 s68, v4
	s_cmp_lg_u64 s[68:69], 0
	s_cbranch_scc1 .LBB144_39
; %bb.7:                                ;   in Loop: Header=BB144_6 Depth=1
	s_and_b32 vcc_lo, exec_lo, s33
	s_cbranch_vccz .LBB144_20
; %bb.8:                                ;   in Loop: Header=BB144_6 Depth=1
	v_cmp_gt_u64_e32 vcc_lo, 0x301, v[6:7]
	s_mov_b32 s11, 0
	s_mov_b32 s9, 0
	s_cbranch_vccz .LBB144_21
; %bb.9:                                ;   in Loop: Header=BB144_6 Depth=1
	s_and_saveexec_b32 s12, s3
	s_cbranch_execz .LBB144_93
; %bb.10:                               ;   in Loop: Header=BB144_6 Depth=1
	global_load_u16 v2, v3, s[66:67]
	global_load_b32 v10, v[14:15], off
	s_mov_b32 s13, 0
	s_wait_loadcnt 0x1
	v_and_b32_e32 v2, 0xffff, v2
	s_delay_alu instid0(VALU_DEP_1) | instskip(SKIP_1) | instid1(VALU_DEP_1)
	v_mul_u64_e32 v[4:5], s[60:61], v[2:3]
	v_add_nc_u32_e32 v8, v0, v2
	v_mad_nc_u64_u32 v[6:7], s60, v8, s[42:43]
	s_delay_alu instid0(VALU_DEP_1)
	v_mad_u32 v7, s61, v8, v7
	v_mov_b64_e32 v[8:9], v[0:1]
	s_branch .LBB144_12
.LBB144_11:                             ;   in Loop: Header=BB144_12 Depth=2
	s_or_b32 exec_lo, exec_lo, s10
	v_add_nc_u64_e32 v[6:7], v[6:7], v[4:5]
	v_mov_b32_e32 v10, v11
	s_and_not1_b32 exec_lo, exec_lo, s13
	s_cbranch_execz .LBB144_93
.LBB144_12:                             ;   Parent Loop BB144_6 Depth=1
                                        ; =>  This Inner Loop Header: Depth=2
	s_delay_alu instid0(VALU_DEP_1) | instskip(SKIP_3) | instid1(VALU_DEP_2)
	v_add_nc_u64_e32 v[8:9], v[8:9], v[2:3]
	s_wait_dscnt 0x0
	v_dual_mov_b32 v31, 0 :: v_dual_mov_b32 v11, 0
	s_mov_b32 s10, exec_lo
	v_cmp_le_u64_e32 vcc_lo, s[36:37], v[8:9]
	s_wait_xcnt 0x0
	v_cmpx_gt_u64_e64 s[36:37], v[8:9]
	s_cbranch_execz .LBB144_14
; %bb.13:                               ;   in Loop: Header=BB144_12 Depth=2
	global_load_b32 v11, v[6:7], off
.LBB144_14:                             ;   in Loop: Header=BB144_12 Depth=2
	s_wait_xcnt 0x0
	s_or_b32 exec_lo, exec_lo, s10
	s_wait_loadcnt 0x0
	v_bitop3_b32 v32, v10, v47, 0x80000000 bitop3:0x48
	s_delay_alu instid0(VALU_DEP_1) | instskip(SKIP_2) | instid1(SALU_CYCLE_1)
	v_cmp_eq_u32_e64 s9, v32, v45
	s_cmp_lg_u32 s9, 0
	s_cselect_b32 s10, -1, 0
	s_and_b32 s10, s2, s10
	s_delay_alu instid0(SALU_CYCLE_1)
	s_and_saveexec_b32 s14, s10
	s_cbranch_execz .LBB144_18
; %bb.15:                               ;   in Loop: Header=BB144_12 Depth=2
	s_mov_b32 s17, exec_lo
	s_bcnt1_i32_b32 s15, s9
	v_mbcnt_lo_u32_b32 v31, s17, 0
	s_mov_b32 s16, exec_lo
                                        ; implicit-def: $vgpr32
	s_delay_alu instid0(VALU_DEP_1)
	v_cmpx_eq_u32_e32 0, v31
; %bb.16:                               ;   in Loop: Header=BB144_12 Depth=2
	s_bcnt1_i32_b32 s10, s17
	s_delay_alu instid0(SALU_CYCLE_1) | instskip(NEXT) | instid1(SALU_CYCLE_1)
	s_mul_i32 s10, s15, s10
	v_mov_b32_e32 v32, s10
	ds_add_rtn_u32 v32, v3, v32 offset:5144
; %bb.17:                               ;   in Loop: Header=BB144_12 Depth=2
	s_or_b32 exec_lo, exec_lo, s16
	s_wait_dscnt 0x0
	v_readfirstlane_b32 s10, v32
	s_delay_alu instid0(VALU_DEP_1)
	v_mad_u32_u24 v31, s15, v31, s10
.LBB144_18:                             ;   in Loop: Header=BB144_12 Depth=2
	s_or_b32 exec_lo, exec_lo, s14
	ds_bpermute_b32 v31, v3, v31
	s_and_b32 s10, exec_lo, vcc_lo
	s_delay_alu instid0(SALU_CYCLE_1)
	s_or_b32 s13, s10, s13
	s_and_saveexec_b32 s10, s9
	s_cbranch_execz .LBB144_11
; %bb.19:                               ;   in Loop: Header=BB144_12 Depth=2
	v_and_b32_e32 v32, s9, v12
	s_delay_alu instid0(VALU_DEP_1) | instskip(NEXT) | instid1(VALU_DEP_1)
	v_bcnt_u32_b32 v32, v32, 0
	v_lshlrev_b32_e32 v32, 2, v32
	s_wait_dscnt 0x0
	s_delay_alu instid0(VALU_DEP_1)
	v_lshl_add_u32 v31, v31, 2, v32
	ds_store_b32 v31, v10
	s_branch .LBB144_11
.LBB144_20:                             ;   in Loop: Header=BB144_6 Depth=1
	s_mov_b32 s11, -1
	s_mov_b32 s9, 0
.LBB144_21:                             ;   in Loop: Header=BB144_6 Depth=1
	s_and_b32 vcc_lo, exec_lo, s11
	s_cbranch_vccz .LBB144_37
.LBB144_22:                             ;   in Loop: Header=BB144_6 Depth=1
	s_and_saveexec_b32 s9, s3
	s_cbranch_execz .LBB144_34
; %bb.23:                               ;   in Loop: Header=BB144_6 Depth=1
	global_load_u16 v4, v3, s[66:67]
	global_load_b32 v10, v[14:15], off
	s_mov_b32 s14, exec_lo
	v_mov_b32_e32 v8, v0
	s_wait_loadcnt 0x1
	v_and_b32_e32 v2, 0xffff, v4
	v_readfirstlane_b32 s10, v4
	s_delay_alu instid0(VALU_DEP_2) | instskip(SKIP_1) | instid1(VALU_DEP_1)
	v_add_nc_u32_e32 v2, v2, v0
	s_wait_xcnt 0x0
	v_cmpx_gt_u64_e64 s[36:37], v[2:3]
	s_cbranch_execz .LBB144_33
; %bb.24:                               ;   in Loop: Header=BB144_6 Depth=1
	s_and_b32 s28, s10, 0xffff
	v_mov_b64_e32 v[6:7], v[0:1]
	v_mov_b64_e32 v[4:5], v[2:3]
	s_cmp_eq_u32 s28, 1
	s_mov_b32 s11, -1
	s_cselect_b32 s10, -1, 0
                                        ; implicit-def: $vgpr11
                                        ; implicit-def: $vgpr8_vgpr9
	s_delay_alu instid0(SALU_CYCLE_1) | instskip(NEXT) | instid1(SALU_CYCLE_1)
	s_and_b32 s12, s7, s10
	s_and_saveexec_b32 s10, s12
	s_cbranch_execz .LBB144_28
; %bb.25:                               ;   in Loop: Header=BB144_6 Depth=1
	v_add_nc_u64_e32 v[4:5], 1, v[2:3]
	v_mov_b64_e32 v[8:9], v[20:21]
	v_mov_b32_e32 v31, v16
	s_mov_b32 s11, 0
	s_delay_alu instid0(VALU_DEP_3)
	v_mov_b64_e32 v[6:7], v[4:5]
	v_mov_b64_e32 v[4:5], v[2:3]
.LBB144_26:                             ;   Parent Loop BB144_6 Depth=1
                                        ; =>  This Inner Loop Header: Depth=2
	s_delay_alu instid0(VALU_DEP_1) | instskip(NEXT) | instid1(VALU_DEP_3)
	v_mul_u64_e32 v[36:37], s[58:59], v[4:5]
	v_mul_u64_e32 v[38:39], s[30:31], v[6:7]
	v_add_nc_u64_e32 v[8:9], -2, v[8:9]
	v_add_nc_u64_e32 v[6:7], 2, v[6:7]
	v_add_nc_u64_e32 v[4:5], 2, v[4:5]
	s_delay_alu instid0(VALU_DEP_3)
	v_cmp_eq_u64_e32 vcc_lo, 0, v[8:9]
	s_or_b32 s11, vcc_lo, s11
	v_lshl_add_u64 v[36:37], v[36:37], 2, s[42:43]
	v_lshl_add_u64 v[38:39], v[38:39], 2, s[42:43]
	s_clause 0x1
	global_load_b32 v32, v[36:37], off
	global_load_b32 v11, v[38:39], off
	s_wait_loadcnt 0x1
	ds_store_2addr_b32 v31, v10, v32 offset1:1
	s_wait_loadcnt 0x0
	v_dual_mov_b32 v10, v11 :: v_dual_add_nc_u32 v31, 8, v31
	s_wait_xcnt 0x0
	s_and_not1_b32 exec_lo, exec_lo, s11
	s_cbranch_execnz .LBB144_26
; %bb.27:                               ;   in Loop: Header=BB144_6 Depth=1
	s_or_b32 exec_lo, exec_lo, s11
	v_add_nc_u64_e32 v[4:5], v[2:3], v[20:21]
	v_mov_b64_e32 v[6:7], v[26:27]
	v_mov_b32_e32 v10, v11
	s_or_not1_b32 s11, s8, exec_lo
	s_delay_alu instid0(VALU_DEP_3)
	v_add_nc_u64_e32 v[8:9], -1, v[4:5]
.LBB144_28:                             ;   in Loop: Header=BB144_6 Depth=1
	s_or_b32 exec_lo, exec_lo, s10
	s_and_saveexec_b32 s15, s11
	s_cbranch_execz .LBB144_32
; %bb.29:                               ;   in Loop: Header=BB144_6 Depth=1
	v_mad_nc_u64_u32 v[8:9], s60, v4, s[42:43]
	s_sub_nc_u64 s[10:11], 0, s[28:29]
	s_mul_u64 s[12:13], s[60:61], s[28:29]
	s_mov_b32 s16, 0
	s_delay_alu instid0(VALU_DEP_1) | instskip(NEXT) | instid1(VALU_DEP_1)
	v_mad_u32 v2, s61, v4, v9
	v_mad_u32 v9, s60, v5, v2
.LBB144_30:                             ;   Parent Loop BB144_6 Depth=1
                                        ; =>  This Inner Loop Header: Depth=2
	global_load_b32 v11, v[8:9], off
	v_mov_b64_e32 v[36:37], v[4:5]
	v_lshlrev_b32_e32 v2, 2, v6
	s_wait_xcnt 0x0
	v_add_nc_u64_e32 v[8:9], s[12:13], v[8:9]
	s_wait_loadcnt 0x1
	ds_store_b32 v2, v10
	v_add_nc_u64_e32 v[4:5], s[28:29], v[36:37]
	v_mov_b64_e32 v[6:7], v[36:37]
	s_delay_alu instid0(VALU_DEP_2)
	v_cmp_le_u64_e32 vcc_lo, s[36:37], v[4:5]
	s_or_b32 s16, vcc_lo, s16
	s_wait_loadcnt 0x0
	v_mov_b32_e32 v10, v11
	s_and_not1_b32 exec_lo, exec_lo, s16
	s_cbranch_execnz .LBB144_30
; %bb.31:                               ;   in Loop: Header=BB144_6 Depth=1
	s_or_b32 exec_lo, exec_lo, s16
	v_add_nc_u64_e32 v[8:9], s[10:11], v[4:5]
.LBB144_32:                             ;   in Loop: Header=BB144_6 Depth=1
	s_or_b32 exec_lo, exec_lo, s15
	s_wait_loadcnt 0x0
	v_mov_b32_e32 v10, v11
.LBB144_33:                             ;   in Loop: Header=BB144_6 Depth=1
	s_or_b32 exec_lo, exec_lo, s14
	s_delay_alu instid0(VALU_DEP_2)
	v_lshlrev_b32_e32 v2, 2, v8
	s_wait_loadcnt 0x0
	ds_store_b32 v2, v10
.LBB144_34:                             ;   in Loop: Header=BB144_6 Depth=1
	s_or_b32 exec_lo, exec_lo, s9
	s_wait_dscnt 0x0
	s_barrier_signal -1
	s_barrier_wait -1
	s_and_saveexec_b32 s9, s5
; %bb.35:                               ;   in Loop: Header=BB144_6 Depth=1
	v_mov_b64_e32 v[4:5], s[36:37]
	ds_store_b64 v3, v[4:5] offset:5120
; %bb.36:                               ;   in Loop: Header=BB144_6 Depth=1
	s_or_b32 exec_lo, exec_lo, s9
	s_mov_b32 s9, -1
	s_wait_dscnt 0x0
	s_barrier_signal -1
	s_barrier_wait -1
.LBB144_37:                             ;   in Loop: Header=BB144_6 Depth=1
	s_and_b32 vcc_lo, exec_lo, s9
	s_mov_b64 s[68:69], 0
	s_cbranch_vccz .LBB144_39
; %bb.38:                               ;   in Loop: Header=BB144_6 Depth=1
	ds_load_b64 v[4:5], v3 offset:5120
	s_wait_dscnt 0x0
	v_readfirstlane_b32 s68, v4
	v_readfirstlane_b32 s69, v5
.LBB144_39:                             ;   in Loop: Header=BB144_6 Depth=1
	s_delay_alu instid0(VALU_DEP_2)
	s_cmp_lt_i32 s68, 1
	s_mov_b32 s9, -1
                                        ; implicit-def: $vgpr4_vgpr5
                                        ; implicit-def: $vgpr8_vgpr9
	s_cbranch_scc1 .LBB144_49
; %bb.40:                               ;   in Loop: Header=BB144_6 Depth=1
	s_and_b32 vcc_lo, exec_lo, s9
	s_cbranch_vccnz .LBB144_63
.LBB144_41:                             ;   in Loop: Header=BB144_6 Depth=1
	s_lshl_b32 s9, s94, 7
	s_and_saveexec_b32 s10, s2
	s_cbranch_execz .LBB144_43
.LBB144_42:                             ;   in Loop: Header=BB144_6 Depth=1
	v_lshl_add_u32 v2, s9, 3, v44
	ds_store_b128 v2, v[4:7]
	ds_store_b128 v2, v[8:11] offset:16
.LBB144_43:                             ;   in Loop: Header=BB144_6 Depth=1
	s_or_b32 exec_lo, exec_lo, s10
	s_wait_dscnt 0x0
	s_barrier_signal -1
	s_barrier_wait -1
	s_and_saveexec_b32 s10, s82
	s_cbranch_execz .LBB144_77
; %bb.44:                               ;   in Loop: Header=BB144_6 Depth=1
	v_mov_b64_e32 v[4:5], 0
	s_and_not1_b32 vcc_lo, exec_lo, s84
	s_cbranch_vccnz .LBB144_76
; %bb.45:                               ;   in Loop: Header=BB144_6 Depth=1
	v_mov_b64_e32 v[4:5], 0
	s_and_not1_b32 vcc_lo, exec_lo, s86
	s_cbranch_vccnz .LBB144_73
; %bb.46:                               ;   in Loop: Header=BB144_6 Depth=1
	v_lshl_add_u32 v2, s94, 10, v46
	s_mov_b32 s11, 0
.LBB144_47:                             ;   Parent Loop BB144_6 Depth=1
                                        ; =>  This Inner Loop Header: Depth=2
	ds_load_2addr_b64 v[6:9], v2 offset1:4
	ds_load_2addr_b64 v[36:39], v2 offset0:8 offset1:12
	s_add_co_i32 s11, s11, 8
	s_delay_alu instid0(SALU_CYCLE_1) | instskip(SKIP_2) | instid1(VALU_DEP_1)
	s_cmp_eq_u32 s87, s11
	s_wait_dscnt 0x1
	v_add_nc_u64_e32 v[4:5], v[6:7], v[4:5]
	v_add_nc_u64_e32 v[8:9], v[8:9], v[4:5]
	ds_load_2addr_b64 v[4:7], v2 offset0:16 offset1:20
	s_wait_dscnt 0x1
	v_add_nc_u64_e32 v[8:9], v[36:37], v[8:9]
	s_delay_alu instid0(VALU_DEP_1) | instskip(SKIP_4) | instid1(VALU_DEP_1)
	v_add_nc_u64_e32 v[36:37], v[38:39], v[8:9]
	ds_load_2addr_b64 v[8:11], v2 offset0:24 offset1:28
	v_add_nc_u32_e32 v2, 0x100, v2
	s_wait_dscnt 0x1
	v_add_nc_u64_e32 v[4:5], v[4:5], v[36:37]
	v_add_nc_u64_e32 v[4:5], v[6:7], v[4:5]
	s_wait_dscnt 0x0
	s_delay_alu instid0(VALU_DEP_1) | instskip(NEXT) | instid1(VALU_DEP_1)
	v_add_nc_u64_e32 v[4:5], v[8:9], v[4:5]
	v_add_nc_u64_e32 v[4:5], v[10:11], v[4:5]
	s_cbranch_scc0 .LBB144_47
; %bb.48:                               ;   in Loop: Header=BB144_6 Depth=1
	s_mov_b32 s11, s87
	s_and_not1_b32 vcc_lo, exec_lo, s88
	s_cbranch_vccz .LBB144_74
	s_branch .LBB144_76
.LBB144_49:                             ;   in Loop: Header=BB144_6 Depth=1
	global_load_u16 v2, v3, s[66:67]
	s_mov_b32 s71, s29
	s_wait_loadcnt 0x0
	v_readfirstlane_b32 s9, v2
	s_and_b32 s9, 0xffff, s9
	s_delay_alu instid0(SALU_CYCLE_1)
	s_lshl_b32 s70, s9, 2
	s_cmp_lg_u64 s[64:65], 0
	s_cbranch_scc0 .LBB144_72
; %bb.50:                               ;   in Loop: Header=BB144_6 Depth=1
	s_cvt_f32_u32 s9, s70
	s_sub_nc_u64 s[12:13], 0, s[70:71]
	s_delay_alu instid0(SALU_CYCLE_2) | instskip(NEXT) | instid1(SALU_CYCLE_3)
	s_fmamk_f32 s9, s90, 0x0, s9
	v_s_rcp_f32 s9, s9
	s_delay_alu instid0(TRANS32_DEP_1) | instskip(NEXT) | instid1(SALU_CYCLE_3)
	s_mul_f32 s9, s9, 0x5f7ffffc
	s_mul_f32 s10, s9, 0x2f800000
	s_delay_alu instid0(SALU_CYCLE_3) | instskip(NEXT) | instid1(SALU_CYCLE_3)
	s_trunc_f32 s10, s10
	s_fmamk_f32 s9, s10, 0xcf800000, s9
	s_cvt_u32_f32 s11, s10
	s_delay_alu instid0(SALU_CYCLE_2) | instskip(NEXT) | instid1(SALU_CYCLE_3)
	s_cvt_u32_f32 s10, s9
	s_mul_u64 s[14:15], s[12:13], s[10:11]
	s_delay_alu instid0(SALU_CYCLE_1)
	s_mul_hi_u32 s17, s10, s15
	s_mul_i32 s16, s10, s15
	s_mul_hi_u32 s28, s10, s14
	s_mul_i32 s18, s11, s14
	s_add_nc_u64 s[16:17], s[28:29], s[16:17]
	s_mul_hi_u32 s9, s11, s14
	s_mul_hi_u32 s19, s11, s15
	s_mul_i32 s14, s11, s15
	s_add_co_u32 s15, s16, s18
	s_add_co_ci_u32 s28, s17, s9
	s_add_co_ci_u32 s15, s19, 0
	s_delay_alu instid0(SALU_CYCLE_1) | instskip(NEXT) | instid1(SALU_CYCLE_1)
	s_add_nc_u64 s[14:15], s[28:29], s[14:15]
	s_add_co_u32 s10, s10, s14
	s_cselect_b32 s9, -1, 0
	s_delay_alu instid0(SALU_CYCLE_1) | instskip(SKIP_1) | instid1(SALU_CYCLE_1)
	s_cmp_lg_u32 s9, 0
	s_add_co_ci_u32 s11, s11, s15
	s_mul_u64 s[12:13], s[12:13], s[10:11]
	s_delay_alu instid0(SALU_CYCLE_1)
	s_mul_hi_u32 s15, s10, s13
	s_mul_i32 s14, s10, s13
	s_mul_hi_u32 s28, s10, s12
	s_mul_i32 s16, s11, s12
	s_add_nc_u64 s[14:15], s[28:29], s[14:15]
	s_mul_hi_u32 s9, s11, s12
	s_mul_hi_u32 s17, s11, s13
	s_mul_i32 s12, s11, s13
	s_add_co_u32 s13, s14, s16
	s_add_co_ci_u32 s28, s15, s9
	s_add_co_ci_u32 s13, s17, 0
	s_delay_alu instid0(SALU_CYCLE_1) | instskip(NEXT) | instid1(SALU_CYCLE_1)
	s_add_nc_u64 s[12:13], s[28:29], s[12:13]
	s_add_co_u32 s9, s10, s12
	s_cselect_b32 s10, -1, 0
	s_mul_hi_u32 s28, s36, s9
	s_cmp_lg_u32 s10, 0
	s_mul_hi_u32 s14, s37, s9
	s_add_co_ci_u32 s12, s11, s13
	s_mul_i32 s9, s37, s9
	s_mul_hi_u32 s11, s36, s12
	s_mul_i32 s10, s36, s12
	s_mul_hi_u32 s13, s37, s12
	s_add_nc_u64 s[10:11], s[28:29], s[10:11]
	s_mul_i32 s12, s37, s12
	s_add_co_u32 s9, s10, s9
	s_add_co_ci_u32 s28, s11, s14
	s_add_co_ci_u32 s13, s13, 0
	s_delay_alu instid0(SALU_CYCLE_1) | instskip(NEXT) | instid1(SALU_CYCLE_1)
	s_add_nc_u64 s[10:11], s[28:29], s[12:13]
	s_and_b64 s[12:13], s[10:11], 0xffffffff00000000
	s_delay_alu instid0(SALU_CYCLE_1) | instskip(NEXT) | instid1(SALU_CYCLE_1)
	s_or_b32 s12, s12, s10
	s_mul_u64 s[10:11], s[70:71], s[12:13]
	s_delay_alu instid0(SALU_CYCLE_1) | instskip(SKIP_1) | instid1(SALU_CYCLE_1)
	s_sub_co_u32 s9, s36, s10
	s_cselect_b32 s10, -1, 0
	s_cmp_lg_u32 s10, 0
	s_sub_co_ci_u32 s10, s37, s11
	s_sub_co_u32 s11, s9, s70
	s_cselect_b32 s12, -1, 0
	s_delay_alu instid0(SALU_CYCLE_1) | instskip(SKIP_3) | instid1(SALU_CYCLE_1)
	s_cmp_lg_u32 s12, 0
	s_sub_co_ci_u32 s12, s10, 0
	s_sub_co_u32 s13, s11, s70
	s_cselect_b32 s14, -1, 0
	s_cmp_lg_u32 s14, 0
	s_sub_co_ci_u32 s14, s12, 0
	s_cmp_ge_u32 s11, s70
	s_cselect_b32 s15, -1, 0
	s_cmp_eq_u32 s12, 0
	s_cselect_b32 s15, s15, -1
	s_delay_alu instid0(SALU_CYCLE_1)
	s_cmp_lg_u32 s15, 0
	s_cselect_b32 s12, s14, s12
	s_cselect_b32 s13, s13, s11
	s_cmp_ge_u32 s9, s70
	s_cselect_b32 s11, -1, 0
	s_cmp_eq_u32 s10, 0
	s_cselect_b32 s11, s11, -1
	s_delay_alu instid0(SALU_CYCLE_1)
	s_cmp_lg_u32 s11, 0
	s_cselect_b32 s11, s12, s10
	s_cselect_b32 s10, s13, s9
	s_cbranch_execnz .LBB144_52
.LBB144_51:                             ;   in Loop: Header=BB144_6 Depth=1
	v_cvt_f32_u32_e32 v4, s70
	s_sub_co_i32 s10, 0, s70
	s_delay_alu instid0(VALU_DEP_1) | instskip(SKIP_1) | instid1(TRANS32_DEP_1)
	v_rcp_iflag_f32_e32 v4, v4
	v_nop
	v_mul_f32_e32 v4, 0x4f7ffffe, v4
	s_delay_alu instid0(VALU_DEP_1) | instskip(NEXT) | instid1(VALU_DEP_1)
	v_cvt_u32_f32_e32 v4, v4
	v_readfirstlane_b32 s9, v4
	s_mul_i32 s10, s10, s9
	s_delay_alu instid0(SALU_CYCLE_1) | instskip(NEXT) | instid1(SALU_CYCLE_1)
	s_mul_hi_u32 s10, s9, s10
	s_add_co_i32 s9, s9, s10
	s_delay_alu instid0(SALU_CYCLE_1) | instskip(NEXT) | instid1(SALU_CYCLE_1)
	s_mul_hi_u32 s9, s36, s9
	s_mul_i32 s9, s9, s70
	s_delay_alu instid0(SALU_CYCLE_1) | instskip(NEXT) | instid1(SALU_CYCLE_1)
	s_sub_co_i32 s9, s36, s9
	s_sub_co_i32 s10, s9, s70
	s_cmp_ge_u32 s9, s70
	s_cselect_b32 s9, s10, s9
	s_delay_alu instid0(SALU_CYCLE_1) | instskip(SKIP_2) | instid1(SALU_CYCLE_1)
	s_sub_co_i32 s10, s9, s70
	s_cmp_ge_u32 s9, s70
	s_cselect_b32 s28, s10, s9
	s_mov_b64 s[10:11], s[28:29]
.LBB144_52:                             ;   in Loop: Header=BB144_6 Depth=1
	v_mov_b64_e32 v[4:5], 0
	v_mov_b64_e32 v[6:7], 0
	;; [unrolled: 1-line block ×4, first 2 shown]
	v_and_b32_e32 v2, 0xffff, v2
	s_sub_nc_u64 s[72:73], s[36:37], s[10:11]
	s_mov_b32 s104, exec_lo
	v_cmpx_gt_u64_e64 s[72:73], v[16:17]
	s_cbranch_execz .LBB144_56
; %bb.53:                               ;   in Loop: Header=BB144_6 Depth=1
	v_mul_u64_e32 v[36:37], s[62:63], v[2:3]
	v_mov_b64_e32 v[38:39], s[42:43]
	v_mov_b64_e32 v[40:41], v[16:17]
	s_mov_b64 s[74:75], 0
	s_mov_b32 vcc_hi, 0
	s_mov_b64 s[76:77], 0
	s_mov_b64 s[78:79], 0
	;; [unrolled: 1-line block ×3, first 2 shown]
.LBB144_54:                             ;   Parent Loop BB144_6 Depth=1
                                        ; =>  This Inner Loop Header: Depth=2
	v_add_nc_u64_e32 v[4:5], v[38:39], v[28:29]
	v_add_nc_u64_e32 v[6:7], v[38:39], v[24:25]
	v_add_nc_u64_e32 v[8:9], v[38:39], v[22:23]
	v_add_nc_u64_e32 v[10:11], v[38:39], v[18:19]
	v_add_nc_u64_e32 v[40:41], s[70:71], v[40:41]
	v_add_nc_u64_e32 v[38:39], v[38:39], v[36:37]
	s_clause 0x3
	global_load_b32 v4, v[4:5], off
	global_load_b32 v5, v[6:7], off
	;; [unrolled: 1-line block ×4, first 2 shown]
	v_cmp_le_u64_e32 vcc_lo, s[72:73], v[40:41]
	s_wait_loadcnt 0x3
	s_wait_xcnt 0x1
	v_xor_b32_e32 v8, 0x80000000, v4
	s_wait_loadcnt 0x2
	v_xor_b32_e32 v9, 0x80000000, v5
	v_bitop3_b32 v4, v4, v47, 0x80000000 bitop3:0x48
	v_bitop3_b32 v5, v5, v47, 0x80000000 bitop3:0x48
	s_wait_loadcnt 0x1
	s_wait_xcnt 0x0
	v_xor_b32_e32 v10, 0x80000000, v6
	v_bitop3_b32 v6, v6, v47, 0x80000000 bitop3:0x48
	s_wait_loadcnt 0x0
	v_xor_b32_e32 v11, 0x80000000, v7
	v_cmp_eq_u32_e64 s9, v4, v45
	v_cmp_eq_u32_e64 s10, v5, v45
	v_bfe_u32 v4, v8, s91, 2
	v_bfe_u32 v5, v9, s91, 2
	v_cmp_eq_u32_e64 s11, v6, v45
	v_bfe_u32 v6, v10, s91, 2
	v_bitop3_b32 v7, v7, v47, 0x80000000 bitop3:0x48
	v_bfe_u32 v8, v11, s91, 2
	v_cmp_eq_u32_e64 s13, 0, v4
	v_cmp_eq_u32_e64 s14, 0, v5
	;; [unrolled: 1-line block ×12, first 2 shown]
	s_and_b32 s13, s9, s13
	s_and_b32 s14, s10, s14
	v_cmp_eq_u32_e64 s20, 1, v8
	v_cmp_eq_u32_e64 s23, 2, v6
	;; [unrolled: 1-line block ×3, first 2 shown]
	s_and_b32 s15, s11, s15
	s_and_b32 s17, s9, s17
	;; [unrolled: 1-line block ×3, first 2 shown]
	v_cndmask_b32_e64 v4, 0, 1, s13
	v_cndmask_b32_e64 v5, 0, 1, s14
	v_cmp_eq_u32_e64 s24, 2, v8
	v_cmp_eq_u32_e64 s28, 3, v8
	s_and_b32 s16, s12, s16
	s_and_b32 s19, s11, s19
	;; [unrolled: 1-line block ×4, first 2 shown]
	v_cndmask_b32_e64 v6, 0, 1, s15
	v_cndmask_b32_e64 v8, 0, 1, s17
	;; [unrolled: 1-line block ×3, first 2 shown]
	s_and_b32 s9, s9, s25
	s_and_b32 s10, s10, s26
	;; [unrolled: 1-line block ×4, first 2 shown]
	v_cndmask_b32_e64 v7, 0, 1, s16
	v_cndmask_b32_e64 v10, 0, 1, s19
	;; [unrolled: 1-line block ×4, first 2 shown]
	s_and_b32 s11, s11, s27
	v_cndmask_b32_e64 v50, 0, 1, s9
	v_cndmask_b32_e64 v51, 0, 1, s10
	v_cmp_ne_u32_e64 s9, 0, v4
	v_cmp_ne_u32_e64 s10, 0, v5
	s_and_b32 s24, s12, s24
	v_cndmask_b32_e64 v11, 0, 1, s20
	v_cndmask_b32_e64 v48, 0, 1, s23
	s_and_b32 s12, s12, s28
	v_cndmask_b32_e64 v52, 0, 1, s11
	v_cmp_ne_u32_e64 s11, 0, v6
	v_cmp_ne_u32_e64 s13, 0, v8
	;; [unrolled: 1-line block ×3, first 2 shown]
	v_cndmask_b32_e64 v49, 0, 1, s24
	v_cndmask_b32_e64 v53, 0, 1, s12
	v_cmp_ne_u32_e64 s12, 0, v7
	v_cmp_ne_u32_e64 s15, 0, v10
	;; [unrolled: 1-line block ×4, first 2 shown]
	s_bcnt1_i32_b32 s9, s9
	s_bcnt1_i32_b32 s10, s10
	v_cmp_ne_u32_e64 s16, 0, v11
	v_cmp_ne_u32_e64 s19, 0, v48
	;; [unrolled: 1-line block ×4, first 2 shown]
	s_bcnt1_i32_b32 s11, s11
	s_bcnt1_i32_b32 s13, s13
	;; [unrolled: 1-line block ×3, first 2 shown]
	s_add_co_i32 s9, s10, s9
	v_cmp_ne_u32_e64 s20, 0, v49
	v_cmp_ne_u32_e64 s23, 0, v52
	s_bcnt1_i32_b32 s12, s12
	s_bcnt1_i32_b32 s15, s15
	;; [unrolled: 1-line block ×4, first 2 shown]
	s_add_co_i32 s10, s14, s13
	s_add_co_i32 s9, s9, s11
	v_cmp_ne_u32_e64 s24, 0, v53
	s_bcnt1_i32_b32 s16, s16
	s_bcnt1_i32_b32 s19, s19
	;; [unrolled: 1-line block ×4, first 2 shown]
	s_add_co_i32 s13, s18, s17
	s_add_co_i32 s10, s10, s15
	;; [unrolled: 1-line block ×3, first 2 shown]
	s_bcnt1_i32_b32 s20, s20
	s_bcnt1_i32_b32 s23, s23
	s_add_co_i32 s14, s22, s21
	s_add_co_i32 s11, s13, s19
	s_add_nc_u64 s[80:81], s[80:81], s[28:29]
	s_add_co_i32 s28, s10, s16
	s_bcnt1_i32_b32 s24, s24
	s_add_co_i32 s13, s14, s23
	s_add_nc_u64 s[78:79], s[78:79], s[28:29]
	s_add_co_i32 s28, s11, s20
	v_mov_b64_e32 v[4:5], s[80:81]
	s_add_nc_u64 s[76:77], s[76:77], s[28:29]
	s_add_co_i32 s28, s13, s24
	v_mov_b64_e32 v[6:7], s[78:79]
	s_add_nc_u64 s[74:75], s[74:75], s[28:29]
	v_mov_b64_e32 v[8:9], s[76:77]
	v_mov_b64_e32 v[10:11], s[74:75]
	s_or_b32 vcc_hi, vcc_lo, vcc_hi
	s_delay_alu instid0(SALU_CYCLE_1)
	s_and_not1_b32 exec_lo, exec_lo, vcc_hi
	s_cbranch_execnz .LBB144_54
; %bb.55:                               ;   in Loop: Header=BB144_6 Depth=1
	s_or_b32 exec_lo, exec_lo, vcc_hi
.LBB144_56:                             ;   in Loop: Header=BB144_6 Depth=1
	s_delay_alu instid0(SALU_CYCLE_1) | instskip(SKIP_2) | instid1(VALU_DEP_1)
	s_or_b32 exec_lo, exec_lo, s104
	v_add_nc_u64_e32 v[36:37], s[72:73], v[0:1]
	s_mov_b32 s12, exec_lo
	v_cmpx_gt_u64_e64 s[36:37], v[36:37]
	s_cbranch_execz .LBB144_62
; %bb.57:                               ;   in Loop: Header=BB144_6 Depth=1
	v_mul_u64_e32 v[38:39], s[30:31], v[36:37]
	s_mov_b32 s13, 0
	s_delay_alu instid0(VALU_DEP_1)
	v_lshl_add_u64 v[38:39], v[38:39], 2, s[42:43]
	global_load_b32 v32, v[38:39], off
	s_branch .LBB144_59
.LBB144_58:                             ;   in Loop: Header=BB144_59 Depth=2
	s_wait_xcnt 0x0
	s_or_b32 exec_lo, exec_lo, s10
	s_wait_loadcnt 0x0
	v_xor_b32_e32 v38, 0x80000000, v32
	v_bitop3_b32 v32, v32, v47, 0x80000000 bitop3:0x48
	s_and_b32 s11, exec_lo, vcc_lo
	s_delay_alu instid0(SALU_CYCLE_1) | instskip(NEXT) | instid1(VALU_DEP_2)
	s_or_b32 s13, s11, s13
	v_bfe_u32 v38, v38, s91, 2
	s_delay_alu instid0(VALU_DEP_2) | instskip(NEXT) | instid1(VALU_DEP_2)
	v_cmp_eq_u32_e64 s9, v32, v45
	v_cmp_eq_u32_e64 s10, 0, v38
	v_cmp_eq_u32_e32 vcc_lo, 1, v38
	s_and_b32 s10, s9, s10
	s_and_b32 s11, s9, vcc_lo
	v_cndmask_b32_e64 v32, 0, 1, s10
	v_cmp_eq_u32_e64 s10, 2, v38
	v_cmp_eq_u32_e32 vcc_lo, 3, v38
	v_cndmask_b32_e64 v39, 0, 1, s11
	s_delay_alu instid0(VALU_DEP_4)
	v_cmp_ne_u32_e64 s11, 0, v32
	s_and_b32 s10, s9, s10
	s_and_b32 s9, s9, vcc_lo
	v_cndmask_b32_e64 v32, 0, 1, s10
	v_cndmask_b32_e64 v38, 0, 1, s9
	v_cmp_ne_u32_e64 s10, 0, v39
	s_bcnt1_i32_b32 s28, s11
	v_cmp_ne_u32_e32 vcc_lo, 0, v32
	v_cmp_ne_u32_e64 s9, 0, v38
	v_add_nc_u64_e32 v[4:5], s[28:29], v[4:5]
	s_bcnt1_i32_b32 s28, s10
	v_mov_b32_e32 v32, v31
	v_add_nc_u64_e32 v[6:7], s[28:29], v[6:7]
	s_bcnt1_i32_b32 s28, vcc_lo
	s_delay_alu instid0(SALU_CYCLE_1) | instskip(SKIP_1) | instid1(SALU_CYCLE_1)
	v_add_nc_u64_e32 v[8:9], s[28:29], v[8:9]
	s_bcnt1_i32_b32 s28, s9
	v_add_nc_u64_e32 v[10:11], s[28:29], v[10:11]
	s_and_not1_b32 exec_lo, exec_lo, s13
	s_cbranch_execz .LBB144_61
.LBB144_59:                             ;   Parent Loop BB144_6 Depth=1
                                        ; =>  This Inner Loop Header: Depth=2
	v_add_nc_u64_e32 v[36:37], v[36:37], v[2:3]
	v_mov_b32_e32 v31, 0
	s_mov_b32 s10, exec_lo
	s_delay_alu instid0(VALU_DEP_2)
	v_cmp_le_u64_e32 vcc_lo, s[36:37], v[36:37]
	s_wait_xcnt 0x0
	v_cmpx_gt_u64_e64 s[36:37], v[36:37]
	s_cbranch_execz .LBB144_58
; %bb.60:                               ;   in Loop: Header=BB144_59 Depth=2
	v_mul_u64_e32 v[38:39], s[30:31], v[36:37]
	s_delay_alu instid0(VALU_DEP_1)
	v_lshl_add_u64 v[38:39], v[38:39], 2, s[42:43]
	global_load_b32 v31, v[38:39], off
	s_branch .LBB144_58
.LBB144_61:                             ;   in Loop: Header=BB144_6 Depth=1
	s_or_b32 exec_lo, exec_lo, s13
.LBB144_62:                             ;   in Loop: Header=BB144_6 Depth=1
	s_delay_alu instid0(SALU_CYCLE_1)
	s_or_b32 exec_lo, exec_lo, s12
	s_branch .LBB144_41
.LBB144_63:                             ;   in Loop: Header=BB144_6 Depth=1
	global_load_u16 v2, v3, s[66:67]
	s_mov_b32 s73, s29
	v_mov_b64_e32 v[6:7], 0
	v_mov_b64_e32 v[8:9], 0
	;; [unrolled: 1-line block ×3, first 2 shown]
	s_wait_loadcnt 0x0
	v_readfirstlane_b32 s9, v2
	v_and_b32_e32 v2, 0xffff, v2
	s_and_b32 s104, 0xffff, s9
	s_delay_alu instid0(SALU_CYCLE_1) | instskip(NEXT) | instid1(SALU_CYCLE_1)
	s_lshl_b32 s70, s104, 2
	s_cvt_f32_u32 s9, s70
	s_sub_co_i32 s10, 0, s70
	s_delay_alu instid0(SALU_CYCLE_2) | instskip(SKIP_1) | instid1(TRANS32_DEP_1)
	v_rcp_iflag_f32_e32 v4, s9
	v_nop
	v_readfirstlane_b32 s9, v4
	s_mul_f32 s9, s9, 0x4f7ffffe
	s_delay_alu instid0(SALU_CYCLE_3) | instskip(NEXT) | instid1(SALU_CYCLE_3)
	s_cvt_u32_f32 s9, s9
	s_mul_i32 s10, s10, s9
	s_delay_alu instid0(SALU_CYCLE_1) | instskip(NEXT) | instid1(SALU_CYCLE_1)
	s_mul_hi_u32 s10, s9, s10
	s_add_co_i32 s9, s9, s10
	s_delay_alu instid0(SALU_CYCLE_1) | instskip(NEXT) | instid1(SALU_CYCLE_1)
	s_mul_hi_u32 s9, s68, s9
	s_mul_i32 s10, s9, s70
	s_add_co_i32 s11, s9, 1
	s_sub_co_i32 s10, s68, s10
	s_delay_alu instid0(SALU_CYCLE_1)
	s_sub_co_i32 s12, s10, s70
	s_cmp_ge_u32 s10, s70
	s_cselect_b32 s9, s11, s9
	s_cselect_b32 s10, s12, s10
	s_add_co_i32 s11, s9, 1
	s_cmp_ge_u32 s10, s70
	s_cselect_b32 s72, s11, s9
	s_delay_alu instid0(SALU_CYCLE_1) | instskip(SKIP_1) | instid1(VALU_DEP_1)
	v_mul_u64_e32 v[4:5], s[72:73], v[2:3]
	s_mov_b32 s73, exec_lo
	v_lshlrev_b64_e32 v[36:37], 2, v[4:5]
	v_mov_b64_e32 v[4:5], 0
	s_delay_alu instid0(VALU_DEP_2)
	v_cmpx_gt_u64_e64 v[36:37], v[16:17]
	s_cbranch_execz .LBB144_67
; %bb.64:                               ;   in Loop: Header=BB144_6 Depth=1
	v_mov_b64_e32 v[38:39], v[16:17]
	v_mov_b32_e32 v31, v42
	s_mov_b32 s71, s29
	s_lshl_b32 vcc_hi, s104, 4
	s_mov_b64 s[74:75], 0
	s_mov_b32 s46, 0
	s_mov_b64 s[76:77], 0
	s_mov_b64 s[78:79], 0
	;; [unrolled: 1-line block ×3, first 2 shown]
.LBB144_65:                             ;   Parent Loop BB144_6 Depth=1
                                        ; =>  This Inner Loop Header: Depth=2
	ds_load_b128 v[4:7], v31
	v_add_nc_u64_e32 v[38:39], s[70:71], v[38:39]
	v_add_nc_u32_e32 v31, vcc_hi, v31
	s_delay_alu instid0(VALU_DEP_2)
	v_cmp_ge_u64_e32 vcc_lo, v[38:39], v[36:37]
	s_wait_dscnt 0x0
	v_xor_b32_e32 v8, 0x80000000, v4
	v_xor_b32_e32 v9, 0x80000000, v5
	v_bitop3_b32 v4, v4, v47, 0x80000000 bitop3:0x48
	v_bitop3_b32 v5, v5, v47, 0x80000000 bitop3:0x48
	v_xor_b32_e32 v10, 0x80000000, v6
	v_bitop3_b32 v6, v6, v47, 0x80000000 bitop3:0x48
	v_xor_b32_e32 v11, 0x80000000, v7
	v_cmp_eq_u32_e64 s9, v4, v45
	v_cmp_eq_u32_e64 s10, v5, v45
	v_bfe_u32 v4, v8, s91, 2
	v_bfe_u32 v5, v9, s91, 2
	v_cmp_eq_u32_e64 s11, v6, v45
	v_bfe_u32 v6, v10, s91, 2
	v_bitop3_b32 v7, v7, v47, 0x80000000 bitop3:0x48
	v_bfe_u32 v8, v11, s91, 2
	v_cmp_eq_u32_e64 s13, 0, v4
	v_cmp_eq_u32_e64 s14, 0, v5
	;; [unrolled: 1-line block ×12, first 2 shown]
	s_and_b32 s13, s9, s13
	s_and_b32 s14, s10, s14
	v_cmp_eq_u32_e64 s20, 1, v8
	v_cmp_eq_u32_e64 s23, 2, v6
	;; [unrolled: 1-line block ×3, first 2 shown]
	s_and_b32 s15, s11, s15
	s_and_b32 s17, s9, s17
	;; [unrolled: 1-line block ×3, first 2 shown]
	v_cndmask_b32_e64 v4, 0, 1, s13
	v_cndmask_b32_e64 v5, 0, 1, s14
	v_cmp_eq_u32_e64 s24, 2, v8
	v_cmp_eq_u32_e64 s28, 3, v8
	s_and_b32 s16, s12, s16
	s_and_b32 s19, s11, s19
	;; [unrolled: 1-line block ×4, first 2 shown]
	v_cndmask_b32_e64 v6, 0, 1, s15
	v_cndmask_b32_e64 v8, 0, 1, s17
	;; [unrolled: 1-line block ×3, first 2 shown]
	s_and_b32 s9, s9, s25
	s_and_b32 s10, s10, s26
	;; [unrolled: 1-line block ×4, first 2 shown]
	v_cndmask_b32_e64 v7, 0, 1, s16
	v_cndmask_b32_e64 v10, 0, 1, s19
	;; [unrolled: 1-line block ×4, first 2 shown]
	s_and_b32 s11, s11, s27
	v_cndmask_b32_e64 v49, 0, 1, s9
	v_cndmask_b32_e64 v50, 0, 1, s10
	v_cmp_ne_u32_e64 s9, 0, v4
	v_cmp_ne_u32_e64 s10, 0, v5
	s_and_b32 s24, s12, s24
	v_cndmask_b32_e64 v11, 0, 1, s20
	v_cndmask_b32_e64 v41, 0, 1, s23
	s_and_b32 s12, s12, s28
	v_cndmask_b32_e64 v51, 0, 1, s11
	v_cmp_ne_u32_e64 s11, 0, v6
	v_cmp_ne_u32_e64 s13, 0, v8
	;; [unrolled: 1-line block ×3, first 2 shown]
	v_cndmask_b32_e64 v48, 0, 1, s24
	v_cndmask_b32_e64 v52, 0, 1, s12
	v_cmp_ne_u32_e64 s12, 0, v7
	v_cmp_ne_u32_e64 s15, 0, v10
	;; [unrolled: 1-line block ×4, first 2 shown]
	s_bcnt1_i32_b32 s9, s9
	s_bcnt1_i32_b32 s10, s10
	v_cmp_ne_u32_e64 s16, 0, v11
	v_cmp_ne_u32_e64 s19, 0, v41
	;; [unrolled: 1-line block ×4, first 2 shown]
	s_bcnt1_i32_b32 s11, s11
	s_bcnt1_i32_b32 s13, s13
	;; [unrolled: 1-line block ×3, first 2 shown]
	s_add_co_i32 s9, s10, s9
	v_cmp_ne_u32_e64 s20, 0, v48
	v_cmp_ne_u32_e64 s23, 0, v51
	s_bcnt1_i32_b32 s12, s12
	s_bcnt1_i32_b32 s15, s15
	;; [unrolled: 1-line block ×4, first 2 shown]
	s_add_co_i32 s10, s14, s13
	s_add_co_i32 s9, s9, s11
	v_cmp_ne_u32_e64 s24, 0, v52
	s_bcnt1_i32_b32 s16, s16
	s_bcnt1_i32_b32 s19, s19
	s_bcnt1_i32_b32 s21, s21
	s_bcnt1_i32_b32 s22, s22
	s_add_co_i32 s13, s18, s17
	s_add_co_i32 s10, s10, s15
	;; [unrolled: 1-line block ×3, first 2 shown]
	s_bcnt1_i32_b32 s20, s20
	s_bcnt1_i32_b32 s23, s23
	s_add_co_i32 s14, s22, s21
	s_add_co_i32 s11, s13, s19
	s_add_nc_u64 s[80:81], s[80:81], s[28:29]
	s_add_co_i32 s28, s10, s16
	s_bcnt1_i32_b32 s24, s24
	s_add_co_i32 s13, s14, s23
	s_add_nc_u64 s[78:79], s[78:79], s[28:29]
	s_add_co_i32 s28, s11, s20
	v_mov_b64_e32 v[4:5], s[80:81]
	s_add_nc_u64 s[76:77], s[76:77], s[28:29]
	s_add_co_i32 s28, s13, s24
	v_mov_b64_e32 v[6:7], s[78:79]
	s_add_nc_u64 s[74:75], s[74:75], s[28:29]
	v_mov_b64_e32 v[8:9], s[76:77]
	v_mov_b64_e32 v[10:11], s[74:75]
	s_or_b32 s46, vcc_lo, s46
	s_delay_alu instid0(SALU_CYCLE_1)
	s_and_not1_b32 exec_lo, exec_lo, s46
	s_cbranch_execnz .LBB144_65
; %bb.66:                               ;   in Loop: Header=BB144_6 Depth=1
	s_or_b32 exec_lo, exec_lo, s46
.LBB144_67:                             ;   in Loop: Header=BB144_6 Depth=1
	s_delay_alu instid0(SALU_CYCLE_1) | instskip(SKIP_3) | instid1(VALU_DEP_1)
	s_or_b32 exec_lo, exec_lo, s73
	v_add_nc_u64_e32 v[36:37], v[36:37], v[0:1]
	s_and_b64 s[14:15], s[68:69], 0x7fffffff
	s_mov_b32 s16, exec_lo
	v_cmpx_gt_u64_e64 s[14:15], v[36:37]
	s_cbranch_execz .LBB144_71
; %bb.68:                               ;   in Loop: Header=BB144_6 Depth=1
	s_mul_i32 s9, s72, s104
	s_mov_b32 s17, 0
	v_lshl_add_u32 v31, s9, 4, v16
.LBB144_69:                             ;   Parent Loop BB144_6 Depth=1
                                        ; =>  This Inner Loop Header: Depth=2
	ds_load_b32 v32, v31
	v_add_nc_u64_e32 v[36:37], v[36:37], v[2:3]
	v_add_nc_u32_e32 v31, s70, v31
	s_delay_alu instid0(VALU_DEP_2) | instskip(SKIP_3) | instid1(VALU_DEP_2)
	v_cmp_le_u64_e32 vcc_lo, s[14:15], v[36:37]
	s_wait_dscnt 0x0
	v_xor_b32_e32 v38, 0x80000000, v32
	v_bitop3_b32 v32, v32, v47, 0x80000000 bitop3:0x48
	v_bfe_u32 v38, v38, s91, 2
	s_delay_alu instid0(VALU_DEP_2) | instskip(NEXT) | instid1(VALU_DEP_2)
	v_cmp_eq_u32_e64 s9, v32, v45
	v_cmp_eq_u32_e64 s10, 0, v38
	;; [unrolled: 1-line block ×5, first 2 shown]
	s_and_b32 s10, s9, s10
	s_delay_alu instid0(SALU_CYCLE_1) | instskip(SKIP_1) | instid1(SALU_CYCLE_1)
	v_cndmask_b32_e64 v32, 0, 1, s10
	s_and_b32 s10, s9, s11
	v_cndmask_b32_e64 v38, 0, 1, s10
	s_and_b32 s10, s9, s12
	s_and_b32 s9, s9, s13
	v_cndmask_b32_e64 v39, 0, 1, s10
	v_cndmask_b32_e64 v40, 0, 1, s9
	v_cmp_ne_u32_e64 s9, 0, v32
	v_cmp_ne_u32_e64 s10, 0, v38
	s_delay_alu instid0(VALU_DEP_4) | instskip(NEXT) | instid1(VALU_DEP_4)
	v_cmp_ne_u32_e64 s11, 0, v39
	v_cmp_ne_u32_e64 s12, 0, v40
	s_bcnt1_i32_b32 s28, s9
	s_delay_alu instid0(SALU_CYCLE_1) | instskip(SKIP_1) | instid1(SALU_CYCLE_1)
	v_add_nc_u64_e32 v[4:5], s[28:29], v[4:5]
	s_bcnt1_i32_b32 s28, s10
	v_add_nc_u64_e32 v[6:7], s[28:29], v[6:7]
	s_bcnt1_i32_b32 s28, s11
	s_delay_alu instid0(SALU_CYCLE_1)
	v_add_nc_u64_e32 v[8:9], s[28:29], v[8:9]
	s_bcnt1_i32_b32 s28, s12
	s_or_b32 s17, vcc_lo, s17
	v_add_nc_u64_e32 v[10:11], s[28:29], v[10:11]
	s_and_not1_b32 exec_lo, exec_lo, s17
	s_cbranch_execnz .LBB144_69
; %bb.70:                               ;   in Loop: Header=BB144_6 Depth=1
	s_or_b32 exec_lo, exec_lo, s17
.LBB144_71:                             ;   in Loop: Header=BB144_6 Depth=1
	s_delay_alu instid0(SALU_CYCLE_1)
	s_or_b32 exec_lo, exec_lo, s16
	s_lshl_b32 s9, s94, 7
	s_and_saveexec_b32 s10, s2
	s_cbranch_execnz .LBB144_42
	s_branch .LBB144_43
.LBB144_72:                             ;   in Loop: Header=BB144_6 Depth=1
                                        ; implicit-def: $sgpr10_sgpr11
	s_branch .LBB144_51
.LBB144_73:                             ;   in Loop: Header=BB144_6 Depth=1
	s_mov_b32 s11, 0
	s_and_not1_b32 vcc_lo, exec_lo, s88
	s_cbranch_vccnz .LBB144_76
.LBB144_74:                             ;   in Loop: Header=BB144_6 Depth=1
	s_lshl_b32 s12, s94, 10
	s_lshl_b32 s11, s11, 5
	s_delay_alu instid0(SALU_CYCLE_1)
	v_add3_u32 v2, s12, s11, v46
	s_mov_b32 s11, s85
.LBB144_75:                             ;   Parent Loop BB144_6 Depth=1
                                        ; =>  This Inner Loop Header: Depth=2
	ds_load_b64 v[6:7], v2
	v_add_nc_u32_e32 v2, 32, v2
	s_add_co_i32 s11, s11, -1
	s_delay_alu instid0(SALU_CYCLE_1)
	s_cmp_lg_u32 s11, 0
	s_wait_dscnt 0x0
	v_add_nc_u64_e32 v[4:5], v[6:7], v[4:5]
	s_cbranch_scc1 .LBB144_75
.LBB144_76:                             ;   in Loop: Header=BB144_6 Depth=1
	v_add_lshl_u32 v2, s9, v13, 3
	ds_store_b64 v2, v[4:5] offset:3072
.LBB144_77:                             ;   in Loop: Header=BB144_6 Depth=1
	s_or_b32 exec_lo, exec_lo, s10
	s_lshl_b32 s9, s9, 3
	s_wait_dscnt 0x0
	v_mov_b32_e32 v2, s9
	s_barrier_signal -1
	s_barrier_wait -1
	v_cmp_eq_u64_e64 s9, 1, v[34:35]
	ds_load_b128 v[4:7], v2 offset:3072
	ds_load_b128 v[8:11], v2 offset:3088
	s_lshl_b32 s24, 3, s91
	s_mov_b32 s71, -1
	s_not_b32 s25, s24
	s_mov_b32 s26, 0
	s_and_not1_b32 vcc_lo, exec_lo, s83
	s_mov_b32 s68, 0
	s_mov_b32 s27, 0
                                        ; implicit-def: $sgpr69
                                        ; implicit-def: $sgpr70
                                        ; implicit-def: $vgpr2
                                        ; implicit-def: $vgpr32
                                        ; implicit-def: $vgpr36
	s_wait_dscnt 0x1
	v_readfirstlane_b32 s13, v5
	v_readfirstlane_b32 s12, v4
	;; [unrolled: 1-line block ×4, first 2 shown]
	s_wait_dscnt 0x0
	v_readfirstlane_b32 s17, v9
	v_readfirstlane_b32 s16, v8
	;; [unrolled: 1-line block ×4, first 2 shown]
                                        ; implicit-def: $vgpr4_vgpr5
                                        ; implicit-def: $vgpr7
	s_cbranch_vccnz .LBB144_272
; %bb.78:                               ;   in Loop: Header=BB144_6 Depth=1
	s_cmp_eq_u64 s[12:13], 1
	v_dual_mov_b32 v32, v45 :: v_dual_mov_b32 v36, v47
	v_mov_b32_e32 v7, v33
	s_cselect_b32 s10, -1, 0
                                        ; implicit-def: $sgpr70
                                        ; implicit-def: $sgpr69
	s_delay_alu instid0(SALU_CYCLE_1)
	s_and_b32 s73, s10, s9
	s_mov_b32 s10, -1
	s_and_saveexec_b32 s27, s73
	s_cbranch_execz .LBB144_113
; %bb.79:                               ;   in Loop: Header=BB144_6 Depth=1
	ds_load_b64 v[4:5], v3 offset:5120
	s_wait_dscnt 0x0
	s_barrier_signal -1
	s_barrier_wait -1
	v_readfirstlane_b32 s10, v4
	v_readfirstlane_b32 s11, v5
	s_and_saveexec_b32 s20, s6
; %bb.80:                               ;   in Loop: Header=BB144_6 Depth=1
	ds_store_b32 v43, v3
; %bb.81:                               ;   in Loop: Header=BB144_6 Depth=1
	s_or_b32 exec_lo, exec_lo, s20
	v_and_b32_e32 v32, s25, v45
	v_or_b32_e32 v36, s24, v47
	s_mov_b32 s69, -1
	s_mov_b32 s70, 0
	s_cmp_eq_u64 s[10:11], 0
	s_mov_b32 s22, 0
	s_mov_b32 s23, -1
	s_wait_dscnt 0x0
	s_barrier_signal -1
	s_barrier_wait -1
                                        ; implicit-def: $vgpr7
	s_cbranch_scc1 .LBB144_98
; %bb.82:                               ;   in Loop: Header=BB144_6 Depth=1
	s_add_nc_u64 s[20:21], s[10:11], s[54:55]
	s_delay_alu instid0(SALU_CYCLE_1) | instskip(NEXT) | instid1(SALU_CYCLE_1)
	s_and_b64 s[22:23], s[20:21], 0xffffffff00000000
	s_cmp_lg_u64 s[22:23], 0
	s_cbranch_scc0 .LBB144_139
; %bb.83:                               ;   in Loop: Header=BB144_6 Depth=1
	s_cvt_f32_u32 s22, s34
	s_sub_nc_u64 s[46:47], 0, s[34:35]
	s_delay_alu instid0(SALU_CYCLE_2) | instskip(NEXT) | instid1(SALU_CYCLE_3)
	s_fmamk_f32 s22, s90, 0x0, s22
	v_s_rcp_f32 s22, s22
	s_delay_alu instid0(TRANS32_DEP_1) | instskip(NEXT) | instid1(SALU_CYCLE_3)
	s_mul_f32 s22, s22, 0x5f7ffffc
	s_mul_f32 s23, s22, 0x2f800000
	s_delay_alu instid0(SALU_CYCLE_3) | instskip(NEXT) | instid1(SALU_CYCLE_3)
	s_trunc_f32 s23, s23
	s_fmamk_f32 s22, s23, 0xcf800000, s22
	s_cvt_u32_f32 s23, s23
	s_delay_alu instid0(SALU_CYCLE_2) | instskip(NEXT) | instid1(SALU_CYCLE_3)
	s_cvt_u32_f32 s22, s22
	s_mul_u64 s[48:49], s[46:47], s[22:23]
	s_delay_alu instid0(SALU_CYCLE_1)
	s_mul_hi_u32 s51, s22, s49
	s_mul_i32 s50, s22, s49
	s_mul_hi_u32 s28, s22, s48
	s_mul_i32 s53, s23, s48
	s_add_nc_u64 s[50:51], s[28:29], s[50:51]
	s_mul_hi_u32 s52, s23, s48
	s_mul_hi_u32 s68, s23, s49
	s_add_co_u32 s28, s50, s53
	s_add_co_ci_u32 s28, s51, s52
	s_mul_i32 s48, s23, s49
	s_add_co_ci_u32 s49, s68, 0
	s_delay_alu instid0(SALU_CYCLE_1) | instskip(NEXT) | instid1(SALU_CYCLE_1)
	s_add_nc_u64 s[48:49], s[28:29], s[48:49]
	s_add_co_u32 s22, s22, s48
	s_cselect_b32 s28, -1, 0
	s_delay_alu instid0(SALU_CYCLE_1) | instskip(SKIP_1) | instid1(SALU_CYCLE_1)
	s_cmp_lg_u32 s28, 0
	s_add_co_ci_u32 s23, s23, s49
	s_mul_u64 s[46:47], s[46:47], s[22:23]
	s_delay_alu instid0(SALU_CYCLE_1)
	s_mul_hi_u32 s49, s22, s47
	s_mul_i32 s48, s22, s47
	s_mul_hi_u32 s28, s22, s46
	s_mul_i32 s51, s23, s46
	s_add_nc_u64 s[48:49], s[28:29], s[48:49]
	s_mul_hi_u32 s50, s23, s46
	s_mul_hi_u32 s52, s23, s47
	s_add_co_u32 s28, s48, s51
	s_add_co_ci_u32 s28, s49, s50
	s_mul_i32 s46, s23, s47
	s_add_co_ci_u32 s47, s52, 0
	s_delay_alu instid0(SALU_CYCLE_1) | instskip(NEXT) | instid1(SALU_CYCLE_1)
	s_add_nc_u64 s[46:47], s[28:29], s[46:47]
	s_add_co_u32 s22, s22, s46
	s_cselect_b32 s46, -1, 0
	s_mul_hi_u32 s28, s20, s22
	s_cmp_lg_u32 s46, 0
	s_mul_hi_u32 s48, s21, s22
	s_add_co_ci_u32 s46, s23, s47
	s_mul_i32 s47, s21, s22
	s_mul_hi_u32 s23, s20, s46
	s_mul_i32 s22, s20, s46
	s_mul_hi_u32 s49, s21, s46
	s_add_nc_u64 s[22:23], s[28:29], s[22:23]
	s_mul_i32 s46, s21, s46
	s_add_co_u32 s22, s22, s47
	s_add_co_ci_u32 s28, s23, s48
	s_add_co_ci_u32 s47, s49, 0
	s_delay_alu instid0(SALU_CYCLE_1) | instskip(NEXT) | instid1(SALU_CYCLE_1)
	s_add_nc_u64 s[22:23], s[28:29], s[46:47]
	s_and_b64 s[46:47], s[22:23], 0xffffffff00000000
	s_delay_alu instid0(SALU_CYCLE_1) | instskip(NEXT) | instid1(SALU_CYCLE_1)
	s_or_b32 s46, s46, s22
	s_mul_u64 s[22:23], s[34:35], s[46:47]
	s_delay_alu instid0(SALU_CYCLE_1) | instskip(SKIP_1) | instid1(SALU_CYCLE_1)
	s_sub_co_u32 s22, s20, s22
	s_cselect_b32 s28, -1, 0
	s_cmp_lg_u32 s28, 0
	s_sub_co_ci_u32 s23, s21, s23
	s_sub_co_u32 s28, s22, s34
	s_cselect_b32 s46, -1, 0
	s_delay_alu instid0(SALU_CYCLE_1) | instskip(SKIP_3) | instid1(SALU_CYCLE_1)
	s_cmp_lg_u32 s46, 0
	s_sub_co_ci_u32 s46, s23, 0
	s_sub_co_u32 s47, s28, s34
	s_cselect_b32 s48, -1, 0
	s_cmp_lg_u32 s48, 0
	s_sub_co_ci_u32 s48, s46, 0
	s_cmp_ge_u32 s28, s34
	s_cselect_b32 s49, -1, 0
	s_cmp_eq_u32 s46, 0
	s_cselect_b32 s49, s49, -1
	s_delay_alu instid0(SALU_CYCLE_1)
	s_cmp_lg_u32 s49, 0
	s_cselect_b32 s46, s48, s46
	s_cselect_b32 s28, s47, s28
	s_cmp_ge_u32 s22, s34
	s_cselect_b32 s47, -1, 0
	s_cmp_eq_u32 s23, 0
	s_cselect_b32 s47, s47, -1
	s_delay_alu instid0(SALU_CYCLE_1)
	s_cmp_lg_u32 s47, 0
	s_cselect_b32 s23, s46, s23
	s_cselect_b32 s22, s28, s22
	s_cbranch_execnz .LBB144_85
.LBB144_84:                             ;   in Loop: Header=BB144_6 Depth=1
	v_cvt_f32_u32_e32 v2, s34
	s_sub_co_i32 s23, 0, s34
	s_delay_alu instid0(VALU_DEP_1) | instskip(SKIP_1) | instid1(TRANS32_DEP_1)
	v_rcp_iflag_f32_e32 v2, v2
	v_nop
	v_mul_f32_e32 v2, 0x4f7ffffe, v2
	s_delay_alu instid0(VALU_DEP_1) | instskip(NEXT) | instid1(VALU_DEP_1)
	v_cvt_u32_f32_e32 v2, v2
	v_readfirstlane_b32 s22, v2
	s_mul_i32 s23, s23, s22
	s_delay_alu instid0(SALU_CYCLE_1) | instskip(NEXT) | instid1(SALU_CYCLE_1)
	s_mul_hi_u32 s23, s22, s23
	s_add_co_i32 s22, s22, s23
	s_delay_alu instid0(SALU_CYCLE_1) | instskip(NEXT) | instid1(SALU_CYCLE_1)
	s_mul_hi_u32 s22, s20, s22
	s_mul_i32 s22, s22, s34
	s_delay_alu instid0(SALU_CYCLE_1) | instskip(NEXT) | instid1(SALU_CYCLE_1)
	s_sub_co_i32 s22, s20, s22
	s_sub_co_i32 s23, s22, s34
	s_cmp_ge_u32 s22, s34
	s_cselect_b32 s22, s23, s22
	s_delay_alu instid0(SALU_CYCLE_1) | instskip(SKIP_2) | instid1(SALU_CYCLE_1)
	s_sub_co_i32 s23, s22, s34
	s_cmp_ge_u32 s22, s34
	s_cselect_b32 s28, s23, s22
	s_mov_b64 s[22:23], s[28:29]
.LBB144_85:                             ;   in Loop: Header=BB144_6 Depth=1
	s_delay_alu instid0(SALU_CYCLE_1)
	s_sub_nc_u64 s[20:21], s[20:21], s[22:23]
	s_mov_b32 s23, 0
	s_mov_b32 s22, 0
	s_mov_b32 s28, exec_lo
                                        ; implicit-def: $vgpr7
	v_cmpx_gt_u64_e64 s[20:21], v[0:1]
	s_cbranch_execz .LBB144_97
; %bb.86:                               ;   in Loop: Header=BB144_6 Depth=1
	v_mov_b64_e32 v[4:5], v[0:1]
	v_mov_b32_e32 v2, v16
                                        ; implicit-def: $sgpr46
	s_branch .LBB144_89
.LBB144_87:                             ;   in Loop: Header=BB144_89 Depth=2
	s_or_b32 exec_lo, exec_lo, s47
	s_wait_dscnt 0x0
	s_barrier_signal -1
	s_barrier_wait -1
	ds_load_b64 v[6:7], v3 offset:3072
	s_mov_b32 s47, -1
	s_mov_b32 s68, -1
	s_wait_dscnt 0x0
	s_barrier_signal -1
	s_barrier_wait -1
	v_cmp_ne_u32_e32 vcc_lo, 0, v6
	s_cbranch_vccz .LBB144_92
.LBB144_88:                             ;   in Loop: Header=BB144_89 Depth=2
	s_and_b32 s47, exec_lo, s47
	s_delay_alu instid0(SALU_CYCLE_1) | instskip(SKIP_2) | instid1(SALU_CYCLE_1)
	s_or_b32 s22, s47, s22
	s_and_not1_b32 s46, s46, exec_lo
	s_and_b32 s47, s68, exec_lo
	s_or_b32 s46, s46, s47
	s_and_not1_b32 exec_lo, exec_lo, s22
	s_cbranch_execz .LBB144_96
.LBB144_89:                             ;   Parent Loop BB144_6 Depth=1
                                        ; =>  This Inner Loop Header: Depth=2
	s_mov_b32 s47, exec_lo
	s_delay_alu instid0(VALU_DEP_2)
	v_cmpx_gt_u64_e64 s[10:11], v[4:5]
	s_cbranch_execz .LBB144_87
; %bb.90:                               ;   in Loop: Header=BB144_89 Depth=2
	ds_load_b32 v31, v2
	s_wait_dscnt 0x0
	v_bitop3_b32 v6, v31, v36, 0x80000000 bitop3:0x48
	s_delay_alu instid0(VALU_DEP_1)
	v_cmp_eq_u32_e32 vcc_lo, v6, v32
	s_and_b32 exec_lo, exec_lo, vcc_lo
	s_cbranch_execz .LBB144_87
; %bb.91:                               ;   in Loop: Header=BB144_89 Depth=2
	ds_store_b64 v3, v[30:31] offset:3072
	s_branch .LBB144_87
.LBB144_92:                             ;   in Loop: Header=BB144_89 Depth=2
	v_add_nc_u64_e32 v[4:5], s[34:35], v[4:5]
	v_add_nc_u32_e32 v2, s89, v2
	s_mov_b32 s68, 0
	s_delay_alu instid0(VALU_DEP_2)
	v_cmp_le_u64_e32 vcc_lo, s[20:21], v[4:5]
	s_or_not1_b32 s47, vcc_lo, exec_lo
	s_branch .LBB144_88
.LBB144_93:                             ;   in Loop: Header=BB144_6 Depth=1
	s_or_b32 exec_lo, exec_lo, s12
	s_wait_dscnt 0x0
	s_barrier_signal -1
	s_barrier_wait -1
	s_and_saveexec_b32 s9, s5
	s_cbranch_execz .LBB144_95
; %bb.94:                               ;   in Loop: Header=BB144_6 Depth=1
	ds_load_b32 v4, v3 offset:5144
	s_wait_dscnt 0x0
	v_ashrrev_i32_e32 v5, 31, v4
	ds_store_b64 v3, v[4:5] offset:5120
.LBB144_95:                             ;   in Loop: Header=BB144_6 Depth=1
	s_or_b32 exec_lo, exec_lo, s9
	s_wait_dscnt 0x0
	s_barrier_signal -1
	s_mov_b32 s9, -1
	s_barrier_wait -1
	s_and_b32 vcc_lo, exec_lo, s11
	s_cbranch_vccnz .LBB144_22
	s_branch .LBB144_37
.LBB144_96:                             ;   in Loop: Header=BB144_6 Depth=1
	s_or_b32 exec_lo, exec_lo, s22
	s_delay_alu instid0(SALU_CYCLE_1)
	s_and_b32 s22, s46, exec_lo
.LBB144_97:                             ;   in Loop: Header=BB144_6 Depth=1
	s_or_b32 exec_lo, exec_lo, s28
.LBB144_98:                             ;   in Loop: Header=BB144_6 Depth=1
	s_delay_alu instid0(SALU_CYCLE_1)
	s_and_b32 vcc_lo, exec_lo, s23
	s_cbranch_vccz .LBB144_112
; %bb.99:                               ;   in Loop: Header=BB144_6 Depth=1
	s_and_b64 s[10:11], s[56:57], 0xffffffff00000000
	s_delay_alu instid0(SALU_CYCLE_1)
	s_cmp_lg_u64 s[10:11], 0
	s_cbranch_scc0 .LBB144_140
; %bb.100:                              ;   in Loop: Header=BB144_6 Depth=1
	s_cvt_f32_u32 s10, s34
	s_sub_nc_u64 s[20:21], 0, s[34:35]
	s_delay_alu instid0(SALU_CYCLE_2) | instskip(NEXT) | instid1(SALU_CYCLE_3)
	s_fmamk_f32 s10, s90, 0x0, s10
	v_s_rcp_f32 s10, s10
	s_delay_alu instid0(TRANS32_DEP_1) | instskip(NEXT) | instid1(SALU_CYCLE_3)
	s_mul_f32 s10, s10, 0x5f7ffffc
	s_mul_f32 s11, s10, 0x2f800000
	s_delay_alu instid0(SALU_CYCLE_3) | instskip(NEXT) | instid1(SALU_CYCLE_3)
	s_trunc_f32 s11, s11
	s_fmamk_f32 s10, s11, 0xcf800000, s10
	s_cvt_u32_f32 s11, s11
	s_delay_alu instid0(SALU_CYCLE_2) | instskip(NEXT) | instid1(SALU_CYCLE_3)
	s_cvt_u32_f32 s10, s10
	s_mul_u64 s[46:47], s[20:21], s[10:11]
	s_delay_alu instid0(SALU_CYCLE_1)
	s_mul_hi_u32 s49, s10, s47
	s_mul_i32 s48, s10, s47
	s_mul_hi_u32 s28, s10, s46
	s_mul_i32 s50, s11, s46
	s_add_nc_u64 s[48:49], s[28:29], s[48:49]
	s_mul_hi_u32 s23, s11, s46
	s_mul_hi_u32 s51, s11, s47
	s_add_co_u32 s28, s48, s50
	s_add_co_ci_u32 s28, s49, s23
	s_mul_i32 s46, s11, s47
	s_add_co_ci_u32 s47, s51, 0
	s_delay_alu instid0(SALU_CYCLE_1) | instskip(NEXT) | instid1(SALU_CYCLE_1)
	s_add_nc_u64 s[46:47], s[28:29], s[46:47]
	s_add_co_u32 s10, s10, s46
	s_cselect_b32 s23, -1, 0
	s_delay_alu instid0(SALU_CYCLE_1) | instskip(SKIP_1) | instid1(SALU_CYCLE_1)
	s_cmp_lg_u32 s23, 0
	s_add_co_ci_u32 s11, s11, s47
	s_mul_u64 s[20:21], s[20:21], s[10:11]
	s_delay_alu instid0(SALU_CYCLE_1)
	s_mul_hi_u32 s47, s10, s21
	s_mul_i32 s46, s10, s21
	s_mul_hi_u32 s28, s10, s20
	s_mul_i32 s48, s11, s20
	s_add_nc_u64 s[46:47], s[28:29], s[46:47]
	s_mul_hi_u32 s23, s11, s20
	s_mul_hi_u32 s49, s11, s21
	s_mul_i32 s20, s11, s21
	s_add_co_u32 s21, s46, s48
	s_add_co_ci_u32 s28, s47, s23
	s_add_co_ci_u32 s21, s49, 0
	s_delay_alu instid0(SALU_CYCLE_1) | instskip(NEXT) | instid1(SALU_CYCLE_1)
	s_add_nc_u64 s[20:21], s[28:29], s[20:21]
	s_add_co_u32 s10, s10, s20
	s_cselect_b32 s20, -1, 0
	s_mul_hi_u32 s28, s56, s10
	s_cmp_lg_u32 s20, 0
	s_mul_hi_u32 s23, s57, s10
	s_add_co_ci_u32 s20, s11, s21
	s_mul_i32 s21, s57, s10
	s_mul_hi_u32 s11, s56, s20
	s_mul_i32 s10, s56, s20
	s_mul_hi_u32 s46, s57, s20
	s_add_nc_u64 s[10:11], s[28:29], s[10:11]
	s_mul_i32 s20, s57, s20
	s_add_co_u32 s10, s10, s21
	s_add_co_ci_u32 s28, s11, s23
	s_add_co_ci_u32 s21, s46, 0
	s_delay_alu instid0(SALU_CYCLE_1) | instskip(NEXT) | instid1(SALU_CYCLE_1)
	s_add_nc_u64 s[10:11], s[28:29], s[20:21]
	s_and_b64 s[20:21], s[10:11], 0xffffffff00000000
	s_delay_alu instid0(SALU_CYCLE_1) | instskip(NEXT) | instid1(SALU_CYCLE_1)
	s_or_b32 s20, s20, s10
	s_mul_u64 s[10:11], s[34:35], s[20:21]
	s_delay_alu instid0(SALU_CYCLE_1) | instskip(SKIP_1) | instid1(SALU_CYCLE_1)
	s_sub_co_u32 s10, s56, s10
	s_cselect_b32 s20, -1, 0
	s_cmp_lg_u32 s20, 0
	s_sub_co_ci_u32 s11, s57, s11
	s_sub_co_u32 s20, s10, s34
	s_cselect_b32 s21, -1, 0
	s_delay_alu instid0(SALU_CYCLE_1) | instskip(SKIP_3) | instid1(SALU_CYCLE_1)
	s_cmp_lg_u32 s21, 0
	s_sub_co_ci_u32 s21, s11, 0
	s_sub_co_u32 s23, s20, s34
	s_cselect_b32 s28, -1, 0
	s_cmp_lg_u32 s28, 0
	s_sub_co_ci_u32 s28, s21, 0
	s_cmp_ge_u32 s20, s34
	s_cselect_b32 s46, -1, 0
	s_cmp_eq_u32 s21, 0
	s_cselect_b32 s46, s46, -1
	s_delay_alu instid0(SALU_CYCLE_1)
	s_cmp_lg_u32 s46, 0
	s_cselect_b32 s21, s28, s21
	s_cselect_b32 s20, s23, s20
	s_cmp_ge_u32 s10, s34
	s_cselect_b32 s23, -1, 0
	s_cmp_eq_u32 s11, 0
	s_cselect_b32 s23, s23, -1
	s_delay_alu instid0(SALU_CYCLE_1)
	s_cmp_lg_u32 s23, 0
	s_cselect_b32 s11, s21, s11
	s_cselect_b32 s10, s20, s10
	s_cbranch_execnz .LBB144_102
.LBB144_101:                            ;   in Loop: Header=BB144_6 Depth=1
	v_cvt_f32_u32_e32 v2, s34
	s_sub_co_i32 s11, 0, s34
	s_delay_alu instid0(VALU_DEP_1) | instskip(SKIP_1) | instid1(TRANS32_DEP_1)
	v_rcp_iflag_f32_e32 v2, v2
	v_nop
	v_mul_f32_e32 v2, 0x4f7ffffe, v2
	s_delay_alu instid0(VALU_DEP_1) | instskip(NEXT) | instid1(VALU_DEP_1)
	v_cvt_u32_f32_e32 v2, v2
	v_readfirstlane_b32 s10, v2
	s_mul_i32 s11, s11, s10
	s_delay_alu instid0(SALU_CYCLE_1) | instskip(NEXT) | instid1(SALU_CYCLE_1)
	s_mul_hi_u32 s11, s10, s11
	s_add_co_i32 s10, s10, s11
	s_delay_alu instid0(SALU_CYCLE_1) | instskip(NEXT) | instid1(SALU_CYCLE_1)
	s_mul_hi_u32 s10, s56, s10
	s_mul_i32 s10, s10, s34
	s_delay_alu instid0(SALU_CYCLE_1) | instskip(NEXT) | instid1(SALU_CYCLE_1)
	s_sub_co_i32 s10, s56, s10
	s_sub_co_i32 s11, s10, s34
	s_cmp_ge_u32 s10, s34
	s_cselect_b32 s10, s11, s10
	s_delay_alu instid0(SALU_CYCLE_1) | instskip(SKIP_2) | instid1(SALU_CYCLE_1)
	s_sub_co_i32 s11, s10, s34
	s_cmp_ge_u32 s10, s34
	s_cselect_b32 s28, s11, s10
	s_mov_b64 s[10:11], s[28:29]
.LBB144_102:                            ;   in Loop: Header=BB144_6 Depth=1
	s_delay_alu instid0(SALU_CYCLE_1)
	s_sub_nc_u64 s[10:11], s[56:57], s[10:11]
	s_mov_b32 s20, exec_lo
                                        ; implicit-def: $vgpr7
	v_nop
	v_cmpx_gt_u64_e64 s[10:11], v[0:1]
	s_cbranch_execz .LBB144_111
; %bb.103:                              ;   in Loop: Header=BB144_6 Depth=1
	v_mov_b64_e32 v[4:5], v[14:15]
	v_mov_b64_e32 v[8:9], v[0:1]
	s_mov_b32 s21, 0
                                        ; implicit-def: $sgpr23
	s_branch .LBB144_106
.LBB144_104:                            ;   in Loop: Header=BB144_106 Depth=2
	s_or_b32 exec_lo, exec_lo, s28
	s_wait_dscnt 0x0
	s_barrier_signal -1
	s_barrier_wait -1
	ds_load_b64 v[6:7], v3 offset:3072
	s_mov_b32 s28, -1
	s_mov_b32 s46, -1
	s_wait_dscnt 0x0
	s_barrier_signal -1
	s_barrier_wait -1
	v_cmp_ne_u32_e32 vcc_lo, 0, v6
	s_cbranch_vccz .LBB144_109
.LBB144_105:                            ;   in Loop: Header=BB144_106 Depth=2
	s_and_b32 s28, exec_lo, s28
	s_delay_alu instid0(SALU_CYCLE_1) | instskip(SKIP_2) | instid1(SALU_CYCLE_1)
	s_or_b32 s21, s28, s21
	s_and_not1_b32 s23, s23, exec_lo
	s_and_b32 s28, s46, exec_lo
	s_or_b32 s23, s23, s28
	s_and_not1_b32 exec_lo, exec_lo, s21
	s_cbranch_execz .LBB144_110
.LBB144_106:                            ;   Parent Loop BB144_6 Depth=1
                                        ; =>  This Inner Loop Header: Depth=2
	s_mov_b32 s28, exec_lo
	s_delay_alu instid0(VALU_DEP_1)
	v_cmpx_gt_u64_e64 s[36:37], v[8:9]
	s_cbranch_execz .LBB144_104
; %bb.107:                              ;   in Loop: Header=BB144_106 Depth=2
	global_load_b32 v31, v[4:5], off
	s_wait_loadcnt 0x0
	v_bitop3_b32 v2, v31, v36, 0x80000000 bitop3:0x48
	s_delay_alu instid0(VALU_DEP_1)
	v_cmp_eq_u32_e32 vcc_lo, v2, v32
	s_and_b32 exec_lo, exec_lo, vcc_lo
	s_cbranch_execz .LBB144_104
; %bb.108:                              ;   in Loop: Header=BB144_106 Depth=2
	ds_store_b64 v3, v[30:31] offset:3072
	s_branch .LBB144_104
.LBB144_109:                            ;   in Loop: Header=BB144_106 Depth=2
	v_add_nc_u64_e32 v[8:9], s[34:35], v[8:9]
	v_add_nc_u64_e32 v[4:5], s[40:41], v[4:5]
	s_mov_b32 s46, 0
	s_delay_alu instid0(VALU_DEP_2)
	v_cmp_le_u64_e32 vcc_lo, s[10:11], v[8:9]
	s_or_not1_b32 s28, vcc_lo, exec_lo
	s_branch .LBB144_105
.LBB144_110:                            ;   in Loop: Header=BB144_6 Depth=1
	s_or_b32 exec_lo, exec_lo, s21
	s_delay_alu instid0(SALU_CYCLE_1) | instskip(SKIP_1) | instid1(SALU_CYCLE_1)
	s_and_not1_b32 s10, s22, exec_lo
	s_and_b32 s11, s23, exec_lo
	s_or_b32 s22, s10, s11
.LBB144_111:                            ;   in Loop: Header=BB144_6 Depth=1
	s_or_b32 exec_lo, exec_lo, s20
	s_mov_b32 s69, 0
	s_mov_b32 s70, -1
.LBB144_112:                            ;   in Loop: Header=BB144_6 Depth=1
	s_or_not1_b32 s10, s22, exec_lo
.LBB144_113:                            ;   in Loop: Header=BB144_6 Depth=1
	s_or_b32 exec_lo, exec_lo, s27
	s_mov_b32 s71, 0
	s_mov_b32 s68, 0
	s_mov_b32 s27, 0
                                        ; implicit-def: $vgpr4_vgpr5
                                        ; implicit-def: $vgpr2
	s_and_saveexec_b32 s72, s10
	s_cbranch_execz .LBB144_271
; %bb.114:                              ;   in Loop: Header=BB144_6 Depth=1
	v_mov_b64_e32 v[4:5], 1
	v_mov_b32_e32 v2, 1
	s_xor_b32 s20, s73, -1
	s_mov_b32 s11, 0
	s_and_saveexec_b32 s10, s20
	s_cbranch_execz .LBB144_123
; %bb.115:                              ;   in Loop: Header=BB144_6 Depth=1
	s_mov_b32 s11, exec_lo
	v_cmpx_ge_u64_e64 s[12:13], v[34:35]
	s_xor_b32 s11, exec_lo, s11
	s_cbranch_execz .LBB144_120
; %bb.116:                              ;   in Loop: Header=BB144_6 Depth=1
	ds_load_b64 v[4:5], v3 offset:5120
	v_and_b32_e32 v32, s25, v32
	v_or_b32_e32 v36, s24, v36
	s_wait_dscnt 0x0
	v_cmp_ne_u64_e32 vcc_lo, 0, v[4:5]
	s_cbranch_vccnz .LBB144_120
; %bb.117:                              ;   in Loop: Header=BB144_6 Depth=1
	s_and_saveexec_b32 s20, s5
; %bb.118:                              ;   in Loop: Header=BB144_6 Depth=1
	v_mov_b64_e32 v[4:5], s[12:13]
	ds_store_b64 v3, v[4:5] offset:5128
; %bb.119:                              ;   in Loop: Header=BB144_6 Depth=1
	s_or_b32 exec_lo, exec_lo, s20
	s_wait_dscnt 0x0
	s_barrier_signal -1
	s_barrier_wait -1
.LBB144_120:                            ;   in Loop: Header=BB144_6 Depth=1
	s_or_saveexec_b32 s11, s11
	v_mov_b64_e32 v[4:5], v[34:35]
	v_mov_b32_e32 v2, 8
	s_mov_b32 s20, 0
	s_xor_b32 exec_lo, exec_lo, s11
; %bb.121:                              ;   in Loop: Header=BB144_6 Depth=1
	v_sub_nc_u64_e64 v[4:5], v[34:35], s[12:13]
	v_mov_b32_e32 v2, 0
	s_mov_b32 s20, exec_lo
; %bb.122:                              ;   in Loop: Header=BB144_6 Depth=1
	s_or_b32 exec_lo, exec_lo, s11
	s_delay_alu instid0(SALU_CYCLE_1)
	s_and_b32 s11, s20, exec_lo
.LBB144_123:                            ;   in Loop: Header=BB144_6 Depth=1
	s_or_b32 exec_lo, exec_lo, s10
	s_mov_b32 s10, -1
                                        ; implicit-def: $sgpr68
                                        ; implicit-def: $sgpr73
	s_and_saveexec_b32 s20, s11
	s_delay_alu instid0(SALU_CYCLE_1)
	s_xor_b32 s27, exec_lo, s20
	s_cbranch_execz .LBB144_268
; %bb.124:                              ;   in Loop: Header=BB144_6 Depth=1
	v_cmp_eq_u64_e32 vcc_lo, 1, v[4:5]
	s_cmp_eq_u64 s[14:15], 1
                                        ; implicit-def: $sgpr73
                                        ; implicit-def: $sgpr68
	s_cselect_b32 s10, -1, 0
	s_delay_alu instid0(SALU_CYCLE_1)
	s_and_b32 s75, s10, vcc_lo
	s_mov_b32 s10, -1
	s_and_saveexec_b32 s74, s75
	s_cbranch_execz .LBB144_158
; %bb.125:                              ;   in Loop: Header=BB144_6 Depth=1
	ds_load_b64 v[6:7], v3 offset:5120
	s_wait_dscnt 0x0
	s_barrier_signal -1
	s_barrier_wait -1
	v_readfirstlane_b32 s10, v6
	v_readfirstlane_b32 s11, v7
	s_and_saveexec_b32 s20, s6
; %bb.126:                              ;   in Loop: Header=BB144_6 Depth=1
	ds_store_b32 v43, v3
; %bb.127:                              ;   in Loop: Header=BB144_6 Depth=1
	s_or_b32 exec_lo, exec_lo, s20
	s_lshl_b32 s20, 1, s91
	v_or_b32_e32 v36, s24, v36
	v_and_or_b32 v32, v32, s25, s20
	s_mov_b32 s68, -1
	s_mov_b32 s73, 0
	s_cmp_eq_u64 s[10:11], 0
	s_mov_b32 s22, 0
	s_mov_b32 s23, -1
	s_wait_dscnt 0x0
	s_barrier_signal -1
	s_barrier_wait -1
                                        ; implicit-def: $vgpr7
	s_cbranch_scc1 .LBB144_143
; %bb.128:                              ;   in Loop: Header=BB144_6 Depth=1
	s_add_nc_u64 s[20:21], s[10:11], s[54:55]
	s_delay_alu instid0(SALU_CYCLE_1) | instskip(NEXT) | instid1(SALU_CYCLE_1)
	s_and_b64 s[22:23], s[20:21], 0xffffffff00000000
	s_cmp_lg_u64 s[22:23], 0
	s_cbranch_scc0 .LBB144_184
; %bb.129:                              ;   in Loop: Header=BB144_6 Depth=1
	s_cvt_f32_u32 s22, s34
	s_sub_nc_u64 s[46:47], 0, s[34:35]
	s_delay_alu instid0(SALU_CYCLE_2) | instskip(NEXT) | instid1(SALU_CYCLE_3)
	s_fmamk_f32 s22, s90, 0x0, s22
	v_s_rcp_f32 s22, s22
	s_delay_alu instid0(TRANS32_DEP_1) | instskip(NEXT) | instid1(SALU_CYCLE_3)
	s_mul_f32 s22, s22, 0x5f7ffffc
	s_mul_f32 s23, s22, 0x2f800000
	s_delay_alu instid0(SALU_CYCLE_3) | instskip(NEXT) | instid1(SALU_CYCLE_3)
	s_trunc_f32 s23, s23
	s_fmamk_f32 s22, s23, 0xcf800000, s22
	s_cvt_u32_f32 s23, s23
	s_delay_alu instid0(SALU_CYCLE_2) | instskip(NEXT) | instid1(SALU_CYCLE_3)
	s_cvt_u32_f32 s22, s22
	s_mul_u64 s[48:49], s[46:47], s[22:23]
	s_delay_alu instid0(SALU_CYCLE_1)
	s_mul_hi_u32 s77, s22, s49
	s_mul_i32 s76, s22, s49
	s_mul_hi_u32 s28, s22, s48
	s_mul_i32 s51, s23, s48
	s_add_nc_u64 s[76:77], s[28:29], s[76:77]
	s_mul_hi_u32 s50, s23, s48
	s_mul_hi_u32 s78, s23, s49
	s_add_co_u32 s28, s76, s51
	s_add_co_ci_u32 s28, s77, s50
	s_mul_i32 s48, s23, s49
	s_add_co_ci_u32 s49, s78, 0
	s_delay_alu instid0(SALU_CYCLE_1) | instskip(NEXT) | instid1(SALU_CYCLE_1)
	s_add_nc_u64 s[48:49], s[28:29], s[48:49]
	s_add_co_u32 s22, s22, s48
	s_cselect_b32 s28, -1, 0
	s_delay_alu instid0(SALU_CYCLE_1) | instskip(SKIP_1) | instid1(SALU_CYCLE_1)
	s_cmp_lg_u32 s28, 0
	s_add_co_ci_u32 s23, s23, s49
	s_mul_u64 s[46:47], s[46:47], s[22:23]
	s_delay_alu instid0(SALU_CYCLE_1)
	s_mul_hi_u32 s49, s22, s47
	s_mul_i32 s48, s22, s47
	s_mul_hi_u32 s28, s22, s46
	s_mul_i32 s51, s23, s46
	s_add_nc_u64 s[48:49], s[28:29], s[48:49]
	s_mul_hi_u32 s50, s23, s46
	s_mul_hi_u32 s76, s23, s47
	s_add_co_u32 s28, s48, s51
	s_add_co_ci_u32 s28, s49, s50
	s_mul_i32 s46, s23, s47
	s_add_co_ci_u32 s47, s76, 0
	s_delay_alu instid0(SALU_CYCLE_1) | instskip(NEXT) | instid1(SALU_CYCLE_1)
	s_add_nc_u64 s[46:47], s[28:29], s[46:47]
	s_add_co_u32 s22, s22, s46
	s_cselect_b32 s46, -1, 0
	s_mul_hi_u32 s28, s20, s22
	s_cmp_lg_u32 s46, 0
	s_mul_hi_u32 s48, s21, s22
	s_add_co_ci_u32 s46, s23, s47
	s_mul_i32 s47, s21, s22
	s_mul_hi_u32 s23, s20, s46
	s_mul_i32 s22, s20, s46
	s_mul_hi_u32 s49, s21, s46
	s_add_nc_u64 s[22:23], s[28:29], s[22:23]
	s_mul_i32 s46, s21, s46
	s_add_co_u32 s22, s22, s47
	s_add_co_ci_u32 s28, s23, s48
	s_add_co_ci_u32 s47, s49, 0
	s_delay_alu instid0(SALU_CYCLE_1) | instskip(NEXT) | instid1(SALU_CYCLE_1)
	s_add_nc_u64 s[22:23], s[28:29], s[46:47]
	s_and_b64 s[46:47], s[22:23], 0xffffffff00000000
	s_delay_alu instid0(SALU_CYCLE_1) | instskip(NEXT) | instid1(SALU_CYCLE_1)
	s_or_b32 s46, s46, s22
	s_mul_u64 s[22:23], s[34:35], s[46:47]
	s_delay_alu instid0(SALU_CYCLE_1) | instskip(SKIP_1) | instid1(SALU_CYCLE_1)
	s_sub_co_u32 s22, s20, s22
	s_cselect_b32 s28, -1, 0
	s_cmp_lg_u32 s28, 0
	s_sub_co_ci_u32 s23, s21, s23
	s_sub_co_u32 s28, s22, s34
	s_cselect_b32 s46, -1, 0
	s_delay_alu instid0(SALU_CYCLE_1) | instskip(SKIP_3) | instid1(SALU_CYCLE_1)
	s_cmp_lg_u32 s46, 0
	s_sub_co_ci_u32 s46, s23, 0
	s_sub_co_u32 s47, s28, s34
	s_cselect_b32 s48, -1, 0
	s_cmp_lg_u32 s48, 0
	s_sub_co_ci_u32 s48, s46, 0
	s_cmp_ge_u32 s28, s34
	s_cselect_b32 s49, -1, 0
	s_cmp_eq_u32 s46, 0
	s_cselect_b32 s49, s49, -1
	s_delay_alu instid0(SALU_CYCLE_1)
	s_cmp_lg_u32 s49, 0
	s_cselect_b32 s46, s48, s46
	s_cselect_b32 s28, s47, s28
	s_cmp_ge_u32 s22, s34
	s_cselect_b32 s47, -1, 0
	s_cmp_eq_u32 s23, 0
	s_cselect_b32 s47, s47, -1
	s_delay_alu instid0(SALU_CYCLE_1)
	s_cmp_lg_u32 s47, 0
	s_cselect_b32 s23, s46, s23
	s_cselect_b32 s22, s28, s22
	s_cbranch_execnz .LBB144_131
.LBB144_130:                            ;   in Loop: Header=BB144_6 Depth=1
	v_cvt_f32_u32_e32 v6, s34
	s_sub_co_i32 s23, 0, s34
	s_delay_alu instid0(VALU_DEP_1) | instskip(SKIP_1) | instid1(TRANS32_DEP_1)
	v_rcp_iflag_f32_e32 v6, v6
	v_nop
	v_mul_f32_e32 v6, 0x4f7ffffe, v6
	s_delay_alu instid0(VALU_DEP_1) | instskip(NEXT) | instid1(VALU_DEP_1)
	v_cvt_u32_f32_e32 v6, v6
	v_readfirstlane_b32 s22, v6
	s_mul_i32 s23, s23, s22
	s_delay_alu instid0(SALU_CYCLE_1) | instskip(NEXT) | instid1(SALU_CYCLE_1)
	s_mul_hi_u32 s23, s22, s23
	s_add_co_i32 s22, s22, s23
	s_delay_alu instid0(SALU_CYCLE_1) | instskip(NEXT) | instid1(SALU_CYCLE_1)
	s_mul_hi_u32 s22, s20, s22
	s_mul_i32 s22, s22, s34
	s_delay_alu instid0(SALU_CYCLE_1) | instskip(NEXT) | instid1(SALU_CYCLE_1)
	s_sub_co_i32 s22, s20, s22
	s_sub_co_i32 s23, s22, s34
	s_cmp_ge_u32 s22, s34
	s_cselect_b32 s22, s23, s22
	s_delay_alu instid0(SALU_CYCLE_1) | instskip(SKIP_2) | instid1(SALU_CYCLE_1)
	s_sub_co_i32 s23, s22, s34
	s_cmp_ge_u32 s22, s34
	s_cselect_b32 s28, s23, s22
	s_mov_b64 s[22:23], s[28:29]
.LBB144_131:                            ;   in Loop: Header=BB144_6 Depth=1
	s_delay_alu instid0(SALU_CYCLE_1)
	s_sub_nc_u64 s[20:21], s[20:21], s[22:23]
	s_mov_b32 s23, 0
	s_mov_b32 s22, 0
	s_mov_b32 s28, exec_lo
                                        ; implicit-def: $vgpr7
	v_cmpx_gt_u64_e64 s[20:21], v[0:1]
	s_cbranch_execz .LBB144_142
; %bb.132:                              ;   in Loop: Header=BB144_6 Depth=1
	v_mov_b64_e32 v[8:9], v[0:1]
	v_mov_b32_e32 v10, v16
                                        ; implicit-def: $sgpr46
	s_branch .LBB144_135
.LBB144_133:                            ;   in Loop: Header=BB144_135 Depth=2
	s_or_b32 exec_lo, exec_lo, s47
	s_wait_dscnt 0x0
	s_barrier_signal -1
	s_barrier_wait -1
	ds_load_b64 v[6:7], v3 offset:3072
	s_mov_b32 s47, -1
	s_mov_b32 s76, -1
	s_wait_dscnt 0x0
	s_barrier_signal -1
	s_barrier_wait -1
	v_cmp_ne_u32_e32 vcc_lo, 0, v6
	s_cbranch_vccz .LBB144_138
.LBB144_134:                            ;   in Loop: Header=BB144_135 Depth=2
	s_and_b32 s47, exec_lo, s47
	s_delay_alu instid0(SALU_CYCLE_1) | instskip(SKIP_2) | instid1(SALU_CYCLE_1)
	s_or_b32 s22, s47, s22
	s_and_not1_b32 s46, s46, exec_lo
	s_and_b32 s47, s76, exec_lo
	s_or_b32 s46, s46, s47
	s_and_not1_b32 exec_lo, exec_lo, s22
	s_cbranch_execz .LBB144_141
.LBB144_135:                            ;   Parent Loop BB144_6 Depth=1
                                        ; =>  This Inner Loop Header: Depth=2
	s_mov_b32 s47, exec_lo
	s_delay_alu instid0(VALU_DEP_2)
	v_cmpx_gt_u64_e64 s[10:11], v[8:9]
	s_cbranch_execz .LBB144_133
; %bb.136:                              ;   in Loop: Header=BB144_135 Depth=2
	ds_load_b32 v31, v10
	s_wait_dscnt 0x0
	v_bitop3_b32 v6, v31, v36, 0x80000000 bitop3:0x48
	s_delay_alu instid0(VALU_DEP_1)
	v_cmp_eq_u32_e32 vcc_lo, v6, v32
	s_and_b32 exec_lo, exec_lo, vcc_lo
	s_cbranch_execz .LBB144_133
; %bb.137:                              ;   in Loop: Header=BB144_135 Depth=2
	ds_store_b64 v3, v[30:31] offset:3072
	s_branch .LBB144_133
.LBB144_138:                            ;   in Loop: Header=BB144_135 Depth=2
	v_add_nc_u64_e32 v[8:9], s[34:35], v[8:9]
	v_add_nc_u32_e32 v10, s89, v10
	s_mov_b32 s76, 0
	s_delay_alu instid0(VALU_DEP_2)
	v_cmp_le_u64_e32 vcc_lo, s[20:21], v[8:9]
	s_or_not1_b32 s47, vcc_lo, exec_lo
	s_branch .LBB144_134
.LBB144_139:                            ;   in Loop: Header=BB144_6 Depth=1
                                        ; implicit-def: $sgpr22_sgpr23
	s_branch .LBB144_84
.LBB144_140:                            ;   in Loop: Header=BB144_6 Depth=1
                                        ; implicit-def: $sgpr10_sgpr11
	s_branch .LBB144_101
.LBB144_141:                            ;   in Loop: Header=BB144_6 Depth=1
	s_or_b32 exec_lo, exec_lo, s22
	s_delay_alu instid0(SALU_CYCLE_1)
	s_and_b32 s22, s46, exec_lo
.LBB144_142:                            ;   in Loop: Header=BB144_6 Depth=1
	s_or_b32 exec_lo, exec_lo, s28
.LBB144_143:                            ;   in Loop: Header=BB144_6 Depth=1
	s_delay_alu instid0(SALU_CYCLE_1)
	s_and_b32 vcc_lo, exec_lo, s23
	s_cbranch_vccz .LBB144_157
; %bb.144:                              ;   in Loop: Header=BB144_6 Depth=1
	s_and_b64 s[10:11], s[56:57], 0xffffffff00000000
	s_delay_alu instid0(SALU_CYCLE_1)
	s_cmp_lg_u64 s[10:11], 0
	s_cbranch_scc0 .LBB144_185
; %bb.145:                              ;   in Loop: Header=BB144_6 Depth=1
	s_cvt_f32_u32 s10, s34
	s_sub_nc_u64 s[20:21], 0, s[34:35]
	s_delay_alu instid0(SALU_CYCLE_2) | instskip(NEXT) | instid1(SALU_CYCLE_3)
	s_fmamk_f32 s10, s90, 0x0, s10
	v_s_rcp_f32 s10, s10
	s_delay_alu instid0(TRANS32_DEP_1) | instskip(NEXT) | instid1(SALU_CYCLE_3)
	s_mul_f32 s10, s10, 0x5f7ffffc
	s_mul_f32 s11, s10, 0x2f800000
	s_delay_alu instid0(SALU_CYCLE_3) | instskip(NEXT) | instid1(SALU_CYCLE_3)
	s_trunc_f32 s11, s11
	s_fmamk_f32 s10, s11, 0xcf800000, s10
	s_cvt_u32_f32 s11, s11
	s_delay_alu instid0(SALU_CYCLE_2) | instskip(NEXT) | instid1(SALU_CYCLE_3)
	s_cvt_u32_f32 s10, s10
	s_mul_u64 s[46:47], s[20:21], s[10:11]
	s_delay_alu instid0(SALU_CYCLE_1)
	s_mul_hi_u32 s49, s10, s47
	s_mul_i32 s48, s10, s47
	s_mul_hi_u32 s28, s10, s46
	s_mul_i32 s50, s11, s46
	s_add_nc_u64 s[48:49], s[28:29], s[48:49]
	s_mul_hi_u32 s23, s11, s46
	s_mul_hi_u32 s51, s11, s47
	s_add_co_u32 s28, s48, s50
	s_add_co_ci_u32 s28, s49, s23
	s_mul_i32 s46, s11, s47
	s_add_co_ci_u32 s47, s51, 0
	s_delay_alu instid0(SALU_CYCLE_1) | instskip(NEXT) | instid1(SALU_CYCLE_1)
	s_add_nc_u64 s[46:47], s[28:29], s[46:47]
	s_add_co_u32 s10, s10, s46
	s_cselect_b32 s23, -1, 0
	s_delay_alu instid0(SALU_CYCLE_1) | instskip(SKIP_1) | instid1(SALU_CYCLE_1)
	s_cmp_lg_u32 s23, 0
	s_add_co_ci_u32 s11, s11, s47
	s_mul_u64 s[20:21], s[20:21], s[10:11]
	s_delay_alu instid0(SALU_CYCLE_1)
	s_mul_hi_u32 s47, s10, s21
	s_mul_i32 s46, s10, s21
	s_mul_hi_u32 s28, s10, s20
	s_mul_i32 s48, s11, s20
	s_add_nc_u64 s[46:47], s[28:29], s[46:47]
	s_mul_hi_u32 s23, s11, s20
	s_mul_hi_u32 s49, s11, s21
	s_mul_i32 s20, s11, s21
	s_add_co_u32 s21, s46, s48
	s_add_co_ci_u32 s28, s47, s23
	s_add_co_ci_u32 s21, s49, 0
	s_delay_alu instid0(SALU_CYCLE_1) | instskip(NEXT) | instid1(SALU_CYCLE_1)
	s_add_nc_u64 s[20:21], s[28:29], s[20:21]
	s_add_co_u32 s10, s10, s20
	s_cselect_b32 s20, -1, 0
	s_mul_hi_u32 s28, s56, s10
	s_cmp_lg_u32 s20, 0
	s_mul_hi_u32 s23, s57, s10
	s_add_co_ci_u32 s20, s11, s21
	s_mul_i32 s21, s57, s10
	s_mul_hi_u32 s11, s56, s20
	s_mul_i32 s10, s56, s20
	s_mul_hi_u32 s46, s57, s20
	s_add_nc_u64 s[10:11], s[28:29], s[10:11]
	s_mul_i32 s20, s57, s20
	s_add_co_u32 s10, s10, s21
	s_add_co_ci_u32 s28, s11, s23
	s_add_co_ci_u32 s21, s46, 0
	s_delay_alu instid0(SALU_CYCLE_1) | instskip(NEXT) | instid1(SALU_CYCLE_1)
	s_add_nc_u64 s[10:11], s[28:29], s[20:21]
	s_and_b64 s[20:21], s[10:11], 0xffffffff00000000
	s_delay_alu instid0(SALU_CYCLE_1) | instskip(NEXT) | instid1(SALU_CYCLE_1)
	s_or_b32 s20, s20, s10
	s_mul_u64 s[10:11], s[34:35], s[20:21]
	s_delay_alu instid0(SALU_CYCLE_1) | instskip(SKIP_1) | instid1(SALU_CYCLE_1)
	s_sub_co_u32 s10, s56, s10
	s_cselect_b32 s20, -1, 0
	s_cmp_lg_u32 s20, 0
	s_sub_co_ci_u32 s11, s57, s11
	s_sub_co_u32 s20, s10, s34
	s_cselect_b32 s21, -1, 0
	s_delay_alu instid0(SALU_CYCLE_1) | instskip(SKIP_3) | instid1(SALU_CYCLE_1)
	s_cmp_lg_u32 s21, 0
	s_sub_co_ci_u32 s21, s11, 0
	s_sub_co_u32 s23, s20, s34
	s_cselect_b32 s28, -1, 0
	s_cmp_lg_u32 s28, 0
	s_sub_co_ci_u32 s28, s21, 0
	s_cmp_ge_u32 s20, s34
	s_cselect_b32 s46, -1, 0
	s_cmp_eq_u32 s21, 0
	s_cselect_b32 s46, s46, -1
	s_delay_alu instid0(SALU_CYCLE_1)
	s_cmp_lg_u32 s46, 0
	s_cselect_b32 s21, s28, s21
	s_cselect_b32 s20, s23, s20
	s_cmp_ge_u32 s10, s34
	s_cselect_b32 s23, -1, 0
	s_cmp_eq_u32 s11, 0
	s_cselect_b32 s23, s23, -1
	s_delay_alu instid0(SALU_CYCLE_1)
	s_cmp_lg_u32 s23, 0
	s_cselect_b32 s11, s21, s11
	s_cselect_b32 s10, s20, s10
	s_cbranch_execnz .LBB144_147
.LBB144_146:                            ;   in Loop: Header=BB144_6 Depth=1
	v_cvt_f32_u32_e32 v6, s34
	s_sub_co_i32 s11, 0, s34
	s_delay_alu instid0(VALU_DEP_1) | instskip(SKIP_1) | instid1(TRANS32_DEP_1)
	v_rcp_iflag_f32_e32 v6, v6
	v_nop
	v_mul_f32_e32 v6, 0x4f7ffffe, v6
	s_delay_alu instid0(VALU_DEP_1) | instskip(NEXT) | instid1(VALU_DEP_1)
	v_cvt_u32_f32_e32 v6, v6
	v_readfirstlane_b32 s10, v6
	s_mul_i32 s11, s11, s10
	s_delay_alu instid0(SALU_CYCLE_1) | instskip(NEXT) | instid1(SALU_CYCLE_1)
	s_mul_hi_u32 s11, s10, s11
	s_add_co_i32 s10, s10, s11
	s_delay_alu instid0(SALU_CYCLE_1) | instskip(NEXT) | instid1(SALU_CYCLE_1)
	s_mul_hi_u32 s10, s56, s10
	s_mul_i32 s10, s10, s34
	s_delay_alu instid0(SALU_CYCLE_1) | instskip(NEXT) | instid1(SALU_CYCLE_1)
	s_sub_co_i32 s10, s56, s10
	s_sub_co_i32 s11, s10, s34
	s_cmp_ge_u32 s10, s34
	s_cselect_b32 s10, s11, s10
	s_delay_alu instid0(SALU_CYCLE_1) | instskip(SKIP_2) | instid1(SALU_CYCLE_1)
	s_sub_co_i32 s11, s10, s34
	s_cmp_ge_u32 s10, s34
	s_cselect_b32 s28, s11, s10
	s_mov_b64 s[10:11], s[28:29]
.LBB144_147:                            ;   in Loop: Header=BB144_6 Depth=1
	s_delay_alu instid0(SALU_CYCLE_1)
	s_sub_nc_u64 s[10:11], s[56:57], s[10:11]
	s_mov_b32 s20, exec_lo
                                        ; implicit-def: $vgpr7
	v_nop
	v_cmpx_gt_u64_e64 s[10:11], v[0:1]
	s_cbranch_execz .LBB144_156
; %bb.148:                              ;   in Loop: Header=BB144_6 Depth=1
	v_mov_b64_e32 v[8:9], v[14:15]
	v_mov_b64_e32 v[10:11], v[0:1]
	s_mov_b32 s21, 0
                                        ; implicit-def: $sgpr23
	s_branch .LBB144_151
.LBB144_149:                            ;   in Loop: Header=BB144_151 Depth=2
	s_or_b32 exec_lo, exec_lo, s28
	s_wait_dscnt 0x0
	s_barrier_signal -1
	s_barrier_wait -1
	ds_load_b64 v[6:7], v3 offset:3072
	s_mov_b32 s28, -1
	s_mov_b32 s46, -1
	s_wait_dscnt 0x0
	s_barrier_signal -1
	s_barrier_wait -1
	v_cmp_eq_u32_e32 vcc_lo, 0, v6
	s_cbranch_vccnz .LBB144_154
.LBB144_150:                            ;   in Loop: Header=BB144_151 Depth=2
	s_and_b32 s28, exec_lo, s28
	s_delay_alu instid0(SALU_CYCLE_1) | instskip(SKIP_2) | instid1(SALU_CYCLE_1)
	s_or_b32 s21, s28, s21
	s_and_not1_b32 s23, s23, exec_lo
	s_and_b32 s28, s46, exec_lo
	s_or_b32 s23, s23, s28
	s_and_not1_b32 exec_lo, exec_lo, s21
	s_cbranch_execz .LBB144_155
.LBB144_151:                            ;   Parent Loop BB144_6 Depth=1
                                        ; =>  This Inner Loop Header: Depth=2
	s_mov_b32 s28, exec_lo
	s_delay_alu instid0(VALU_DEP_1)
	v_cmpx_gt_u64_e64 s[36:37], v[10:11]
	s_cbranch_execz .LBB144_149
; %bb.152:                              ;   in Loop: Header=BB144_151 Depth=2
	global_load_b32 v31, v[8:9], off
	s_wait_loadcnt 0x0
	v_bitop3_b32 v6, v31, v36, 0x80000000 bitop3:0x48
	s_delay_alu instid0(VALU_DEP_1)
	v_cmp_eq_u32_e32 vcc_lo, v6, v32
	s_and_b32 exec_lo, exec_lo, vcc_lo
	s_cbranch_execz .LBB144_149
; %bb.153:                              ;   in Loop: Header=BB144_151 Depth=2
	ds_store_b64 v3, v[30:31] offset:3072
	s_branch .LBB144_149
.LBB144_154:                            ;   in Loop: Header=BB144_151 Depth=2
	v_add_nc_u64_e32 v[10:11], s[34:35], v[10:11]
	v_add_nc_u64_e32 v[8:9], s[40:41], v[8:9]
	s_mov_b32 s46, 0
	s_delay_alu instid0(VALU_DEP_2)
	v_cmp_le_u64_e32 vcc_lo, s[10:11], v[10:11]
	s_or_not1_b32 s28, vcc_lo, exec_lo
	s_branch .LBB144_150
.LBB144_155:                            ;   in Loop: Header=BB144_6 Depth=1
	s_or_b32 exec_lo, exec_lo, s21
	s_delay_alu instid0(SALU_CYCLE_1) | instskip(SKIP_1) | instid1(SALU_CYCLE_1)
	s_and_not1_b32 s10, s22, exec_lo
	s_and_b32 s11, s23, exec_lo
	s_or_b32 s22, s10, s11
.LBB144_156:                            ;   in Loop: Header=BB144_6 Depth=1
	s_or_b32 exec_lo, exec_lo, s20
	s_mov_b32 s68, 0
	s_mov_b32 s73, -1
.LBB144_157:                            ;   in Loop: Header=BB144_6 Depth=1
	s_or_not1_b32 s10, s22, exec_lo
.LBB144_158:                            ;   in Loop: Header=BB144_6 Depth=1
	s_or_b32 exec_lo, exec_lo, s74
	s_mov_b32 s11, 0
	s_and_saveexec_b32 s74, s10
	s_cbranch_execz .LBB144_267
; %bb.159:                              ;   in Loop: Header=BB144_6 Depth=1
	v_mov_b64_e32 v[8:9], 1
	v_mov_b32_e32 v2, 1
	s_xor_b32 s20, s75, -1
	s_delay_alu instid0(SALU_CYCLE_1)
	s_and_saveexec_b32 s10, s20
	s_cbranch_execz .LBB144_168
; %bb.160:                              ;   in Loop: Header=BB144_6 Depth=1
	s_mov_b32 s11, exec_lo
	v_cmpx_ge_u64_e64 s[14:15], v[4:5]
	s_xor_b32 s11, exec_lo, s11
	s_cbranch_execz .LBB144_165
; %bb.161:                              ;   in Loop: Header=BB144_6 Depth=1
	ds_load_b64 v[8:9], v3 offset:5120
	s_lshl_b32 s20, 1, s91
	v_or_b32_e32 v36, s24, v36
	v_and_or_b32 v32, v32, s25, s20
	s_wait_dscnt 0x0
	v_cmp_ne_u64_e32 vcc_lo, 0, v[8:9]
	s_cbranch_vccnz .LBB144_165
; %bb.162:                              ;   in Loop: Header=BB144_6 Depth=1
	s_and_saveexec_b32 s20, s5
; %bb.163:                              ;   in Loop: Header=BB144_6 Depth=1
	v_mov_b64_e32 v[8:9], s[14:15]
	ds_store_b64 v3, v[8:9] offset:5128
; %bb.164:                              ;   in Loop: Header=BB144_6 Depth=1
	s_or_b32 exec_lo, exec_lo, s20
	s_wait_dscnt 0x0
	s_barrier_signal -1
	s_barrier_wait -1
.LBB144_165:                            ;   in Loop: Header=BB144_6 Depth=1
	s_or_saveexec_b32 s11, s11
	v_mov_b32_e32 v2, 8
	s_mov_b32 s20, 0
	s_xor_b32 exec_lo, exec_lo, s11
; %bb.166:                              ;   in Loop: Header=BB144_6 Depth=1
	v_sub_nc_u64_e64 v[4:5], v[4:5], s[14:15]
	v_mov_b32_e32 v2, 0
	s_mov_b32 s20, exec_lo
; %bb.167:                              ;   in Loop: Header=BB144_6 Depth=1
	s_or_b32 exec_lo, exec_lo, s11
	s_delay_alu instid0(VALU_DEP_2)
	v_mov_b64_e32 v[8:9], v[4:5]
	s_and_b32 s11, s20, exec_lo
.LBB144_168:                            ;   in Loop: Header=BB144_6 Depth=1
	s_or_b32 exec_lo, exec_lo, s10
	s_mov_b32 s10, -1
                                        ; implicit-def: $sgpr76
                                        ; implicit-def: $sgpr77
	s_and_saveexec_b32 s75, s11
	s_cbranch_execz .LBB144_266
; %bb.169:                              ;   in Loop: Header=BB144_6 Depth=1
	s_delay_alu instid0(VALU_DEP_1) | instskip(SKIP_2) | instid1(SALU_CYCLE_1)
	v_cmp_eq_u64_e32 vcc_lo, 1, v[8:9]
	s_cmp_eq_u64 s[16:17], 1
                                        ; implicit-def: $sgpr77
                                        ; implicit-def: $sgpr76
	s_cselect_b32 s10, -1, 0
	s_and_b32 s79, s10, vcc_lo
	s_mov_b32 s10, -1
	s_and_saveexec_b32 s78, s79
	s_cbranch_execz .LBB144_203
; %bb.170:                              ;   in Loop: Header=BB144_6 Depth=1
	ds_load_b64 v[4:5], v3 offset:5120
	s_wait_dscnt 0x0
	s_barrier_signal -1
	s_barrier_wait -1
	v_readfirstlane_b32 s10, v4
	v_readfirstlane_b32 s11, v5
	s_and_saveexec_b32 s20, s6
; %bb.171:                              ;   in Loop: Header=BB144_6 Depth=1
	ds_store_b32 v43, v3
; %bb.172:                              ;   in Loop: Header=BB144_6 Depth=1
	s_or_b32 exec_lo, exec_lo, s20
	s_lshl_b32 s20, 2, s91
	v_or_b32_e32 v36, s24, v36
	v_and_or_b32 v32, v32, s25, s20
	s_mov_b32 s76, -1
	s_mov_b32 s77, 0
	s_cmp_eq_u64 s[10:11], 0
	s_mov_b32 s22, 0
	s_mov_b32 s23, -1
	s_wait_dscnt 0x0
	s_barrier_signal -1
	s_barrier_wait -1
                                        ; implicit-def: $vgpr7
	s_cbranch_scc1 .LBB144_188
; %bb.173:                              ;   in Loop: Header=BB144_6 Depth=1
	s_add_nc_u64 s[20:21], s[10:11], s[54:55]
	s_delay_alu instid0(SALU_CYCLE_1) | instskip(NEXT) | instid1(SALU_CYCLE_1)
	s_and_b64 s[22:23], s[20:21], 0xffffffff00000000
	s_cmp_lg_u64 s[22:23], 0
	s_cbranch_scc0 .LBB144_220
; %bb.174:                              ;   in Loop: Header=BB144_6 Depth=1
	s_cvt_f32_u32 s22, s34
	s_sub_nc_u64 s[46:47], 0, s[34:35]
	s_delay_alu instid0(SALU_CYCLE_2) | instskip(NEXT) | instid1(SALU_CYCLE_3)
	s_fmamk_f32 s22, s90, 0x0, s22
	v_s_rcp_f32 s22, s22
	s_delay_alu instid0(TRANS32_DEP_1) | instskip(NEXT) | instid1(SALU_CYCLE_3)
	s_mul_f32 s22, s22, 0x5f7ffffc
	s_mul_f32 s23, s22, 0x2f800000
	s_delay_alu instid0(SALU_CYCLE_3) | instskip(NEXT) | instid1(SALU_CYCLE_3)
	s_trunc_f32 s23, s23
	s_fmamk_f32 s22, s23, 0xcf800000, s22
	s_cvt_u32_f32 s23, s23
	s_delay_alu instid0(SALU_CYCLE_2) | instskip(NEXT) | instid1(SALU_CYCLE_3)
	s_cvt_u32_f32 s22, s22
	s_mul_u64 s[48:49], s[46:47], s[22:23]
	s_delay_alu instid0(SALU_CYCLE_1)
	s_mul_hi_u32 s81, s22, s49
	s_mul_i32 s80, s22, s49
	s_mul_hi_u32 s28, s22, s48
	s_mul_i32 s51, s23, s48
	s_add_nc_u64 s[80:81], s[28:29], s[80:81]
	s_mul_hi_u32 s50, s23, s48
	s_mul_hi_u32 s104, s23, s49
	s_add_co_u32 s28, s80, s51
	s_add_co_ci_u32 s28, s81, s50
	s_mul_i32 s48, s23, s49
	s_add_co_ci_u32 s49, s104, 0
	s_delay_alu instid0(SALU_CYCLE_1) | instskip(NEXT) | instid1(SALU_CYCLE_1)
	s_add_nc_u64 s[48:49], s[28:29], s[48:49]
	s_add_co_u32 s22, s22, s48
	s_cselect_b32 s28, -1, 0
	s_delay_alu instid0(SALU_CYCLE_1) | instskip(SKIP_1) | instid1(SALU_CYCLE_1)
	s_cmp_lg_u32 s28, 0
	s_add_co_ci_u32 s23, s23, s49
	s_mul_u64 s[46:47], s[46:47], s[22:23]
	s_delay_alu instid0(SALU_CYCLE_1)
	s_mul_hi_u32 s49, s22, s47
	s_mul_i32 s48, s22, s47
	s_mul_hi_u32 s28, s22, s46
	s_mul_i32 s51, s23, s46
	s_add_nc_u64 s[48:49], s[28:29], s[48:49]
	s_mul_hi_u32 s50, s23, s46
	s_mul_hi_u32 s80, s23, s47
	s_add_co_u32 s28, s48, s51
	s_add_co_ci_u32 s28, s49, s50
	s_mul_i32 s46, s23, s47
	s_add_co_ci_u32 s47, s80, 0
	s_delay_alu instid0(SALU_CYCLE_1) | instskip(NEXT) | instid1(SALU_CYCLE_1)
	s_add_nc_u64 s[46:47], s[28:29], s[46:47]
	s_add_co_u32 s22, s22, s46
	s_cselect_b32 s46, -1, 0
	s_mul_hi_u32 s28, s20, s22
	s_cmp_lg_u32 s46, 0
	s_mul_hi_u32 s48, s21, s22
	s_add_co_ci_u32 s46, s23, s47
	s_mul_i32 s47, s21, s22
	s_mul_hi_u32 s23, s20, s46
	s_mul_i32 s22, s20, s46
	s_mul_hi_u32 s49, s21, s46
	s_add_nc_u64 s[22:23], s[28:29], s[22:23]
	s_mul_i32 s46, s21, s46
	s_add_co_u32 s22, s22, s47
	s_add_co_ci_u32 s28, s23, s48
	s_add_co_ci_u32 s47, s49, 0
	s_delay_alu instid0(SALU_CYCLE_1) | instskip(NEXT) | instid1(SALU_CYCLE_1)
	s_add_nc_u64 s[22:23], s[28:29], s[46:47]
	s_and_b64 s[46:47], s[22:23], 0xffffffff00000000
	s_delay_alu instid0(SALU_CYCLE_1) | instskip(NEXT) | instid1(SALU_CYCLE_1)
	s_or_b32 s46, s46, s22
	s_mul_u64 s[22:23], s[34:35], s[46:47]
	s_delay_alu instid0(SALU_CYCLE_1) | instskip(SKIP_1) | instid1(SALU_CYCLE_1)
	s_sub_co_u32 s22, s20, s22
	s_cselect_b32 s28, -1, 0
	s_cmp_lg_u32 s28, 0
	s_sub_co_ci_u32 s23, s21, s23
	s_sub_co_u32 s28, s22, s34
	s_cselect_b32 s46, -1, 0
	s_delay_alu instid0(SALU_CYCLE_1) | instskip(SKIP_3) | instid1(SALU_CYCLE_1)
	s_cmp_lg_u32 s46, 0
	s_sub_co_ci_u32 s46, s23, 0
	s_sub_co_u32 s47, s28, s34
	s_cselect_b32 s48, -1, 0
	s_cmp_lg_u32 s48, 0
	s_sub_co_ci_u32 s48, s46, 0
	s_cmp_ge_u32 s28, s34
	s_cselect_b32 s49, -1, 0
	s_cmp_eq_u32 s46, 0
	s_cselect_b32 s49, s49, -1
	s_delay_alu instid0(SALU_CYCLE_1)
	s_cmp_lg_u32 s49, 0
	s_cselect_b32 s46, s48, s46
	s_cselect_b32 s28, s47, s28
	s_cmp_ge_u32 s22, s34
	s_cselect_b32 s47, -1, 0
	s_cmp_eq_u32 s23, 0
	s_cselect_b32 s47, s47, -1
	s_delay_alu instid0(SALU_CYCLE_1)
	s_cmp_lg_u32 s47, 0
	s_cselect_b32 s23, s46, s23
	s_cselect_b32 s22, s28, s22
	s_cbranch_execnz .LBB144_176
.LBB144_175:                            ;   in Loop: Header=BB144_6 Depth=1
	v_cvt_f32_u32_e32 v4, s34
	s_sub_co_i32 s23, 0, s34
	s_delay_alu instid0(VALU_DEP_1) | instskip(SKIP_1) | instid1(TRANS32_DEP_1)
	v_rcp_iflag_f32_e32 v4, v4
	v_nop
	v_mul_f32_e32 v4, 0x4f7ffffe, v4
	s_delay_alu instid0(VALU_DEP_1) | instskip(NEXT) | instid1(VALU_DEP_1)
	v_cvt_u32_f32_e32 v4, v4
	v_readfirstlane_b32 s22, v4
	s_mul_i32 s23, s23, s22
	s_delay_alu instid0(SALU_CYCLE_1) | instskip(NEXT) | instid1(SALU_CYCLE_1)
	s_mul_hi_u32 s23, s22, s23
	s_add_co_i32 s22, s22, s23
	s_delay_alu instid0(SALU_CYCLE_1) | instskip(NEXT) | instid1(SALU_CYCLE_1)
	s_mul_hi_u32 s22, s20, s22
	s_mul_i32 s22, s22, s34
	s_delay_alu instid0(SALU_CYCLE_1) | instskip(NEXT) | instid1(SALU_CYCLE_1)
	s_sub_co_i32 s22, s20, s22
	s_sub_co_i32 s23, s22, s34
	s_cmp_ge_u32 s22, s34
	s_cselect_b32 s22, s23, s22
	s_delay_alu instid0(SALU_CYCLE_1) | instskip(SKIP_2) | instid1(SALU_CYCLE_1)
	s_sub_co_i32 s23, s22, s34
	s_cmp_ge_u32 s22, s34
	s_cselect_b32 s28, s23, s22
	s_mov_b64 s[22:23], s[28:29]
.LBB144_176:                            ;   in Loop: Header=BB144_6 Depth=1
	s_delay_alu instid0(SALU_CYCLE_1)
	s_sub_nc_u64 s[20:21], s[20:21], s[22:23]
	s_mov_b32 s23, 0
	s_mov_b32 s22, 0
	s_mov_b32 s28, exec_lo
                                        ; implicit-def: $vgpr7
	v_cmpx_gt_u64_e64 s[20:21], v[0:1]
	s_cbranch_execz .LBB144_187
; %bb.177:                              ;   in Loop: Header=BB144_6 Depth=1
	v_mov_b64_e32 v[4:5], v[0:1]
	v_mov_b32_e32 v10, v16
                                        ; implicit-def: $sgpr46
	s_branch .LBB144_180
.LBB144_178:                            ;   in Loop: Header=BB144_180 Depth=2
	s_or_b32 exec_lo, exec_lo, s47
	s_wait_dscnt 0x0
	s_barrier_signal -1
	s_barrier_wait -1
	ds_load_b64 v[6:7], v3 offset:3072
	s_mov_b32 s47, -1
	s_mov_b32 s80, -1
	s_wait_dscnt 0x0
	s_barrier_signal -1
	s_barrier_wait -1
	v_cmp_ne_u32_e32 vcc_lo, 0, v6
	s_cbranch_vccz .LBB144_183
.LBB144_179:                            ;   in Loop: Header=BB144_180 Depth=2
	s_and_b32 s47, exec_lo, s47
	s_delay_alu instid0(SALU_CYCLE_1) | instskip(SKIP_2) | instid1(SALU_CYCLE_1)
	s_or_b32 s22, s47, s22
	s_and_not1_b32 s46, s46, exec_lo
	s_and_b32 s47, s80, exec_lo
	s_or_b32 s46, s46, s47
	s_and_not1_b32 exec_lo, exec_lo, s22
	s_cbranch_execz .LBB144_186
.LBB144_180:                            ;   Parent Loop BB144_6 Depth=1
                                        ; =>  This Inner Loop Header: Depth=2
	s_mov_b32 s47, exec_lo
	s_delay_alu instid0(VALU_DEP_2)
	v_cmpx_gt_u64_e64 s[10:11], v[4:5]
	s_cbranch_execz .LBB144_178
; %bb.181:                              ;   in Loop: Header=BB144_180 Depth=2
	ds_load_b32 v31, v10
	s_wait_dscnt 0x0
	v_bitop3_b32 v6, v31, v36, 0x80000000 bitop3:0x48
	s_delay_alu instid0(VALU_DEP_1)
	v_cmp_eq_u32_e32 vcc_lo, v6, v32
	s_and_b32 exec_lo, exec_lo, vcc_lo
	s_cbranch_execz .LBB144_178
; %bb.182:                              ;   in Loop: Header=BB144_180 Depth=2
	ds_store_b64 v3, v[30:31] offset:3072
	s_branch .LBB144_178
.LBB144_183:                            ;   in Loop: Header=BB144_180 Depth=2
	v_add_nc_u64_e32 v[4:5], s[34:35], v[4:5]
	v_add_nc_u32_e32 v10, s89, v10
	s_mov_b32 s80, 0
	s_delay_alu instid0(VALU_DEP_2)
	v_cmp_le_u64_e32 vcc_lo, s[20:21], v[4:5]
	s_or_not1_b32 s47, vcc_lo, exec_lo
	s_branch .LBB144_179
.LBB144_184:                            ;   in Loop: Header=BB144_6 Depth=1
                                        ; implicit-def: $sgpr22_sgpr23
	s_branch .LBB144_130
.LBB144_185:                            ;   in Loop: Header=BB144_6 Depth=1
                                        ; implicit-def: $sgpr10_sgpr11
	s_branch .LBB144_146
.LBB144_186:                            ;   in Loop: Header=BB144_6 Depth=1
	s_or_b32 exec_lo, exec_lo, s22
	s_delay_alu instid0(SALU_CYCLE_1)
	s_and_b32 s22, s46, exec_lo
.LBB144_187:                            ;   in Loop: Header=BB144_6 Depth=1
	s_or_b32 exec_lo, exec_lo, s28
.LBB144_188:                            ;   in Loop: Header=BB144_6 Depth=1
	s_delay_alu instid0(SALU_CYCLE_1)
	s_and_b32 vcc_lo, exec_lo, s23
	s_cbranch_vccz .LBB144_202
; %bb.189:                              ;   in Loop: Header=BB144_6 Depth=1
	s_and_b64 s[10:11], s[56:57], 0xffffffff00000000
	s_delay_alu instid0(SALU_CYCLE_1)
	s_cmp_lg_u64 s[10:11], 0
	s_cbranch_scc0 .LBB144_221
; %bb.190:                              ;   in Loop: Header=BB144_6 Depth=1
	s_cvt_f32_u32 s10, s34
	s_sub_nc_u64 s[20:21], 0, s[34:35]
	s_delay_alu instid0(SALU_CYCLE_2) | instskip(NEXT) | instid1(SALU_CYCLE_3)
	s_fmamk_f32 s10, s90, 0x0, s10
	v_s_rcp_f32 s10, s10
	s_delay_alu instid0(TRANS32_DEP_1) | instskip(NEXT) | instid1(SALU_CYCLE_3)
	s_mul_f32 s10, s10, 0x5f7ffffc
	s_mul_f32 s11, s10, 0x2f800000
	s_delay_alu instid0(SALU_CYCLE_3) | instskip(NEXT) | instid1(SALU_CYCLE_3)
	s_trunc_f32 s11, s11
	s_fmamk_f32 s10, s11, 0xcf800000, s10
	s_cvt_u32_f32 s11, s11
	s_delay_alu instid0(SALU_CYCLE_2) | instskip(NEXT) | instid1(SALU_CYCLE_3)
	s_cvt_u32_f32 s10, s10
	s_mul_u64 s[46:47], s[20:21], s[10:11]
	s_delay_alu instid0(SALU_CYCLE_1)
	s_mul_hi_u32 s49, s10, s47
	s_mul_i32 s48, s10, s47
	s_mul_hi_u32 s28, s10, s46
	s_mul_i32 s50, s11, s46
	s_add_nc_u64 s[48:49], s[28:29], s[48:49]
	s_mul_hi_u32 s23, s11, s46
	s_mul_hi_u32 s51, s11, s47
	s_add_co_u32 s28, s48, s50
	s_add_co_ci_u32 s28, s49, s23
	s_mul_i32 s46, s11, s47
	s_add_co_ci_u32 s47, s51, 0
	s_delay_alu instid0(SALU_CYCLE_1) | instskip(NEXT) | instid1(SALU_CYCLE_1)
	s_add_nc_u64 s[46:47], s[28:29], s[46:47]
	s_add_co_u32 s10, s10, s46
	s_cselect_b32 s23, -1, 0
	s_delay_alu instid0(SALU_CYCLE_1) | instskip(SKIP_1) | instid1(SALU_CYCLE_1)
	s_cmp_lg_u32 s23, 0
	s_add_co_ci_u32 s11, s11, s47
	s_mul_u64 s[20:21], s[20:21], s[10:11]
	s_delay_alu instid0(SALU_CYCLE_1)
	s_mul_hi_u32 s47, s10, s21
	s_mul_i32 s46, s10, s21
	s_mul_hi_u32 s28, s10, s20
	s_mul_i32 s48, s11, s20
	s_add_nc_u64 s[46:47], s[28:29], s[46:47]
	s_mul_hi_u32 s23, s11, s20
	s_mul_hi_u32 s49, s11, s21
	s_mul_i32 s20, s11, s21
	s_add_co_u32 s21, s46, s48
	s_add_co_ci_u32 s28, s47, s23
	s_add_co_ci_u32 s21, s49, 0
	s_delay_alu instid0(SALU_CYCLE_1) | instskip(NEXT) | instid1(SALU_CYCLE_1)
	s_add_nc_u64 s[20:21], s[28:29], s[20:21]
	s_add_co_u32 s10, s10, s20
	s_cselect_b32 s20, -1, 0
	s_mul_hi_u32 s28, s56, s10
	s_cmp_lg_u32 s20, 0
	s_mul_hi_u32 s23, s57, s10
	s_add_co_ci_u32 s20, s11, s21
	s_mul_i32 s21, s57, s10
	s_mul_hi_u32 s11, s56, s20
	s_mul_i32 s10, s56, s20
	s_mul_hi_u32 s46, s57, s20
	s_add_nc_u64 s[10:11], s[28:29], s[10:11]
	s_mul_i32 s20, s57, s20
	s_add_co_u32 s10, s10, s21
	s_add_co_ci_u32 s28, s11, s23
	s_add_co_ci_u32 s21, s46, 0
	s_delay_alu instid0(SALU_CYCLE_1) | instskip(NEXT) | instid1(SALU_CYCLE_1)
	s_add_nc_u64 s[10:11], s[28:29], s[20:21]
	s_and_b64 s[20:21], s[10:11], 0xffffffff00000000
	s_delay_alu instid0(SALU_CYCLE_1) | instskip(NEXT) | instid1(SALU_CYCLE_1)
	s_or_b32 s20, s20, s10
	s_mul_u64 s[10:11], s[34:35], s[20:21]
	s_delay_alu instid0(SALU_CYCLE_1) | instskip(SKIP_1) | instid1(SALU_CYCLE_1)
	s_sub_co_u32 s10, s56, s10
	s_cselect_b32 s20, -1, 0
	s_cmp_lg_u32 s20, 0
	s_sub_co_ci_u32 s11, s57, s11
	s_sub_co_u32 s20, s10, s34
	s_cselect_b32 s21, -1, 0
	s_delay_alu instid0(SALU_CYCLE_1) | instskip(SKIP_3) | instid1(SALU_CYCLE_1)
	s_cmp_lg_u32 s21, 0
	s_sub_co_ci_u32 s21, s11, 0
	s_sub_co_u32 s23, s20, s34
	s_cselect_b32 s28, -1, 0
	s_cmp_lg_u32 s28, 0
	s_sub_co_ci_u32 s28, s21, 0
	s_cmp_ge_u32 s20, s34
	s_cselect_b32 s46, -1, 0
	s_cmp_eq_u32 s21, 0
	s_cselect_b32 s46, s46, -1
	s_delay_alu instid0(SALU_CYCLE_1)
	s_cmp_lg_u32 s46, 0
	s_cselect_b32 s21, s28, s21
	s_cselect_b32 s20, s23, s20
	s_cmp_ge_u32 s10, s34
	s_cselect_b32 s23, -1, 0
	s_cmp_eq_u32 s11, 0
	s_cselect_b32 s23, s23, -1
	s_delay_alu instid0(SALU_CYCLE_1)
	s_cmp_lg_u32 s23, 0
	s_cselect_b32 s11, s21, s11
	s_cselect_b32 s10, s20, s10
	s_cbranch_execnz .LBB144_192
.LBB144_191:                            ;   in Loop: Header=BB144_6 Depth=1
	v_cvt_f32_u32_e32 v4, s34
	s_sub_co_i32 s11, 0, s34
	s_delay_alu instid0(VALU_DEP_1) | instskip(SKIP_1) | instid1(TRANS32_DEP_1)
	v_rcp_iflag_f32_e32 v4, v4
	v_nop
	v_mul_f32_e32 v4, 0x4f7ffffe, v4
	s_delay_alu instid0(VALU_DEP_1) | instskip(NEXT) | instid1(VALU_DEP_1)
	v_cvt_u32_f32_e32 v4, v4
	v_readfirstlane_b32 s10, v4
	s_mul_i32 s11, s11, s10
	s_delay_alu instid0(SALU_CYCLE_1) | instskip(NEXT) | instid1(SALU_CYCLE_1)
	s_mul_hi_u32 s11, s10, s11
	s_add_co_i32 s10, s10, s11
	s_delay_alu instid0(SALU_CYCLE_1) | instskip(NEXT) | instid1(SALU_CYCLE_1)
	s_mul_hi_u32 s10, s56, s10
	s_mul_i32 s10, s10, s34
	s_delay_alu instid0(SALU_CYCLE_1) | instskip(NEXT) | instid1(SALU_CYCLE_1)
	s_sub_co_i32 s10, s56, s10
	s_sub_co_i32 s11, s10, s34
	s_cmp_ge_u32 s10, s34
	s_cselect_b32 s10, s11, s10
	s_delay_alu instid0(SALU_CYCLE_1) | instskip(SKIP_2) | instid1(SALU_CYCLE_1)
	s_sub_co_i32 s11, s10, s34
	s_cmp_ge_u32 s10, s34
	s_cselect_b32 s28, s11, s10
	s_mov_b64 s[10:11], s[28:29]
.LBB144_192:                            ;   in Loop: Header=BB144_6 Depth=1
	s_delay_alu instid0(SALU_CYCLE_1)
	s_sub_nc_u64 s[10:11], s[56:57], s[10:11]
	s_mov_b32 s20, exec_lo
                                        ; implicit-def: $vgpr7
	v_nop
	v_cmpx_gt_u64_e64 s[10:11], v[0:1]
	s_cbranch_execz .LBB144_201
; %bb.193:                              ;   in Loop: Header=BB144_6 Depth=1
	v_mov_b64_e32 v[4:5], v[14:15]
	v_mov_b64_e32 v[10:11], v[0:1]
	s_mov_b32 s21, 0
                                        ; implicit-def: $sgpr23
	s_branch .LBB144_196
.LBB144_194:                            ;   in Loop: Header=BB144_196 Depth=2
	s_or_b32 exec_lo, exec_lo, s28
	s_wait_dscnt 0x0
	s_barrier_signal -1
	s_barrier_wait -1
	ds_load_b64 v[6:7], v3 offset:3072
	s_mov_b32 s28, -1
	s_mov_b32 s46, -1
	s_wait_dscnt 0x0
	s_barrier_signal -1
	s_barrier_wait -1
	v_cmp_eq_u32_e32 vcc_lo, 0, v6
	s_cbranch_vccnz .LBB144_199
.LBB144_195:                            ;   in Loop: Header=BB144_196 Depth=2
	s_and_b32 s28, exec_lo, s28
	s_delay_alu instid0(SALU_CYCLE_1) | instskip(SKIP_2) | instid1(SALU_CYCLE_1)
	s_or_b32 s21, s28, s21
	s_and_not1_b32 s23, s23, exec_lo
	s_and_b32 s28, s46, exec_lo
	s_or_b32 s23, s23, s28
	s_and_not1_b32 exec_lo, exec_lo, s21
	s_cbranch_execz .LBB144_200
.LBB144_196:                            ;   Parent Loop BB144_6 Depth=1
                                        ; =>  This Inner Loop Header: Depth=2
	s_mov_b32 s28, exec_lo
	s_delay_alu instid0(VALU_DEP_1)
	v_cmpx_gt_u64_e64 s[36:37], v[10:11]
	s_cbranch_execz .LBB144_194
; %bb.197:                              ;   in Loop: Header=BB144_196 Depth=2
	global_load_b32 v31, v[4:5], off
	s_wait_loadcnt 0x0
	v_bitop3_b32 v6, v31, v36, 0x80000000 bitop3:0x48
	s_delay_alu instid0(VALU_DEP_1)
	v_cmp_eq_u32_e32 vcc_lo, v6, v32
	s_and_b32 exec_lo, exec_lo, vcc_lo
	s_cbranch_execz .LBB144_194
; %bb.198:                              ;   in Loop: Header=BB144_196 Depth=2
	ds_store_b64 v3, v[30:31] offset:3072
	s_branch .LBB144_194
.LBB144_199:                            ;   in Loop: Header=BB144_196 Depth=2
	v_add_nc_u64_e32 v[10:11], s[34:35], v[10:11]
	v_add_nc_u64_e32 v[4:5], s[40:41], v[4:5]
	s_mov_b32 s46, 0
	s_delay_alu instid0(VALU_DEP_2)
	v_cmp_le_u64_e32 vcc_lo, s[10:11], v[10:11]
	s_or_not1_b32 s28, vcc_lo, exec_lo
	s_branch .LBB144_195
.LBB144_200:                            ;   in Loop: Header=BB144_6 Depth=1
	s_or_b32 exec_lo, exec_lo, s21
	s_delay_alu instid0(SALU_CYCLE_1) | instskip(SKIP_1) | instid1(SALU_CYCLE_1)
	s_and_not1_b32 s10, s22, exec_lo
	s_and_b32 s11, s23, exec_lo
	s_or_b32 s22, s10, s11
.LBB144_201:                            ;   in Loop: Header=BB144_6 Depth=1
	s_or_b32 exec_lo, exec_lo, s20
	s_mov_b32 s76, 0
	s_mov_b32 s77, -1
.LBB144_202:                            ;   in Loop: Header=BB144_6 Depth=1
	s_or_not1_b32 s10, s22, exec_lo
.LBB144_203:                            ;   in Loop: Header=BB144_6 Depth=1
	s_or_b32 exec_lo, exec_lo, s78
	s_mov_b32 s11, 0
	s_and_saveexec_b32 s78, s10
	s_cbranch_execz .LBB144_265
; %bb.204:                              ;   in Loop: Header=BB144_6 Depth=1
	v_mov_b64_e32 v[4:5], 1
	v_mov_b32_e32 v2, 1
	s_xor_b32 s20, s79, -1
	s_delay_alu instid0(SALU_CYCLE_1)
	s_and_saveexec_b32 s10, s20
	s_cbranch_execz .LBB144_213
; %bb.205:                              ;   in Loop: Header=BB144_6 Depth=1
	s_mov_b32 s11, exec_lo
	v_cmpx_ge_u64_e64 s[16:17], v[8:9]
	s_xor_b32 s11, exec_lo, s11
	s_cbranch_execz .LBB144_210
; %bb.206:                              ;   in Loop: Header=BB144_6 Depth=1
	ds_load_b64 v[4:5], v3 offset:5120
	s_lshl_b32 s20, 2, s91
	v_or_b32_e32 v36, s24, v36
	v_and_or_b32 v32, v32, s25, s20
	s_wait_dscnt 0x0
	v_cmp_ne_u64_e32 vcc_lo, 0, v[4:5]
	s_cbranch_vccnz .LBB144_210
; %bb.207:                              ;   in Loop: Header=BB144_6 Depth=1
	s_and_saveexec_b32 s20, s5
; %bb.208:                              ;   in Loop: Header=BB144_6 Depth=1
	v_mov_b64_e32 v[4:5], s[16:17]
	ds_store_b64 v3, v[4:5] offset:5128
; %bb.209:                              ;   in Loop: Header=BB144_6 Depth=1
	s_or_b32 exec_lo, exec_lo, s20
	s_wait_dscnt 0x0
	s_barrier_signal -1
	s_barrier_wait -1
.LBB144_210:                            ;   in Loop: Header=BB144_6 Depth=1
	s_or_saveexec_b32 s11, s11
	v_mov_b32_e32 v2, 8
	s_mov_b32 s20, 0
	s_xor_b32 exec_lo, exec_lo, s11
; %bb.211:                              ;   in Loop: Header=BB144_6 Depth=1
	v_sub_nc_u64_e64 v[8:9], v[8:9], s[16:17]
	v_mov_b32_e32 v2, 0
	s_mov_b32 s20, exec_lo
; %bb.212:                              ;   in Loop: Header=BB144_6 Depth=1
	s_or_b32 exec_lo, exec_lo, s11
	s_delay_alu instid0(VALU_DEP_2)
	v_mov_b64_e32 v[4:5], v[8:9]
	s_and_b32 s11, s20, exec_lo
.LBB144_213:                            ;   in Loop: Header=BB144_6 Depth=1
	s_or_b32 exec_lo, exec_lo, s10
	s_mov_b32 s10, -1
                                        ; implicit-def: $vcc_hi
                                        ; implicit-def: $sgpr104
	s_and_saveexec_b32 s79, s11
	s_cbranch_execz .LBB144_264
; %bb.214:                              ;   in Loop: Header=BB144_6 Depth=1
	s_delay_alu instid0(VALU_DEP_1) | instskip(SKIP_3) | instid1(SALU_CYCLE_1)
	v_cmp_eq_u64_e32 vcc_lo, 1, v[4:5]
	s_cmp_eq_u64 s[18:19], 1
	s_mov_b32 s11, -1
	s_cselect_b32 s10, -1, 0
                                        ; implicit-def: $vcc_hi
                                        ; implicit-def: $sgpr104
	s_and_b32 s80, s10, vcc_lo
	s_delay_alu instid0(SALU_CYCLE_1)
	s_and_saveexec_b32 s81, s80
	s_cbranch_execz .LBB144_252
; %bb.215:                              ;   in Loop: Header=BB144_6 Depth=1
	ds_load_b64 v[6:7], v3 offset:5120
	s_wait_dscnt 0x0
	s_barrier_signal -1
	s_barrier_wait -1
	v_readfirstlane_b32 s10, v6
	v_readfirstlane_b32 s11, v7
	s_and_saveexec_b32 s20, s6
; %bb.216:                              ;   in Loop: Header=BB144_6 Depth=1
	ds_store_b32 v43, v3
; %bb.217:                              ;   in Loop: Header=BB144_6 Depth=1
	s_or_b32 exec_lo, exec_lo, s20
	v_or_b32_e32 v32, s24, v32
	v_or_b32_e32 v36, s24, v36
	s_mov_b32 s104, -1
	s_mov_b32 vcc_hi, 0
	s_cmp_eq_u64 s[10:11], 0
	s_mov_b32 s22, 0
	s_mov_b32 s23, -1
	s_wait_dscnt 0x0
	s_barrier_signal -1
	s_barrier_wait -1
                                        ; implicit-def: $vgpr7
	s_cbranch_scc1 .LBB144_235
; %bb.218:                              ;   in Loop: Header=BB144_6 Depth=1
	s_add_nc_u64 s[20:21], s[10:11], s[54:55]
	s_delay_alu instid0(SALU_CYCLE_1) | instskip(NEXT) | instid1(SALU_CYCLE_1)
	s_and_b64 s[22:23], s[20:21], 0xffffffff00000000
	s_cmp_lg_u64 s[22:23], 0
	s_cbranch_scc0 .LBB144_222
; %bb.219:                              ;   in Loop: Header=BB144_6 Depth=1
	s_cvt_f32_u32 s22, s34
	s_sub_nc_u64 s[46:47], 0, s[34:35]
	s_delay_alu instid0(SALU_CYCLE_2) | instskip(NEXT) | instid1(SALU_CYCLE_3)
	s_fmamk_f32 s22, s90, 0x0, s22
	v_s_rcp_f32 s22, s22
	s_delay_alu instid0(TRANS32_DEP_1) | instskip(NEXT) | instid1(SALU_CYCLE_3)
	s_mul_f32 s22, s22, 0x5f7ffffc
	s_mul_f32 s23, s22, 0x2f800000
	s_delay_alu instid0(SALU_CYCLE_3) | instskip(NEXT) | instid1(SALU_CYCLE_3)
	s_trunc_f32 s23, s23
	s_fmamk_f32 s22, s23, 0xcf800000, s22
	s_cvt_u32_f32 s23, s23
	s_delay_alu instid0(SALU_CYCLE_2) | instskip(NEXT) | instid1(SALU_CYCLE_3)
	s_cvt_u32_f32 s22, s22
	s_mul_u64 s[48:49], s[46:47], s[22:23]
	s_delay_alu instid0(SALU_CYCLE_1)
	s_mul_hi_u32 s51, s22, s49
	s_mul_i32 s50, s22, s49
	s_mul_hi_u32 s28, s22, s48
	s_mul_i32 s52, s23, s48
	s_add_nc_u64 s[50:51], s[28:29], s[50:51]
	s_mul_hi_u32 vcc_lo, s23, s48
	s_mul_hi_u32 s53, s23, s49
	s_add_co_u32 s28, s50, s52
	s_add_co_ci_u32 s28, s51, vcc_lo
	s_mul_i32 s48, s23, s49
	s_add_co_ci_u32 s49, s53, 0
	s_delay_alu instid0(SALU_CYCLE_1) | instskip(NEXT) | instid1(SALU_CYCLE_1)
	s_add_nc_u64 s[48:49], s[28:29], s[48:49]
	s_add_co_u32 s22, s22, s48
	s_cselect_b32 s28, -1, 0
	s_delay_alu instid0(SALU_CYCLE_1) | instskip(SKIP_1) | instid1(SALU_CYCLE_1)
	s_cmp_lg_u32 s28, 0
	s_add_co_ci_u32 s23, s23, s49
	s_mul_u64 s[46:47], s[46:47], s[22:23]
	s_delay_alu instid0(SALU_CYCLE_1)
	s_mul_hi_u32 s49, s22, s47
	s_mul_i32 s48, s22, s47
	s_mul_hi_u32 s28, s22, s46
	s_mul_i32 s51, s23, s46
	s_add_nc_u64 s[48:49], s[28:29], s[48:49]
	s_mul_hi_u32 s50, s23, s46
	s_mul_hi_u32 s52, s23, s47
	s_add_co_u32 s28, s48, s51
	s_add_co_ci_u32 s28, s49, s50
	s_mul_i32 s46, s23, s47
	s_add_co_ci_u32 s47, s52, 0
	s_delay_alu instid0(SALU_CYCLE_1) | instskip(NEXT) | instid1(SALU_CYCLE_1)
	s_add_nc_u64 s[46:47], s[28:29], s[46:47]
	s_add_co_u32 s22, s22, s46
	s_cselect_b32 s46, -1, 0
	s_mul_hi_u32 s28, s20, s22
	s_cmp_lg_u32 s46, 0
	s_mul_hi_u32 s48, s21, s22
	s_add_co_ci_u32 s46, s23, s47
	s_mul_i32 s47, s21, s22
	s_mul_hi_u32 s23, s20, s46
	s_mul_i32 s22, s20, s46
	s_mul_hi_u32 s49, s21, s46
	s_add_nc_u64 s[22:23], s[28:29], s[22:23]
	s_mul_i32 s46, s21, s46
	s_add_co_u32 s22, s22, s47
	s_add_co_ci_u32 s28, s23, s48
	s_add_co_ci_u32 s47, s49, 0
	s_delay_alu instid0(SALU_CYCLE_1) | instskip(NEXT) | instid1(SALU_CYCLE_1)
	s_add_nc_u64 s[22:23], s[28:29], s[46:47]
	s_and_b64 s[46:47], s[22:23], 0xffffffff00000000
	s_delay_alu instid0(SALU_CYCLE_1) | instskip(NEXT) | instid1(SALU_CYCLE_1)
	s_or_b32 s46, s46, s22
	s_mul_u64 s[22:23], s[34:35], s[46:47]
	s_delay_alu instid0(SALU_CYCLE_1) | instskip(SKIP_1) | instid1(SALU_CYCLE_1)
	s_sub_co_u32 s22, s20, s22
	s_cselect_b32 s28, -1, 0
	s_cmp_lg_u32 s28, 0
	s_sub_co_ci_u32 s23, s21, s23
	s_sub_co_u32 s28, s22, s34
	s_cselect_b32 s46, -1, 0
	s_delay_alu instid0(SALU_CYCLE_1) | instskip(SKIP_3) | instid1(SALU_CYCLE_1)
	s_cmp_lg_u32 s46, 0
	s_sub_co_ci_u32 s46, s23, 0
	s_sub_co_u32 s47, s28, s34
	s_cselect_b32 s48, -1, 0
	s_cmp_lg_u32 s48, 0
	s_sub_co_ci_u32 s48, s46, 0
	s_cmp_ge_u32 s28, s34
	s_cselect_b32 s49, -1, 0
	s_cmp_eq_u32 s46, 0
	s_cselect_b32 s49, s49, -1
	s_delay_alu instid0(SALU_CYCLE_1)
	s_cmp_lg_u32 s49, 0
	s_cselect_b32 s46, s48, s46
	s_cselect_b32 s28, s47, s28
	s_cmp_ge_u32 s22, s34
	s_cselect_b32 s47, -1, 0
	s_cmp_eq_u32 s23, 0
	s_cselect_b32 s47, s47, -1
	s_delay_alu instid0(SALU_CYCLE_1)
	s_cmp_lg_u32 s47, 0
	s_cselect_b32 s23, s46, s23
	s_cselect_b32 s22, s28, s22
	s_mov_b32 s28, 0
	s_branch .LBB144_223
.LBB144_220:                            ;   in Loop: Header=BB144_6 Depth=1
                                        ; implicit-def: $sgpr22_sgpr23
	s_branch .LBB144_175
.LBB144_221:                            ;   in Loop: Header=BB144_6 Depth=1
                                        ; implicit-def: $sgpr10_sgpr11
	s_branch .LBB144_191
.LBB144_222:                            ;   in Loop: Header=BB144_6 Depth=1
	s_mov_b32 s28, -1
                                        ; implicit-def: $sgpr22_sgpr23
.LBB144_223:                            ;   in Loop: Header=BB144_6 Depth=1
	s_delay_alu instid0(SALU_CYCLE_1)
	s_and_not1_b32 vcc_lo, exec_lo, s28
	s_cbranch_vccnz .LBB144_225
; %bb.224:                              ;   in Loop: Header=BB144_6 Depth=1
	v_cvt_f32_u32_e32 v6, s34
	s_sub_co_i32 s23, 0, s34
	s_delay_alu instid0(VALU_DEP_1) | instskip(SKIP_1) | instid1(TRANS32_DEP_1)
	v_rcp_iflag_f32_e32 v6, v6
	v_nop
	v_mul_f32_e32 v6, 0x4f7ffffe, v6
	s_delay_alu instid0(VALU_DEP_1) | instskip(NEXT) | instid1(VALU_DEP_1)
	v_cvt_u32_f32_e32 v6, v6
	v_readfirstlane_b32 s22, v6
	s_mul_i32 s23, s23, s22
	s_delay_alu instid0(SALU_CYCLE_1) | instskip(NEXT) | instid1(SALU_CYCLE_1)
	s_mul_hi_u32 s23, s22, s23
	s_add_co_i32 s22, s22, s23
	s_delay_alu instid0(SALU_CYCLE_1) | instskip(NEXT) | instid1(SALU_CYCLE_1)
	s_mul_hi_u32 s22, s20, s22
	s_mul_i32 s22, s22, s34
	s_delay_alu instid0(SALU_CYCLE_1) | instskip(NEXT) | instid1(SALU_CYCLE_1)
	s_sub_co_i32 s22, s20, s22
	s_sub_co_i32 s23, s22, s34
	s_cmp_ge_u32 s22, s34
	s_cselect_b32 s22, s23, s22
	s_delay_alu instid0(SALU_CYCLE_1) | instskip(SKIP_2) | instid1(SALU_CYCLE_1)
	s_sub_co_i32 s23, s22, s34
	s_cmp_ge_u32 s22, s34
	s_cselect_b32 s28, s23, s22
	s_mov_b64 s[22:23], s[28:29]
.LBB144_225:                            ;   in Loop: Header=BB144_6 Depth=1
	s_delay_alu instid0(SALU_CYCLE_1)
	s_sub_nc_u64 s[20:21], s[20:21], s[22:23]
	s_mov_b32 s23, 0
	s_mov_b32 s22, 0
	s_mov_b32 s28, exec_lo
                                        ; implicit-def: $vgpr7
	v_cmpx_gt_u64_e64 s[20:21], v[0:1]
	s_cbranch_execz .LBB144_234
; %bb.226:                              ;   in Loop: Header=BB144_6 Depth=1
	v_mov_b64_e32 v[8:9], v[0:1]
	v_mov_b32_e32 v10, v16
                                        ; implicit-def: $sgpr46
	s_branch .LBB144_229
.LBB144_227:                            ;   in Loop: Header=BB144_229 Depth=2
	s_or_b32 exec_lo, exec_lo, s47
	s_wait_dscnt 0x0
	s_barrier_signal -1
	s_barrier_wait -1
	ds_load_b64 v[6:7], v3 offset:3072
	s_mov_b32 s47, -1
	s_mov_b32 s48, -1
	s_wait_dscnt 0x0
	s_barrier_signal -1
	s_barrier_wait -1
	v_cmp_ne_u32_e32 vcc_lo, 0, v6
	s_cbranch_vccz .LBB144_232
.LBB144_228:                            ;   in Loop: Header=BB144_229 Depth=2
	s_and_b32 s47, exec_lo, s47
	s_delay_alu instid0(SALU_CYCLE_1) | instskip(SKIP_2) | instid1(SALU_CYCLE_1)
	s_or_b32 s22, s47, s22
	s_and_not1_b32 s46, s46, exec_lo
	s_and_b32 s47, s48, exec_lo
	s_or_b32 s46, s46, s47
	s_and_not1_b32 exec_lo, exec_lo, s22
	s_cbranch_execz .LBB144_233
.LBB144_229:                            ;   Parent Loop BB144_6 Depth=1
                                        ; =>  This Inner Loop Header: Depth=2
	s_mov_b32 s47, exec_lo
	s_delay_alu instid0(VALU_DEP_2)
	v_cmpx_gt_u64_e64 s[10:11], v[8:9]
	s_cbranch_execz .LBB144_227
; %bb.230:                              ;   in Loop: Header=BB144_229 Depth=2
	ds_load_b32 v31, v10
	s_wait_dscnt 0x0
	v_bitop3_b32 v6, v31, v36, 0x80000000 bitop3:0x48
	s_delay_alu instid0(VALU_DEP_1)
	v_cmp_eq_u32_e32 vcc_lo, v6, v32
	s_and_b32 exec_lo, exec_lo, vcc_lo
	s_cbranch_execz .LBB144_227
; %bb.231:                              ;   in Loop: Header=BB144_229 Depth=2
	ds_store_b64 v3, v[30:31] offset:3072
	s_branch .LBB144_227
.LBB144_232:                            ;   in Loop: Header=BB144_229 Depth=2
	v_add_nc_u64_e32 v[8:9], s[34:35], v[8:9]
	v_add_nc_u32_e32 v10, s89, v10
	s_mov_b32 s48, 0
	s_delay_alu instid0(VALU_DEP_2)
	v_cmp_le_u64_e32 vcc_lo, s[20:21], v[8:9]
	s_or_not1_b32 s47, vcc_lo, exec_lo
	s_branch .LBB144_228
.LBB144_233:                            ;   in Loop: Header=BB144_6 Depth=1
	s_or_b32 exec_lo, exec_lo, s22
	s_delay_alu instid0(SALU_CYCLE_1)
	s_and_b32 s22, s46, exec_lo
.LBB144_234:                            ;   in Loop: Header=BB144_6 Depth=1
	s_or_b32 exec_lo, exec_lo, s28
.LBB144_235:                            ;   in Loop: Header=BB144_6 Depth=1
	s_delay_alu instid0(SALU_CYCLE_1)
	s_and_b32 vcc_lo, exec_lo, s23
	s_cbranch_vccz .LBB144_251
; %bb.236:                              ;   in Loop: Header=BB144_6 Depth=1
	s_and_b64 s[10:11], s[56:57], 0xffffffff00000000
	s_delay_alu instid0(SALU_CYCLE_1)
	s_cmp_lg_u64 s[10:11], 0
	s_cbranch_scc0 .LBB144_238
; %bb.237:                              ;   in Loop: Header=BB144_6 Depth=1
	s_cvt_f32_u32 s10, s34
	s_sub_nc_u64 s[20:21], 0, s[34:35]
	s_delay_alu instid0(SALU_CYCLE_2) | instskip(NEXT) | instid1(SALU_CYCLE_3)
	s_fmamk_f32 s10, s90, 0x0, s10
	v_s_rcp_f32 s10, s10
	s_delay_alu instid0(TRANS32_DEP_1) | instskip(NEXT) | instid1(SALU_CYCLE_3)
	s_mul_f32 s10, s10, 0x5f7ffffc
	s_mul_f32 s11, s10, 0x2f800000
	s_delay_alu instid0(SALU_CYCLE_3) | instskip(NEXT) | instid1(SALU_CYCLE_3)
	s_trunc_f32 s11, s11
	s_fmamk_f32 s10, s11, 0xcf800000, s10
	s_cvt_u32_f32 s11, s11
	s_delay_alu instid0(SALU_CYCLE_2) | instskip(NEXT) | instid1(SALU_CYCLE_3)
	s_cvt_u32_f32 s10, s10
	s_mul_u64 s[46:47], s[20:21], s[10:11]
	s_delay_alu instid0(SALU_CYCLE_1)
	s_mul_hi_u32 s49, s10, s47
	s_mul_i32 s48, s10, s47
	s_mul_hi_u32 s28, s10, s46
	s_mul_i32 s50, s11, s46
	s_add_nc_u64 s[48:49], s[28:29], s[48:49]
	s_mul_hi_u32 s23, s11, s46
	s_mul_hi_u32 s51, s11, s47
	s_add_co_u32 s28, s48, s50
	s_add_co_ci_u32 s28, s49, s23
	s_mul_i32 s46, s11, s47
	s_add_co_ci_u32 s47, s51, 0
	s_delay_alu instid0(SALU_CYCLE_1) | instskip(NEXT) | instid1(SALU_CYCLE_1)
	s_add_nc_u64 s[46:47], s[28:29], s[46:47]
	s_add_co_u32 s10, s10, s46
	s_cselect_b32 s23, -1, 0
	s_delay_alu instid0(SALU_CYCLE_1) | instskip(SKIP_1) | instid1(SALU_CYCLE_1)
	s_cmp_lg_u32 s23, 0
	s_add_co_ci_u32 s11, s11, s47
	s_mul_u64 s[20:21], s[20:21], s[10:11]
	s_delay_alu instid0(SALU_CYCLE_1)
	s_mul_hi_u32 s47, s10, s21
	s_mul_i32 s46, s10, s21
	s_mul_hi_u32 s28, s10, s20
	s_mul_i32 s48, s11, s20
	s_add_nc_u64 s[46:47], s[28:29], s[46:47]
	s_mul_hi_u32 s23, s11, s20
	s_mul_hi_u32 s49, s11, s21
	s_mul_i32 s20, s11, s21
	s_add_co_u32 s21, s46, s48
	s_add_co_ci_u32 s28, s47, s23
	s_add_co_ci_u32 s21, s49, 0
	s_delay_alu instid0(SALU_CYCLE_1) | instskip(NEXT) | instid1(SALU_CYCLE_1)
	s_add_nc_u64 s[20:21], s[28:29], s[20:21]
	s_add_co_u32 s10, s10, s20
	s_cselect_b32 s20, -1, 0
	s_mul_hi_u32 s28, s56, s10
	s_cmp_lg_u32 s20, 0
	s_mul_hi_u32 s23, s57, s10
	s_add_co_ci_u32 s20, s11, s21
	s_mul_i32 s21, s57, s10
	s_mul_hi_u32 s11, s56, s20
	s_mul_i32 s10, s56, s20
	s_mul_hi_u32 s46, s57, s20
	s_add_nc_u64 s[10:11], s[28:29], s[10:11]
	s_mul_i32 s20, s57, s20
	s_add_co_u32 s10, s10, s21
	s_add_co_ci_u32 s28, s11, s23
	s_add_co_ci_u32 s21, s46, 0
	s_delay_alu instid0(SALU_CYCLE_1) | instskip(NEXT) | instid1(SALU_CYCLE_1)
	s_add_nc_u64 s[10:11], s[28:29], s[20:21]
	s_and_b64 s[20:21], s[10:11], 0xffffffff00000000
	s_delay_alu instid0(SALU_CYCLE_1) | instskip(NEXT) | instid1(SALU_CYCLE_1)
	s_or_b32 s20, s20, s10
	s_mul_u64 s[10:11], s[34:35], s[20:21]
	s_delay_alu instid0(SALU_CYCLE_1) | instskip(SKIP_1) | instid1(SALU_CYCLE_1)
	s_sub_co_u32 s10, s56, s10
	s_cselect_b32 s20, -1, 0
	s_cmp_lg_u32 s20, 0
	s_sub_co_ci_u32 s11, s57, s11
	s_sub_co_u32 s20, s10, s34
	s_cselect_b32 s21, -1, 0
	s_delay_alu instid0(SALU_CYCLE_1) | instskip(SKIP_3) | instid1(SALU_CYCLE_1)
	s_cmp_lg_u32 s21, 0
	s_sub_co_ci_u32 s21, s11, 0
	s_sub_co_u32 s23, s20, s34
	s_cselect_b32 s28, -1, 0
	s_cmp_lg_u32 s28, 0
	s_sub_co_ci_u32 s28, s21, 0
	s_cmp_ge_u32 s20, s34
	s_cselect_b32 s46, -1, 0
	s_cmp_eq_u32 s21, 0
	s_cselect_b32 s46, s46, -1
	s_delay_alu instid0(SALU_CYCLE_1)
	s_cmp_lg_u32 s46, 0
	s_cselect_b32 s21, s28, s21
	s_cselect_b32 s20, s23, s20
	s_cmp_ge_u32 s10, s34
	s_cselect_b32 s23, -1, 0
	s_cmp_eq_u32 s11, 0
	s_cselect_b32 s23, s23, -1
	s_delay_alu instid0(SALU_CYCLE_1)
	s_cmp_lg_u32 s23, 0
	s_cselect_b32 s11, s21, s11
	s_cselect_b32 s10, s20, s10
	s_mov_b32 s20, 0
	s_branch .LBB144_239
.LBB144_238:                            ;   in Loop: Header=BB144_6 Depth=1
	s_mov_b32 s20, -1
                                        ; implicit-def: $sgpr10_sgpr11
.LBB144_239:                            ;   in Loop: Header=BB144_6 Depth=1
	s_delay_alu instid0(SALU_CYCLE_1)
	s_and_not1_b32 vcc_lo, exec_lo, s20
	s_cbranch_vccnz .LBB144_241
; %bb.240:                              ;   in Loop: Header=BB144_6 Depth=1
	v_cvt_f32_u32_e32 v6, s34
	s_sub_co_i32 s11, 0, s34
	s_delay_alu instid0(VALU_DEP_1) | instskip(SKIP_1) | instid1(TRANS32_DEP_1)
	v_rcp_iflag_f32_e32 v6, v6
	v_nop
	v_mul_f32_e32 v6, 0x4f7ffffe, v6
	s_delay_alu instid0(VALU_DEP_1) | instskip(NEXT) | instid1(VALU_DEP_1)
	v_cvt_u32_f32_e32 v6, v6
	v_readfirstlane_b32 s10, v6
	s_mul_i32 s11, s11, s10
	s_delay_alu instid0(SALU_CYCLE_1) | instskip(NEXT) | instid1(SALU_CYCLE_1)
	s_mul_hi_u32 s11, s10, s11
	s_add_co_i32 s10, s10, s11
	s_delay_alu instid0(SALU_CYCLE_1) | instskip(NEXT) | instid1(SALU_CYCLE_1)
	s_mul_hi_u32 s10, s56, s10
	s_mul_i32 s10, s10, s34
	s_delay_alu instid0(SALU_CYCLE_1) | instskip(NEXT) | instid1(SALU_CYCLE_1)
	s_sub_co_i32 s10, s56, s10
	s_sub_co_i32 s11, s10, s34
	s_cmp_ge_u32 s10, s34
	s_cselect_b32 s10, s11, s10
	s_delay_alu instid0(SALU_CYCLE_1) | instskip(SKIP_2) | instid1(SALU_CYCLE_1)
	s_sub_co_i32 s11, s10, s34
	s_cmp_ge_u32 s10, s34
	s_cselect_b32 s28, s11, s10
	s_mov_b64 s[10:11], s[28:29]
.LBB144_241:                            ;   in Loop: Header=BB144_6 Depth=1
	s_delay_alu instid0(SALU_CYCLE_1)
	s_sub_nc_u64 s[10:11], s[56:57], s[10:11]
	s_mov_b32 s20, exec_lo
                                        ; implicit-def: $vgpr7
	v_nop
	v_cmpx_gt_u64_e64 s[10:11], v[0:1]
	s_cbranch_execz .LBB144_250
; %bb.242:                              ;   in Loop: Header=BB144_6 Depth=1
	v_mov_b64_e32 v[8:9], v[14:15]
	v_mov_b64_e32 v[10:11], v[0:1]
	s_mov_b32 s21, 0
                                        ; implicit-def: $sgpr23
	s_branch .LBB144_245
.LBB144_243:                            ;   in Loop: Header=BB144_245 Depth=2
	s_or_b32 exec_lo, exec_lo, s28
	s_wait_dscnt 0x0
	s_barrier_signal -1
	s_barrier_wait -1
	ds_load_b64 v[6:7], v3 offset:3072
	s_mov_b32 s28, -1
	s_mov_b32 s46, -1
	s_wait_dscnt 0x0
	s_barrier_signal -1
	s_barrier_wait -1
	v_cmp_eq_u32_e32 vcc_lo, 0, v6
	s_cbranch_vccnz .LBB144_248
.LBB144_244:                            ;   in Loop: Header=BB144_245 Depth=2
	s_and_b32 s28, exec_lo, s28
	s_delay_alu instid0(SALU_CYCLE_1) | instskip(SKIP_2) | instid1(SALU_CYCLE_1)
	s_or_b32 s21, s28, s21
	s_and_not1_b32 s23, s23, exec_lo
	s_and_b32 s28, s46, exec_lo
	s_or_b32 s23, s23, s28
	s_and_not1_b32 exec_lo, exec_lo, s21
	s_cbranch_execz .LBB144_249
.LBB144_245:                            ;   Parent Loop BB144_6 Depth=1
                                        ; =>  This Inner Loop Header: Depth=2
	s_mov_b32 s28, exec_lo
	s_delay_alu instid0(VALU_DEP_1)
	v_cmpx_gt_u64_e64 s[36:37], v[10:11]
	s_cbranch_execz .LBB144_243
; %bb.246:                              ;   in Loop: Header=BB144_245 Depth=2
	global_load_b32 v31, v[8:9], off
	s_wait_loadcnt 0x0
	v_bitop3_b32 v6, v31, v36, 0x80000000 bitop3:0x48
	s_delay_alu instid0(VALU_DEP_1)
	v_cmp_eq_u32_e32 vcc_lo, v6, v32
	s_and_b32 exec_lo, exec_lo, vcc_lo
	s_cbranch_execz .LBB144_243
; %bb.247:                              ;   in Loop: Header=BB144_245 Depth=2
	ds_store_b64 v3, v[30:31] offset:3072
	s_branch .LBB144_243
.LBB144_248:                            ;   in Loop: Header=BB144_245 Depth=2
	v_add_nc_u64_e32 v[10:11], s[34:35], v[10:11]
	v_add_nc_u64_e32 v[8:9], s[40:41], v[8:9]
	s_mov_b32 s46, 0
	s_delay_alu instid0(VALU_DEP_2)
	v_cmp_le_u64_e32 vcc_lo, s[10:11], v[10:11]
	s_or_not1_b32 s28, vcc_lo, exec_lo
	s_branch .LBB144_244
.LBB144_249:                            ;   in Loop: Header=BB144_6 Depth=1
	s_or_b32 exec_lo, exec_lo, s21
	s_delay_alu instid0(SALU_CYCLE_1) | instskip(SKIP_1) | instid1(SALU_CYCLE_1)
	s_and_not1_b32 s10, s22, exec_lo
	s_and_b32 s11, s23, exec_lo
	s_or_b32 s22, s10, s11
.LBB144_250:                            ;   in Loop: Header=BB144_6 Depth=1
	s_or_b32 exec_lo, exec_lo, s20
	s_mov_b32 s104, 0
	s_mov_b32 vcc_hi, -1
.LBB144_251:                            ;   in Loop: Header=BB144_6 Depth=1
	s_or_not1_b32 s11, s22, exec_lo
.LBB144_252:                            ;   in Loop: Header=BB144_6 Depth=1
	s_or_b32 exec_lo, exec_lo, s81
	s_mov_b32 s20, 0
	s_and_saveexec_b32 s10, s11
	s_cbranch_execz .LBB144_263
; %bb.253:                              ;   in Loop: Header=BB144_6 Depth=1
	v_mov_b64_e32 v[8:9], 1
	v_mov_b32_e32 v2, 1
	s_xor_b32 s20, s80, -1
	s_delay_alu instid0(SALU_CYCLE_1)
	s_and_saveexec_b32 s11, s20
	s_cbranch_execz .LBB144_262
; %bb.254:                              ;   in Loop: Header=BB144_6 Depth=1
	s_mov_b32 s20, exec_lo
	v_cmpx_ge_u64_e64 s[18:19], v[4:5]
	s_xor_b32 s20, exec_lo, s20
	s_cbranch_execz .LBB144_259
; %bb.255:                              ;   in Loop: Header=BB144_6 Depth=1
	ds_load_b64 v[8:9], v3 offset:5120
	v_or_b32_e32 v32, s24, v32
	v_or_b32_e32 v36, s24, v36
	s_wait_dscnt 0x0
	v_cmp_ne_u64_e32 vcc_lo, 0, v[8:9]
	s_cbranch_vccnz .LBB144_259
; %bb.256:                              ;   in Loop: Header=BB144_6 Depth=1
	s_and_saveexec_b32 s21, s5
; %bb.257:                              ;   in Loop: Header=BB144_6 Depth=1
	v_mov_b64_e32 v[8:9], s[18:19]
	ds_store_b64 v3, v[8:9] offset:5128
; %bb.258:                              ;   in Loop: Header=BB144_6 Depth=1
	s_or_b32 exec_lo, exec_lo, s21
	s_wait_dscnt 0x0
	s_barrier_signal -1
	s_barrier_wait -1
.LBB144_259:                            ;   in Loop: Header=BB144_6 Depth=1
	s_and_not1_saveexec_b32 s20, s20
; %bb.260:                              ;   in Loop: Header=BB144_6 Depth=1
	v_sub_nc_u64_e64 v[4:5], v[4:5], s[18:19]
; %bb.261:                              ;   in Loop: Header=BB144_6 Depth=1
	s_or_b32 exec_lo, exec_lo, s20
	s_delay_alu instid0(VALU_DEP_1)
	v_mov_b64_e32 v[8:9], v[4:5]
	v_mov_b32_e32 v2, 8
.LBB144_262:                            ;   in Loop: Header=BB144_6 Depth=1
	s_or_b32 exec_lo, exec_lo, s11
	s_delay_alu instid0(VALU_DEP_2)
	v_mov_b64_e32 v[4:5], v[8:9]
	s_mov_b32 s20, exec_lo
.LBB144_263:                            ;   in Loop: Header=BB144_6 Depth=1
	s_or_b32 exec_lo, exec_lo, s10
	s_delay_alu instid0(SALU_CYCLE_1)
	s_or_not1_b32 s10, s20, exec_lo
.LBB144_264:                            ;   in Loop: Header=BB144_6 Depth=1
	s_or_b32 exec_lo, exec_lo, s79
	s_delay_alu instid0(VALU_DEP_1)
	v_mov_b64_e32 v[8:9], v[4:5]
	s_and_not1_b32 s11, s77, exec_lo
	s_and_b32 s20, vcc_hi, exec_lo
	s_and_not1_b32 s21, s76, exec_lo
	s_and_b32 s22, s104, exec_lo
	s_or_b32 s77, s11, s20
	s_or_b32 s76, s21, s22
	s_and_b32 s11, s10, exec_lo
.LBB144_265:                            ;   in Loop: Header=BB144_6 Depth=1
	s_or_b32 exec_lo, exec_lo, s78
	s_delay_alu instid0(SALU_CYCLE_1)
	s_or_not1_b32 s10, s11, exec_lo
.LBB144_266:                            ;   in Loop: Header=BB144_6 Depth=1
	s_or_b32 exec_lo, exec_lo, s75
	v_mov_b64_e32 v[4:5], v[8:9]
	s_and_not1_b32 s11, s73, exec_lo
	s_and_b32 s20, s77, exec_lo
	s_and_not1_b32 s21, s68, exec_lo
	s_and_b32 s22, s76, exec_lo
	s_or_b32 s73, s11, s20
	s_or_b32 s68, s21, s22
	s_and_b32 s11, s10, exec_lo
.LBB144_267:                            ;   in Loop: Header=BB144_6 Depth=1
	s_or_b32 exec_lo, exec_lo, s74
	s_delay_alu instid0(SALU_CYCLE_1)
	s_or_not1_b32 s10, s11, exec_lo
.LBB144_268:                            ;   in Loop: Header=BB144_6 Depth=1
	s_or_b32 exec_lo, exec_lo, s27
	s_mov_b32 s11, 0
	s_mov_b32 s20, 0
	s_and_saveexec_b32 s21, s10
	s_delay_alu instid0(SALU_CYCLE_1)
	s_xor_b32 s21, exec_lo, s21
; %bb.269:                              ;   in Loop: Header=BB144_6 Depth=1
	v_cmp_ne_u32_e32 vcc_lo, 8, v2
	v_cmp_eq_u32_e64 s10, 8, v2
	s_and_b32 s20, vcc_lo, exec_lo
	s_and_b32 s11, s10, exec_lo
; %bb.270:                              ;   in Loop: Header=BB144_6 Depth=1
	s_or_b32 exec_lo, exec_lo, s21
	s_delay_alu instid0(SALU_CYCLE_1)
	s_and_not1_b32 s10, s70, exec_lo
	s_and_b32 s21, s73, exec_lo
	s_and_not1_b32 s22, s69, exec_lo
	s_and_b32 s23, s68, exec_lo
	s_or_b32 s70, s10, s21
	s_or_b32 s69, s22, s23
	s_and_b32 s27, s20, exec_lo
	s_and_b32 s68, s11, exec_lo
.LBB144_271:                            ;   in Loop: Header=BB144_6 Depth=1
	s_or_b32 exec_lo, exec_lo, s72
.LBB144_272:                            ;   in Loop: Header=BB144_6 Depth=1
	s_delay_alu instid0(SALU_CYCLE_1)
	s_and_b32 vcc_lo, exec_lo, s71
	s_cbranch_vccz .LBB144_288
; %bb.273:                              ;   in Loop: Header=BB144_6 Depth=1
	s_cmp_eq_u64 s[18:19], 1
                                        ; implicit-def: $sgpr71
                                        ; implicit-def: $sgpr26
	s_cselect_b32 s10, -1, 0
	s_delay_alu instid0(SALU_CYCLE_1)
	s_and_b32 s9, s10, s9
	s_mov_b32 s10, -1
	s_and_saveexec_b32 s69, s9
	s_cbranch_execz .LBB144_306
; %bb.274:                              ;   in Loop: Header=BB144_6 Depth=1
	ds_load_b64 v[4:5], v3 offset:5120
	s_wait_dscnt 0x0
	s_barrier_signal -1
	s_barrier_wait -1
	v_readfirstlane_b32 s10, v4
	v_readfirstlane_b32 s11, v5
	s_and_saveexec_b32 s20, s6
; %bb.275:                              ;   in Loop: Header=BB144_6 Depth=1
	ds_store_b32 v43, v3
; %bb.276:                              ;   in Loop: Header=BB144_6 Depth=1
	s_or_b32 exec_lo, exec_lo, s20
	v_or_b32_e32 v45, s24, v45
	v_or_b32_e32 v47, s24, v47
	s_mov_b32 s26, -1
	s_mov_b32 s71, 0
	s_cmp_eq_u64 s[10:11], 0
	s_mov_b32 s22, 0
	s_mov_b32 s23, -1
	s_wait_dscnt 0x0
	s_barrier_signal -1
	s_barrier_wait -1
                                        ; implicit-def: $vgpr33
	s_cbranch_scc1 .LBB144_291
; %bb.277:                              ;   in Loop: Header=BB144_6 Depth=1
	s_add_nc_u64 s[20:21], s[10:11], s[54:55]
	s_delay_alu instid0(SALU_CYCLE_1) | instskip(NEXT) | instid1(SALU_CYCLE_1)
	s_and_b64 s[22:23], s[20:21], 0xffffffff00000000
	s_cmp_lg_u64 s[22:23], 0
	s_cbranch_scc0 .LBB144_332
; %bb.278:                              ;   in Loop: Header=BB144_6 Depth=1
	s_cvt_f32_u32 s22, s34
	s_sub_nc_u64 s[46:47], 0, s[34:35]
	s_delay_alu instid0(SALU_CYCLE_2) | instskip(NEXT) | instid1(SALU_CYCLE_3)
	s_fmamk_f32 s22, s90, 0x0, s22
	v_s_rcp_f32 s22, s22
	s_delay_alu instid0(TRANS32_DEP_1) | instskip(NEXT) | instid1(SALU_CYCLE_3)
	s_mul_f32 s22, s22, 0x5f7ffffc
	s_mul_f32 s23, s22, 0x2f800000
	s_delay_alu instid0(SALU_CYCLE_3) | instskip(NEXT) | instid1(SALU_CYCLE_3)
	s_trunc_f32 s23, s23
	s_fmamk_f32 s22, s23, 0xcf800000, s22
	s_cvt_u32_f32 s23, s23
	s_delay_alu instid0(SALU_CYCLE_2) | instskip(NEXT) | instid1(SALU_CYCLE_3)
	s_cvt_u32_f32 s22, s22
	s_mul_u64 s[48:49], s[46:47], s[22:23]
	s_delay_alu instid0(SALU_CYCLE_1)
	s_mul_hi_u32 s73, s22, s49
	s_mul_i32 s72, s22, s49
	s_mul_hi_u32 s28, s22, s48
	s_mul_i32 s51, s23, s48
	s_add_nc_u64 s[72:73], s[28:29], s[72:73]
	s_mul_hi_u32 s50, s23, s48
	s_mul_hi_u32 s70, s23, s49
	s_add_co_u32 s28, s72, s51
	s_add_co_ci_u32 s28, s73, s50
	s_mul_i32 s48, s23, s49
	s_add_co_ci_u32 s49, s70, 0
	s_delay_alu instid0(SALU_CYCLE_1) | instskip(NEXT) | instid1(SALU_CYCLE_1)
	s_add_nc_u64 s[48:49], s[28:29], s[48:49]
	s_add_co_u32 s22, s22, s48
	s_cselect_b32 s28, -1, 0
	s_delay_alu instid0(SALU_CYCLE_1) | instskip(SKIP_1) | instid1(SALU_CYCLE_1)
	s_cmp_lg_u32 s28, 0
	s_add_co_ci_u32 s23, s23, s49
	s_mul_u64 s[46:47], s[46:47], s[22:23]
	s_delay_alu instid0(SALU_CYCLE_1)
	s_mul_hi_u32 s49, s22, s47
	s_mul_i32 s48, s22, s47
	s_mul_hi_u32 s28, s22, s46
	s_mul_i32 s51, s23, s46
	s_add_nc_u64 s[48:49], s[28:29], s[48:49]
	s_mul_hi_u32 s50, s23, s46
	s_mul_hi_u32 s70, s23, s47
	s_add_co_u32 s28, s48, s51
	s_add_co_ci_u32 s28, s49, s50
	s_mul_i32 s46, s23, s47
	s_add_co_ci_u32 s47, s70, 0
	s_delay_alu instid0(SALU_CYCLE_1) | instskip(NEXT) | instid1(SALU_CYCLE_1)
	s_add_nc_u64 s[46:47], s[28:29], s[46:47]
	s_add_co_u32 s22, s22, s46
	s_cselect_b32 s46, -1, 0
	s_mul_hi_u32 s28, s20, s22
	s_cmp_lg_u32 s46, 0
	s_mul_hi_u32 s48, s21, s22
	s_add_co_ci_u32 s46, s23, s47
	s_mul_i32 s47, s21, s22
	s_mul_hi_u32 s23, s20, s46
	s_mul_i32 s22, s20, s46
	s_mul_hi_u32 s49, s21, s46
	s_add_nc_u64 s[22:23], s[28:29], s[22:23]
	s_mul_i32 s46, s21, s46
	s_add_co_u32 s22, s22, s47
	s_add_co_ci_u32 s28, s23, s48
	s_add_co_ci_u32 s47, s49, 0
	s_delay_alu instid0(SALU_CYCLE_1) | instskip(NEXT) | instid1(SALU_CYCLE_1)
	s_add_nc_u64 s[22:23], s[28:29], s[46:47]
	s_and_b64 s[46:47], s[22:23], 0xffffffff00000000
	s_delay_alu instid0(SALU_CYCLE_1) | instskip(NEXT) | instid1(SALU_CYCLE_1)
	s_or_b32 s46, s46, s22
	s_mul_u64 s[22:23], s[34:35], s[46:47]
	s_delay_alu instid0(SALU_CYCLE_1) | instskip(SKIP_1) | instid1(SALU_CYCLE_1)
	s_sub_co_u32 s22, s20, s22
	s_cselect_b32 s28, -1, 0
	s_cmp_lg_u32 s28, 0
	s_sub_co_ci_u32 s23, s21, s23
	s_sub_co_u32 s28, s22, s34
	s_cselect_b32 s46, -1, 0
	s_delay_alu instid0(SALU_CYCLE_1) | instskip(SKIP_3) | instid1(SALU_CYCLE_1)
	s_cmp_lg_u32 s46, 0
	s_sub_co_ci_u32 s46, s23, 0
	s_sub_co_u32 s47, s28, s34
	s_cselect_b32 s48, -1, 0
	s_cmp_lg_u32 s48, 0
	s_sub_co_ci_u32 s48, s46, 0
	s_cmp_ge_u32 s28, s34
	s_cselect_b32 s49, -1, 0
	s_cmp_eq_u32 s46, 0
	s_cselect_b32 s49, s49, -1
	s_delay_alu instid0(SALU_CYCLE_1)
	s_cmp_lg_u32 s49, 0
	s_cselect_b32 s46, s48, s46
	s_cselect_b32 s28, s47, s28
	s_cmp_ge_u32 s22, s34
	s_cselect_b32 s47, -1, 0
	s_cmp_eq_u32 s23, 0
	s_cselect_b32 s47, s47, -1
	s_delay_alu instid0(SALU_CYCLE_1)
	s_cmp_lg_u32 s47, 0
	s_cselect_b32 s23, s46, s23
	s_cselect_b32 s22, s28, s22
	s_cbranch_execnz .LBB144_280
.LBB144_279:                            ;   in Loop: Header=BB144_6 Depth=1
	v_cvt_f32_u32_e32 v2, s34
	s_sub_co_i32 s23, 0, s34
	s_delay_alu instid0(VALU_DEP_1) | instskip(SKIP_1) | instid1(TRANS32_DEP_1)
	v_rcp_iflag_f32_e32 v2, v2
	v_nop
	v_mul_f32_e32 v2, 0x4f7ffffe, v2
	s_delay_alu instid0(VALU_DEP_1) | instskip(NEXT) | instid1(VALU_DEP_1)
	v_cvt_u32_f32_e32 v2, v2
	v_readfirstlane_b32 s22, v2
	s_mul_i32 s23, s23, s22
	s_delay_alu instid0(SALU_CYCLE_1) | instskip(NEXT) | instid1(SALU_CYCLE_1)
	s_mul_hi_u32 s23, s22, s23
	s_add_co_i32 s22, s22, s23
	s_delay_alu instid0(SALU_CYCLE_1) | instskip(NEXT) | instid1(SALU_CYCLE_1)
	s_mul_hi_u32 s22, s20, s22
	s_mul_i32 s22, s22, s34
	s_delay_alu instid0(SALU_CYCLE_1) | instskip(NEXT) | instid1(SALU_CYCLE_1)
	s_sub_co_i32 s22, s20, s22
	s_sub_co_i32 s23, s22, s34
	s_cmp_ge_u32 s22, s34
	s_cselect_b32 s22, s23, s22
	s_delay_alu instid0(SALU_CYCLE_1) | instskip(SKIP_2) | instid1(SALU_CYCLE_1)
	s_sub_co_i32 s23, s22, s34
	s_cmp_ge_u32 s22, s34
	s_cselect_b32 s28, s23, s22
	s_mov_b64 s[22:23], s[28:29]
.LBB144_280:                            ;   in Loop: Header=BB144_6 Depth=1
	s_delay_alu instid0(SALU_CYCLE_1)
	s_sub_nc_u64 s[20:21], s[20:21], s[22:23]
	s_mov_b32 s23, 0
	s_mov_b32 s22, 0
	s_mov_b32 s28, exec_lo
                                        ; implicit-def: $vgpr33
	v_cmpx_gt_u64_e64 s[20:21], v[0:1]
	s_cbranch_execz .LBB144_290
; %bb.281:                              ;   in Loop: Header=BB144_6 Depth=1
	v_mov_b64_e32 v[4:5], v[0:1]
	v_mov_b32_e32 v2, v16
                                        ; implicit-def: $sgpr46
	s_branch .LBB144_284
.LBB144_282:                            ;   in Loop: Header=BB144_284 Depth=2
	s_or_b32 exec_lo, exec_lo, s47
	s_wait_dscnt 0x0
	s_barrier_signal -1
	s_barrier_wait -1
	ds_load_b64 v[32:33], v3 offset:3072
	s_mov_b32 s47, -1
	s_mov_b32 s48, -1
	s_wait_dscnt 0x0
	s_barrier_signal -1
	s_barrier_wait -1
	v_cmp_ne_u32_e32 vcc_lo, 0, v32
	s_cbranch_vccz .LBB144_287
.LBB144_283:                            ;   in Loop: Header=BB144_284 Depth=2
	s_and_b32 s47, exec_lo, s47
	s_delay_alu instid0(SALU_CYCLE_1) | instskip(SKIP_2) | instid1(SALU_CYCLE_1)
	s_or_b32 s22, s47, s22
	s_and_not1_b32 s46, s46, exec_lo
	s_and_b32 s47, s48, exec_lo
	s_or_b32 s46, s46, s47
	s_and_not1_b32 exec_lo, exec_lo, s22
	s_cbranch_execz .LBB144_289
.LBB144_284:                            ;   Parent Loop BB144_6 Depth=1
                                        ; =>  This Inner Loop Header: Depth=2
	s_mov_b32 s47, exec_lo
	s_delay_alu instid0(VALU_DEP_2)
	v_cmpx_gt_u64_e64 s[10:11], v[4:5]
	s_cbranch_execz .LBB144_282
; %bb.285:                              ;   in Loop: Header=BB144_284 Depth=2
	ds_load_b32 v31, v2
	s_wait_dscnt 0x0
	v_bitop3_b32 v6, v31, v47, 0x80000000 bitop3:0x48
	s_delay_alu instid0(VALU_DEP_1)
	v_cmp_eq_u32_e32 vcc_lo, v6, v45
	s_and_b32 exec_lo, exec_lo, vcc_lo
	s_cbranch_execz .LBB144_282
; %bb.286:                              ;   in Loop: Header=BB144_284 Depth=2
	ds_store_b64 v3, v[30:31] offset:3072
	s_branch .LBB144_282
.LBB144_287:                            ;   in Loop: Header=BB144_284 Depth=2
	v_add_nc_u64_e32 v[4:5], s[34:35], v[4:5]
	v_add_nc_u32_e32 v2, s89, v2
	s_mov_b32 s48, 0
	s_delay_alu instid0(VALU_DEP_2)
	v_cmp_le_u64_e32 vcc_lo, s[20:21], v[4:5]
	s_or_not1_b32 s47, vcc_lo, exec_lo
	s_branch .LBB144_283
.LBB144_288:                            ;   in Loop: Header=BB144_6 Depth=1
	v_dual_mov_b32 v45, v32 :: v_dual_mov_b32 v47, v36
	v_mov_b32_e32 v33, v7
	s_mov_b32 s71, 0
	s_and_saveexec_b32 s9, s68
	s_cbranch_execnz .LBB144_465
	s_branch .LBB144_466
.LBB144_289:                            ;   in Loop: Header=BB144_6 Depth=1
	s_or_b32 exec_lo, exec_lo, s22
	s_delay_alu instid0(SALU_CYCLE_1)
	s_and_b32 s22, s46, exec_lo
.LBB144_290:                            ;   in Loop: Header=BB144_6 Depth=1
	s_or_b32 exec_lo, exec_lo, s28
.LBB144_291:                            ;   in Loop: Header=BB144_6 Depth=1
	s_delay_alu instid0(SALU_CYCLE_1)
	s_and_b32 vcc_lo, exec_lo, s23
	s_cbranch_vccz .LBB144_305
; %bb.292:                              ;   in Loop: Header=BB144_6 Depth=1
	s_and_b64 s[10:11], s[56:57], 0xffffffff00000000
	s_delay_alu instid0(SALU_CYCLE_1)
	s_cmp_lg_u64 s[10:11], 0
	s_cbranch_scc0 .LBB144_333
; %bb.293:                              ;   in Loop: Header=BB144_6 Depth=1
	s_cvt_f32_u32 s10, s34
	s_sub_nc_u64 s[20:21], 0, s[34:35]
	s_delay_alu instid0(SALU_CYCLE_2) | instskip(NEXT) | instid1(SALU_CYCLE_3)
	s_fmamk_f32 s10, s90, 0x0, s10
	v_s_rcp_f32 s10, s10
	s_delay_alu instid0(TRANS32_DEP_1) | instskip(NEXT) | instid1(SALU_CYCLE_3)
	s_mul_f32 s10, s10, 0x5f7ffffc
	s_mul_f32 s11, s10, 0x2f800000
	s_delay_alu instid0(SALU_CYCLE_3) | instskip(NEXT) | instid1(SALU_CYCLE_3)
	s_trunc_f32 s11, s11
	s_fmamk_f32 s10, s11, 0xcf800000, s10
	s_cvt_u32_f32 s11, s11
	s_delay_alu instid0(SALU_CYCLE_2) | instskip(NEXT) | instid1(SALU_CYCLE_3)
	s_cvt_u32_f32 s10, s10
	s_mul_u64 s[46:47], s[20:21], s[10:11]
	s_delay_alu instid0(SALU_CYCLE_1)
	s_mul_hi_u32 s49, s10, s47
	s_mul_i32 s48, s10, s47
	s_mul_hi_u32 s28, s10, s46
	s_mul_i32 s26, s11, s46
	s_add_nc_u64 s[48:49], s[28:29], s[48:49]
	s_mul_hi_u32 s23, s11, s46
	s_mul_hi_u32 s50, s11, s47
	s_add_co_u32 s26, s48, s26
	s_add_co_ci_u32 s28, s49, s23
	s_mul_i32 s46, s11, s47
	s_add_co_ci_u32 s47, s50, 0
	s_delay_alu instid0(SALU_CYCLE_1) | instskip(NEXT) | instid1(SALU_CYCLE_1)
	s_add_nc_u64 s[46:47], s[28:29], s[46:47]
	s_add_co_u32 s10, s10, s46
	s_cselect_b32 s23, -1, 0
	s_delay_alu instid0(SALU_CYCLE_1) | instskip(SKIP_1) | instid1(SALU_CYCLE_1)
	s_cmp_lg_u32 s23, 0
	s_add_co_ci_u32 s11, s11, s47
	s_mul_u64 s[20:21], s[20:21], s[10:11]
	s_delay_alu instid0(SALU_CYCLE_1)
	s_mul_hi_u32 s47, s10, s21
	s_mul_i32 s46, s10, s21
	s_mul_hi_u32 s28, s10, s20
	s_mul_i32 s26, s11, s20
	s_add_nc_u64 s[46:47], s[28:29], s[46:47]
	s_mul_hi_u32 s23, s11, s20
	s_mul_hi_u32 s48, s11, s21
	s_mul_i32 s20, s11, s21
	s_add_co_u32 s21, s46, s26
	s_add_co_ci_u32 s28, s47, s23
	s_add_co_ci_u32 s21, s48, 0
	s_delay_alu instid0(SALU_CYCLE_1) | instskip(NEXT) | instid1(SALU_CYCLE_1)
	s_add_nc_u64 s[20:21], s[28:29], s[20:21]
	s_add_co_u32 s10, s10, s20
	s_cselect_b32 s20, -1, 0
	s_mul_hi_u32 s28, s56, s10
	s_cmp_lg_u32 s20, 0
	s_mul_hi_u32 s23, s57, s10
	s_add_co_ci_u32 s20, s11, s21
	s_mul_i32 s21, s57, s10
	s_mul_hi_u32 s11, s56, s20
	s_mul_i32 s10, s56, s20
	s_mul_hi_u32 s26, s57, s20
	s_add_nc_u64 s[10:11], s[28:29], s[10:11]
	s_mul_i32 s20, s57, s20
	s_add_co_u32 s10, s10, s21
	s_add_co_ci_u32 s28, s11, s23
	s_add_co_ci_u32 s21, s26, 0
	s_delay_alu instid0(SALU_CYCLE_1) | instskip(NEXT) | instid1(SALU_CYCLE_1)
	s_add_nc_u64 s[10:11], s[28:29], s[20:21]
	s_and_b64 s[20:21], s[10:11], 0xffffffff00000000
	s_delay_alu instid0(SALU_CYCLE_1) | instskip(NEXT) | instid1(SALU_CYCLE_1)
	s_or_b32 s20, s20, s10
	s_mul_u64 s[10:11], s[34:35], s[20:21]
	s_delay_alu instid0(SALU_CYCLE_1) | instskip(SKIP_1) | instid1(SALU_CYCLE_1)
	s_sub_co_u32 s10, s56, s10
	s_cselect_b32 s20, -1, 0
	s_cmp_lg_u32 s20, 0
	s_sub_co_ci_u32 s11, s57, s11
	s_sub_co_u32 s20, s10, s34
	s_cselect_b32 s21, -1, 0
	s_delay_alu instid0(SALU_CYCLE_1) | instskip(SKIP_3) | instid1(SALU_CYCLE_1)
	s_cmp_lg_u32 s21, 0
	s_sub_co_ci_u32 s21, s11, 0
	s_sub_co_u32 s23, s20, s34
	s_cselect_b32 s26, -1, 0
	s_cmp_lg_u32 s26, 0
	s_sub_co_ci_u32 s26, s21, 0
	s_cmp_ge_u32 s20, s34
	s_cselect_b32 s28, -1, 0
	s_cmp_eq_u32 s21, 0
	s_cselect_b32 s28, s28, -1
	s_delay_alu instid0(SALU_CYCLE_1)
	s_cmp_lg_u32 s28, 0
	s_cselect_b32 s21, s26, s21
	s_cselect_b32 s20, s23, s20
	s_cmp_ge_u32 s10, s34
	s_cselect_b32 s23, -1, 0
	s_cmp_eq_u32 s11, 0
	s_cselect_b32 s23, s23, -1
	s_delay_alu instid0(SALU_CYCLE_1)
	s_cmp_lg_u32 s23, 0
	s_cselect_b32 s11, s21, s11
	s_cselect_b32 s10, s20, s10
	s_cbranch_execnz .LBB144_295
.LBB144_294:                            ;   in Loop: Header=BB144_6 Depth=1
	v_cvt_f32_u32_e32 v2, s34
	s_sub_co_i32 s11, 0, s34
	s_delay_alu instid0(VALU_DEP_1) | instskip(SKIP_1) | instid1(TRANS32_DEP_1)
	v_rcp_iflag_f32_e32 v2, v2
	v_nop
	v_mul_f32_e32 v2, 0x4f7ffffe, v2
	s_delay_alu instid0(VALU_DEP_1) | instskip(NEXT) | instid1(VALU_DEP_1)
	v_cvt_u32_f32_e32 v2, v2
	v_readfirstlane_b32 s10, v2
	s_mul_i32 s11, s11, s10
	s_delay_alu instid0(SALU_CYCLE_1) | instskip(NEXT) | instid1(SALU_CYCLE_1)
	s_mul_hi_u32 s11, s10, s11
	s_add_co_i32 s10, s10, s11
	s_delay_alu instid0(SALU_CYCLE_1) | instskip(NEXT) | instid1(SALU_CYCLE_1)
	s_mul_hi_u32 s10, s56, s10
	s_mul_i32 s10, s10, s34
	s_delay_alu instid0(SALU_CYCLE_1) | instskip(NEXT) | instid1(SALU_CYCLE_1)
	s_sub_co_i32 s10, s56, s10
	s_sub_co_i32 s11, s10, s34
	s_cmp_ge_u32 s10, s34
	s_cselect_b32 s10, s11, s10
	s_delay_alu instid0(SALU_CYCLE_1) | instskip(SKIP_2) | instid1(SALU_CYCLE_1)
	s_sub_co_i32 s11, s10, s34
	s_cmp_ge_u32 s10, s34
	s_cselect_b32 s28, s11, s10
	s_mov_b64 s[10:11], s[28:29]
.LBB144_295:                            ;   in Loop: Header=BB144_6 Depth=1
	s_delay_alu instid0(SALU_CYCLE_1)
	s_sub_nc_u64 s[10:11], s[56:57], s[10:11]
	s_mov_b32 s20, exec_lo
                                        ; implicit-def: $vgpr33
	v_nop
	v_cmpx_gt_u64_e64 s[10:11], v[0:1]
	s_cbranch_execz .LBB144_304
; %bb.296:                              ;   in Loop: Header=BB144_6 Depth=1
	v_mov_b64_e32 v[4:5], v[14:15]
	v_mov_b64_e32 v[6:7], v[0:1]
	s_mov_b32 s21, 0
                                        ; implicit-def: $sgpr23
	s_branch .LBB144_299
.LBB144_297:                            ;   in Loop: Header=BB144_299 Depth=2
	s_or_b32 exec_lo, exec_lo, s26
	s_wait_dscnt 0x0
	s_barrier_signal -1
	s_barrier_wait -1
	ds_load_b64 v[32:33], v3 offset:3072
	s_mov_b32 s26, -1
	s_mov_b32 s28, -1
	s_wait_dscnt 0x0
	s_barrier_signal -1
	s_barrier_wait -1
	v_cmp_ne_u32_e32 vcc_lo, 0, v32
	s_cbranch_vccz .LBB144_302
.LBB144_298:                            ;   in Loop: Header=BB144_299 Depth=2
	s_and_b32 s26, exec_lo, s26
	s_delay_alu instid0(SALU_CYCLE_1) | instskip(SKIP_2) | instid1(SALU_CYCLE_1)
	s_or_b32 s21, s26, s21
	s_and_not1_b32 s23, s23, exec_lo
	s_and_b32 s26, s28, exec_lo
	s_or_b32 s23, s23, s26
	s_and_not1_b32 exec_lo, exec_lo, s21
	s_cbranch_execz .LBB144_303
.LBB144_299:                            ;   Parent Loop BB144_6 Depth=1
                                        ; =>  This Inner Loop Header: Depth=2
	s_mov_b32 s26, exec_lo
	s_delay_alu instid0(VALU_DEP_1)
	v_cmpx_gt_u64_e64 s[36:37], v[6:7]
	s_cbranch_execz .LBB144_297
; %bb.300:                              ;   in Loop: Header=BB144_299 Depth=2
	global_load_b32 v31, v[4:5], off
	s_wait_loadcnt 0x0
	v_bitop3_b32 v2, v31, v47, 0x80000000 bitop3:0x48
	s_delay_alu instid0(VALU_DEP_1)
	v_cmp_eq_u32_e32 vcc_lo, v2, v45
	s_and_b32 exec_lo, exec_lo, vcc_lo
	s_cbranch_execz .LBB144_297
; %bb.301:                              ;   in Loop: Header=BB144_299 Depth=2
	ds_store_b64 v3, v[30:31] offset:3072
	s_branch .LBB144_297
.LBB144_302:                            ;   in Loop: Header=BB144_299 Depth=2
	v_add_nc_u64_e32 v[6:7], s[34:35], v[6:7]
	v_add_nc_u64_e32 v[4:5], s[40:41], v[4:5]
	s_mov_b32 s28, 0
	s_delay_alu instid0(VALU_DEP_2)
	v_cmp_le_u64_e32 vcc_lo, s[10:11], v[6:7]
	s_or_not1_b32 s26, vcc_lo, exec_lo
	s_branch .LBB144_298
.LBB144_303:                            ;   in Loop: Header=BB144_6 Depth=1
	s_or_b32 exec_lo, exec_lo, s21
	s_delay_alu instid0(SALU_CYCLE_1) | instskip(SKIP_1) | instid1(SALU_CYCLE_1)
	s_and_not1_b32 s10, s22, exec_lo
	s_and_b32 s11, s23, exec_lo
	s_or_b32 s22, s10, s11
.LBB144_304:                            ;   in Loop: Header=BB144_6 Depth=1
	s_or_b32 exec_lo, exec_lo, s20
	s_mov_b32 s26, 0
	s_mov_b32 s71, -1
.LBB144_305:                            ;   in Loop: Header=BB144_6 Depth=1
	s_or_not1_b32 s10, s22, exec_lo
.LBB144_306:                            ;   in Loop: Header=BB144_6 Depth=1
	s_or_b32 exec_lo, exec_lo, s69
                                        ; implicit-def: $vgpr4_vgpr5
                                        ; implicit-def: $vgpr2
	s_and_saveexec_b32 s22, s10
	s_cbranch_execz .LBB144_464
; %bb.307:                              ;   in Loop: Header=BB144_6 Depth=1
	v_mov_b64_e32 v[4:5], 1
	v_mov_b32_e32 v2, 1
	s_xor_b32 s10, s9, -1
	s_mov_b32 s11, 0
	s_and_saveexec_b32 s9, s10
	s_cbranch_execz .LBB144_316
; %bb.308:                              ;   in Loop: Header=BB144_6 Depth=1
	s_mov_b32 s10, exec_lo
	v_cmpx_ge_u64_e64 s[18:19], v[34:35]
	s_xor_b32 s10, exec_lo, s10
	s_cbranch_execz .LBB144_313
; %bb.309:                              ;   in Loop: Header=BB144_6 Depth=1
	ds_load_b64 v[4:5], v3 offset:5120
	v_or_b32_e32 v45, s24, v45
	v_or_b32_e32 v47, s24, v47
	s_wait_dscnt 0x0
	v_cmp_ne_u64_e32 vcc_lo, 0, v[4:5]
	s_cbranch_vccnz .LBB144_313
; %bb.310:                              ;   in Loop: Header=BB144_6 Depth=1
	s_and_saveexec_b32 s11, s5
; %bb.311:                              ;   in Loop: Header=BB144_6 Depth=1
	v_mov_b64_e32 v[4:5], s[18:19]
	ds_store_b64 v3, v[4:5] offset:5128
; %bb.312:                              ;   in Loop: Header=BB144_6 Depth=1
	s_or_b32 exec_lo, exec_lo, s11
	s_wait_dscnt 0x0
	s_barrier_signal -1
	s_barrier_wait -1
.LBB144_313:                            ;   in Loop: Header=BB144_6 Depth=1
	s_or_saveexec_b32 s10, s10
	v_mov_b32_e32 v2, 5
	s_mov_b32 s11, 0
	s_xor_b32 exec_lo, exec_lo, s10
; %bb.314:                              ;   in Loop: Header=BB144_6 Depth=1
	v_sub_nc_u64_e64 v[34:35], v[34:35], s[18:19]
	v_mov_b32_e32 v2, 0
	s_mov_b32 s11, exec_lo
; %bb.315:                              ;   in Loop: Header=BB144_6 Depth=1
	s_or_b32 exec_lo, exec_lo, s10
	s_delay_alu instid0(VALU_DEP_2)
	v_mov_b64_e32 v[4:5], v[34:35]
	s_and_b32 s11, s11, exec_lo
.LBB144_316:                            ;   in Loop: Header=BB144_6 Depth=1
	s_or_b32 exec_lo, exec_lo, s9
	s_mov_b32 s10, -1
                                        ; implicit-def: $sgpr23
                                        ; implicit-def: $sgpr69
	s_and_saveexec_b32 s9, s11
	s_delay_alu instid0(SALU_CYCLE_1)
	s_xor_b32 s9, exec_lo, s9
	s_cbranch_execz .LBB144_461
; %bb.317:                              ;   in Loop: Header=BB144_6 Depth=1
	v_cmp_eq_u64_e32 vcc_lo, 1, v[4:5]
	s_cmp_eq_u64 s[16:17], 1
                                        ; implicit-def: $sgpr69
                                        ; implicit-def: $sgpr23
	s_cselect_b32 s10, -1, 0
	s_delay_alu instid0(SALU_CYCLE_1)
	s_and_b32 s70, s10, vcc_lo
	s_mov_b32 s10, -1
	s_and_saveexec_b32 s72, s70
	s_cbranch_execz .LBB144_351
; %bb.318:                              ;   in Loop: Header=BB144_6 Depth=1
	ds_load_b64 v[6:7], v3 offset:5120
	s_wait_dscnt 0x0
	s_barrier_signal -1
	s_barrier_wait -1
	v_readfirstlane_b32 s10, v6
	v_readfirstlane_b32 s11, v7
	s_and_saveexec_b32 s18, s6
; %bb.319:                              ;   in Loop: Header=BB144_6 Depth=1
	ds_store_b32 v43, v3
; %bb.320:                              ;   in Loop: Header=BB144_6 Depth=1
	s_or_b32 exec_lo, exec_lo, s18
	s_lshl_b32 s18, 2, s91
	v_or_b32_e32 v47, s24, v47
	v_and_or_b32 v45, v45, s25, s18
	s_mov_b32 s23, -1
	s_mov_b32 s69, 0
	s_cmp_eq_u64 s[10:11], 0
	s_mov_b32 s20, 0
	s_mov_b32 s21, -1
	s_wait_dscnt 0x0
	s_barrier_signal -1
	s_barrier_wait -1
                                        ; implicit-def: $vgpr33
	s_cbranch_scc1 .LBB144_336
; %bb.321:                              ;   in Loop: Header=BB144_6 Depth=1
	s_add_nc_u64 s[18:19], s[10:11], s[54:55]
	s_delay_alu instid0(SALU_CYCLE_1) | instskip(NEXT) | instid1(SALU_CYCLE_1)
	s_and_b64 s[20:21], s[18:19], 0xffffffff00000000
	s_cmp_lg_u64 s[20:21], 0
	s_cbranch_scc0 .LBB144_377
; %bb.322:                              ;   in Loop: Header=BB144_6 Depth=1
	s_cvt_f32_u32 s20, s34
	s_sub_nc_u64 s[46:47], 0, s[34:35]
	s_delay_alu instid0(SALU_CYCLE_2) | instskip(NEXT) | instid1(SALU_CYCLE_3)
	s_fmamk_f32 s20, s90, 0x0, s20
	v_s_rcp_f32 s20, s20
	s_delay_alu instid0(TRANS32_DEP_1) | instskip(NEXT) | instid1(SALU_CYCLE_3)
	s_mul_f32 s20, s20, 0x5f7ffffc
	s_mul_f32 s21, s20, 0x2f800000
	s_delay_alu instid0(SALU_CYCLE_3) | instskip(NEXT) | instid1(SALU_CYCLE_3)
	s_trunc_f32 s21, s21
	s_fmamk_f32 s20, s21, 0xcf800000, s20
	s_cvt_u32_f32 s21, s21
	s_delay_alu instid0(SALU_CYCLE_2) | instskip(NEXT) | instid1(SALU_CYCLE_3)
	s_cvt_u32_f32 s20, s20
	s_mul_u64 s[48:49], s[46:47], s[20:21]
	s_delay_alu instid0(SALU_CYCLE_1)
	s_mul_hi_u32 s75, s20, s49
	s_mul_i32 s74, s20, s49
	s_mul_hi_u32 s28, s20, s48
	s_mul_i32 s51, s21, s48
	s_add_nc_u64 s[74:75], s[28:29], s[74:75]
	s_mul_hi_u32 s50, s21, s48
	s_mul_hi_u32 s73, s21, s49
	s_add_co_u32 s28, s74, s51
	s_add_co_ci_u32 s28, s75, s50
	s_mul_i32 s48, s21, s49
	s_add_co_ci_u32 s49, s73, 0
	s_delay_alu instid0(SALU_CYCLE_1) | instskip(NEXT) | instid1(SALU_CYCLE_1)
	s_add_nc_u64 s[48:49], s[28:29], s[48:49]
	s_add_co_u32 s20, s20, s48
	s_cselect_b32 s28, -1, 0
	s_delay_alu instid0(SALU_CYCLE_1) | instskip(SKIP_1) | instid1(SALU_CYCLE_1)
	s_cmp_lg_u32 s28, 0
	s_add_co_ci_u32 s21, s21, s49
	s_mul_u64 s[46:47], s[46:47], s[20:21]
	s_delay_alu instid0(SALU_CYCLE_1)
	s_mul_hi_u32 s49, s20, s47
	s_mul_i32 s48, s20, s47
	s_mul_hi_u32 s28, s20, s46
	s_mul_i32 s51, s21, s46
	s_add_nc_u64 s[48:49], s[28:29], s[48:49]
	s_mul_hi_u32 s50, s21, s46
	s_mul_hi_u32 s73, s21, s47
	s_add_co_u32 s28, s48, s51
	s_add_co_ci_u32 s28, s49, s50
	s_mul_i32 s46, s21, s47
	s_add_co_ci_u32 s47, s73, 0
	s_delay_alu instid0(SALU_CYCLE_1) | instskip(NEXT) | instid1(SALU_CYCLE_1)
	s_add_nc_u64 s[46:47], s[28:29], s[46:47]
	s_add_co_u32 s20, s20, s46
	s_cselect_b32 s46, -1, 0
	s_mul_hi_u32 s28, s18, s20
	s_cmp_lg_u32 s46, 0
	s_mul_hi_u32 s48, s19, s20
	s_add_co_ci_u32 s46, s21, s47
	s_mul_i32 s47, s19, s20
	s_mul_hi_u32 s21, s18, s46
	s_mul_i32 s20, s18, s46
	s_mul_hi_u32 s49, s19, s46
	s_add_nc_u64 s[20:21], s[28:29], s[20:21]
	s_mul_i32 s46, s19, s46
	s_add_co_u32 s20, s20, s47
	s_add_co_ci_u32 s28, s21, s48
	s_add_co_ci_u32 s47, s49, 0
	s_delay_alu instid0(SALU_CYCLE_1) | instskip(NEXT) | instid1(SALU_CYCLE_1)
	s_add_nc_u64 s[20:21], s[28:29], s[46:47]
	s_and_b64 s[46:47], s[20:21], 0xffffffff00000000
	s_delay_alu instid0(SALU_CYCLE_1) | instskip(NEXT) | instid1(SALU_CYCLE_1)
	s_or_b32 s46, s46, s20
	s_mul_u64 s[20:21], s[34:35], s[46:47]
	s_delay_alu instid0(SALU_CYCLE_1) | instskip(SKIP_1) | instid1(SALU_CYCLE_1)
	s_sub_co_u32 s20, s18, s20
	s_cselect_b32 s28, -1, 0
	s_cmp_lg_u32 s28, 0
	s_sub_co_ci_u32 s21, s19, s21
	s_sub_co_u32 s28, s20, s34
	s_cselect_b32 s46, -1, 0
	s_delay_alu instid0(SALU_CYCLE_1) | instskip(SKIP_3) | instid1(SALU_CYCLE_1)
	s_cmp_lg_u32 s46, 0
	s_sub_co_ci_u32 s46, s21, 0
	s_sub_co_u32 s47, s28, s34
	s_cselect_b32 s48, -1, 0
	s_cmp_lg_u32 s48, 0
	s_sub_co_ci_u32 s48, s46, 0
	s_cmp_ge_u32 s28, s34
	s_cselect_b32 s49, -1, 0
	s_cmp_eq_u32 s46, 0
	s_cselect_b32 s49, s49, -1
	s_delay_alu instid0(SALU_CYCLE_1)
	s_cmp_lg_u32 s49, 0
	s_cselect_b32 s46, s48, s46
	s_cselect_b32 s28, s47, s28
	s_cmp_ge_u32 s20, s34
	s_cselect_b32 s47, -1, 0
	s_cmp_eq_u32 s21, 0
	s_cselect_b32 s47, s47, -1
	s_delay_alu instid0(SALU_CYCLE_1)
	s_cmp_lg_u32 s47, 0
	s_cselect_b32 s21, s46, s21
	s_cselect_b32 s20, s28, s20
	s_cbranch_execnz .LBB144_324
.LBB144_323:                            ;   in Loop: Header=BB144_6 Depth=1
	v_cvt_f32_u32_e32 v6, s34
	s_sub_co_i32 s21, 0, s34
	s_delay_alu instid0(VALU_DEP_1) | instskip(SKIP_1) | instid1(TRANS32_DEP_1)
	v_rcp_iflag_f32_e32 v6, v6
	v_nop
	v_mul_f32_e32 v6, 0x4f7ffffe, v6
	s_delay_alu instid0(VALU_DEP_1) | instskip(NEXT) | instid1(VALU_DEP_1)
	v_cvt_u32_f32_e32 v6, v6
	v_readfirstlane_b32 s20, v6
	s_mul_i32 s21, s21, s20
	s_delay_alu instid0(SALU_CYCLE_1) | instskip(NEXT) | instid1(SALU_CYCLE_1)
	s_mul_hi_u32 s21, s20, s21
	s_add_co_i32 s20, s20, s21
	s_delay_alu instid0(SALU_CYCLE_1) | instskip(NEXT) | instid1(SALU_CYCLE_1)
	s_mul_hi_u32 s20, s18, s20
	s_mul_i32 s20, s20, s34
	s_delay_alu instid0(SALU_CYCLE_1) | instskip(NEXT) | instid1(SALU_CYCLE_1)
	s_sub_co_i32 s20, s18, s20
	s_sub_co_i32 s21, s20, s34
	s_cmp_ge_u32 s20, s34
	s_cselect_b32 s20, s21, s20
	s_delay_alu instid0(SALU_CYCLE_1) | instskip(SKIP_2) | instid1(SALU_CYCLE_1)
	s_sub_co_i32 s21, s20, s34
	s_cmp_ge_u32 s20, s34
	s_cselect_b32 s28, s21, s20
	s_mov_b64 s[20:21], s[28:29]
.LBB144_324:                            ;   in Loop: Header=BB144_6 Depth=1
	s_delay_alu instid0(SALU_CYCLE_1)
	s_sub_nc_u64 s[18:19], s[18:19], s[20:21]
	s_mov_b32 s21, 0
	s_mov_b32 s20, 0
	s_mov_b32 s28, exec_lo
                                        ; implicit-def: $vgpr33
	v_cmpx_gt_u64_e64 s[18:19], v[0:1]
	s_cbranch_execz .LBB144_335
; %bb.325:                              ;   in Loop: Header=BB144_6 Depth=1
	v_mov_b64_e32 v[6:7], v[0:1]
	v_mov_b32_e32 v8, v16
                                        ; implicit-def: $sgpr46
	s_branch .LBB144_328
.LBB144_326:                            ;   in Loop: Header=BB144_328 Depth=2
	s_or_b32 exec_lo, exec_lo, s47
	s_wait_dscnt 0x0
	s_barrier_signal -1
	s_barrier_wait -1
	ds_load_b64 v[32:33], v3 offset:3072
	s_mov_b32 s47, -1
	s_mov_b32 s48, -1
	s_wait_dscnt 0x0
	s_barrier_signal -1
	s_barrier_wait -1
	v_cmp_ne_u32_e32 vcc_lo, 0, v32
	s_cbranch_vccz .LBB144_331
.LBB144_327:                            ;   in Loop: Header=BB144_328 Depth=2
	s_and_b32 s47, exec_lo, s47
	s_delay_alu instid0(SALU_CYCLE_1) | instskip(SKIP_2) | instid1(SALU_CYCLE_1)
	s_or_b32 s20, s47, s20
	s_and_not1_b32 s46, s46, exec_lo
	s_and_b32 s47, s48, exec_lo
	s_or_b32 s46, s46, s47
	s_and_not1_b32 exec_lo, exec_lo, s20
	s_cbranch_execz .LBB144_334
.LBB144_328:                            ;   Parent Loop BB144_6 Depth=1
                                        ; =>  This Inner Loop Header: Depth=2
	s_mov_b32 s47, exec_lo
	s_delay_alu instid0(VALU_DEP_2)
	v_cmpx_gt_u64_e64 s[10:11], v[6:7]
	s_cbranch_execz .LBB144_326
; %bb.329:                              ;   in Loop: Header=BB144_328 Depth=2
	ds_load_b32 v31, v8
	s_wait_dscnt 0x0
	v_bitop3_b32 v9, v31, v47, 0x80000000 bitop3:0x48
	s_delay_alu instid0(VALU_DEP_1)
	v_cmp_eq_u32_e32 vcc_lo, v9, v45
	s_and_b32 exec_lo, exec_lo, vcc_lo
	s_cbranch_execz .LBB144_326
; %bb.330:                              ;   in Loop: Header=BB144_328 Depth=2
	ds_store_b64 v3, v[30:31] offset:3072
	s_branch .LBB144_326
.LBB144_331:                            ;   in Loop: Header=BB144_328 Depth=2
	v_add_nc_u64_e32 v[6:7], s[34:35], v[6:7]
	v_add_nc_u32_e32 v8, s89, v8
	s_mov_b32 s48, 0
	s_delay_alu instid0(VALU_DEP_2)
	v_cmp_le_u64_e32 vcc_lo, s[18:19], v[6:7]
	s_or_not1_b32 s47, vcc_lo, exec_lo
	s_branch .LBB144_327
.LBB144_332:                            ;   in Loop: Header=BB144_6 Depth=1
                                        ; implicit-def: $sgpr22_sgpr23
	s_branch .LBB144_279
.LBB144_333:                            ;   in Loop: Header=BB144_6 Depth=1
                                        ; implicit-def: $sgpr10_sgpr11
	s_branch .LBB144_294
.LBB144_334:                            ;   in Loop: Header=BB144_6 Depth=1
	s_or_b32 exec_lo, exec_lo, s20
	s_delay_alu instid0(SALU_CYCLE_1)
	s_and_b32 s20, s46, exec_lo
.LBB144_335:                            ;   in Loop: Header=BB144_6 Depth=1
	s_or_b32 exec_lo, exec_lo, s28
.LBB144_336:                            ;   in Loop: Header=BB144_6 Depth=1
	s_delay_alu instid0(SALU_CYCLE_1)
	s_and_b32 vcc_lo, exec_lo, s21
	s_cbranch_vccz .LBB144_350
; %bb.337:                              ;   in Loop: Header=BB144_6 Depth=1
	s_and_b64 s[10:11], s[56:57], 0xffffffff00000000
	s_delay_alu instid0(SALU_CYCLE_1)
	s_cmp_lg_u64 s[10:11], 0
	s_cbranch_scc0 .LBB144_378
; %bb.338:                              ;   in Loop: Header=BB144_6 Depth=1
	s_cvt_f32_u32 s10, s34
	s_sub_nc_u64 s[18:19], 0, s[34:35]
	s_delay_alu instid0(SALU_CYCLE_2) | instskip(NEXT) | instid1(SALU_CYCLE_3)
	s_fmamk_f32 s10, s90, 0x0, s10
	v_s_rcp_f32 s10, s10
	s_delay_alu instid0(TRANS32_DEP_1) | instskip(NEXT) | instid1(SALU_CYCLE_3)
	s_mul_f32 s10, s10, 0x5f7ffffc
	s_mul_f32 s11, s10, 0x2f800000
	s_delay_alu instid0(SALU_CYCLE_3) | instskip(NEXT) | instid1(SALU_CYCLE_3)
	s_trunc_f32 s11, s11
	s_fmamk_f32 s10, s11, 0xcf800000, s10
	s_cvt_u32_f32 s11, s11
	s_delay_alu instid0(SALU_CYCLE_2) | instskip(NEXT) | instid1(SALU_CYCLE_3)
	s_cvt_u32_f32 s10, s10
	s_mul_u64 s[46:47], s[18:19], s[10:11]
	s_delay_alu instid0(SALU_CYCLE_1)
	s_mul_hi_u32 s49, s10, s47
	s_mul_i32 s48, s10, s47
	s_mul_hi_u32 s28, s10, s46
	s_mul_i32 s23, s11, s46
	s_add_nc_u64 s[48:49], s[28:29], s[48:49]
	s_mul_hi_u32 s21, s11, s46
	s_mul_hi_u32 s50, s11, s47
	s_add_co_u32 s23, s48, s23
	s_add_co_ci_u32 s28, s49, s21
	s_mul_i32 s46, s11, s47
	s_add_co_ci_u32 s47, s50, 0
	s_delay_alu instid0(SALU_CYCLE_1) | instskip(NEXT) | instid1(SALU_CYCLE_1)
	s_add_nc_u64 s[46:47], s[28:29], s[46:47]
	s_add_co_u32 s10, s10, s46
	s_cselect_b32 s21, -1, 0
	s_delay_alu instid0(SALU_CYCLE_1) | instskip(SKIP_1) | instid1(SALU_CYCLE_1)
	s_cmp_lg_u32 s21, 0
	s_add_co_ci_u32 s11, s11, s47
	s_mul_u64 s[18:19], s[18:19], s[10:11]
	s_delay_alu instid0(SALU_CYCLE_1)
	s_mul_hi_u32 s47, s10, s19
	s_mul_i32 s46, s10, s19
	s_mul_hi_u32 s28, s10, s18
	s_mul_i32 s23, s11, s18
	s_add_nc_u64 s[46:47], s[28:29], s[46:47]
	s_mul_hi_u32 s21, s11, s18
	s_mul_hi_u32 s48, s11, s19
	s_mul_i32 s18, s11, s19
	s_add_co_u32 s19, s46, s23
	s_add_co_ci_u32 s28, s47, s21
	s_add_co_ci_u32 s19, s48, 0
	s_delay_alu instid0(SALU_CYCLE_1) | instskip(NEXT) | instid1(SALU_CYCLE_1)
	s_add_nc_u64 s[18:19], s[28:29], s[18:19]
	s_add_co_u32 s10, s10, s18
	s_cselect_b32 s18, -1, 0
	s_mul_hi_u32 s28, s56, s10
	s_cmp_lg_u32 s18, 0
	s_mul_hi_u32 s21, s57, s10
	s_add_co_ci_u32 s18, s11, s19
	s_mul_i32 s19, s57, s10
	s_mul_hi_u32 s11, s56, s18
	s_mul_i32 s10, s56, s18
	s_mul_hi_u32 s23, s57, s18
	s_add_nc_u64 s[10:11], s[28:29], s[10:11]
	s_mul_i32 s18, s57, s18
	s_add_co_u32 s10, s10, s19
	s_add_co_ci_u32 s28, s11, s21
	s_add_co_ci_u32 s19, s23, 0
	s_delay_alu instid0(SALU_CYCLE_1) | instskip(NEXT) | instid1(SALU_CYCLE_1)
	s_add_nc_u64 s[10:11], s[28:29], s[18:19]
	s_and_b64 s[18:19], s[10:11], 0xffffffff00000000
	s_delay_alu instid0(SALU_CYCLE_1) | instskip(NEXT) | instid1(SALU_CYCLE_1)
	s_or_b32 s18, s18, s10
	s_mul_u64 s[10:11], s[34:35], s[18:19]
	s_delay_alu instid0(SALU_CYCLE_1) | instskip(SKIP_1) | instid1(SALU_CYCLE_1)
	s_sub_co_u32 s10, s56, s10
	s_cselect_b32 s18, -1, 0
	s_cmp_lg_u32 s18, 0
	s_sub_co_ci_u32 s11, s57, s11
	s_sub_co_u32 s18, s10, s34
	s_cselect_b32 s19, -1, 0
	s_delay_alu instid0(SALU_CYCLE_1) | instskip(SKIP_3) | instid1(SALU_CYCLE_1)
	s_cmp_lg_u32 s19, 0
	s_sub_co_ci_u32 s19, s11, 0
	s_sub_co_u32 s21, s18, s34
	s_cselect_b32 s23, -1, 0
	s_cmp_lg_u32 s23, 0
	s_sub_co_ci_u32 s23, s19, 0
	s_cmp_ge_u32 s18, s34
	s_cselect_b32 s28, -1, 0
	s_cmp_eq_u32 s19, 0
	s_cselect_b32 s28, s28, -1
	s_delay_alu instid0(SALU_CYCLE_1)
	s_cmp_lg_u32 s28, 0
	s_cselect_b32 s19, s23, s19
	s_cselect_b32 s18, s21, s18
	s_cmp_ge_u32 s10, s34
	s_cselect_b32 s21, -1, 0
	s_cmp_eq_u32 s11, 0
	s_cselect_b32 s21, s21, -1
	s_delay_alu instid0(SALU_CYCLE_1)
	s_cmp_lg_u32 s21, 0
	s_cselect_b32 s11, s19, s11
	s_cselect_b32 s10, s18, s10
	s_cbranch_execnz .LBB144_340
.LBB144_339:                            ;   in Loop: Header=BB144_6 Depth=1
	v_cvt_f32_u32_e32 v6, s34
	s_sub_co_i32 s11, 0, s34
	s_delay_alu instid0(VALU_DEP_1) | instskip(SKIP_1) | instid1(TRANS32_DEP_1)
	v_rcp_iflag_f32_e32 v6, v6
	v_nop
	v_mul_f32_e32 v6, 0x4f7ffffe, v6
	s_delay_alu instid0(VALU_DEP_1) | instskip(NEXT) | instid1(VALU_DEP_1)
	v_cvt_u32_f32_e32 v6, v6
	v_readfirstlane_b32 s10, v6
	s_mul_i32 s11, s11, s10
	s_delay_alu instid0(SALU_CYCLE_1) | instskip(NEXT) | instid1(SALU_CYCLE_1)
	s_mul_hi_u32 s11, s10, s11
	s_add_co_i32 s10, s10, s11
	s_delay_alu instid0(SALU_CYCLE_1) | instskip(NEXT) | instid1(SALU_CYCLE_1)
	s_mul_hi_u32 s10, s56, s10
	s_mul_i32 s10, s10, s34
	s_delay_alu instid0(SALU_CYCLE_1) | instskip(NEXT) | instid1(SALU_CYCLE_1)
	s_sub_co_i32 s10, s56, s10
	s_sub_co_i32 s11, s10, s34
	s_cmp_ge_u32 s10, s34
	s_cselect_b32 s10, s11, s10
	s_delay_alu instid0(SALU_CYCLE_1) | instskip(SKIP_2) | instid1(SALU_CYCLE_1)
	s_sub_co_i32 s11, s10, s34
	s_cmp_ge_u32 s10, s34
	s_cselect_b32 s28, s11, s10
	s_mov_b64 s[10:11], s[28:29]
.LBB144_340:                            ;   in Loop: Header=BB144_6 Depth=1
	s_delay_alu instid0(SALU_CYCLE_1)
	s_sub_nc_u64 s[10:11], s[56:57], s[10:11]
	s_mov_b32 s18, exec_lo
                                        ; implicit-def: $vgpr33
	v_nop
	v_cmpx_gt_u64_e64 s[10:11], v[0:1]
	s_cbranch_execz .LBB144_349
; %bb.341:                              ;   in Loop: Header=BB144_6 Depth=1
	v_mov_b64_e32 v[6:7], v[14:15]
	v_mov_b64_e32 v[8:9], v[0:1]
	s_mov_b32 s19, 0
                                        ; implicit-def: $sgpr21
	s_branch .LBB144_344
.LBB144_342:                            ;   in Loop: Header=BB144_344 Depth=2
	s_or_b32 exec_lo, exec_lo, s23
	s_wait_dscnt 0x0
	s_barrier_signal -1
	s_barrier_wait -1
	ds_load_b64 v[32:33], v3 offset:3072
	s_mov_b32 s23, -1
	s_mov_b32 s28, -1
	s_wait_dscnt 0x0
	s_barrier_signal -1
	s_barrier_wait -1
	v_cmp_eq_u32_e32 vcc_lo, 0, v32
	s_cbranch_vccnz .LBB144_347
.LBB144_343:                            ;   in Loop: Header=BB144_344 Depth=2
	s_and_b32 s23, exec_lo, s23
	s_delay_alu instid0(SALU_CYCLE_1) | instskip(SKIP_2) | instid1(SALU_CYCLE_1)
	s_or_b32 s19, s23, s19
	s_and_not1_b32 s21, s21, exec_lo
	s_and_b32 s23, s28, exec_lo
	s_or_b32 s21, s21, s23
	s_and_not1_b32 exec_lo, exec_lo, s19
	s_cbranch_execz .LBB144_348
.LBB144_344:                            ;   Parent Loop BB144_6 Depth=1
                                        ; =>  This Inner Loop Header: Depth=2
	s_mov_b32 s23, exec_lo
	s_delay_alu instid0(VALU_DEP_1)
	v_cmpx_gt_u64_e64 s[36:37], v[8:9]
	s_cbranch_execz .LBB144_342
; %bb.345:                              ;   in Loop: Header=BB144_344 Depth=2
	global_load_b32 v31, v[6:7], off
	s_wait_loadcnt 0x0
	v_bitop3_b32 v10, v31, v47, 0x80000000 bitop3:0x48
	s_delay_alu instid0(VALU_DEP_1)
	v_cmp_eq_u32_e32 vcc_lo, v10, v45
	s_and_b32 exec_lo, exec_lo, vcc_lo
	s_cbranch_execz .LBB144_342
; %bb.346:                              ;   in Loop: Header=BB144_344 Depth=2
	ds_store_b64 v3, v[30:31] offset:3072
	s_branch .LBB144_342
.LBB144_347:                            ;   in Loop: Header=BB144_344 Depth=2
	v_add_nc_u64_e32 v[8:9], s[34:35], v[8:9]
	v_add_nc_u64_e32 v[6:7], s[40:41], v[6:7]
	s_mov_b32 s28, 0
	s_delay_alu instid0(VALU_DEP_2)
	v_cmp_le_u64_e32 vcc_lo, s[10:11], v[8:9]
	s_or_not1_b32 s23, vcc_lo, exec_lo
	s_branch .LBB144_343
.LBB144_348:                            ;   in Loop: Header=BB144_6 Depth=1
	s_or_b32 exec_lo, exec_lo, s19
	s_delay_alu instid0(SALU_CYCLE_1) | instskip(SKIP_1) | instid1(SALU_CYCLE_1)
	s_and_not1_b32 s10, s20, exec_lo
	s_and_b32 s11, s21, exec_lo
	s_or_b32 s20, s10, s11
.LBB144_349:                            ;   in Loop: Header=BB144_6 Depth=1
	s_or_b32 exec_lo, exec_lo, s18
	s_mov_b32 s23, 0
	s_mov_b32 s69, -1
.LBB144_350:                            ;   in Loop: Header=BB144_6 Depth=1
	s_or_not1_b32 s10, s20, exec_lo
.LBB144_351:                            ;   in Loop: Header=BB144_6 Depth=1
	s_or_b32 exec_lo, exec_lo, s72
	s_mov_b32 s11, 0
	s_and_saveexec_b32 s20, s10
	s_cbranch_execz .LBB144_460
; %bb.352:                              ;   in Loop: Header=BB144_6 Depth=1
	v_mov_b64_e32 v[6:7], 1
	v_mov_b32_e32 v2, 1
	s_xor_b32 s18, s70, -1
	s_delay_alu instid0(SALU_CYCLE_1)
	s_and_saveexec_b32 s10, s18
	s_cbranch_execz .LBB144_361
; %bb.353:                              ;   in Loop: Header=BB144_6 Depth=1
	s_mov_b32 s11, exec_lo
	v_cmpx_ge_u64_e64 s[16:17], v[4:5]
	s_xor_b32 s11, exec_lo, s11
	s_cbranch_execz .LBB144_358
; %bb.354:                              ;   in Loop: Header=BB144_6 Depth=1
	ds_load_b64 v[6:7], v3 offset:5120
	s_lshl_b32 s18, 2, s91
	v_or_b32_e32 v47, s24, v47
	v_and_or_b32 v45, v45, s25, s18
	s_wait_dscnt 0x0
	v_cmp_ne_u64_e32 vcc_lo, 0, v[6:7]
	s_cbranch_vccnz .LBB144_358
; %bb.355:                              ;   in Loop: Header=BB144_6 Depth=1
	s_and_saveexec_b32 s18, s5
; %bb.356:                              ;   in Loop: Header=BB144_6 Depth=1
	v_mov_b64_e32 v[6:7], s[16:17]
	ds_store_b64 v3, v[6:7] offset:5128
; %bb.357:                              ;   in Loop: Header=BB144_6 Depth=1
	s_or_b32 exec_lo, exec_lo, s18
	s_wait_dscnt 0x0
	s_barrier_signal -1
	s_barrier_wait -1
.LBB144_358:                            ;   in Loop: Header=BB144_6 Depth=1
	s_or_saveexec_b32 s11, s11
	v_mov_b32_e32 v2, 5
	s_mov_b32 s18, 0
	s_xor_b32 exec_lo, exec_lo, s11
; %bb.359:                              ;   in Loop: Header=BB144_6 Depth=1
	v_sub_nc_u64_e64 v[4:5], v[4:5], s[16:17]
	v_mov_b32_e32 v2, 0
	s_mov_b32 s18, exec_lo
; %bb.360:                              ;   in Loop: Header=BB144_6 Depth=1
	s_or_b32 exec_lo, exec_lo, s11
	s_delay_alu instid0(VALU_DEP_2)
	v_mov_b64_e32 v[6:7], v[4:5]
	s_and_b32 s11, s18, exec_lo
.LBB144_361:                            ;   in Loop: Header=BB144_6 Depth=1
	s_or_b32 exec_lo, exec_lo, s10
	s_mov_b32 s10, -1
                                        ; implicit-def: $sgpr70
                                        ; implicit-def: $sgpr72
	s_and_saveexec_b32 s21, s11
	s_cbranch_execz .LBB144_459
; %bb.362:                              ;   in Loop: Header=BB144_6 Depth=1
	s_delay_alu instid0(VALU_DEP_1) | instskip(SKIP_2) | instid1(SALU_CYCLE_1)
	v_cmp_eq_u64_e32 vcc_lo, 1, v[6:7]
	s_cmp_eq_u64 s[14:15], 1
                                        ; implicit-def: $sgpr72
                                        ; implicit-def: $sgpr70
	s_cselect_b32 s10, -1, 0
	s_and_b32 s73, s10, vcc_lo
	s_mov_b32 s10, -1
	s_and_saveexec_b32 s74, s73
	s_cbranch_execz .LBB144_396
; %bb.363:                              ;   in Loop: Header=BB144_6 Depth=1
	ds_load_b64 v[4:5], v3 offset:5120
	s_wait_dscnt 0x0
	s_barrier_signal -1
	s_barrier_wait -1
	v_readfirstlane_b32 s10, v4
	v_readfirstlane_b32 s11, v5
	s_and_saveexec_b32 s16, s6
; %bb.364:                              ;   in Loop: Header=BB144_6 Depth=1
	ds_store_b32 v43, v3
; %bb.365:                              ;   in Loop: Header=BB144_6 Depth=1
	s_or_b32 exec_lo, exec_lo, s16
	s_lshl_b32 s16, 1, s91
	v_or_b32_e32 v47, s24, v47
	v_and_or_b32 v45, v45, s25, s16
	s_mov_b32 s70, -1
	s_mov_b32 s72, 0
	s_cmp_eq_u64 s[10:11], 0
	s_mov_b32 s18, 0
	s_mov_b32 s19, -1
	s_wait_dscnt 0x0
	s_barrier_signal -1
	s_barrier_wait -1
                                        ; implicit-def: $vgpr33
	s_cbranch_scc1 .LBB144_381
; %bb.366:                              ;   in Loop: Header=BB144_6 Depth=1
	s_add_nc_u64 s[16:17], s[10:11], s[54:55]
	s_delay_alu instid0(SALU_CYCLE_1) | instskip(NEXT) | instid1(SALU_CYCLE_1)
	s_and_b64 s[18:19], s[16:17], 0xffffffff00000000
	s_cmp_lg_u64 s[18:19], 0
	s_cbranch_scc0 .LBB144_413
; %bb.367:                              ;   in Loop: Header=BB144_6 Depth=1
	s_cvt_f32_u32 s18, s34
	s_sub_nc_u64 s[46:47], 0, s[34:35]
	s_delay_alu instid0(SALU_CYCLE_2) | instskip(NEXT) | instid1(SALU_CYCLE_3)
	s_fmamk_f32 s18, s90, 0x0, s18
	v_s_rcp_f32 s18, s18
	s_delay_alu instid0(TRANS32_DEP_1) | instskip(NEXT) | instid1(SALU_CYCLE_3)
	s_mul_f32 s18, s18, 0x5f7ffffc
	s_mul_f32 s19, s18, 0x2f800000
	s_delay_alu instid0(SALU_CYCLE_3) | instskip(NEXT) | instid1(SALU_CYCLE_3)
	s_trunc_f32 s19, s19
	s_fmamk_f32 s18, s19, 0xcf800000, s18
	s_cvt_u32_f32 s19, s19
	s_delay_alu instid0(SALU_CYCLE_2) | instskip(NEXT) | instid1(SALU_CYCLE_3)
	s_cvt_u32_f32 s18, s18
	s_mul_u64 s[48:49], s[46:47], s[18:19]
	s_delay_alu instid0(SALU_CYCLE_1)
	s_mul_hi_u32 s77, s18, s49
	s_mul_i32 s76, s18, s49
	s_mul_hi_u32 s28, s18, s48
	s_mul_i32 s51, s19, s48
	s_add_nc_u64 s[76:77], s[28:29], s[76:77]
	s_mul_hi_u32 s50, s19, s48
	s_mul_hi_u32 s75, s19, s49
	s_add_co_u32 s28, s76, s51
	s_add_co_ci_u32 s28, s77, s50
	s_mul_i32 s48, s19, s49
	s_add_co_ci_u32 s49, s75, 0
	s_delay_alu instid0(SALU_CYCLE_1) | instskip(NEXT) | instid1(SALU_CYCLE_1)
	s_add_nc_u64 s[48:49], s[28:29], s[48:49]
	s_add_co_u32 s18, s18, s48
	s_cselect_b32 s28, -1, 0
	s_delay_alu instid0(SALU_CYCLE_1) | instskip(SKIP_1) | instid1(SALU_CYCLE_1)
	s_cmp_lg_u32 s28, 0
	s_add_co_ci_u32 s19, s19, s49
	s_mul_u64 s[46:47], s[46:47], s[18:19]
	s_delay_alu instid0(SALU_CYCLE_1)
	s_mul_hi_u32 s49, s18, s47
	s_mul_i32 s48, s18, s47
	s_mul_hi_u32 s28, s18, s46
	s_mul_i32 s51, s19, s46
	s_add_nc_u64 s[48:49], s[28:29], s[48:49]
	s_mul_hi_u32 s50, s19, s46
	s_mul_hi_u32 s75, s19, s47
	s_add_co_u32 s28, s48, s51
	s_add_co_ci_u32 s28, s49, s50
	s_mul_i32 s46, s19, s47
	s_add_co_ci_u32 s47, s75, 0
	s_delay_alu instid0(SALU_CYCLE_1) | instskip(NEXT) | instid1(SALU_CYCLE_1)
	s_add_nc_u64 s[46:47], s[28:29], s[46:47]
	s_add_co_u32 s18, s18, s46
	s_cselect_b32 s46, -1, 0
	s_mul_hi_u32 s28, s16, s18
	s_cmp_lg_u32 s46, 0
	s_mul_hi_u32 s48, s17, s18
	s_add_co_ci_u32 s46, s19, s47
	s_mul_i32 s47, s17, s18
	s_mul_hi_u32 s19, s16, s46
	s_mul_i32 s18, s16, s46
	s_mul_hi_u32 s49, s17, s46
	s_add_nc_u64 s[18:19], s[28:29], s[18:19]
	s_mul_i32 s46, s17, s46
	s_add_co_u32 s18, s18, s47
	s_add_co_ci_u32 s28, s19, s48
	s_add_co_ci_u32 s47, s49, 0
	s_delay_alu instid0(SALU_CYCLE_1) | instskip(NEXT) | instid1(SALU_CYCLE_1)
	s_add_nc_u64 s[18:19], s[28:29], s[46:47]
	s_and_b64 s[46:47], s[18:19], 0xffffffff00000000
	s_delay_alu instid0(SALU_CYCLE_1) | instskip(NEXT) | instid1(SALU_CYCLE_1)
	s_or_b32 s46, s46, s18
	s_mul_u64 s[18:19], s[34:35], s[46:47]
	s_delay_alu instid0(SALU_CYCLE_1) | instskip(SKIP_1) | instid1(SALU_CYCLE_1)
	s_sub_co_u32 s18, s16, s18
	s_cselect_b32 s28, -1, 0
	s_cmp_lg_u32 s28, 0
	s_sub_co_ci_u32 s19, s17, s19
	s_sub_co_u32 s28, s18, s34
	s_cselect_b32 s46, -1, 0
	s_delay_alu instid0(SALU_CYCLE_1) | instskip(SKIP_3) | instid1(SALU_CYCLE_1)
	s_cmp_lg_u32 s46, 0
	s_sub_co_ci_u32 s46, s19, 0
	s_sub_co_u32 s47, s28, s34
	s_cselect_b32 s48, -1, 0
	s_cmp_lg_u32 s48, 0
	s_sub_co_ci_u32 s48, s46, 0
	s_cmp_ge_u32 s28, s34
	s_cselect_b32 s49, -1, 0
	s_cmp_eq_u32 s46, 0
	s_cselect_b32 s49, s49, -1
	s_delay_alu instid0(SALU_CYCLE_1)
	s_cmp_lg_u32 s49, 0
	s_cselect_b32 s46, s48, s46
	s_cselect_b32 s28, s47, s28
	s_cmp_ge_u32 s18, s34
	s_cselect_b32 s47, -1, 0
	s_cmp_eq_u32 s19, 0
	s_cselect_b32 s47, s47, -1
	s_delay_alu instid0(SALU_CYCLE_1)
	s_cmp_lg_u32 s47, 0
	s_cselect_b32 s19, s46, s19
	s_cselect_b32 s18, s28, s18
	s_cbranch_execnz .LBB144_369
.LBB144_368:                            ;   in Loop: Header=BB144_6 Depth=1
	v_cvt_f32_u32_e32 v4, s34
	s_sub_co_i32 s19, 0, s34
	s_delay_alu instid0(VALU_DEP_1) | instskip(SKIP_1) | instid1(TRANS32_DEP_1)
	v_rcp_iflag_f32_e32 v4, v4
	v_nop
	v_mul_f32_e32 v4, 0x4f7ffffe, v4
	s_delay_alu instid0(VALU_DEP_1) | instskip(NEXT) | instid1(VALU_DEP_1)
	v_cvt_u32_f32_e32 v4, v4
	v_readfirstlane_b32 s18, v4
	s_mul_i32 s19, s19, s18
	s_delay_alu instid0(SALU_CYCLE_1) | instskip(NEXT) | instid1(SALU_CYCLE_1)
	s_mul_hi_u32 s19, s18, s19
	s_add_co_i32 s18, s18, s19
	s_delay_alu instid0(SALU_CYCLE_1) | instskip(NEXT) | instid1(SALU_CYCLE_1)
	s_mul_hi_u32 s18, s16, s18
	s_mul_i32 s18, s18, s34
	s_delay_alu instid0(SALU_CYCLE_1) | instskip(NEXT) | instid1(SALU_CYCLE_1)
	s_sub_co_i32 s18, s16, s18
	s_sub_co_i32 s19, s18, s34
	s_cmp_ge_u32 s18, s34
	s_cselect_b32 s18, s19, s18
	s_delay_alu instid0(SALU_CYCLE_1) | instskip(SKIP_2) | instid1(SALU_CYCLE_1)
	s_sub_co_i32 s19, s18, s34
	s_cmp_ge_u32 s18, s34
	s_cselect_b32 s28, s19, s18
	s_mov_b64 s[18:19], s[28:29]
.LBB144_369:                            ;   in Loop: Header=BB144_6 Depth=1
	s_delay_alu instid0(SALU_CYCLE_1)
	s_sub_nc_u64 s[16:17], s[16:17], s[18:19]
	s_mov_b32 s19, 0
	s_mov_b32 s18, 0
	s_mov_b32 s28, exec_lo
                                        ; implicit-def: $vgpr33
	v_cmpx_gt_u64_e64 s[16:17], v[0:1]
	s_cbranch_execz .LBB144_380
; %bb.370:                              ;   in Loop: Header=BB144_6 Depth=1
	v_mov_b64_e32 v[4:5], v[0:1]
	v_mov_b32_e32 v8, v16
                                        ; implicit-def: $sgpr46
	s_branch .LBB144_373
.LBB144_371:                            ;   in Loop: Header=BB144_373 Depth=2
	s_or_b32 exec_lo, exec_lo, s47
	s_wait_dscnt 0x0
	s_barrier_signal -1
	s_barrier_wait -1
	ds_load_b64 v[32:33], v3 offset:3072
	s_mov_b32 s47, -1
	s_mov_b32 s48, -1
	s_wait_dscnt 0x0
	s_barrier_signal -1
	s_barrier_wait -1
	v_cmp_ne_u32_e32 vcc_lo, 0, v32
	s_cbranch_vccz .LBB144_376
.LBB144_372:                            ;   in Loop: Header=BB144_373 Depth=2
	s_and_b32 s47, exec_lo, s47
	s_delay_alu instid0(SALU_CYCLE_1) | instskip(SKIP_2) | instid1(SALU_CYCLE_1)
	s_or_b32 s18, s47, s18
	s_and_not1_b32 s46, s46, exec_lo
	s_and_b32 s47, s48, exec_lo
	s_or_b32 s46, s46, s47
	s_and_not1_b32 exec_lo, exec_lo, s18
	s_cbranch_execz .LBB144_379
.LBB144_373:                            ;   Parent Loop BB144_6 Depth=1
                                        ; =>  This Inner Loop Header: Depth=2
	s_mov_b32 s47, exec_lo
	s_delay_alu instid0(VALU_DEP_2)
	v_cmpx_gt_u64_e64 s[10:11], v[4:5]
	s_cbranch_execz .LBB144_371
; %bb.374:                              ;   in Loop: Header=BB144_373 Depth=2
	ds_load_b32 v31, v8
	s_wait_dscnt 0x0
	v_bitop3_b32 v9, v31, v47, 0x80000000 bitop3:0x48
	s_delay_alu instid0(VALU_DEP_1)
	v_cmp_eq_u32_e32 vcc_lo, v9, v45
	s_and_b32 exec_lo, exec_lo, vcc_lo
	s_cbranch_execz .LBB144_371
; %bb.375:                              ;   in Loop: Header=BB144_373 Depth=2
	ds_store_b64 v3, v[30:31] offset:3072
	s_branch .LBB144_371
.LBB144_376:                            ;   in Loop: Header=BB144_373 Depth=2
	v_add_nc_u64_e32 v[4:5], s[34:35], v[4:5]
	v_add_nc_u32_e32 v8, s89, v8
	s_mov_b32 s48, 0
	s_delay_alu instid0(VALU_DEP_2)
	v_cmp_le_u64_e32 vcc_lo, s[16:17], v[4:5]
	s_or_not1_b32 s47, vcc_lo, exec_lo
	s_branch .LBB144_372
.LBB144_377:                            ;   in Loop: Header=BB144_6 Depth=1
                                        ; implicit-def: $sgpr20_sgpr21
	s_branch .LBB144_323
.LBB144_378:                            ;   in Loop: Header=BB144_6 Depth=1
                                        ; implicit-def: $sgpr10_sgpr11
	s_branch .LBB144_339
.LBB144_379:                            ;   in Loop: Header=BB144_6 Depth=1
	s_or_b32 exec_lo, exec_lo, s18
	s_delay_alu instid0(SALU_CYCLE_1)
	s_and_b32 s18, s46, exec_lo
.LBB144_380:                            ;   in Loop: Header=BB144_6 Depth=1
	s_or_b32 exec_lo, exec_lo, s28
.LBB144_381:                            ;   in Loop: Header=BB144_6 Depth=1
	s_delay_alu instid0(SALU_CYCLE_1)
	s_and_b32 vcc_lo, exec_lo, s19
	s_cbranch_vccz .LBB144_395
; %bb.382:                              ;   in Loop: Header=BB144_6 Depth=1
	s_and_b64 s[10:11], s[56:57], 0xffffffff00000000
	s_delay_alu instid0(SALU_CYCLE_1)
	s_cmp_lg_u64 s[10:11], 0
	s_cbranch_scc0 .LBB144_414
; %bb.383:                              ;   in Loop: Header=BB144_6 Depth=1
	s_cvt_f32_u32 s10, s34
	s_sub_nc_u64 s[16:17], 0, s[34:35]
	s_delay_alu instid0(SALU_CYCLE_2) | instskip(NEXT) | instid1(SALU_CYCLE_3)
	s_fmamk_f32 s10, s90, 0x0, s10
	v_s_rcp_f32 s10, s10
	s_delay_alu instid0(TRANS32_DEP_1) | instskip(NEXT) | instid1(SALU_CYCLE_3)
	s_mul_f32 s10, s10, 0x5f7ffffc
	s_mul_f32 s11, s10, 0x2f800000
	s_delay_alu instid0(SALU_CYCLE_3) | instskip(NEXT) | instid1(SALU_CYCLE_3)
	s_trunc_f32 s11, s11
	s_fmamk_f32 s10, s11, 0xcf800000, s10
	s_cvt_u32_f32 s11, s11
	s_delay_alu instid0(SALU_CYCLE_2) | instskip(NEXT) | instid1(SALU_CYCLE_3)
	s_cvt_u32_f32 s10, s10
	s_mul_u64 s[46:47], s[16:17], s[10:11]
	s_delay_alu instid0(SALU_CYCLE_1)
	s_mul_hi_u32 s49, s10, s47
	s_mul_i32 s48, s10, s47
	s_mul_hi_u32 s28, s10, s46
	s_mul_i32 s50, s11, s46
	s_add_nc_u64 s[48:49], s[28:29], s[48:49]
	s_mul_hi_u32 s19, s11, s46
	s_mul_hi_u32 s51, s11, s47
	s_add_co_u32 s28, s48, s50
	s_add_co_ci_u32 s28, s49, s19
	s_mul_i32 s46, s11, s47
	s_add_co_ci_u32 s47, s51, 0
	s_delay_alu instid0(SALU_CYCLE_1) | instskip(NEXT) | instid1(SALU_CYCLE_1)
	s_add_nc_u64 s[46:47], s[28:29], s[46:47]
	s_add_co_u32 s10, s10, s46
	s_cselect_b32 s19, -1, 0
	s_delay_alu instid0(SALU_CYCLE_1) | instskip(SKIP_1) | instid1(SALU_CYCLE_1)
	s_cmp_lg_u32 s19, 0
	s_add_co_ci_u32 s11, s11, s47
	s_mul_u64 s[16:17], s[16:17], s[10:11]
	s_delay_alu instid0(SALU_CYCLE_1)
	s_mul_hi_u32 s47, s10, s17
	s_mul_i32 s46, s10, s17
	s_mul_hi_u32 s28, s10, s16
	s_mul_i32 s48, s11, s16
	s_add_nc_u64 s[46:47], s[28:29], s[46:47]
	s_mul_hi_u32 s19, s11, s16
	s_mul_hi_u32 s49, s11, s17
	s_mul_i32 s16, s11, s17
	s_add_co_u32 s17, s46, s48
	s_add_co_ci_u32 s28, s47, s19
	s_add_co_ci_u32 s17, s49, 0
	s_delay_alu instid0(SALU_CYCLE_1) | instskip(NEXT) | instid1(SALU_CYCLE_1)
	s_add_nc_u64 s[16:17], s[28:29], s[16:17]
	s_add_co_u32 s10, s10, s16
	s_cselect_b32 s16, -1, 0
	s_mul_hi_u32 s28, s56, s10
	s_cmp_lg_u32 s16, 0
	s_mul_hi_u32 s19, s57, s10
	s_add_co_ci_u32 s16, s11, s17
	s_mul_i32 s17, s57, s10
	s_mul_hi_u32 s11, s56, s16
	s_mul_i32 s10, s56, s16
	s_mul_hi_u32 s46, s57, s16
	s_add_nc_u64 s[10:11], s[28:29], s[10:11]
	s_mul_i32 s16, s57, s16
	s_add_co_u32 s10, s10, s17
	s_add_co_ci_u32 s28, s11, s19
	s_add_co_ci_u32 s17, s46, 0
	s_delay_alu instid0(SALU_CYCLE_1) | instskip(NEXT) | instid1(SALU_CYCLE_1)
	s_add_nc_u64 s[10:11], s[28:29], s[16:17]
	s_and_b64 s[16:17], s[10:11], 0xffffffff00000000
	s_delay_alu instid0(SALU_CYCLE_1) | instskip(NEXT) | instid1(SALU_CYCLE_1)
	s_or_b32 s16, s16, s10
	s_mul_u64 s[10:11], s[34:35], s[16:17]
	s_delay_alu instid0(SALU_CYCLE_1) | instskip(SKIP_1) | instid1(SALU_CYCLE_1)
	s_sub_co_u32 s10, s56, s10
	s_cselect_b32 s16, -1, 0
	s_cmp_lg_u32 s16, 0
	s_sub_co_ci_u32 s11, s57, s11
	s_sub_co_u32 s16, s10, s34
	s_cselect_b32 s17, -1, 0
	s_delay_alu instid0(SALU_CYCLE_1) | instskip(SKIP_3) | instid1(SALU_CYCLE_1)
	s_cmp_lg_u32 s17, 0
	s_sub_co_ci_u32 s17, s11, 0
	s_sub_co_u32 s19, s16, s34
	s_cselect_b32 s28, -1, 0
	s_cmp_lg_u32 s28, 0
	s_sub_co_ci_u32 s28, s17, 0
	s_cmp_ge_u32 s16, s34
	s_cselect_b32 s46, -1, 0
	s_cmp_eq_u32 s17, 0
	s_cselect_b32 s46, s46, -1
	s_delay_alu instid0(SALU_CYCLE_1)
	s_cmp_lg_u32 s46, 0
	s_cselect_b32 s17, s28, s17
	s_cselect_b32 s16, s19, s16
	s_cmp_ge_u32 s10, s34
	s_cselect_b32 s19, -1, 0
	s_cmp_eq_u32 s11, 0
	s_cselect_b32 s19, s19, -1
	s_delay_alu instid0(SALU_CYCLE_1)
	s_cmp_lg_u32 s19, 0
	s_cselect_b32 s11, s17, s11
	s_cselect_b32 s10, s16, s10
	s_cbranch_execnz .LBB144_385
.LBB144_384:                            ;   in Loop: Header=BB144_6 Depth=1
	v_cvt_f32_u32_e32 v4, s34
	s_sub_co_i32 s11, 0, s34
	s_delay_alu instid0(VALU_DEP_1) | instskip(SKIP_1) | instid1(TRANS32_DEP_1)
	v_rcp_iflag_f32_e32 v4, v4
	v_nop
	v_mul_f32_e32 v4, 0x4f7ffffe, v4
	s_delay_alu instid0(VALU_DEP_1) | instskip(NEXT) | instid1(VALU_DEP_1)
	v_cvt_u32_f32_e32 v4, v4
	v_readfirstlane_b32 s10, v4
	s_mul_i32 s11, s11, s10
	s_delay_alu instid0(SALU_CYCLE_1) | instskip(NEXT) | instid1(SALU_CYCLE_1)
	s_mul_hi_u32 s11, s10, s11
	s_add_co_i32 s10, s10, s11
	s_delay_alu instid0(SALU_CYCLE_1) | instskip(NEXT) | instid1(SALU_CYCLE_1)
	s_mul_hi_u32 s10, s56, s10
	s_mul_i32 s10, s10, s34
	s_delay_alu instid0(SALU_CYCLE_1) | instskip(NEXT) | instid1(SALU_CYCLE_1)
	s_sub_co_i32 s10, s56, s10
	s_sub_co_i32 s11, s10, s34
	s_cmp_ge_u32 s10, s34
	s_cselect_b32 s10, s11, s10
	s_delay_alu instid0(SALU_CYCLE_1) | instskip(SKIP_2) | instid1(SALU_CYCLE_1)
	s_sub_co_i32 s11, s10, s34
	s_cmp_ge_u32 s10, s34
	s_cselect_b32 s28, s11, s10
	s_mov_b64 s[10:11], s[28:29]
.LBB144_385:                            ;   in Loop: Header=BB144_6 Depth=1
	s_delay_alu instid0(SALU_CYCLE_1)
	s_sub_nc_u64 s[10:11], s[56:57], s[10:11]
	s_mov_b32 s16, exec_lo
                                        ; implicit-def: $vgpr33
	v_nop
	v_cmpx_gt_u64_e64 s[10:11], v[0:1]
	s_cbranch_execz .LBB144_394
; %bb.386:                              ;   in Loop: Header=BB144_6 Depth=1
	v_mov_b64_e32 v[4:5], v[14:15]
	v_mov_b64_e32 v[8:9], v[0:1]
	s_mov_b32 s17, 0
                                        ; implicit-def: $sgpr19
	s_branch .LBB144_389
.LBB144_387:                            ;   in Loop: Header=BB144_389 Depth=2
	s_or_b32 exec_lo, exec_lo, s28
	s_wait_dscnt 0x0
	s_barrier_signal -1
	s_barrier_wait -1
	ds_load_b64 v[32:33], v3 offset:3072
	s_mov_b32 s28, -1
	s_mov_b32 s46, -1
	s_wait_dscnt 0x0
	s_barrier_signal -1
	s_barrier_wait -1
	v_cmp_eq_u32_e32 vcc_lo, 0, v32
	s_cbranch_vccnz .LBB144_392
.LBB144_388:                            ;   in Loop: Header=BB144_389 Depth=2
	s_and_b32 s28, exec_lo, s28
	s_delay_alu instid0(SALU_CYCLE_1) | instskip(SKIP_2) | instid1(SALU_CYCLE_1)
	s_or_b32 s17, s28, s17
	s_and_not1_b32 s19, s19, exec_lo
	s_and_b32 s28, s46, exec_lo
	s_or_b32 s19, s19, s28
	s_and_not1_b32 exec_lo, exec_lo, s17
	s_cbranch_execz .LBB144_393
.LBB144_389:                            ;   Parent Loop BB144_6 Depth=1
                                        ; =>  This Inner Loop Header: Depth=2
	s_mov_b32 s28, exec_lo
	s_delay_alu instid0(VALU_DEP_1)
	v_cmpx_gt_u64_e64 s[36:37], v[8:9]
	s_cbranch_execz .LBB144_387
; %bb.390:                              ;   in Loop: Header=BB144_389 Depth=2
	global_load_b32 v31, v[4:5], off
	s_wait_loadcnt 0x0
	v_bitop3_b32 v10, v31, v47, 0x80000000 bitop3:0x48
	s_delay_alu instid0(VALU_DEP_1)
	v_cmp_eq_u32_e32 vcc_lo, v10, v45
	s_and_b32 exec_lo, exec_lo, vcc_lo
	s_cbranch_execz .LBB144_387
; %bb.391:                              ;   in Loop: Header=BB144_389 Depth=2
	ds_store_b64 v3, v[30:31] offset:3072
	s_branch .LBB144_387
.LBB144_392:                            ;   in Loop: Header=BB144_389 Depth=2
	v_add_nc_u64_e32 v[8:9], s[34:35], v[8:9]
	v_add_nc_u64_e32 v[4:5], s[40:41], v[4:5]
	s_mov_b32 s46, 0
	s_delay_alu instid0(VALU_DEP_2)
	v_cmp_le_u64_e32 vcc_lo, s[10:11], v[8:9]
	s_or_not1_b32 s28, vcc_lo, exec_lo
	s_branch .LBB144_388
.LBB144_393:                            ;   in Loop: Header=BB144_6 Depth=1
	s_or_b32 exec_lo, exec_lo, s17
	s_delay_alu instid0(SALU_CYCLE_1) | instskip(SKIP_1) | instid1(SALU_CYCLE_1)
	s_and_not1_b32 s10, s18, exec_lo
	s_and_b32 s11, s19, exec_lo
	s_or_b32 s18, s10, s11
.LBB144_394:                            ;   in Loop: Header=BB144_6 Depth=1
	s_or_b32 exec_lo, exec_lo, s16
	s_mov_b32 s70, 0
	s_mov_b32 s72, -1
.LBB144_395:                            ;   in Loop: Header=BB144_6 Depth=1
	s_or_not1_b32 s10, s18, exec_lo
.LBB144_396:                            ;   in Loop: Header=BB144_6 Depth=1
	s_or_b32 exec_lo, exec_lo, s74
	s_mov_b32 s11, 0
	s_and_saveexec_b32 s18, s10
	s_cbranch_execz .LBB144_458
; %bb.397:                              ;   in Loop: Header=BB144_6 Depth=1
	v_mov_b64_e32 v[4:5], 1
	v_mov_b32_e32 v2, 1
	s_xor_b32 s16, s73, -1
	s_delay_alu instid0(SALU_CYCLE_1)
	s_and_saveexec_b32 s10, s16
	s_cbranch_execz .LBB144_406
; %bb.398:                              ;   in Loop: Header=BB144_6 Depth=1
	s_mov_b32 s11, exec_lo
	v_cmpx_ge_u64_e64 s[14:15], v[6:7]
	s_xor_b32 s11, exec_lo, s11
	s_cbranch_execz .LBB144_403
; %bb.399:                              ;   in Loop: Header=BB144_6 Depth=1
	ds_load_b64 v[4:5], v3 offset:5120
	s_lshl_b32 s16, 1, s91
	v_or_b32_e32 v47, s24, v47
	v_and_or_b32 v45, v45, s25, s16
	s_wait_dscnt 0x0
	v_cmp_ne_u64_e32 vcc_lo, 0, v[4:5]
	s_cbranch_vccnz .LBB144_403
; %bb.400:                              ;   in Loop: Header=BB144_6 Depth=1
	s_and_saveexec_b32 s16, s5
; %bb.401:                              ;   in Loop: Header=BB144_6 Depth=1
	v_mov_b64_e32 v[4:5], s[14:15]
	ds_store_b64 v3, v[4:5] offset:5128
; %bb.402:                              ;   in Loop: Header=BB144_6 Depth=1
	s_or_b32 exec_lo, exec_lo, s16
	s_wait_dscnt 0x0
	s_barrier_signal -1
	s_barrier_wait -1
.LBB144_403:                            ;   in Loop: Header=BB144_6 Depth=1
	s_or_saveexec_b32 s11, s11
	v_mov_b32_e32 v2, 5
	s_mov_b32 s16, 0
	s_xor_b32 exec_lo, exec_lo, s11
; %bb.404:                              ;   in Loop: Header=BB144_6 Depth=1
	v_sub_nc_u64_e64 v[6:7], v[6:7], s[14:15]
	v_mov_b32_e32 v2, 0
	s_mov_b32 s16, exec_lo
; %bb.405:                              ;   in Loop: Header=BB144_6 Depth=1
	s_or_b32 exec_lo, exec_lo, s11
	s_delay_alu instid0(VALU_DEP_2)
	v_mov_b64_e32 v[4:5], v[6:7]
	s_and_b32 s11, s16, exec_lo
.LBB144_406:                            ;   in Loop: Header=BB144_6 Depth=1
	s_or_b32 exec_lo, exec_lo, s10
	s_mov_b32 s10, -1
                                        ; implicit-def: $sgpr76
                                        ; implicit-def: $sgpr75
	s_and_saveexec_b32 s19, s11
	s_cbranch_execz .LBB144_457
; %bb.407:                              ;   in Loop: Header=BB144_6 Depth=1
	s_delay_alu instid0(VALU_DEP_1) | instskip(SKIP_3) | instid1(SALU_CYCLE_1)
	v_cmp_eq_u64_e32 vcc_lo, 1, v[4:5]
	s_cmp_eq_u64 s[12:13], 1
	s_mov_b32 s11, -1
	s_cselect_b32 s10, -1, 0
                                        ; implicit-def: $sgpr76
                                        ; implicit-def: $sgpr75
	s_and_b32 s73, s10, vcc_lo
	s_delay_alu instid0(SALU_CYCLE_1)
	s_and_saveexec_b32 s74, s73
	s_cbranch_execz .LBB144_445
; %bb.408:                              ;   in Loop: Header=BB144_6 Depth=1
	ds_load_b64 v[6:7], v3 offset:5120
	s_wait_dscnt 0x0
	s_barrier_signal -1
	s_barrier_wait -1
	v_readfirstlane_b32 s10, v6
	v_readfirstlane_b32 s11, v7
	s_and_saveexec_b32 s14, s6
; %bb.409:                              ;   in Loop: Header=BB144_6 Depth=1
	ds_store_b32 v43, v3
; %bb.410:                              ;   in Loop: Header=BB144_6 Depth=1
	s_or_b32 exec_lo, exec_lo, s14
	v_and_b32_e32 v45, s25, v45
	v_or_b32_e32 v47, s24, v47
	s_mov_b32 s75, -1
	s_mov_b32 s76, 0
	s_cmp_eq_u64 s[10:11], 0
	s_mov_b32 s16, 0
	s_mov_b32 s17, -1
	s_wait_dscnt 0x0
	s_barrier_signal -1
	s_barrier_wait -1
                                        ; implicit-def: $vgpr33
	s_cbranch_scc1 .LBB144_428
; %bb.411:                              ;   in Loop: Header=BB144_6 Depth=1
	s_add_nc_u64 s[14:15], s[10:11], s[54:55]
	s_delay_alu instid0(SALU_CYCLE_1) | instskip(NEXT) | instid1(SALU_CYCLE_1)
	s_and_b64 s[16:17], s[14:15], 0xffffffff00000000
	s_cmp_lg_u64 s[16:17], 0
	s_cbranch_scc0 .LBB144_415
; %bb.412:                              ;   in Loop: Header=BB144_6 Depth=1
	s_cvt_f32_u32 s16, s34
	s_sub_nc_u64 s[46:47], 0, s[34:35]
	s_delay_alu instid0(SALU_CYCLE_2) | instskip(NEXT) | instid1(SALU_CYCLE_3)
	s_fmamk_f32 s16, s90, 0x0, s16
	v_s_rcp_f32 s16, s16
	s_delay_alu instid0(TRANS32_DEP_1) | instskip(NEXT) | instid1(SALU_CYCLE_3)
	s_mul_f32 s16, s16, 0x5f7ffffc
	s_mul_f32 s17, s16, 0x2f800000
	s_delay_alu instid0(SALU_CYCLE_3) | instskip(NEXT) | instid1(SALU_CYCLE_3)
	s_trunc_f32 s17, s17
	s_fmamk_f32 s16, s17, 0xcf800000, s16
	s_cvt_u32_f32 s17, s17
	s_delay_alu instid0(SALU_CYCLE_2) | instskip(NEXT) | instid1(SALU_CYCLE_3)
	s_cvt_u32_f32 s16, s16
	s_mul_u64 s[48:49], s[46:47], s[16:17]
	s_delay_alu instid0(SALU_CYCLE_1)
	s_mul_hi_u32 s79, s16, s49
	s_mul_i32 s78, s16, s49
	s_mul_hi_u32 s28, s16, s48
	s_mul_i32 s51, s17, s48
	s_add_nc_u64 s[78:79], s[28:29], s[78:79]
	s_mul_hi_u32 s50, s17, s48
	s_mul_hi_u32 s77, s17, s49
	s_add_co_u32 s28, s78, s51
	s_add_co_ci_u32 s28, s79, s50
	s_mul_i32 s48, s17, s49
	s_add_co_ci_u32 s49, s77, 0
	s_delay_alu instid0(SALU_CYCLE_1) | instskip(NEXT) | instid1(SALU_CYCLE_1)
	s_add_nc_u64 s[48:49], s[28:29], s[48:49]
	s_add_co_u32 s16, s16, s48
	s_cselect_b32 s28, -1, 0
	s_delay_alu instid0(SALU_CYCLE_1) | instskip(SKIP_1) | instid1(SALU_CYCLE_1)
	s_cmp_lg_u32 s28, 0
	s_add_co_ci_u32 s17, s17, s49
	s_mul_u64 s[46:47], s[46:47], s[16:17]
	s_delay_alu instid0(SALU_CYCLE_1)
	s_mul_hi_u32 s49, s16, s47
	s_mul_i32 s48, s16, s47
	s_mul_hi_u32 s28, s16, s46
	s_mul_i32 s51, s17, s46
	s_add_nc_u64 s[48:49], s[28:29], s[48:49]
	s_mul_hi_u32 s50, s17, s46
	s_mul_hi_u32 s77, s17, s47
	s_add_co_u32 s28, s48, s51
	s_add_co_ci_u32 s28, s49, s50
	s_mul_i32 s46, s17, s47
	s_add_co_ci_u32 s47, s77, 0
	s_delay_alu instid0(SALU_CYCLE_1) | instskip(NEXT) | instid1(SALU_CYCLE_1)
	s_add_nc_u64 s[46:47], s[28:29], s[46:47]
	s_add_co_u32 s16, s16, s46
	s_cselect_b32 s46, -1, 0
	s_mul_hi_u32 s28, s14, s16
	s_cmp_lg_u32 s46, 0
	s_mul_hi_u32 s48, s15, s16
	s_add_co_ci_u32 s46, s17, s47
	s_mul_i32 s47, s15, s16
	s_mul_hi_u32 s17, s14, s46
	s_mul_i32 s16, s14, s46
	s_mul_hi_u32 s49, s15, s46
	s_add_nc_u64 s[16:17], s[28:29], s[16:17]
	s_mul_i32 s46, s15, s46
	s_add_co_u32 s16, s16, s47
	s_add_co_ci_u32 s28, s17, s48
	s_add_co_ci_u32 s47, s49, 0
	s_delay_alu instid0(SALU_CYCLE_1) | instskip(NEXT) | instid1(SALU_CYCLE_1)
	s_add_nc_u64 s[16:17], s[28:29], s[46:47]
	s_and_b64 s[46:47], s[16:17], 0xffffffff00000000
	s_delay_alu instid0(SALU_CYCLE_1) | instskip(NEXT) | instid1(SALU_CYCLE_1)
	s_or_b32 s46, s46, s16
	s_mul_u64 s[16:17], s[34:35], s[46:47]
	s_delay_alu instid0(SALU_CYCLE_1) | instskip(SKIP_1) | instid1(SALU_CYCLE_1)
	s_sub_co_u32 s16, s14, s16
	s_cselect_b32 s28, -1, 0
	s_cmp_lg_u32 s28, 0
	s_sub_co_ci_u32 s17, s15, s17
	s_sub_co_u32 s28, s16, s34
	s_cselect_b32 s46, -1, 0
	s_delay_alu instid0(SALU_CYCLE_1) | instskip(SKIP_3) | instid1(SALU_CYCLE_1)
	s_cmp_lg_u32 s46, 0
	s_sub_co_ci_u32 s46, s17, 0
	s_sub_co_u32 s47, s28, s34
	s_cselect_b32 s48, -1, 0
	s_cmp_lg_u32 s48, 0
	s_sub_co_ci_u32 s48, s46, 0
	s_cmp_ge_u32 s28, s34
	s_cselect_b32 s49, -1, 0
	s_cmp_eq_u32 s46, 0
	s_cselect_b32 s49, s49, -1
	s_delay_alu instid0(SALU_CYCLE_1)
	s_cmp_lg_u32 s49, 0
	s_cselect_b32 s46, s48, s46
	s_cselect_b32 s28, s47, s28
	s_cmp_ge_u32 s16, s34
	s_cselect_b32 s47, -1, 0
	s_cmp_eq_u32 s17, 0
	s_cselect_b32 s47, s47, -1
	s_delay_alu instid0(SALU_CYCLE_1)
	s_cmp_lg_u32 s47, 0
	s_cselect_b32 s17, s46, s17
	s_cselect_b32 s16, s28, s16
	s_mov_b32 s28, 0
	s_branch .LBB144_416
.LBB144_413:                            ;   in Loop: Header=BB144_6 Depth=1
                                        ; implicit-def: $sgpr18_sgpr19
	s_branch .LBB144_368
.LBB144_414:                            ;   in Loop: Header=BB144_6 Depth=1
                                        ; implicit-def: $sgpr10_sgpr11
	s_branch .LBB144_384
.LBB144_415:                            ;   in Loop: Header=BB144_6 Depth=1
	s_mov_b32 s28, -1
                                        ; implicit-def: $sgpr16_sgpr17
.LBB144_416:                            ;   in Loop: Header=BB144_6 Depth=1
	s_delay_alu instid0(SALU_CYCLE_1)
	s_and_not1_b32 vcc_lo, exec_lo, s28
	s_cbranch_vccnz .LBB144_418
; %bb.417:                              ;   in Loop: Header=BB144_6 Depth=1
	v_cvt_f32_u32_e32 v6, s34
	s_sub_co_i32 s17, 0, s34
	s_delay_alu instid0(VALU_DEP_1) | instskip(SKIP_1) | instid1(TRANS32_DEP_1)
	v_rcp_iflag_f32_e32 v6, v6
	v_nop
	v_mul_f32_e32 v6, 0x4f7ffffe, v6
	s_delay_alu instid0(VALU_DEP_1) | instskip(NEXT) | instid1(VALU_DEP_1)
	v_cvt_u32_f32_e32 v6, v6
	v_readfirstlane_b32 s16, v6
	s_mul_i32 s17, s17, s16
	s_delay_alu instid0(SALU_CYCLE_1) | instskip(NEXT) | instid1(SALU_CYCLE_1)
	s_mul_hi_u32 s17, s16, s17
	s_add_co_i32 s16, s16, s17
	s_delay_alu instid0(SALU_CYCLE_1) | instskip(NEXT) | instid1(SALU_CYCLE_1)
	s_mul_hi_u32 s16, s14, s16
	s_mul_i32 s16, s16, s34
	s_delay_alu instid0(SALU_CYCLE_1) | instskip(NEXT) | instid1(SALU_CYCLE_1)
	s_sub_co_i32 s16, s14, s16
	s_sub_co_i32 s17, s16, s34
	s_cmp_ge_u32 s16, s34
	s_cselect_b32 s16, s17, s16
	s_delay_alu instid0(SALU_CYCLE_1) | instskip(SKIP_2) | instid1(SALU_CYCLE_1)
	s_sub_co_i32 s17, s16, s34
	s_cmp_ge_u32 s16, s34
	s_cselect_b32 s28, s17, s16
	s_mov_b64 s[16:17], s[28:29]
.LBB144_418:                            ;   in Loop: Header=BB144_6 Depth=1
	s_delay_alu instid0(SALU_CYCLE_1)
	s_sub_nc_u64 s[14:15], s[14:15], s[16:17]
	s_mov_b32 s17, 0
	s_mov_b32 s16, 0
	s_mov_b32 s28, exec_lo
                                        ; implicit-def: $vgpr33
	v_cmpx_gt_u64_e64 s[14:15], v[0:1]
	s_cbranch_execz .LBB144_427
; %bb.419:                              ;   in Loop: Header=BB144_6 Depth=1
	v_mov_b64_e32 v[6:7], v[0:1]
	v_mov_b32_e32 v8, v16
                                        ; implicit-def: $sgpr46
	s_branch .LBB144_422
.LBB144_420:                            ;   in Loop: Header=BB144_422 Depth=2
	s_or_b32 exec_lo, exec_lo, s47
	s_wait_dscnt 0x0
	s_barrier_signal -1
	s_barrier_wait -1
	ds_load_b64 v[32:33], v3 offset:3072
	s_mov_b32 s47, -1
	s_mov_b32 s48, -1
	s_wait_dscnt 0x0
	s_barrier_signal -1
	s_barrier_wait -1
	v_cmp_ne_u32_e32 vcc_lo, 0, v32
	s_cbranch_vccz .LBB144_425
.LBB144_421:                            ;   in Loop: Header=BB144_422 Depth=2
	s_and_b32 s47, exec_lo, s47
	s_delay_alu instid0(SALU_CYCLE_1) | instskip(SKIP_2) | instid1(SALU_CYCLE_1)
	s_or_b32 s16, s47, s16
	s_and_not1_b32 s46, s46, exec_lo
	s_and_b32 s47, s48, exec_lo
	s_or_b32 s46, s46, s47
	s_and_not1_b32 exec_lo, exec_lo, s16
	s_cbranch_execz .LBB144_426
.LBB144_422:                            ;   Parent Loop BB144_6 Depth=1
                                        ; =>  This Inner Loop Header: Depth=2
	s_mov_b32 s47, exec_lo
	s_delay_alu instid0(VALU_DEP_2)
	v_cmpx_gt_u64_e64 s[10:11], v[6:7]
	s_cbranch_execz .LBB144_420
; %bb.423:                              ;   in Loop: Header=BB144_422 Depth=2
	ds_load_b32 v31, v8
	s_wait_dscnt 0x0
	v_bitop3_b32 v9, v31, v47, 0x80000000 bitop3:0x48
	s_delay_alu instid0(VALU_DEP_1)
	v_cmp_eq_u32_e32 vcc_lo, v9, v45
	s_and_b32 exec_lo, exec_lo, vcc_lo
	s_cbranch_execz .LBB144_420
; %bb.424:                              ;   in Loop: Header=BB144_422 Depth=2
	ds_store_b64 v3, v[30:31] offset:3072
	s_branch .LBB144_420
.LBB144_425:                            ;   in Loop: Header=BB144_422 Depth=2
	v_add_nc_u64_e32 v[6:7], s[34:35], v[6:7]
	v_add_nc_u32_e32 v8, s89, v8
	s_mov_b32 s48, 0
	s_delay_alu instid0(VALU_DEP_2)
	v_cmp_le_u64_e32 vcc_lo, s[14:15], v[6:7]
	s_or_not1_b32 s47, vcc_lo, exec_lo
	s_branch .LBB144_421
.LBB144_426:                            ;   in Loop: Header=BB144_6 Depth=1
	s_or_b32 exec_lo, exec_lo, s16
	s_delay_alu instid0(SALU_CYCLE_1)
	s_and_b32 s16, s46, exec_lo
.LBB144_427:                            ;   in Loop: Header=BB144_6 Depth=1
	s_or_b32 exec_lo, exec_lo, s28
.LBB144_428:                            ;   in Loop: Header=BB144_6 Depth=1
	s_delay_alu instid0(SALU_CYCLE_1)
	s_and_b32 vcc_lo, exec_lo, s17
	s_cbranch_vccz .LBB144_444
; %bb.429:                              ;   in Loop: Header=BB144_6 Depth=1
	s_and_b64 s[10:11], s[56:57], 0xffffffff00000000
	s_delay_alu instid0(SALU_CYCLE_1)
	s_cmp_lg_u64 s[10:11], 0
	s_cbranch_scc0 .LBB144_431
; %bb.430:                              ;   in Loop: Header=BB144_6 Depth=1
	s_cvt_f32_u32 s10, s34
	s_sub_nc_u64 s[14:15], 0, s[34:35]
	s_delay_alu instid0(SALU_CYCLE_2) | instskip(NEXT) | instid1(SALU_CYCLE_3)
	s_fmamk_f32 s10, s90, 0x0, s10
	v_s_rcp_f32 s10, s10
	s_delay_alu instid0(TRANS32_DEP_1) | instskip(NEXT) | instid1(SALU_CYCLE_3)
	s_mul_f32 s10, s10, 0x5f7ffffc
	s_mul_f32 s11, s10, 0x2f800000
	s_delay_alu instid0(SALU_CYCLE_3) | instskip(NEXT) | instid1(SALU_CYCLE_3)
	s_trunc_f32 s11, s11
	s_fmamk_f32 s10, s11, 0xcf800000, s10
	s_cvt_u32_f32 s11, s11
	s_delay_alu instid0(SALU_CYCLE_2) | instskip(NEXT) | instid1(SALU_CYCLE_3)
	s_cvt_u32_f32 s10, s10
	s_mul_u64 s[46:47], s[14:15], s[10:11]
	s_delay_alu instid0(SALU_CYCLE_1)
	s_mul_hi_u32 s49, s10, s47
	s_mul_i32 s48, s10, s47
	s_mul_hi_u32 s28, s10, s46
	s_mul_i32 s50, s11, s46
	s_add_nc_u64 s[48:49], s[28:29], s[48:49]
	s_mul_hi_u32 s17, s11, s46
	s_mul_hi_u32 s51, s11, s47
	s_add_co_u32 s28, s48, s50
	s_add_co_ci_u32 s28, s49, s17
	s_mul_i32 s46, s11, s47
	s_add_co_ci_u32 s47, s51, 0
	s_delay_alu instid0(SALU_CYCLE_1) | instskip(NEXT) | instid1(SALU_CYCLE_1)
	s_add_nc_u64 s[46:47], s[28:29], s[46:47]
	s_add_co_u32 s10, s10, s46
	s_cselect_b32 s17, -1, 0
	s_delay_alu instid0(SALU_CYCLE_1) | instskip(SKIP_1) | instid1(SALU_CYCLE_1)
	s_cmp_lg_u32 s17, 0
	s_add_co_ci_u32 s11, s11, s47
	s_mul_u64 s[14:15], s[14:15], s[10:11]
	s_delay_alu instid0(SALU_CYCLE_1)
	s_mul_hi_u32 s47, s10, s15
	s_mul_i32 s46, s10, s15
	s_mul_hi_u32 s28, s10, s14
	s_mul_i32 s48, s11, s14
	s_add_nc_u64 s[46:47], s[28:29], s[46:47]
	s_mul_hi_u32 s17, s11, s14
	s_mul_hi_u32 s49, s11, s15
	s_mul_i32 s14, s11, s15
	s_add_co_u32 s15, s46, s48
	s_add_co_ci_u32 s28, s47, s17
	s_add_co_ci_u32 s15, s49, 0
	s_delay_alu instid0(SALU_CYCLE_1) | instskip(NEXT) | instid1(SALU_CYCLE_1)
	s_add_nc_u64 s[14:15], s[28:29], s[14:15]
	s_add_co_u32 s10, s10, s14
	s_cselect_b32 s14, -1, 0
	s_mul_hi_u32 s28, s56, s10
	s_cmp_lg_u32 s14, 0
	s_mul_hi_u32 s17, s57, s10
	s_add_co_ci_u32 s14, s11, s15
	s_mul_i32 s15, s57, s10
	s_mul_hi_u32 s11, s56, s14
	s_mul_i32 s10, s56, s14
	s_mul_hi_u32 s46, s57, s14
	s_add_nc_u64 s[10:11], s[28:29], s[10:11]
	s_mul_i32 s14, s57, s14
	s_add_co_u32 s10, s10, s15
	s_add_co_ci_u32 s28, s11, s17
	s_add_co_ci_u32 s15, s46, 0
	s_delay_alu instid0(SALU_CYCLE_1) | instskip(NEXT) | instid1(SALU_CYCLE_1)
	s_add_nc_u64 s[10:11], s[28:29], s[14:15]
	s_and_b64 s[14:15], s[10:11], 0xffffffff00000000
	s_delay_alu instid0(SALU_CYCLE_1) | instskip(NEXT) | instid1(SALU_CYCLE_1)
	s_or_b32 s14, s14, s10
	s_mul_u64 s[10:11], s[34:35], s[14:15]
	s_delay_alu instid0(SALU_CYCLE_1) | instskip(SKIP_1) | instid1(SALU_CYCLE_1)
	s_sub_co_u32 s10, s56, s10
	s_cselect_b32 s14, -1, 0
	s_cmp_lg_u32 s14, 0
	s_sub_co_ci_u32 s11, s57, s11
	s_sub_co_u32 s14, s10, s34
	s_cselect_b32 s15, -1, 0
	s_delay_alu instid0(SALU_CYCLE_1) | instskip(SKIP_3) | instid1(SALU_CYCLE_1)
	s_cmp_lg_u32 s15, 0
	s_sub_co_ci_u32 s15, s11, 0
	s_sub_co_u32 s17, s14, s34
	s_cselect_b32 s28, -1, 0
	s_cmp_lg_u32 s28, 0
	s_sub_co_ci_u32 s28, s15, 0
	s_cmp_ge_u32 s14, s34
	s_cselect_b32 s46, -1, 0
	s_cmp_eq_u32 s15, 0
	s_cselect_b32 s46, s46, -1
	s_delay_alu instid0(SALU_CYCLE_1)
	s_cmp_lg_u32 s46, 0
	s_cselect_b32 s15, s28, s15
	s_cselect_b32 s14, s17, s14
	s_cmp_ge_u32 s10, s34
	s_cselect_b32 s17, -1, 0
	s_cmp_eq_u32 s11, 0
	s_cselect_b32 s17, s17, -1
	s_delay_alu instid0(SALU_CYCLE_1)
	s_cmp_lg_u32 s17, 0
	s_cselect_b32 s11, s15, s11
	s_cselect_b32 s10, s14, s10
	s_mov_b32 s14, 0
	s_branch .LBB144_432
.LBB144_431:                            ;   in Loop: Header=BB144_6 Depth=1
	s_mov_b32 s14, -1
                                        ; implicit-def: $sgpr10_sgpr11
.LBB144_432:                            ;   in Loop: Header=BB144_6 Depth=1
	s_delay_alu instid0(SALU_CYCLE_1)
	s_and_not1_b32 vcc_lo, exec_lo, s14
	s_cbranch_vccnz .LBB144_434
; %bb.433:                              ;   in Loop: Header=BB144_6 Depth=1
	v_cvt_f32_u32_e32 v6, s34
	s_sub_co_i32 s11, 0, s34
	s_delay_alu instid0(VALU_DEP_1) | instskip(SKIP_1) | instid1(TRANS32_DEP_1)
	v_rcp_iflag_f32_e32 v6, v6
	v_nop
	v_mul_f32_e32 v6, 0x4f7ffffe, v6
	s_delay_alu instid0(VALU_DEP_1) | instskip(NEXT) | instid1(VALU_DEP_1)
	v_cvt_u32_f32_e32 v6, v6
	v_readfirstlane_b32 s10, v6
	s_mul_i32 s11, s11, s10
	s_delay_alu instid0(SALU_CYCLE_1) | instskip(NEXT) | instid1(SALU_CYCLE_1)
	s_mul_hi_u32 s11, s10, s11
	s_add_co_i32 s10, s10, s11
	s_delay_alu instid0(SALU_CYCLE_1) | instskip(NEXT) | instid1(SALU_CYCLE_1)
	s_mul_hi_u32 s10, s56, s10
	s_mul_i32 s10, s10, s34
	s_delay_alu instid0(SALU_CYCLE_1) | instskip(NEXT) | instid1(SALU_CYCLE_1)
	s_sub_co_i32 s10, s56, s10
	s_sub_co_i32 s11, s10, s34
	s_cmp_ge_u32 s10, s34
	s_cselect_b32 s10, s11, s10
	s_delay_alu instid0(SALU_CYCLE_1) | instskip(SKIP_2) | instid1(SALU_CYCLE_1)
	s_sub_co_i32 s11, s10, s34
	s_cmp_ge_u32 s10, s34
	s_cselect_b32 s28, s11, s10
	s_mov_b64 s[10:11], s[28:29]
.LBB144_434:                            ;   in Loop: Header=BB144_6 Depth=1
	s_delay_alu instid0(SALU_CYCLE_1)
	s_sub_nc_u64 s[10:11], s[56:57], s[10:11]
	s_mov_b32 s14, exec_lo
                                        ; implicit-def: $vgpr33
	v_nop
	v_cmpx_gt_u64_e64 s[10:11], v[0:1]
	s_cbranch_execz .LBB144_443
; %bb.435:                              ;   in Loop: Header=BB144_6 Depth=1
	v_mov_b64_e32 v[6:7], v[14:15]
	v_mov_b64_e32 v[8:9], v[0:1]
	s_mov_b32 s15, 0
                                        ; implicit-def: $sgpr17
	s_branch .LBB144_438
.LBB144_436:                            ;   in Loop: Header=BB144_438 Depth=2
	s_or_b32 exec_lo, exec_lo, s28
	s_wait_dscnt 0x0
	s_barrier_signal -1
	s_barrier_wait -1
	ds_load_b64 v[32:33], v3 offset:3072
	s_mov_b32 s28, -1
	s_mov_b32 s46, -1
	s_wait_dscnt 0x0
	s_barrier_signal -1
	s_barrier_wait -1
	v_cmp_eq_u32_e32 vcc_lo, 0, v32
	s_cbranch_vccnz .LBB144_441
.LBB144_437:                            ;   in Loop: Header=BB144_438 Depth=2
	s_and_b32 s28, exec_lo, s28
	s_delay_alu instid0(SALU_CYCLE_1) | instskip(SKIP_2) | instid1(SALU_CYCLE_1)
	s_or_b32 s15, s28, s15
	s_and_not1_b32 s17, s17, exec_lo
	s_and_b32 s28, s46, exec_lo
	s_or_b32 s17, s17, s28
	s_and_not1_b32 exec_lo, exec_lo, s15
	s_cbranch_execz .LBB144_442
.LBB144_438:                            ;   Parent Loop BB144_6 Depth=1
                                        ; =>  This Inner Loop Header: Depth=2
	s_mov_b32 s28, exec_lo
	s_delay_alu instid0(VALU_DEP_1)
	v_cmpx_gt_u64_e64 s[36:37], v[8:9]
	s_cbranch_execz .LBB144_436
; %bb.439:                              ;   in Loop: Header=BB144_438 Depth=2
	global_load_b32 v31, v[6:7], off
	s_wait_loadcnt 0x0
	v_bitop3_b32 v10, v31, v47, 0x80000000 bitop3:0x48
	s_delay_alu instid0(VALU_DEP_1)
	v_cmp_eq_u32_e32 vcc_lo, v10, v45
	s_and_b32 exec_lo, exec_lo, vcc_lo
	s_cbranch_execz .LBB144_436
; %bb.440:                              ;   in Loop: Header=BB144_438 Depth=2
	ds_store_b64 v3, v[30:31] offset:3072
	s_branch .LBB144_436
.LBB144_441:                            ;   in Loop: Header=BB144_438 Depth=2
	v_add_nc_u64_e32 v[8:9], s[34:35], v[8:9]
	v_add_nc_u64_e32 v[6:7], s[40:41], v[6:7]
	s_mov_b32 s46, 0
	s_delay_alu instid0(VALU_DEP_2)
	v_cmp_le_u64_e32 vcc_lo, s[10:11], v[8:9]
	s_or_not1_b32 s28, vcc_lo, exec_lo
	s_branch .LBB144_437
.LBB144_442:                            ;   in Loop: Header=BB144_6 Depth=1
	s_or_b32 exec_lo, exec_lo, s15
	s_delay_alu instid0(SALU_CYCLE_1) | instskip(SKIP_1) | instid1(SALU_CYCLE_1)
	s_and_not1_b32 s10, s16, exec_lo
	s_and_b32 s11, s17, exec_lo
	s_or_b32 s16, s10, s11
.LBB144_443:                            ;   in Loop: Header=BB144_6 Depth=1
	s_or_b32 exec_lo, exec_lo, s14
	s_mov_b32 s75, 0
	s_mov_b32 s76, -1
.LBB144_444:                            ;   in Loop: Header=BB144_6 Depth=1
	s_or_not1_b32 s11, s16, exec_lo
.LBB144_445:                            ;   in Loop: Header=BB144_6 Depth=1
	s_or_b32 exec_lo, exec_lo, s74
	s_mov_b32 s14, 0
	s_and_saveexec_b32 s10, s11
	s_cbranch_execz .LBB144_456
; %bb.446:                              ;   in Loop: Header=BB144_6 Depth=1
	v_mov_b64_e32 v[6:7], 1
	v_mov_b32_e32 v2, 1
	s_xor_b32 s14, s73, -1
	s_delay_alu instid0(SALU_CYCLE_1)
	s_and_saveexec_b32 s11, s14
	s_cbranch_execz .LBB144_455
; %bb.447:                              ;   in Loop: Header=BB144_6 Depth=1
	s_mov_b32 s14, exec_lo
	v_cmpx_ge_u64_e64 s[12:13], v[4:5]
	s_xor_b32 s14, exec_lo, s14
	s_cbranch_execz .LBB144_452
; %bb.448:                              ;   in Loop: Header=BB144_6 Depth=1
	ds_load_b64 v[6:7], v3 offset:5120
	v_and_b32_e32 v45, s25, v45
	v_or_b32_e32 v47, s24, v47
	s_wait_dscnt 0x0
	v_cmp_ne_u64_e32 vcc_lo, 0, v[6:7]
	s_cbranch_vccnz .LBB144_452
; %bb.449:                              ;   in Loop: Header=BB144_6 Depth=1
	s_and_saveexec_b32 s15, s5
; %bb.450:                              ;   in Loop: Header=BB144_6 Depth=1
	v_mov_b64_e32 v[6:7], s[12:13]
	ds_store_b64 v3, v[6:7] offset:5128
; %bb.451:                              ;   in Loop: Header=BB144_6 Depth=1
	s_or_b32 exec_lo, exec_lo, s15
	s_wait_dscnt 0x0
	s_barrier_signal -1
	s_barrier_wait -1
.LBB144_452:                            ;   in Loop: Header=BB144_6 Depth=1
	s_and_not1_saveexec_b32 s14, s14
; %bb.453:                              ;   in Loop: Header=BB144_6 Depth=1
	v_sub_nc_u64_e64 v[4:5], v[4:5], s[12:13]
; %bb.454:                              ;   in Loop: Header=BB144_6 Depth=1
	s_or_b32 exec_lo, exec_lo, s14
	s_delay_alu instid0(VALU_DEP_1)
	v_mov_b64_e32 v[6:7], v[4:5]
	v_mov_b32_e32 v2, 5
.LBB144_455:                            ;   in Loop: Header=BB144_6 Depth=1
	s_or_b32 exec_lo, exec_lo, s11
	s_delay_alu instid0(VALU_DEP_2)
	v_mov_b64_e32 v[4:5], v[6:7]
	s_mov_b32 s14, exec_lo
.LBB144_456:                            ;   in Loop: Header=BB144_6 Depth=1
	s_or_b32 exec_lo, exec_lo, s10
	s_delay_alu instid0(SALU_CYCLE_1)
	s_or_not1_b32 s10, s14, exec_lo
.LBB144_457:                            ;   in Loop: Header=BB144_6 Depth=1
	s_or_b32 exec_lo, exec_lo, s19
	s_delay_alu instid0(VALU_DEP_1)
	v_mov_b64_e32 v[6:7], v[4:5]
	s_and_not1_b32 s11, s72, exec_lo
	s_and_b32 s12, s76, exec_lo
	s_and_not1_b32 s13, s70, exec_lo
	s_and_b32 s14, s75, exec_lo
	s_or_b32 s72, s11, s12
	s_or_b32 s70, s13, s14
	s_and_b32 s11, s10, exec_lo
.LBB144_458:                            ;   in Loop: Header=BB144_6 Depth=1
	s_or_b32 exec_lo, exec_lo, s18
	s_delay_alu instid0(SALU_CYCLE_1)
	s_or_not1_b32 s10, s11, exec_lo
.LBB144_459:                            ;   in Loop: Header=BB144_6 Depth=1
	s_or_b32 exec_lo, exec_lo, s21
	v_mov_b64_e32 v[4:5], v[6:7]
	s_and_not1_b32 s11, s69, exec_lo
	s_and_b32 s12, s72, exec_lo
	s_and_not1_b32 s13, s23, exec_lo
	s_and_b32 s14, s70, exec_lo
	s_or_b32 s69, s11, s12
	s_or_b32 s23, s13, s14
	s_and_b32 s11, s10, exec_lo
.LBB144_460:                            ;   in Loop: Header=BB144_6 Depth=1
	s_or_b32 exec_lo, exec_lo, s20
	s_delay_alu instid0(SALU_CYCLE_1)
	s_or_not1_b32 s10, s11, exec_lo
.LBB144_461:                            ;   in Loop: Header=BB144_6 Depth=1
	s_or_b32 exec_lo, exec_lo, s9
	s_mov_b32 s9, s68
	s_mov_b32 s11, s27
	s_and_saveexec_b32 s12, s10
; %bb.462:                              ;   in Loop: Header=BB144_6 Depth=1
	v_cmp_ne_u32_e32 vcc_lo, 5, v2
	v_cmp_eq_u32_e64 s9, 5, v2
	s_and_not1_b32 s10, s27, exec_lo
	s_and_not1_b32 s13, s68, exec_lo
	s_and_b32 s11, vcc_lo, exec_lo
	s_and_b32 s9, s9, exec_lo
	s_or_b32 s11, s10, s11
	s_or_b32 s9, s13, s9
; %bb.463:                              ;   in Loop: Header=BB144_6 Depth=1
	s_or_b32 exec_lo, exec_lo, s12
	s_delay_alu instid0(SALU_CYCLE_1)
	s_and_not1_b32 s10, s71, exec_lo
	s_and_b32 s12, s69, exec_lo
	s_and_not1_b32 s13, s26, exec_lo
	s_and_b32 s14, s23, exec_lo
	s_or_b32 s71, s10, s12
	s_and_not1_b32 s10, s27, exec_lo
	s_and_b32 s11, s11, exec_lo
	s_and_not1_b32 s12, s68, exec_lo
	s_and_b32 s9, s9, exec_lo
	s_or_b32 s26, s13, s14
	s_or_b32 s27, s10, s11
	;; [unrolled: 1-line block ×3, first 2 shown]
.LBB144_464:                            ;   in Loop: Header=BB144_6 Depth=1
	s_or_b32 exec_lo, exec_lo, s22
	s_mov_b32 s69, 0
	s_mov_b32 s70, 0
	s_and_saveexec_b32 s9, s68
.LBB144_465:                            ;   in Loop: Header=BB144_6 Depth=1
	v_mov_b32_e32 v2, 0
	s_or_b32 s27, s27, exec_lo
.LBB144_466:                            ;   in Loop: Header=BB144_6 Depth=1
	s_or_b32 exec_lo, exec_lo, s9
	v_mov_b64_e32 v[34:35], v[4:5]
	s_and_not1_b32 s9, s101, exec_lo
	s_and_b32 s11, s71, exec_lo
	s_and_not1_b32 s12, s99, exec_lo
	s_and_b32 s13, s26, exec_lo
	s_or_b32 s101, s9, s11
	s_or_b32 s99, s12, s13
	s_and_not1_b32 s9, s103, exec_lo
	s_and_b32 s11, s70, exec_lo
	s_and_not1_b32 s12, s102, exec_lo
	s_and_b32 s13, s69, exec_lo
	s_mov_b32 s10, -1
	s_and_not1_b32 s100, s100, exec_lo
	s_or_b32 s103, s9, s11
	s_or_b32 s102, s12, s13
	s_and_saveexec_b32 s9, s27
	s_delay_alu instid0(SALU_CYCLE_1)
	s_xor_b32 s9, exec_lo, s9
	s_cbranch_execz .LBB144_5
; %bb.467:                              ;   in Loop: Header=BB144_6 Depth=1
	s_mov_b32 s11, -1
	s_mov_b32 s12, exec_lo
	v_cmpx_eq_u32_e32 0, v2
	s_cbranch_execz .LBB144_4
; %bb.468:                              ;   in Loop: Header=BB144_6 Depth=1
	s_xor_b32 s94, s94, 1
	s_add_co_i32 s13, s91, -2
	s_cmp_eq_u32 s91, 0
	s_mov_b32 s91, s13
	s_cselect_b32 s10, -1, 0
	s_xor_b32 s11, exec_lo, -1
	s_or_not1_b32 s10, s10, exec_lo
	s_branch .LBB144_4
.LBB144_469:
	s_or_b32 exec_lo, exec_lo, s92
	s_xor_b32 s7, s98, -1
	s_xor_b32 s9, s96, -1
	;; [unrolled: 1-line block ×5, first 2 shown]
	s_mov_b32 s8, 0
	s_and_saveexec_b32 s12, s11
	s_delay_alu instid0(SALU_CYCLE_1)
	s_xor_b32 s16, exec_lo, s12
	s_cbranch_execnz .LBB144_474
; %bb.470:
	s_and_not1_saveexec_b32 s0, s16
	s_cbranch_execnz .LBB144_493
.LBB144_471:
	s_or_b32 exec_lo, exec_lo, s0
	s_and_saveexec_b32 s0, s8
.LBB144_472:
	; divergent unreachable
.LBB144_473:
	s_endpgm
.LBB144_474:
	s_and_saveexec_b32 s11, s10
	s_delay_alu instid0(SALU_CYCLE_1)
	s_xor_b32 s17, exec_lo, s11
	s_cbranch_execz .LBB144_491
; %bb.475:
	s_and_saveexec_b32 s10, s9
	s_delay_alu instid0(SALU_CYCLE_1)
	s_xor_b32 s18, exec_lo, s10
	s_cbranch_execz .LBB144_489
; %bb.476:
	;; [unrolled: 5-line block ×3, first 2 shown]
	s_and_saveexec_b32 s7, s6
	s_delay_alu instid0(SALU_CYCLE_1)
	s_xor_b32 s6, exec_lo, s7
; %bb.478:
	v_xor_b32_e32 v33, 0x80000000, v45
; %bb.479:
	s_or_b32 exec_lo, exec_lo, s6
	s_and_saveexec_b32 s6, s5
; %bb.480:
	v_mov_b64_e32 v[2:3], 0
	v_mov_b32_e32 v4, 0
	ds_store_b64 v4, v[2:3] offset:5136
; %bb.481:
	s_or_b32 exec_lo, exec_lo, s6
	v_mov_b32_e32 v13, 0
	s_wait_dscnt 0x0
	s_barrier_signal -1
	s_barrier_wait -1
	s_and_saveexec_b32 s5, s3
	s_cbranch_execz .LBB144_483
; %bb.482:
	global_load_b32 v13, v[14:15], off
.LBB144_483:
	s_wait_xcnt 0x0
	s_or_b32 exec_lo, exec_lo, s5
	v_readlane_b32 s12, v54, 0
	v_readlane_b32 s13, v54, 1
	s_clause 0x1
	s_load_b64 s[6:7], s[0:1], 0x368
	s_load_b64 s[8:9], s[0:1], 0x510
	s_wait_xcnt 0x0
	s_add_nc_u64 s[0:1], s[36:37], 31
	s_mov_b64 s[10:11], 0xffffffffffffffe0
	s_mov_b32 s5, 0
	s_and_b64 s[10:11], s[0:1], s[10:11]
	v_readlane_b32 s0, v54, 4
	v_readlane_b32 s1, v54, 5
	s_mul_u64 s[12:13], s[12:13], s[44:45]
	v_cmp_gt_u64_e32 vcc_lo, s[10:11], v[0:1]
	s_lshl_b64 s[14:15], s[12:13], 3
	v_readlane_b32 s12, v54, 6
	v_readlane_b32 s13, v54, 7
	s_mul_u64 s[0:1], s[0:1], s[44:45]
	s_delay_alu instid0(SALU_CYCLE_1) | instskip(NEXT) | instid1(SALU_CYCLE_1)
	s_lshl_b64 s[0:1], s[0:1], 2
	s_add_nc_u64 s[12:13], s[12:13], s[0:1]
	v_readlane_b32 s0, v54, 2
	v_readlane_b32 s1, v54, 3
	s_add_nc_u64 s[14:15], s[0:1], s[14:15]
	s_mov_b32 s0, -1
	s_mov_b32 s1, 0
	s_and_saveexec_b32 s20, vcc_lo
	s_cbranch_execnz .LBB144_494
; %bb.484:
	s_or_b32 exec_lo, exec_lo, s20
	s_and_saveexec_b32 s4, s0
	s_cbranch_execnz .LBB144_509
.LBB144_485:
	s_or_b32 exec_lo, exec_lo, s4
	s_and_saveexec_b32 s0, s1
	s_delay_alu instid0(SALU_CYCLE_1)
	s_xor_b32 s0, exec_lo, s0
	s_cbranch_execnz .LBB144_532
.LBB144_486:
	s_or_b32 exec_lo, exec_lo, s0
	s_wait_kmcnt 0x0
	s_and_b32 s8, s5, exec_lo
.LBB144_487:
	s_and_not1_saveexec_b32 s0, s19
	s_cbranch_execnz .LBB144_534
.LBB144_488:
	s_or_b32 exec_lo, exec_lo, s0
	s_delay_alu instid0(SALU_CYCLE_1)
	s_and_b32 s8, s8, exec_lo
.LBB144_489:
	s_and_not1_saveexec_b32 s0, s18
	s_cbranch_execnz .LBB144_533
.LBB144_490:
	s_or_b32 exec_lo, exec_lo, s0
	s_delay_alu instid0(SALU_CYCLE_1)
	s_and_b32 s8, s8, exec_lo
.LBB144_491:
	s_and_not1_saveexec_b32 s0, s17
	s_cbranch_execnz .LBB144_528
.LBB144_492:
	s_or_b32 exec_lo, exec_lo, s0
	s_delay_alu instid0(SALU_CYCLE_1)
	s_and_b32 s8, s8, exec_lo
	s_and_not1_saveexec_b32 s0, s16
	s_cbranch_execz .LBB144_471
.LBB144_493:
	s_or_b32 s8, s8, exec_lo
	s_trap 2
	s_or_b32 exec_lo, exec_lo, s0
	s_and_saveexec_b32 s0, s8
	s_cbranch_execnz .LBB144_472
	s_branch .LBB144_473
.LBB144_494:
	v_add_nc_u64_e32 v[2:3], s[34:35], v[0:1]
	v_mov_b64_e32 v[10:11], v[0:1]
	v_xor_b32_e32 v18, 0x80000000, v33
	s_mov_b32 s21, 0
                                        ; implicit-def: $sgpr22
                                        ; implicit-def: $vgpr8_vgpr9
	s_delay_alu instid0(VALU_DEP_3) | instskip(SKIP_1) | instid1(VALU_DEP_2)
	v_mul_u64_e32 v[4:5], s[30:31], v[2:3]
	v_mov_b32_e32 v3, 0
	v_lshl_add_u64 v[4:5], v[4:5], 2, s[42:43]
	s_branch .LBB144_496
.LBB144_495:                            ;   in Loop: Header=BB144_496 Depth=1
	s_or_b32 exec_lo, exec_lo, s24
	s_xor_b32 s0, s23, -1
	s_and_b32 s1, exec_lo, s1
	v_mov_b64_e32 v[10:11], v[6:7]
	v_mov_b32_e32 v13, v19
	s_or_b32 s21, s1, s21
	s_and_not1_b32 s1, s22, exec_lo
	s_and_b32 s0, s0, exec_lo
	s_delay_alu instid0(SALU_CYCLE_1)
	s_or_b32 s22, s1, s0
	s_and_not1_b32 exec_lo, exec_lo, s21
	s_cbranch_execz .LBB144_508
.LBB144_496:                            ; =>This Inner Loop Header: Depth=1
	v_add_nc_u64_e32 v[6:7], s[34:35], v[10:11]
	v_mov_b32_e32 v19, 0
	s_mov_b32 s1, exec_lo
	s_delay_alu instid0(VALU_DEP_2)
	v_cmpx_gt_u64_e64 s[36:37], v[6:7]
	s_cbranch_execz .LBB144_498
; %bb.497:                              ;   in Loop: Header=BB144_496 Depth=1
	global_load_b32 v19, v[4:5], off
.LBB144_498:                            ;   in Loop: Header=BB144_496 Depth=1
	s_wait_xcnt 0x0
	s_or_b32 exec_lo, exec_lo, s1
	s_wait_loadcnt 0x0
	v_xor_b32_e32 v2, 0x80000000, v13
	s_delay_alu instid0(VALU_DEP_1) | instskip(NEXT) | instid1(VALU_DEP_1)
	v_cmp_gt_u32_e64 s0, v2, v18
	v_cndmask_b32_e64 v16, 0, 1, s0
	v_cmp_lt_u32_e64 s0, v2, v18
	s_delay_alu instid0(VALU_DEP_1) | instskip(SKIP_1) | instid1(VALU_DEP_2)
	v_cndmask_b32_e64 v2, 0, 1, s0
	v_cmp_gt_u64_e64 s0, s[36:37], v[10:11]
	v_cndmask_b32_e64 v2, v2, v16, s4
	s_delay_alu instid0(VALU_DEP_1) | instskip(NEXT) | instid1(VALU_DEP_1)
	v_and_b32_e32 v2, 1, v2
	v_cmp_eq_u32_e64 s1, 1, v2
	s_and_b32 s23, s0, s1
	s_delay_alu instid0(SALU_CYCLE_1) | instskip(NEXT) | instid1(VALU_DEP_1)
	v_cndmask_b32_e64 v2, 0, 1, s23
	v_cmp_ne_u32_e64 s0, 0, v2
	s_cmp_lg_u32 s0, 0
	s_cselect_b32 s1, -1, 0
	s_delay_alu instid0(SALU_CYCLE_1) | instskip(NEXT) | instid1(SALU_CYCLE_1)
	s_and_b32 s1, s2, s1
	s_and_saveexec_b32 s24, s1
	s_cbranch_execz .LBB144_502
; %bb.499:                              ;   in Loop: Header=BB144_496 Depth=1
	s_mov_b32 s27, exec_lo
	s_bcnt1_i32_b32 s25, s0
	v_mbcnt_lo_u32_b32 v16, s27, 0
	s_mov_b32 s26, exec_lo
                                        ; implicit-def: $vgpr8_vgpr9
	s_delay_alu instid0(VALU_DEP_1)
	v_cmpx_eq_u32_e32 0, v16
	s_cbranch_execz .LBB144_501
; %bb.500:                              ;   in Loop: Header=BB144_496 Depth=1
	s_bcnt1_i32_b32 s1, s27
	s_delay_alu instid0(SALU_CYCLE_1) | instskip(NEXT) | instid1(SALU_CYCLE_1)
	s_mul_i32 s1, s25, s1
	v_mov_b32_e32 v2, s1
	s_wait_dscnt 0x0
	ds_add_rtn_u64 v[8:9], v3, v[2:3] offset:5136
.LBB144_501:                            ;   in Loop: Header=BB144_496 Depth=1
	s_or_b32 exec_lo, exec_lo, s26
	s_wait_dscnt 0x0
	v_readfirstlane_b32 s27, v9
	v_readfirstlane_b32 s26, v8
	s_delay_alu instid0(VALU_DEP_1)
	v_mad_nc_u64_u32 v[8:9], s25, v16, s[26:27]
.LBB144_502:                            ;   in Loop: Header=BB144_496 Depth=1
	s_or_b32 exec_lo, exec_lo, s24
	s_wait_dscnt 0x1
	ds_bpermute_b32 v8, v3, v8
	s_wait_dscnt 0x1
	ds_bpermute_b32 v9, v3, v9
	s_mov_b32 s1, -1
	s_mov_b32 s25, -1
	s_and_saveexec_b32 s24, s23
	s_cbranch_execz .LBB144_506
; %bb.503:                              ;   in Loop: Header=BB144_496 Depth=1
	v_and_b32_e32 v2, s0, v12
	s_mov_b32 s23, 0
	s_mov_b32 s25, exec_lo
	s_delay_alu instid0(VALU_DEP_1) | instskip(SKIP_1) | instid1(VALU_DEP_1)
	v_bcnt_u32_b32 v2, v2, 0
	s_wait_dscnt 0x0
	v_add_nc_u64_e32 v[16:17], v[8:9], v[2:3]
	s_delay_alu instid0(VALU_DEP_1)
	v_cmpx_gt_u64_e64 s[38:39], v[16:17]
	s_cbranch_execz .LBB144_505
; %bb.504:                              ;   in Loop: Header=BB144_496 Depth=1
	s_wait_kmcnt 0x0
	v_mul_u64_e32 v[20:21], s[6:7], v[16:17]
	v_mul_u64_e32 v[16:17], s[8:9], v[16:17]
	s_mov_b32 s23, exec_lo
	s_delay_alu instid0(VALU_DEP_2) | instskip(NEXT) | instid1(VALU_DEP_2)
	v_lshl_add_u64 v[20:21], v[20:21], 2, s[12:13]
	v_lshl_add_u64 v[16:17], v[16:17], 3, s[14:15]
	global_store_b32 v[20:21], v13, off
	global_store_b64 v[16:17], v[10:11], off
.LBB144_505:                            ;   in Loop: Header=BB144_496 Depth=1
	s_wait_xcnt 0x0
	s_or_b32 exec_lo, exec_lo, s25
	s_delay_alu instid0(SALU_CYCLE_1)
	s_or_not1_b32 s25, s23, exec_lo
.LBB144_506:                            ;   in Loop: Header=BB144_496 Depth=1
	s_or_b32 exec_lo, exec_lo, s24
	s_mov_b32 s23, -1
	s_and_saveexec_b32 s24, s25
	s_cbranch_execz .LBB144_495
; %bb.507:                              ;   in Loop: Header=BB144_496 Depth=1
	v_cmp_le_u64_e64 s0, s[10:11], v[6:7]
	v_add_nc_u64_e32 v[4:5], s[40:41], v[4:5]
	s_xor_b32 s23, exec_lo, -1
	s_or_not1_b32 s1, s0, exec_lo
	s_branch .LBB144_495
.LBB144_508:
	s_or_b32 exec_lo, exec_lo, s21
	s_delay_alu instid0(SALU_CYCLE_1)
	s_mov_b32 s1, exec_lo
	s_or_not1_b32 s0, s22, exec_lo
	s_or_b32 exec_lo, exec_lo, s20
	s_and_saveexec_b32 s4, s0
	s_cbranch_execz .LBB144_485
.LBB144_509:
	v_mov_b32_e32 v4, 0
	s_wait_storecnt 0x0
	s_wait_loadcnt_dscnt 0x0
	s_barrier_signal -1
	s_barrier_wait -1
	s_and_saveexec_b32 s0, s3
	s_cbranch_execz .LBB144_511
; %bb.510:
	global_load_b32 v4, v[14:15], off
.LBB144_511:
	s_wait_xcnt 0x0
	s_or_b32 exec_lo, exec_lo, s0
	s_mov_b32 s0, 0
	s_and_saveexec_b32 s3, vcc_lo
	s_cbranch_execz .LBB144_531
; %bb.512:
	v_add_nc_u64_e32 v[2:3], s[34:35], v[0:1]
	v_mov_b32_e32 v5, 0
	s_mov_b32 s5, 0
                                        ; implicit-def: $sgpr20
                                        ; implicit-def: $vgpr8_vgpr9
	s_delay_alu instid0(VALU_DEP_2) | instskip(NEXT) | instid1(VALU_DEP_1)
	v_mul_u64_e32 v[2:3], s[30:31], v[2:3]
	v_lshl_add_u64 v[2:3], v[2:3], 2, s[42:43]
	s_branch .LBB144_515
.LBB144_513:                            ;   in Loop: Header=BB144_515 Depth=1
	s_or_b32 exec_lo, exec_lo, s23
	s_delay_alu instid0(SALU_CYCLE_1)
	s_or_not1_b32 s23, s21, exec_lo
	s_or_not1_b32 s22, s22, exec_lo
.LBB144_514:                            ;   in Loop: Header=BB144_515 Depth=1
	s_or_b32 exec_lo, exec_lo, s0
	s_xor_b32 s0, s23, -1
	s_and_b32 s21, exec_lo, s22
	v_mov_b64_e32 v[0:1], v[6:7]
	s_or_b32 s5, s21, s5
	v_mov_b32_e32 v4, v13
	s_and_not1_b32 s20, s20, exec_lo
	s_and_b32 s0, s0, exec_lo
	s_delay_alu instid0(SALU_CYCLE_1)
	s_or_b32 s20, s20, s0
	s_and_not1_b32 exec_lo, exec_lo, s5
	s_cbranch_execz .LBB144_529
.LBB144_515:                            ; =>This Inner Loop Header: Depth=1
	v_add_nc_u64_e32 v[6:7], s[34:35], v[0:1]
	v_mov_b32_e32 v13, 0
	s_mov_b32 s0, exec_lo
	s_delay_alu instid0(VALU_DEP_2)
	v_cmpx_gt_u64_e64 s[36:37], v[6:7]
	s_cbranch_execz .LBB144_517
; %bb.516:                              ;   in Loop: Header=BB144_515 Depth=1
	global_load_b32 v13, v[2:3], off
.LBB144_517:                            ;   in Loop: Header=BB144_515 Depth=1
	s_wait_xcnt 0x0
	s_or_b32 exec_lo, exec_lo, s0
	v_cmp_gt_u64_e32 vcc_lo, s[36:37], v[0:1]
	s_wait_loadcnt 0x0
	v_cmp_eq_u32_e64 s0, v4, v33
	s_and_b32 s21, vcc_lo, s0
	s_delay_alu instid0(SALU_CYCLE_1) | instskip(NEXT) | instid1(VALU_DEP_1)
	v_cndmask_b32_e64 v4, 0, 1, s21
	v_cmp_ne_u32_e32 vcc_lo, 0, v4
	s_cmp_lg_u32 vcc_lo, 0
	s_cselect_b32 s0, -1, 0
	s_delay_alu instid0(SALU_CYCLE_1) | instskip(NEXT) | instid1(SALU_CYCLE_1)
	s_and_b32 s0, s2, s0
	s_and_saveexec_b32 s22, s0
	s_cbranch_execz .LBB144_521
; %bb.518:                              ;   in Loop: Header=BB144_515 Depth=1
	s_mov_b32 s25, exec_lo
	s_bcnt1_i32_b32 s23, vcc_lo
	v_mbcnt_lo_u32_b32 v10, s25, 0
	s_mov_b32 s24, exec_lo
                                        ; implicit-def: $vgpr8_vgpr9
	s_delay_alu instid0(VALU_DEP_1)
	v_cmpx_eq_u32_e32 0, v10
; %bb.519:                              ;   in Loop: Header=BB144_515 Depth=1
	s_bcnt1_i32_b32 s0, s25
	s_delay_alu instid0(SALU_CYCLE_1) | instskip(NEXT) | instid1(SALU_CYCLE_1)
	s_mul_i32 s0, s23, s0
	v_mov_b32_e32 v4, s0
	ds_add_rtn_u64 v[8:9], v5, v[4:5] offset:5136
; %bb.520:                              ;   in Loop: Header=BB144_515 Depth=1
	s_or_b32 exec_lo, exec_lo, s24
	s_wait_dscnt 0x0
	v_readfirstlane_b32 s25, v9
	v_readfirstlane_b32 s24, v8
	s_delay_alu instid0(VALU_DEP_1)
	v_mad_nc_u64_u32 v[8:9], s23, v10, s[24:25]
.LBB144_521:                            ;   in Loop: Header=BB144_515 Depth=1
	s_or_b32 exec_lo, exec_lo, s22
	ds_bpermute_b32 v8, v5, v8
	ds_bpermute_b32 v9, v5, v9
	s_cmp_eq_u32 vcc_lo, 0
	s_mov_b32 s22, -1
	s_cselect_b32 s23, -1, 0
	s_wait_dscnt 0x0
	v_cmp_gt_u64_e64 s0, s[38:39], v[8:9]
	s_or_b32 s24, s23, s0
	s_mov_b32 s23, -1
	s_and_saveexec_b32 s0, s24
	s_cbranch_execz .LBB144_514
; %bb.522:                              ;   in Loop: Header=BB144_515 Depth=1
	v_and_b32_e32 v4, vcc_lo, v12
	v_sub_nc_u64_e32 v[10:11], s[38:39], v[8:9]
	s_mov_b32 s24, -1
	s_delay_alu instid0(VALU_DEP_2) | instskip(NEXT) | instid1(VALU_DEP_1)
	v_bcnt_u32_b32 v4, v4, 0
	v_bcnt_u32_b32 v4, 0, v4
	s_delay_alu instid0(VALU_DEP_1)
	v_cmp_gt_u64_e32 vcc_lo, v[10:11], v[4:5]
	s_and_b32 s25, s21, vcc_lo
	s_mov_b32 s21, -1
	s_and_saveexec_b32 s23, s25
	s_cbranch_execz .LBB144_526
; %bb.523:                              ;   in Loop: Header=BB144_515 Depth=1
	v_add_nc_u64_e32 v[10:11], v[8:9], v[4:5]
	s_mov_b32 s24, 0
	s_mov_b32 s21, exec_lo
	s_delay_alu instid0(VALU_DEP_1)
	v_cmpx_gt_u64_e64 s[38:39], v[10:11]
	s_cbranch_execz .LBB144_525
; %bb.524:                              ;   in Loop: Header=BB144_515 Depth=1
	s_wait_kmcnt 0x0
	v_mul_u64_e32 v[14:15], s[6:7], v[10:11]
	v_mul_u64_e32 v[10:11], s[8:9], v[10:11]
	s_mov_b32 s24, exec_lo
	s_delay_alu instid0(VALU_DEP_2) | instskip(NEXT) | instid1(VALU_DEP_2)
	v_lshl_add_u64 v[14:15], v[14:15], 2, s[12:13]
	v_lshl_add_u64 v[10:11], v[10:11], 3, s[14:15]
	global_store_b32 v[14:15], v33, off
	global_store_b64 v[10:11], v[0:1], off
.LBB144_525:                            ;   in Loop: Header=BB144_515 Depth=1
	s_wait_xcnt 0x0
	s_or_b32 exec_lo, exec_lo, s21
	s_delay_alu instid0(SALU_CYCLE_1)
	s_xor_b32 s21, exec_lo, -1
	s_or_not1_b32 s24, s24, exec_lo
.LBB144_526:                            ;   in Loop: Header=BB144_515 Depth=1
	s_or_b32 exec_lo, exec_lo, s23
	s_and_saveexec_b32 s23, s24
	s_cbranch_execz .LBB144_513
; %bb.527:                              ;   in Loop: Header=BB144_515 Depth=1
	v_cmp_le_u64_e32 vcc_lo, s[10:11], v[6:7]
	v_add_nc_u64_e32 v[2:3], s[40:41], v[2:3]
	s_or_b32 s21, s21, exec_lo
	s_or_not1_b32 s22, vcc_lo, exec_lo
	s_branch .LBB144_513
.LBB144_528:
	s_or_b32 s8, s8, exec_lo
	s_trap 2
	s_branch .LBB144_492
.LBB144_529:
	s_or_b32 exec_lo, exec_lo, s5
	s_mov_b32 s0, 0
	s_and_saveexec_b32 s2, s20
	s_delay_alu instid0(SALU_CYCLE_1)
	s_xor_b32 s2, exec_lo, s2
	s_cbranch_execnz .LBB144_535
.LBB144_530:
	s_or_b32 exec_lo, exec_lo, s2
	s_delay_alu instid0(SALU_CYCLE_1)
	s_and_b32 s0, s0, exec_lo
.LBB144_531:
	s_or_b32 exec_lo, exec_lo, s3
	s_delay_alu instid0(SALU_CYCLE_1) | instskip(SKIP_3) | instid1(SALU_CYCLE_1)
	s_and_b32 s5, s0, exec_lo
	s_and_not1_b32 s1, s1, exec_lo
	s_or_b32 exec_lo, exec_lo, s4
	s_and_saveexec_b32 s0, s1
	s_xor_b32 s0, exec_lo, s0
	s_cbranch_execz .LBB144_486
.LBB144_532:
	s_or_b32 s5, s5, exec_lo
	s_trap 2
	s_branch .LBB144_486
.LBB144_533:
	s_or_b32 s8, s8, exec_lo
	s_trap 2
	s_branch .LBB144_490
.LBB144_534:
	s_or_b32 s8, s8, exec_lo
	s_trap 2
	s_branch .LBB144_488
.LBB144_535:
	s_mov_b32 s0, exec_lo
	s_trap 2
	s_branch .LBB144_530
	.section	.rodata,"a",@progbits
	.p2align	6, 0x0
	.amdhsa_kernel _ZN2at6native6sbtopk10gatherTopKIimLi1ELb0EEEvNS_4cuda6detail10TensorInfoIKT_T0_EES8_S8_bS8_S8_NS5_IS6_S8_EES8_NS5_IlS8_EES8_PS6_
		.amdhsa_group_segment_fixed_size 5152
		.amdhsa_private_segment_fixed_size 0
		.amdhsa_kernarg_size 1568
		.amdhsa_user_sgpr_count 2
		.amdhsa_user_sgpr_dispatch_ptr 0
		.amdhsa_user_sgpr_queue_ptr 0
		.amdhsa_user_sgpr_kernarg_segment_ptr 1
		.amdhsa_user_sgpr_dispatch_id 0
		.amdhsa_user_sgpr_kernarg_preload_length 0
		.amdhsa_user_sgpr_kernarg_preload_offset 0
		.amdhsa_user_sgpr_private_segment_size 0
		.amdhsa_wavefront_size32 1
		.amdhsa_uses_dynamic_stack 0
		.amdhsa_enable_private_segment 0
		.amdhsa_system_sgpr_workgroup_id_x 1
		.amdhsa_system_sgpr_workgroup_id_y 1
		.amdhsa_system_sgpr_workgroup_id_z 1
		.amdhsa_system_sgpr_workgroup_info 0
		.amdhsa_system_vgpr_workitem_id 0
		.amdhsa_next_free_vgpr 55
		.amdhsa_next_free_sgpr 105
		.amdhsa_named_barrier_count 0
		.amdhsa_reserve_vcc 1
		.amdhsa_float_round_mode_32 0
		.amdhsa_float_round_mode_16_64 0
		.amdhsa_float_denorm_mode_32 3
		.amdhsa_float_denorm_mode_16_64 3
		.amdhsa_fp16_overflow 0
		.amdhsa_memory_ordered 1
		.amdhsa_forward_progress 1
		.amdhsa_inst_pref_size 189
		.amdhsa_round_robin_scheduling 0
		.amdhsa_exception_fp_ieee_invalid_op 0
		.amdhsa_exception_fp_denorm_src 0
		.amdhsa_exception_fp_ieee_div_zero 0
		.amdhsa_exception_fp_ieee_overflow 0
		.amdhsa_exception_fp_ieee_underflow 0
		.amdhsa_exception_fp_ieee_inexact 0
		.amdhsa_exception_int_div_zero 0
	.end_amdhsa_kernel
	.section	.text._ZN2at6native6sbtopk10gatherTopKIimLi1ELb0EEEvNS_4cuda6detail10TensorInfoIKT_T0_EES8_S8_bS8_S8_NS5_IS6_S8_EES8_NS5_IlS8_EES8_PS6_,"axG",@progbits,_ZN2at6native6sbtopk10gatherTopKIimLi1ELb0EEEvNS_4cuda6detail10TensorInfoIKT_T0_EES8_S8_bS8_S8_NS5_IS6_S8_EES8_NS5_IlS8_EES8_PS6_,comdat
.Lfunc_end144:
	.size	_ZN2at6native6sbtopk10gatherTopKIimLi1ELb0EEEvNS_4cuda6detail10TensorInfoIKT_T0_EES8_S8_bS8_S8_NS5_IS6_S8_EES8_NS5_IlS8_EES8_PS6_, .Lfunc_end144-_ZN2at6native6sbtopk10gatherTopKIimLi1ELb0EEEvNS_4cuda6detail10TensorInfoIKT_T0_EES8_S8_bS8_S8_NS5_IS6_S8_EES8_NS5_IlS8_EES8_PS6_
                                        ; -- End function
	.set _ZN2at6native6sbtopk10gatherTopKIimLi1ELb0EEEvNS_4cuda6detail10TensorInfoIKT_T0_EES8_S8_bS8_S8_NS5_IS6_S8_EES8_NS5_IlS8_EES8_PS6_.num_vgpr, 55
	.set _ZN2at6native6sbtopk10gatherTopKIimLi1ELb0EEEvNS_4cuda6detail10TensorInfoIKT_T0_EES8_S8_bS8_S8_NS5_IS6_S8_EES8_NS5_IlS8_EES8_PS6_.num_agpr, 0
	.set _ZN2at6native6sbtopk10gatherTopKIimLi1ELb0EEEvNS_4cuda6detail10TensorInfoIKT_T0_EES8_S8_bS8_S8_NS5_IS6_S8_EES8_NS5_IlS8_EES8_PS6_.numbered_sgpr, 105
	.set _ZN2at6native6sbtopk10gatherTopKIimLi1ELb0EEEvNS_4cuda6detail10TensorInfoIKT_T0_EES8_S8_bS8_S8_NS5_IS6_S8_EES8_NS5_IlS8_EES8_PS6_.num_named_barrier, 0
	.set _ZN2at6native6sbtopk10gatherTopKIimLi1ELb0EEEvNS_4cuda6detail10TensorInfoIKT_T0_EES8_S8_bS8_S8_NS5_IS6_S8_EES8_NS5_IlS8_EES8_PS6_.private_seg_size, 0
	.set _ZN2at6native6sbtopk10gatherTopKIimLi1ELb0EEEvNS_4cuda6detail10TensorInfoIKT_T0_EES8_S8_bS8_S8_NS5_IS6_S8_EES8_NS5_IlS8_EES8_PS6_.uses_vcc, 1
	.set _ZN2at6native6sbtopk10gatherTopKIimLi1ELb0EEEvNS_4cuda6detail10TensorInfoIKT_T0_EES8_S8_bS8_S8_NS5_IS6_S8_EES8_NS5_IlS8_EES8_PS6_.uses_flat_scratch, 0
	.set _ZN2at6native6sbtopk10gatherTopKIimLi1ELb0EEEvNS_4cuda6detail10TensorInfoIKT_T0_EES8_S8_bS8_S8_NS5_IS6_S8_EES8_NS5_IlS8_EES8_PS6_.has_dyn_sized_stack, 0
	.set _ZN2at6native6sbtopk10gatherTopKIimLi1ELb0EEEvNS_4cuda6detail10TensorInfoIKT_T0_EES8_S8_bS8_S8_NS5_IS6_S8_EES8_NS5_IlS8_EES8_PS6_.has_recursion, 0
	.set _ZN2at6native6sbtopk10gatherTopKIimLi1ELb0EEEvNS_4cuda6detail10TensorInfoIKT_T0_EES8_S8_bS8_S8_NS5_IS6_S8_EES8_NS5_IlS8_EES8_PS6_.has_indirect_call, 0
	.section	.AMDGPU.csdata,"",@progbits
; Kernel info:
; codeLenInByte = 24076
; TotalNumSgprs: 107
; NumVgprs: 55
; ScratchSize: 0
; MemoryBound: 0
; FloatMode: 240
; IeeeMode: 1
; LDSByteSize: 5152 bytes/workgroup (compile time only)
; SGPRBlocks: 0
; VGPRBlocks: 3
; NumSGPRsForWavesPerEU: 107
; NumVGPRsForWavesPerEU: 55
; NamedBarCnt: 0
; Occupancy: 16
; WaveLimiterHint : 1
; COMPUTE_PGM_RSRC2:SCRATCH_EN: 0
; COMPUTE_PGM_RSRC2:USER_SGPR: 2
; COMPUTE_PGM_RSRC2:TRAP_HANDLER: 0
; COMPUTE_PGM_RSRC2:TGID_X_EN: 1
; COMPUTE_PGM_RSRC2:TGID_Y_EN: 1
; COMPUTE_PGM_RSRC2:TGID_Z_EN: 1
; COMPUTE_PGM_RSRC2:TIDIG_COMP_CNT: 0
	.section	.text._ZN2at6native6mbtopk23computeBlockDigitCountsIimjLi2EEEvNS_4cuda6detail10TensorInfoIKT_T0_EEjPjjS8_iijT1_PSB_Ps,"axG",@progbits,_ZN2at6native6mbtopk23computeBlockDigitCountsIimjLi2EEEvNS_4cuda6detail10TensorInfoIKT_T0_EEjPjjS8_iijT1_PSB_Ps,comdat
	.protected	_ZN2at6native6mbtopk23computeBlockDigitCountsIimjLi2EEEvNS_4cuda6detail10TensorInfoIKT_T0_EEjPjjS8_iijT1_PSB_Ps ; -- Begin function _ZN2at6native6mbtopk23computeBlockDigitCountsIimjLi2EEEvNS_4cuda6detail10TensorInfoIKT_T0_EEjPjjS8_iijT1_PSB_Ps
	.globl	_ZN2at6native6mbtopk23computeBlockDigitCountsIimjLi2EEEvNS_4cuda6detail10TensorInfoIKT_T0_EEjPjjS8_iijT1_PSB_Ps
	.p2align	8
	.type	_ZN2at6native6mbtopk23computeBlockDigitCountsIimjLi2EEEvNS_4cuda6detail10TensorInfoIKT_T0_EEjPjjS8_iijT1_PSB_Ps,@function
_ZN2at6native6mbtopk23computeBlockDigitCountsIimjLi2EEEvNS_4cuda6detail10TensorInfoIKT_T0_EEjPjjS8_iijT1_PSB_Ps: ; @_ZN2at6native6mbtopk23computeBlockDigitCountsIimjLi2EEEvNS_4cuda6detail10TensorInfoIKT_T0_EEjPjjS8_iijT1_PSB_Ps
; %bb.0:
	s_load_b128 s[4:7], s[0:1], 0x1c0
	s_bfe_u32 s2, ttmp6, 0x40010
	s_and_b32 s8, ttmp7, 0xffff
	s_add_co_i32 s9, s2, 1
	s_bfe_u32 s10, ttmp6, 0x40004
	s_mul_i32 s9, s8, s9
	s_load_b64 s[2:3], s[0:1], 0x1e0
	s_add_co_i32 s10, s10, s9
	s_bfe_u32 s11, ttmp6, 0x4000c
	s_bfe_u32 s13, ttmp6, 0x40014
	s_add_co_i32 s11, s11, 1
	s_and_b32 s12, ttmp6, 15
	s_mul_i32 s11, ttmp9, s11
	s_add_co_i32 s13, s13, 1
	s_add_co_i32 s12, s12, s11
	s_getreg_b32 s14, hwreg(HW_REG_IB_STS2, 6, 4)
	s_wait_kmcnt 0x0
	s_cvt_f32_u32 s9, s6
	s_delay_alu instid0(SALU_CYCLE_3) | instskip(SKIP_1) | instid1(SALU_CYCLE_1)
	v_rcp_iflag_f32_e32 v1, s9
	s_lshr_b32 s9, ttmp7, 16
	s_mul_i32 s11, s9, s13
	s_bfe_u32 s13, ttmp6, 0x40008
	s_delay_alu instid0(SALU_CYCLE_1) | instskip(SKIP_1) | instid1(TRANS32_DEP_1)
	s_add_co_i32 s13, s13, s11
	v_nop
	v_readfirstlane_b32 s15, v1
	s_cmp_eq_u32 s14, 0
	s_cselect_b32 s9, s9, s13
	s_load_b32 s13, s[0:1], 0x1b0
	s_mul_f32 s11, s15, 0x4f7ffffe
	s_mul_i32 s3, s3, s9
	s_cselect_b32 s9, ttmp9, s12
	s_cselect_b32 s8, s8, s10
	s_cvt_u32_f32 s11, s11
	s_sub_co_i32 s10, 0, s6
	s_add_co_i32 s3, s3, s8
	s_delay_alu instid0(SALU_CYCLE_1) | instskip(SKIP_3) | instid1(SALU_CYCLE_1)
	s_mul_i32 s20, s3, s2
	s_mul_i32 s10, s10, s11
	s_add_co_i32 s20, s20, s9
	s_mul_hi_u32 s2, s11, s10
	s_add_co_i32 s11, s11, s2
	s_delay_alu instid0(SALU_CYCLE_1) | instskip(NEXT) | instid1(SALU_CYCLE_1)
	s_mul_hi_u32 s2, s20, s11
	s_mul_i32 s3, s2, s6
	s_add_co_i32 s8, s2, 1
	s_sub_co_i32 s3, s20, s3
	s_delay_alu instid0(SALU_CYCLE_1)
	s_sub_co_i32 s9, s3, s6
	s_cmp_ge_u32 s3, s6
	s_cselect_b32 s2, s8, s2
	s_cselect_b32 s3, s9, s3
	s_add_co_i32 s8, s2, 1
	s_cmp_ge_u32 s3, s6
	s_cselect_b32 s12, s8, s2
	s_wait_kmcnt 0x0
	s_cmp_ge_u32 s12, s13
	s_mov_b32 s13, 0
	s_cbranch_scc1 .LBB145_23
; %bb.1:
	s_load_b64 s[14:15], s[0:1], 0x10
	s_mov_b64 s[16:17], 0
	s_wait_kmcnt 0x0
	v_cmp_lt_u64_e64 s2, s[12:13], s[14:15]
	s_and_b32 vcc_lo, exec_lo, s2
	s_cbranch_vccnz .LBB145_3
; %bb.2:
	v_cvt_f32_u32_e32 v1, s14
	s_sub_co_i32 s3, 0, s14
	s_mov_b32 s17, 0
	s_delay_alu instid0(VALU_DEP_1) | instskip(SKIP_1) | instid1(TRANS32_DEP_1)
	v_rcp_iflag_f32_e32 v1, v1
	v_nop
	v_mul_f32_e32 v1, 0x4f7ffffe, v1
	s_delay_alu instid0(VALU_DEP_1) | instskip(NEXT) | instid1(VALU_DEP_1)
	v_cvt_u32_f32_e32 v1, v1
	v_readfirstlane_b32 s2, v1
	s_mul_i32 s3, s3, s2
	s_delay_alu instid0(SALU_CYCLE_1) | instskip(NEXT) | instid1(SALU_CYCLE_1)
	s_mul_hi_u32 s3, s2, s3
	s_add_co_i32 s2, s2, s3
	s_delay_alu instid0(SALU_CYCLE_1) | instskip(NEXT) | instid1(SALU_CYCLE_1)
	s_mul_hi_u32 s2, s12, s2
	s_mul_i32 s3, s2, s14
	s_add_co_i32 s8, s2, 1
	s_sub_co_i32 s3, s12, s3
	s_delay_alu instid0(SALU_CYCLE_1)
	s_sub_co_i32 s9, s3, s14
	s_cmp_ge_u32 s3, s14
	s_cselect_b32 s2, s8, s2
	s_cselect_b32 s3, s9, s3
	s_add_co_i32 s8, s2, 1
	s_cmp_ge_u32 s3, s14
	s_cselect_b32 s16, s8, s2
.LBB145_3:
	v_cmp_gt_u32_e32 vcc_lo, 0x100, v0
	v_lshlrev_b32_e32 v1, 2, v0
	s_and_saveexec_b32 s2, vcc_lo
; %bb.4:
	v_mov_b32_e32 v2, 0
	ds_store_b32 v1, v2
; %bb.5:
	s_or_b32 exec_lo, exec_lo, s2
	s_clause 0x1
	s_load_b32 s21, s[0:1], 0x1a0
	s_load_b128 s[8:11], s[0:1], 0x1d0
	s_mul_i32 s2, s12, s6
	s_mov_b32 s19, 0
	s_sub_co_i32 s23, s20, s2
	s_wait_dscnt 0x0
	s_mul_i32 s2, s5, s23
	s_add_co_i32 s23, s23, 1
	s_lshl_b32 s22, s2, 8
	s_barrier_signal -1
	s_barrier_wait -1
	s_wait_kmcnt 0x0
	s_sub_co_i32 s18, s21, s22
	s_delay_alu instid0(SALU_CYCLE_1) | instskip(NEXT) | instid1(SALU_CYCLE_1)
	s_add_nc_u64 s[2:3], s[18:19], 0xff
	s_lshr_b64 s[2:3], s[2:3], 8
	s_cmp_lt_u32 s23, s6
	s_cselect_b32 s18, s5, s2
	s_delay_alu instid0(SALU_CYCLE_1)
	s_cmp_lt_i32 s18, 1
	s_cbranch_scc1 .LBB145_21
; %bb.6:
	s_clause 0x1
	s_load_b128 s[24:27], s[0:1], 0xd0
	s_load_b64 s[28:29], s[0:1], 0x0
	s_load_b32 s6, s[8:9], s12 offset:0x0 scale_offset
	s_load_b64 s[2:3], s[0:1], 0x1b8
	s_wait_xcnt 0x0
	s_mul_u64 s[0:1], s[16:17], s[14:15]
	v_add_nc_u32_e32 v6, s22, v0
	s_sub_nc_u64 s[0:1], s[12:13], s[0:1]
	s_wait_kmcnt 0x0
	s_mul_u64 s[8:9], s[16:17], s[24:25]
	s_mul_u64 s[0:1], s[0:1], s[26:27]
	s_lshl_b64 s[8:9], s[8:9], 2
	s_lshl_b64 s[12:13], s[0:1], 2
	s_add_nc_u64 s[8:9], s[28:29], s[8:9]
	s_and_b32 s1, s4, 0xff
	s_cmp_eq_u32 s18, 1
	s_add_nc_u64 s[4:5], s[8:9], s[12:13]
	s_cbranch_scc1 .LBB145_16
; %bb.7:
	v_dual_mov_b32 v3, 0 :: v_dual_mov_b32 v7, 1
	v_mov_b32_e32 v2, v6
	s_and_b32 s8, s18, 0x7ffffffe
	s_mov_b32 s9, 0
	s_branch .LBB145_9
.LBB145_8:                              ;   in Loop: Header=BB145_9 Depth=1
	s_or_b32 exec_lo, exec_lo, s12
	v_add_nc_u32_e32 v2, 0x200, v2
	s_add_co_i32 s9, s9, 2
	s_delay_alu instid0(SALU_CYCLE_1)
	s_cmp_eq_u32 s8, s9
	s_cbranch_scc1 .LBB145_15
.LBB145_9:                              ; =>This Inner Loop Header: Depth=1
	s_mov_b32 s12, exec_lo
	v_cmpx_gt_u32_e64 s21, v2
	s_cbranch_execz .LBB145_12
; %bb.10:                               ;   in Loop: Header=BB145_9 Depth=1
	v_mul_u64_e32 v[4:5], s[2:3], v[2:3]
	s_delay_alu instid0(VALU_DEP_1) | instskip(SKIP_4) | instid1(VALU_DEP_1)
	v_lshl_add_u64 v[4:5], v[4:5], 2, s[4:5]
	global_load_b32 v4, v[4:5], off
	s_wait_loadcnt 0x0
	s_wait_xcnt 0x0
	v_xor_b32_e32 v4, 0x80000000, v4
	v_bitop3_b32 v5, v4, s7, s6 bitop3:0x48
	s_delay_alu instid0(VALU_DEP_1)
	v_cmp_eq_u32_e64 s0, 0, v5
	s_and_b32 exec_lo, exec_lo, s0
; %bb.11:                               ;   in Loop: Header=BB145_9 Depth=1
	v_bfe_u32 v4, v4, s1, 8
	s_delay_alu instid0(VALU_DEP_1)
	v_lshlrev_b32_e32 v4, 2, v4
	ds_add_u32 v4, v7
.LBB145_12:                             ;   in Loop: Header=BB145_9 Depth=1
	s_or_b32 exec_lo, exec_lo, s12
	v_add_nc_u32_e32 v4, 0x100, v2
	s_mov_b32 s12, exec_lo
	s_delay_alu instid0(VALU_DEP_1)
	v_cmpx_gt_u32_e64 s21, v4
	s_cbranch_execz .LBB145_8
; %bb.13:                               ;   in Loop: Header=BB145_9 Depth=1
	v_mov_b32_e32 v5, v3
	s_delay_alu instid0(VALU_DEP_1) | instskip(NEXT) | instid1(VALU_DEP_1)
	v_mul_u64_e32 v[4:5], s[2:3], v[4:5]
	v_lshl_add_u64 v[4:5], v[4:5], 2, s[4:5]
	global_load_b32 v4, v[4:5], off
	s_wait_loadcnt 0x0
	v_xor_b32_e32 v4, 0x80000000, v4
	s_delay_alu instid0(VALU_DEP_1) | instskip(NEXT) | instid1(VALU_DEP_1)
	v_bitop3_b32 v5, v4, s7, s6 bitop3:0x48
	v_cmp_eq_u32_e64 s0, 0, v5
	s_and_b32 exec_lo, exec_lo, s0
	s_cbranch_execz .LBB145_8
; %bb.14:                               ;   in Loop: Header=BB145_9 Depth=1
	v_bfe_u32 v4, v4, s1, 8
	s_delay_alu instid0(VALU_DEP_1)
	v_lshlrev_b32_e32 v4, 2, v4
	ds_add_u32 v4, v7
	s_branch .LBB145_8
.LBB145_15:
	s_lshl_b32 s19, s8, 8
.LBB145_16:
	s_bitcmp0_b32 s18, 0
	s_cbranch_scc1 .LBB145_21
; %bb.17:
	v_add_nc_u32_e32 v2, s19, v6
	s_mov_b32 s8, exec_lo
	s_delay_alu instid0(VALU_DEP_1)
	v_cmpx_gt_u32_e64 s21, v2
	s_cbranch_execz .LBB145_20
; %bb.18:
	v_mov_b32_e32 v3, 0
	s_delay_alu instid0(VALU_DEP_1) | instskip(NEXT) | instid1(VALU_DEP_1)
	v_mul_u64_e32 v[2:3], s[2:3], v[2:3]
	v_lshl_add_u64 v[2:3], v[2:3], 2, s[4:5]
	global_load_b32 v2, v[2:3], off
	s_wait_loadcnt 0x0
	v_xor_b32_e32 v2, 0x80000000, v2
	s_delay_alu instid0(VALU_DEP_1) | instskip(NEXT) | instid1(VALU_DEP_1)
	v_bitop3_b32 v3, v2, s7, s6 bitop3:0x48
	v_cmp_eq_u32_e64 s0, 0, v3
	s_and_b32 exec_lo, exec_lo, s0
; %bb.19:
	v_bfe_u32 v2, v2, s1, 8
	s_delay_alu instid0(VALU_DEP_1)
	v_dual_mov_b32 v3, 1 :: v_dual_lshlrev_b32 v2, 2, v2
	ds_add_u32 v2, v3
.LBB145_20:
	s_or_b32 exec_lo, exec_lo, s8
.LBB145_21:
	s_wait_dscnt 0x0
	s_barrier_signal -1
	s_barrier_wait -1
	s_and_saveexec_b32 s0, vcc_lo
	s_cbranch_execz .LBB145_23
; %bb.22:
	ds_load_b32 v1, v1
	v_lshl_or_b32 v0, s20, 8, v0
	s_wait_dscnt 0x0
	global_store_b16 v0, v1, s[10:11] scale_offset
.LBB145_23:
	s_endpgm
	.section	.rodata,"a",@progbits
	.p2align	6, 0x0
	.amdhsa_kernel _ZN2at6native6mbtopk23computeBlockDigitCountsIimjLi2EEEvNS_4cuda6detail10TensorInfoIKT_T0_EEjPjjS8_iijT1_PSB_Ps
		.amdhsa_group_segment_fixed_size 1024
		.amdhsa_private_segment_fixed_size 0
		.amdhsa_kernarg_size 736
		.amdhsa_user_sgpr_count 2
		.amdhsa_user_sgpr_dispatch_ptr 0
		.amdhsa_user_sgpr_queue_ptr 0
		.amdhsa_user_sgpr_kernarg_segment_ptr 1
		.amdhsa_user_sgpr_dispatch_id 0
		.amdhsa_user_sgpr_kernarg_preload_length 0
		.amdhsa_user_sgpr_kernarg_preload_offset 0
		.amdhsa_user_sgpr_private_segment_size 0
		.amdhsa_wavefront_size32 1
		.amdhsa_uses_dynamic_stack 0
		.amdhsa_enable_private_segment 0
		.amdhsa_system_sgpr_workgroup_id_x 1
		.amdhsa_system_sgpr_workgroup_id_y 1
		.amdhsa_system_sgpr_workgroup_id_z 1
		.amdhsa_system_sgpr_workgroup_info 0
		.amdhsa_system_vgpr_workitem_id 0
		.amdhsa_next_free_vgpr 8
		.amdhsa_next_free_sgpr 30
		.amdhsa_named_barrier_count 0
		.amdhsa_reserve_vcc 1
		.amdhsa_float_round_mode_32 0
		.amdhsa_float_round_mode_16_64 0
		.amdhsa_float_denorm_mode_32 3
		.amdhsa_float_denorm_mode_16_64 3
		.amdhsa_fp16_overflow 0
		.amdhsa_memory_ordered 1
		.amdhsa_forward_progress 1
		.amdhsa_inst_pref_size 9
		.amdhsa_round_robin_scheduling 0
		.amdhsa_exception_fp_ieee_invalid_op 0
		.amdhsa_exception_fp_denorm_src 0
		.amdhsa_exception_fp_ieee_div_zero 0
		.amdhsa_exception_fp_ieee_overflow 0
		.amdhsa_exception_fp_ieee_underflow 0
		.amdhsa_exception_fp_ieee_inexact 0
		.amdhsa_exception_int_div_zero 0
	.end_amdhsa_kernel
	.section	.text._ZN2at6native6mbtopk23computeBlockDigitCountsIimjLi2EEEvNS_4cuda6detail10TensorInfoIKT_T0_EEjPjjS8_iijT1_PSB_Ps,"axG",@progbits,_ZN2at6native6mbtopk23computeBlockDigitCountsIimjLi2EEEvNS_4cuda6detail10TensorInfoIKT_T0_EEjPjjS8_iijT1_PSB_Ps,comdat
.Lfunc_end145:
	.size	_ZN2at6native6mbtopk23computeBlockDigitCountsIimjLi2EEEvNS_4cuda6detail10TensorInfoIKT_T0_EEjPjjS8_iijT1_PSB_Ps, .Lfunc_end145-_ZN2at6native6mbtopk23computeBlockDigitCountsIimjLi2EEEvNS_4cuda6detail10TensorInfoIKT_T0_EEjPjjS8_iijT1_PSB_Ps
                                        ; -- End function
	.set _ZN2at6native6mbtopk23computeBlockDigitCountsIimjLi2EEEvNS_4cuda6detail10TensorInfoIKT_T0_EEjPjjS8_iijT1_PSB_Ps.num_vgpr, 8
	.set _ZN2at6native6mbtopk23computeBlockDigitCountsIimjLi2EEEvNS_4cuda6detail10TensorInfoIKT_T0_EEjPjjS8_iijT1_PSB_Ps.num_agpr, 0
	.set _ZN2at6native6mbtopk23computeBlockDigitCountsIimjLi2EEEvNS_4cuda6detail10TensorInfoIKT_T0_EEjPjjS8_iijT1_PSB_Ps.numbered_sgpr, 30
	.set _ZN2at6native6mbtopk23computeBlockDigitCountsIimjLi2EEEvNS_4cuda6detail10TensorInfoIKT_T0_EEjPjjS8_iijT1_PSB_Ps.num_named_barrier, 0
	.set _ZN2at6native6mbtopk23computeBlockDigitCountsIimjLi2EEEvNS_4cuda6detail10TensorInfoIKT_T0_EEjPjjS8_iijT1_PSB_Ps.private_seg_size, 0
	.set _ZN2at6native6mbtopk23computeBlockDigitCountsIimjLi2EEEvNS_4cuda6detail10TensorInfoIKT_T0_EEjPjjS8_iijT1_PSB_Ps.uses_vcc, 1
	.set _ZN2at6native6mbtopk23computeBlockDigitCountsIimjLi2EEEvNS_4cuda6detail10TensorInfoIKT_T0_EEjPjjS8_iijT1_PSB_Ps.uses_flat_scratch, 0
	.set _ZN2at6native6mbtopk23computeBlockDigitCountsIimjLi2EEEvNS_4cuda6detail10TensorInfoIKT_T0_EEjPjjS8_iijT1_PSB_Ps.has_dyn_sized_stack, 0
	.set _ZN2at6native6mbtopk23computeBlockDigitCountsIimjLi2EEEvNS_4cuda6detail10TensorInfoIKT_T0_EEjPjjS8_iijT1_PSB_Ps.has_recursion, 0
	.set _ZN2at6native6mbtopk23computeBlockDigitCountsIimjLi2EEEvNS_4cuda6detail10TensorInfoIKT_T0_EEjPjjS8_iijT1_PSB_Ps.has_indirect_call, 0
	.section	.AMDGPU.csdata,"",@progbits
; Kernel info:
; codeLenInByte = 1144
; TotalNumSgprs: 32
; NumVgprs: 8
; ScratchSize: 0
; MemoryBound: 0
; FloatMode: 240
; IeeeMode: 1
; LDSByteSize: 1024 bytes/workgroup (compile time only)
; SGPRBlocks: 0
; VGPRBlocks: 0
; NumSGPRsForWavesPerEU: 32
; NumVGPRsForWavesPerEU: 8
; NamedBarCnt: 0
; Occupancy: 16
; WaveLimiterHint : 1
; COMPUTE_PGM_RSRC2:SCRATCH_EN: 0
; COMPUTE_PGM_RSRC2:USER_SGPR: 2
; COMPUTE_PGM_RSRC2:TRAP_HANDLER: 0
; COMPUTE_PGM_RSRC2:TGID_X_EN: 1
; COMPUTE_PGM_RSRC2:TGID_Y_EN: 1
; COMPUTE_PGM_RSRC2:TGID_Z_EN: 1
; COMPUTE_PGM_RSRC2:TIDIG_COMP_CNT: 0
	.section	.text._ZN2at6native6mbtopk10gatherTopKIimLi2EEEvNS_4cuda6detail10TensorInfoIKT_T0_EES8_S8_bjS8_NS5_IS6_S8_EES8_NS5_IlS8_EES8_jjPS6_PjSD_j,"axG",@progbits,_ZN2at6native6mbtopk10gatherTopKIimLi2EEEvNS_4cuda6detail10TensorInfoIKT_T0_EES8_S8_bjS8_NS5_IS6_S8_EES8_NS5_IlS8_EES8_jjPS6_PjSD_j,comdat
	.protected	_ZN2at6native6mbtopk10gatherTopKIimLi2EEEvNS_4cuda6detail10TensorInfoIKT_T0_EES8_S8_bjS8_NS5_IS6_S8_EES8_NS5_IlS8_EES8_jjPS6_PjSD_j ; -- Begin function _ZN2at6native6mbtopk10gatherTopKIimLi2EEEvNS_4cuda6detail10TensorInfoIKT_T0_EES8_S8_bjS8_NS5_IS6_S8_EES8_NS5_IlS8_EES8_jjPS6_PjSD_j
	.globl	_ZN2at6native6mbtopk10gatherTopKIimLi2EEEvNS_4cuda6detail10TensorInfoIKT_T0_EES8_S8_bjS8_NS5_IS6_S8_EES8_NS5_IlS8_EES8_jjPS6_PjSD_j
	.p2align	8
	.type	_ZN2at6native6mbtopk10gatherTopKIimLi2EEEvNS_4cuda6detail10TensorInfoIKT_T0_EES8_S8_bjS8_NS5_IS6_S8_EES8_NS5_IlS8_EES8_jjPS6_PjSD_j,@function
_ZN2at6native6mbtopk10gatherTopKIimLi2EEEvNS_4cuda6detail10TensorInfoIKT_T0_EES8_S8_bjS8_NS5_IS6_S8_EES8_NS5_IlS8_EES8_jjPS6_PjSD_j: ; @_ZN2at6native6mbtopk10gatherTopKIimLi2EEEvNS_4cuda6detail10TensorInfoIKT_T0_EES8_S8_bjS8_NS5_IS6_S8_EES8_NS5_IlS8_EES8_jjPS6_PjSD_j
; %bb.0:
	s_bfe_u32 s2, ttmp6, 0x40010
	s_and_b32 s4, ttmp7, 0xffff
	s_add_co_i32 s5, s2, 1
	s_clause 0x1
	s_load_b32 s6, s[0:1], 0x530
	s_load_b64 s[2:3], s[0:1], 0x538
	s_bfe_u32 s8, ttmp6, 0x4000c
	s_mul_i32 s5, s4, s5
	s_bfe_u32 s7, ttmp6, 0x40004
	s_add_co_i32 s8, s8, 1
	s_bfe_u32 s9, ttmp6, 0x40014
	s_add_co_i32 s7, s7, s5
	s_and_b32 s5, ttmp6, 15
	s_mul_i32 s8, ttmp9, s8
	s_lshr_b32 s10, ttmp7, 16
	s_add_co_i32 s9, s9, 1
	s_add_co_i32 s5, s5, s8
	s_mul_i32 s8, s10, s9
	s_bfe_u32 s9, ttmp6, 0x40008
	s_getreg_b32 s11, hwreg(HW_REG_IB_STS2, 6, 4)
	s_add_co_i32 s9, s9, s8
	s_cmp_eq_u32 s11, 0
	s_cselect_b32 s8, s10, s9
	s_cselect_b32 s4, s4, s7
	s_wait_kmcnt 0x0
	s_mul_i32 s3, s3, s8
	s_cselect_b32 s5, ttmp9, s5
	s_add_co_i32 s3, s3, s4
	s_delay_alu instid0(SALU_CYCLE_1) | instskip(NEXT) | instid1(SALU_CYCLE_1)
	s_mul_i32 s2, s3, s2
	s_add_co_i32 s2, s2, s5
	s_delay_alu instid0(SALU_CYCLE_1)
	s_cmp_ge_u32 s2, s6
	s_cbranch_scc1 .LBB146_48
; %bb.1:
	s_load_b64 s[28:29], s[0:1], 0x510
	s_wait_kmcnt 0x0
	s_cvt_f32_u32 s3, s29
	s_sub_co_i32 s4, 0, s29
	s_lshl_b32 s48, s28, 8
	s_delay_alu instid0(SALU_CYCLE_1) | instskip(SKIP_1) | instid1(TRANS32_DEP_1)
	v_rcp_iflag_f32_e32 v1, s3
	v_nop
	v_readfirstlane_b32 s3, v1
	s_mul_f32 s3, s3, 0x4f7ffffe
	s_delay_alu instid0(SALU_CYCLE_3) | instskip(NEXT) | instid1(SALU_CYCLE_3)
	s_cvt_u32_f32 s3, s3
	s_mul_i32 s4, s4, s3
	s_delay_alu instid0(SALU_CYCLE_1) | instskip(NEXT) | instid1(SALU_CYCLE_1)
	s_mul_hi_u32 s4, s3, s4
	s_add_co_i32 s3, s3, s4
	s_clause 0x1
	s_load_b128 s[4:7], s[0:1], 0x1a0
	s_load_b64 s[34:35], s[0:1], 0x10
	s_mul_hi_u32 s3, s2, s3
	s_delay_alu instid0(SALU_CYCLE_1) | instskip(SKIP_2) | instid1(SALU_CYCLE_1)
	s_mul_i32 s8, s3, s29
	s_add_co_i32 s9, s3, 1
	s_sub_co_i32 s8, s2, s8
	s_sub_co_i32 s10, s8, s29
	s_cmp_ge_u32 s8, s29
	s_cselect_b32 s3, s9, s3
	s_cselect_b32 s8, s10, s8
	s_add_co_i32 s9, s3, 1
	s_cmp_ge_u32 s8, s29
	s_cselect_b32 s30, s9, s3
	s_delay_alu instid0(SALU_CYCLE_1) | instskip(NEXT) | instid1(SALU_CYCLE_1)
	s_mul_i32 s16, s30, s29
	s_sub_co_i32 s49, s2, s16
	s_delay_alu instid0(SALU_CYCLE_1) | instskip(NEXT) | instid1(SALU_CYCLE_1)
	s_add_co_i32 s2, s49, 1
	s_cmp_lt_u32 s2, s29
	s_cbranch_scc1 .LBB146_3
; %bb.2:
	s_mul_i32 s2, s49, s48
	s_mov_b32 s3, 0
	s_wait_kmcnt 0x0
	s_sub_nc_u64 s[8:9], s[4:5], s[2:3]
	s_delay_alu instid0(SALU_CYCLE_1) | instskip(NEXT) | instid1(SALU_CYCLE_1)
	s_add_nc_u64 s[8:9], s[8:9], 0xff
	s_ashr_i32 s2, s9, 31
	s_delay_alu instid0(SALU_CYCLE_1) | instskip(NEXT) | instid1(SALU_CYCLE_1)
	s_lshr_b32 s2, s2, 24
	s_add_nc_u64 s[2:3], s[8:9], s[2:3]
	s_delay_alu instid0(SALU_CYCLE_1) | instskip(NEXT) | instid1(SALU_CYCLE_1)
	s_lshr_b64 s[2:3], s[2:3], 8
	s_mov_b32 s28, s2
.LBB146_3:
	s_load_b64 s[38:39], s[0:1], 0x1d0
	s_mov_b32 s31, 0
	s_mov_b64 s[42:43], 0
	s_wait_kmcnt 0x0
	v_cmp_lt_u64_e64 s2, s[30:31], s[34:35]
	s_mov_b64 s[36:37], 0
	s_and_b32 vcc_lo, exec_lo, s2
	s_cbranch_vccz .LBB146_20
; %bb.4:
	s_load_b64 s[40:41], s[0:1], 0x378
	v_cmp_lt_u64_e64 s2, s[30:31], s[38:39]
	s_and_b32 vcc_lo, exec_lo, s2
	s_cbranch_vccz .LBB146_21
.LBB146_5:
	s_wait_kmcnt 0x0
	v_cmp_lt_u64_e64 s2, s[30:31], s[40:41]
	s_mov_b64 s[44:45], 0
	s_and_b32 vcc_lo, exec_lo, s2
	s_cbranch_vccnz .LBB146_7
.LBB146_6:
	v_cvt_f32_u32_e32 v1, s40
	s_sub_co_i32 s3, 0, s40
	s_mov_b32 s45, 0
	s_delay_alu instid0(VALU_DEP_1) | instskip(SKIP_1) | instid1(TRANS32_DEP_1)
	v_rcp_iflag_f32_e32 v1, v1
	v_nop
	v_mul_f32_e32 v1, 0x4f7ffffe, v1
	s_delay_alu instid0(VALU_DEP_1) | instskip(NEXT) | instid1(VALU_DEP_1)
	v_cvt_u32_f32_e32 v1, v1
	v_readfirstlane_b32 s2, v1
	s_mul_i32 s3, s3, s2
	s_delay_alu instid0(SALU_CYCLE_1) | instskip(NEXT) | instid1(SALU_CYCLE_1)
	s_mul_hi_u32 s3, s2, s3
	s_add_co_i32 s2, s2, s3
	s_delay_alu instid0(SALU_CYCLE_1) | instskip(NEXT) | instid1(SALU_CYCLE_1)
	s_mul_hi_u32 s2, s30, s2
	s_mul_i32 s3, s2, s40
	s_add_co_i32 s8, s2, 1
	s_sub_co_i32 s3, s30, s3
	s_delay_alu instid0(SALU_CYCLE_1)
	s_sub_co_i32 s9, s3, s40
	s_cmp_ge_u32 s3, s40
	s_cselect_b32 s2, s8, s2
	s_cselect_b32 s3, s9, s3
	s_add_co_i32 s8, s2, 1
	s_cmp_ge_u32 s3, s40
	s_cselect_b32 s44, s8, s2
.LBB146_7:
	s_load_b128 s[8:11], s[0:1], 0x518
	s_lshl_b64 s[2:3], s[30:31], 2
	s_mov_b32 s17, 0
	s_wait_kmcnt 0x0
	s_add_nc_u64 s[2:3], s[8:9], s[2:3]
	s_load_b32 s33, s[2:3], 0x0
	s_wait_xcnt 0x0
	v_cmp_ne_u32_e64 s2, 0, v0
	v_cmp_eq_u32_e64 s3, 0, v0
	s_and_saveexec_b32 s24, s3
	s_cbranch_execz .LBB146_25
; %bb.8:
	s_load_b64 s[18:19], s[0:1], 0x528
	s_cmp_lt_u32 s29, 4
	s_cbranch_scc1 .LBB146_22
; %bb.9:
	s_lshl_b64 s[20:21], s[16:17], 2
	s_mov_b64 s[8:9], 0
	s_mov_b32 s16, 0
.LBB146_10:                             ; =>This Inner Loop Header: Depth=1
	s_add_nc_u64 s[22:23], s[10:11], s[20:21]
	s_cmp_ge_u32 s16, s49
	s_load_b128 s[12:15], s[22:23], 0x0
	s_wait_kmcnt 0x0
	s_add_nc_u64 s[22:23], s[18:19], s[20:21]
	s_cbranch_scc0 .LBB146_17
; %bb.11:                               ;   in Loop: Header=BB146_10 Depth=1
	s_add_co_i32 s25, s16, 1
	s_delay_alu instid0(SALU_CYCLE_1)
	s_cmp_ge_u32 s25, s49
	s_cbranch_scc0 .LBB146_18
.LBB146_12:                             ;   in Loop: Header=BB146_10 Depth=1
	s_add_co_i32 s25, s25, 1
	s_delay_alu instid0(SALU_CYCLE_1)
	s_cmp_ge_u32 s25, s49
	s_cbranch_scc0 .LBB146_19
.LBB146_13:                             ;   in Loop: Header=BB146_10 Depth=1
	s_add_co_i32 s25, s25, 1
	s_delay_alu instid0(SALU_CYCLE_1)
	s_cmp_ge_u32 s25, s49
	s_cbranch_scc1 .LBB146_15
.LBB146_14:                             ;   in Loop: Header=BB146_10 Depth=1
	s_load_b32 s22, s[22:23], 0xc
	s_add_co_i32 s9, s15, s9
	s_wait_kmcnt 0x0
	s_add_co_i32 s8, s22, s8
.LBB146_15:                             ;   in Loop: Header=BB146_10 Depth=1
	s_add_co_i32 s12, s12, s17
	s_add_nc_u64 s[10:11], s[10:11], 16
	s_add_co_i32 s12, s12, s13
	s_add_co_i32 s13, s25, 4
	;; [unrolled: 1-line block ×3, first 2 shown]
	s_add_nc_u64 s[18:19], s[18:19], 16
	s_add_co_i32 s17, s12, s15
	s_add_co_i32 s12, s25, 1
	s_cmp_ge_u32 s13, s29
	s_cbranch_scc1 .LBB146_23
; %bb.16:                               ;   in Loop: Header=BB146_10 Depth=1
	s_mov_b32 s16, s12
	s_branch .LBB146_10
.LBB146_17:                             ;   in Loop: Header=BB146_10 Depth=1
	s_load_b32 s25, s[22:23], 0x0
	s_add_co_i32 s9, s12, s9
	s_wait_kmcnt 0x0
	s_add_co_i32 s8, s25, s8
	s_add_co_i32 s25, s16, 1
	s_delay_alu instid0(SALU_CYCLE_1)
	s_cmp_ge_u32 s25, s49
	s_cbranch_scc1 .LBB146_12
.LBB146_18:                             ;   in Loop: Header=BB146_10 Depth=1
	s_load_b32 s26, s[22:23], 0x4
	s_add_co_i32 s9, s13, s9
	s_wait_kmcnt 0x0
	s_add_co_i32 s8, s26, s8
	s_add_co_i32 s25, s25, 1
	s_delay_alu instid0(SALU_CYCLE_1)
	s_cmp_ge_u32 s25, s49
	s_cbranch_scc1 .LBB146_13
.LBB146_19:                             ;   in Loop: Header=BB146_10 Depth=1
	s_load_b32 s26, s[22:23], 0x8
	s_add_co_i32 s9, s14, s9
	s_wait_kmcnt 0x0
	s_add_co_i32 s8, s26, s8
	s_add_co_i32 s25, s25, 1
	s_delay_alu instid0(SALU_CYCLE_1)
	s_cmp_ge_u32 s25, s49
	s_cbranch_scc0 .LBB146_14
	s_branch .LBB146_15
.LBB146_20:
	v_cvt_f32_u32_e32 v1, s34
	s_sub_co_i32 s3, 0, s34
	s_mov_b32 s37, s31
	s_delay_alu instid0(VALU_DEP_1) | instskip(SKIP_1) | instid1(TRANS32_DEP_1)
	v_rcp_iflag_f32_e32 v1, v1
	v_nop
	v_mul_f32_e32 v1, 0x4f7ffffe, v1
	s_delay_alu instid0(VALU_DEP_1) | instskip(NEXT) | instid1(VALU_DEP_1)
	v_cvt_u32_f32_e32 v1, v1
	v_readfirstlane_b32 s2, v1
	s_mul_i32 s3, s3, s2
	s_delay_alu instid0(SALU_CYCLE_1) | instskip(NEXT) | instid1(SALU_CYCLE_1)
	s_mul_hi_u32 s3, s2, s3
	s_add_co_i32 s2, s2, s3
	s_delay_alu instid0(SALU_CYCLE_1) | instskip(NEXT) | instid1(SALU_CYCLE_1)
	s_mul_hi_u32 s2, s30, s2
	s_mul_i32 s3, s2, s34
	s_add_co_i32 s8, s2, 1
	s_sub_co_i32 s3, s30, s3
	s_delay_alu instid0(SALU_CYCLE_1)
	s_sub_co_i32 s9, s3, s34
	s_cmp_ge_u32 s3, s34
	s_cselect_b32 s2, s8, s2
	s_cselect_b32 s3, s9, s3
	s_add_co_i32 s8, s2, 1
	s_cmp_ge_u32 s3, s34
	s_cselect_b32 s36, s8, s2
	s_load_b64 s[40:41], s[0:1], 0x378
	v_cmp_lt_u64_e64 s2, s[30:31], s[38:39]
	s_and_b32 vcc_lo, exec_lo, s2
	s_cbranch_vccnz .LBB146_5
.LBB146_21:
	v_cvt_f32_u32_e32 v1, s38
	s_sub_co_i32 s3, 0, s38
	s_mov_b32 s43, 0
	s_delay_alu instid0(VALU_DEP_1) | instskip(SKIP_1) | instid1(TRANS32_DEP_1)
	v_rcp_iflag_f32_e32 v1, v1
	v_nop
	v_mul_f32_e32 v1, 0x4f7ffffe, v1
	s_delay_alu instid0(VALU_DEP_1) | instskip(NEXT) | instid1(VALU_DEP_1)
	v_cvt_u32_f32_e32 v1, v1
	v_readfirstlane_b32 s2, v1
	s_mul_i32 s3, s3, s2
	s_delay_alu instid0(SALU_CYCLE_1) | instskip(NEXT) | instid1(SALU_CYCLE_1)
	s_mul_hi_u32 s3, s2, s3
	s_add_co_i32 s2, s2, s3
	s_delay_alu instid0(SALU_CYCLE_1) | instskip(NEXT) | instid1(SALU_CYCLE_1)
	s_mul_hi_u32 s2, s30, s2
	s_mul_i32 s3, s2, s38
	s_add_co_i32 s8, s2, 1
	s_sub_co_i32 s3, s30, s3
	s_delay_alu instid0(SALU_CYCLE_1)
	s_sub_co_i32 s9, s3, s38
	s_cmp_ge_u32 s3, s38
	s_cselect_b32 s2, s8, s2
	s_cselect_b32 s3, s9, s3
	s_add_co_i32 s8, s2, 1
	s_cmp_ge_u32 s3, s38
	s_cselect_b32 s42, s8, s2
	s_wait_kmcnt 0x0
	v_cmp_lt_u64_e64 s2, s[30:31], s[40:41]
	s_mov_b64 s[44:45], 0
	s_and_b32 vcc_lo, exec_lo, s2
	s_cbranch_vccz .LBB146_6
	s_branch .LBB146_7
.LBB146_22:
	s_lshl_b64 s[12:13], s[16:17], 2
	s_mov_b64 s[8:9], 0
	s_add_nc_u64 s[10:11], s[10:11], s[12:13]
	s_wait_kmcnt 0x0
	s_add_nc_u64 s[12:13], s[18:19], s[12:13]
	s_mov_b32 s14, s17
	s_delay_alu instid0(SALU_CYCLE_1)
	s_cmp_ge_u32 s14, s29
	s_cbranch_scc0 .LBB146_46
	s_branch .LBB146_24
.LBB146_23:
	s_add_co_i32 s14, s16, 4
	s_add_nc_u64 s[12:13], s[18:19], s[20:21]
	s_add_nc_u64 s[10:11], s[10:11], s[20:21]
	s_cmp_ge_u32 s14, s29
	s_cbranch_scc0 .LBB146_46
.LBB146_24:
	v_dual_mov_b32 v2, s8 :: v_dual_mov_b32 v3, s17
	v_dual_mov_b32 v4, s9 :: v_dual_mov_b32 v1, 0
	ds_store_b96 v1, v[2:4] offset:1056
.LBB146_25:
	s_or_b32 exec_lo, exec_lo, s24
	s_clause 0x5
	s_load_b64 s[46:47], s[0:1], 0x0
	s_load_b128 s[16:19], s[0:1], 0xd0
	s_load_b128 s[8:11], s[0:1], 0x1b8
	;; [unrolled: 1-line block ×5, first 2 shown]
	s_cmp_eq_u32 s28, 0
	s_wait_dscnt 0x0
	s_barrier_signal -1
	s_barrier_wait -1
	s_cbranch_scc1 .LBB146_48
; %bb.26:
	v_dual_mov_b32 v7, 0 :: v_dual_lshrrev_b32 v1, 3, v0
	s_mul_u64 s[34:35], s[36:37], s[34:35]
	s_wait_kmcnt 0x0
	s_mul_u64 s[16:17], s[36:37], s[16:17]
	s_sub_nc_u64 s[34:35], s[30:31], s[34:35]
	ds_load_b96 v[2:4], v7 offset:1056
	s_mul_u64 s[24:25], s[42:43], s[24:25]
	s_mul_u64 s[18:19], s[34:35], s[18:19]
	s_lshl_b64 s[16:17], s[16:17], 2
	s_mul_u64 s[20:21], s[44:45], s[20:21]
	s_add_nc_u64 s[16:17], s[46:47], s[16:17]
	s_lshl_b64 s[24:25], s[24:25], 2
	s_lshl_b64 s[18:19], s[18:19], 2
	s_add_nc_u64 s[24:25], s[10:11], s[24:25]
	s_add_nc_u64 s[10:11], s[16:17], s[18:19]
	s_lshl_b64 s[18:19], s[20:21], 3
	s_load_b32 s21, s[0:1], 0x1b0
	v_dual_add_nc_u32 v9, -1, v0 :: v_dual_bitop2_b32 v1, 28, v1 bitop3:0x40
	s_add_nc_u64 s[18:19], s[14:15], s[18:19]
	s_load_b64 s[14:15], s[0:1], 0x508
	s_mul_u64 s[38:39], s[42:43], s[38:39]
	s_delay_alu instid0(VALU_DEP_1)
	v_lshrrev_b32_e32 v6, 3, v9
	s_sub_nc_u64 s[38:39], s[30:31], s[38:39]
	v_lshl_add_u32 v5, v0, 2, v1
	s_mul_u64 s[26:27], s[38:39], s[26:27]
	s_mul_u64 s[38:39], s[44:45], s[40:41]
	s_wait_dscnt 0x0
	v_add_nc_u32_e32 v2, v2, v3
	v_and_b32_e32 v3, 0x1ffffffc, v6
	v_mad_u32 v6, s49, s48, v0
	v_and_b32_e32 v1, 0xfc, v0
	v_lshlrev_b32_e32 v10, 5, v0
	v_mbcnt_lo_u32_b32 v8, -1, 0
	s_sub_nc_u64 s[30:31], s[30:31], s[38:39]
	s_lshl_b64 s[26:27], s[26:27], 2
	s_mul_u64 s[22:23], s[30:31], s[22:23]
	s_xor_b32 s20, s33, 0x80000000
	s_lshl_b64 s[22:23], s[22:23], 3
	s_wait_xcnt 0x0
	v_cmp_gt_u32_e64 s0, 32, v0
	v_lshl_add_u32 v9, v9, 2, v3
	v_dual_add_nc_u32 v10, v1, v10 :: v_dual_bitop2_b32 v11, 15, v8 bitop3:0x40
	v_bfe_i32 v12, v8, 4, 1
	v_add_nc_u32_e32 v13, -1, v8
	s_wait_kmcnt 0x0
	s_bitcmp1_b32 s21, 0
	s_add_nc_u64 s[16:17], s[24:25], s[26:27]
	s_add_nc_u64 s[18:19], s[18:19], s[22:23]
	s_cselect_b32 s1, -1, 0
                                        ; implicit-def: $vgpr14
	s_branch .LBB146_29
.LBB146_27:                             ;   in Loop: Header=BB146_29 Depth=1
	s_wait_xcnt 0x0
	s_or_b32 exec_lo, exec_lo, s21
	v_add_nc_u32_e32 v2, v3, v2
.LBB146_28:                             ;   in Loop: Header=BB146_29 Depth=1
	v_add_nc_u32_e32 v4, v15, v4
	v_add_nc_u32_e32 v6, 0x100, v6
	s_add_co_i32 s28, s28, -1
	s_delay_alu instid0(SALU_CYCLE_1)
	s_cmp_lg_u32 s28, 0
	s_cbranch_scc0 .LBB146_48
.LBB146_29:                             ; =>This Inner Loop Header: Depth=1
	v_dual_mov_b32 v1, v7 :: v_dual_mov_b32 v0, v7
	s_mov_b32 s21, exec_lo
	v_cmpx_gt_u64_e64 s[4:5], v[6:7]
	s_cbranch_execz .LBB146_31
; %bb.30:                               ;   in Loop: Header=BB146_29 Depth=1
	v_mul_u64_e32 v[0:1], s[8:9], v[6:7]
	s_delay_alu instid0(VALU_DEP_1) | instskip(SKIP_4) | instid1(VALU_DEP_1)
	v_lshl_add_u64 v[0:1], v[0:1], 2, s[10:11]
	global_load_b32 v14, v[0:1], off
	s_wait_loadcnt 0x0
	s_wait_xcnt 0x0
	v_xor_b32_e32 v0, 0x80000000, v14
	v_cmp_lt_u32_e32 vcc_lo, s20, v0
	v_cndmask_b32_e64 v1, 0, 1, vcc_lo
	v_cmp_gt_u32_e32 vcc_lo, s20, v0
	v_cndmask_b32_e64 v0, 0, 1, vcc_lo
	v_cmp_eq_u32_e32 vcc_lo, s33, v14
	s_delay_alu instid0(VALU_DEP_2) | instskip(NEXT) | instid1(VALU_DEP_1)
	v_cndmask_b32_e64 v0, v0, v1, s1
	v_and_b32_e32 v1, 1, v0
	v_cndmask_b32_e64 v0, 0, 1, vcc_lo
.LBB146_31:                             ;   in Loop: Header=BB146_29 Depth=1
	s_or_b32 exec_lo, exec_lo, s21
	ds_store_b32 v5, v1
	s_wait_dscnt 0x0
	s_barrier_signal -1
	s_barrier_wait -1
	s_and_saveexec_b32 s21, s0
	s_cbranch_execz .LBB146_33
; %bb.32:                               ;   in Loop: Header=BB146_29 Depth=1
	ds_load_2addr_b32 v[16:17], v10 offset1:1
	ds_load_2addr_b32 v[18:19], v10 offset0:2 offset1:3
	ds_load_2addr_b32 v[20:21], v10 offset0:4 offset1:5
	;; [unrolled: 1-line block ×3, first 2 shown]
	v_cmp_ne_u32_e32 vcc_lo, 0, v11
	; wave barrier
	s_wait_dscnt 0x3
	v_add_nc_u32_e32 v3, v17, v16
	s_wait_dscnt 0x2
	s_delay_alu instid0(VALU_DEP_1) | instskip(SKIP_1) | instid1(VALU_DEP_1)
	v_add3_u32 v3, v3, v18, v19
	s_wait_dscnt 0x1
	v_add3_u32 v3, v3, v20, v21
	s_wait_dscnt 0x0
	s_delay_alu instid0(VALU_DEP_1) | instskip(NEXT) | instid1(VALU_DEP_1)
	v_add3_u32 v3, v3, v22, v23
	v_mov_b32_dpp v15, v3 row_shr:1 row_mask:0xf bank_mask:0xf
	s_delay_alu instid0(VALU_DEP_1) | instskip(SKIP_1) | instid1(VALU_DEP_2)
	v_cndmask_b32_e32 v15, 0, v15, vcc_lo
	v_cmp_lt_u32_e32 vcc_lo, 1, v11
	v_add_nc_u32_e32 v3, v15, v3
	s_delay_alu instid0(VALU_DEP_1) | instskip(NEXT) | instid1(VALU_DEP_1)
	v_mov_b32_dpp v15, v3 row_shr:2 row_mask:0xf bank_mask:0xf
	v_cndmask_b32_e32 v15, 0, v15, vcc_lo
	v_cmp_lt_u32_e32 vcc_lo, 3, v11
	s_delay_alu instid0(VALU_DEP_2) | instskip(NEXT) | instid1(VALU_DEP_1)
	v_add_nc_u32_e32 v3, v3, v15
	v_mov_b32_dpp v15, v3 row_shr:4 row_mask:0xf bank_mask:0xf
	s_delay_alu instid0(VALU_DEP_1) | instskip(SKIP_1) | instid1(VALU_DEP_2)
	v_cndmask_b32_e32 v15, 0, v15, vcc_lo
	v_cmp_lt_u32_e32 vcc_lo, 7, v11
	v_add_nc_u32_e32 v3, v3, v15
	s_delay_alu instid0(VALU_DEP_1) | instskip(NEXT) | instid1(VALU_DEP_1)
	v_mov_b32_dpp v15, v3 row_shr:8 row_mask:0xf bank_mask:0xf
	v_cndmask_b32_e32 v15, 0, v15, vcc_lo
	v_cmp_gt_i32_e32 vcc_lo, 0, v13
	s_delay_alu instid0(VALU_DEP_2) | instskip(SKIP_3) | instid1(VALU_DEP_1)
	v_dual_add_nc_u32 v3, v3, v15 :: v_dual_cndmask_b32 v17, v13, v8, vcc_lo
	ds_swizzle_b32 v15, v3 offset:swizzle(BROADCAST,32,15)
	s_wait_dscnt 0x0
	v_dual_lshlrev_b32 v17, 2, v17 :: v_dual_bitop2_b32 v15, v12, v15 bitop3:0x40
	v_add_nc_u32_e32 v3, v3, v15
	ds_bpermute_b32 v3, v17, v3
	s_wait_dscnt 0x0
	v_add_nc_u32_e32 v3, v3, v16
	s_delay_alu instid0(VALU_DEP_1)
	v_cndmask_b32_e64 v3, v3, v1, s3
	ds_store_b32 v10, v3
	; wave barrier
	ds_load_2addr_b32 v[16:17], v10 offset0:1 offset1:2
	ds_load_2addr_b32 v[18:19], v10 offset0:3 offset1:4
	ds_load_2addr_b32 v[20:21], v10 offset0:5 offset1:6
	ds_load_b32 v15, v10 offset:28
	s_wait_dscnt 0x3
	v_add_nc_u32_e32 v3, v16, v3
	s_delay_alu instid0(VALU_DEP_1) | instskip(SKIP_1) | instid1(VALU_DEP_1)
	v_add_nc_u32_e32 v16, v17, v3
	s_wait_dscnt 0x2
	v_add_nc_u32_e32 v17, v18, v16
	s_delay_alu instid0(VALU_DEP_1) | instskip(SKIP_1) | instid1(VALU_DEP_1)
	v_add_nc_u32_e32 v18, v19, v17
	;; [unrolled: 4-line block ×3, first 2 shown]
	s_wait_dscnt 0x0
	v_add_nc_u32_e32 v15, v15, v20
	ds_store_2addr_b32 v10, v3, v16 offset0:1 offset1:2
	ds_store_2addr_b32 v10, v17, v18 offset0:3 offset1:4
	;; [unrolled: 1-line block ×3, first 2 shown]
	ds_store_b32 v10, v15 offset:28
.LBB146_33:                             ;   in Loop: Header=BB146_29 Depth=1
	s_or_b32 exec_lo, exec_lo, s21
	v_mov_b32_e32 v3, 0
	s_wait_dscnt 0x0
	s_barrier_signal -1
	s_barrier_wait -1
	s_and_saveexec_b32 s21, s2
; %bb.34:                               ;   in Loop: Header=BB146_29 Depth=1
	ds_load_b32 v3, v9
; %bb.35:                               ;   in Loop: Header=BB146_29 Depth=1
	s_or_b32 exec_lo, exec_lo, s21
	ds_load_b32 v15, v7 offset:1048
	s_mov_b32 s21, exec_lo
	s_wait_dscnt 0x0
	s_barrier_signal -1
	s_barrier_wait -1
	v_cmpx_ne_u32_e32 0, v1
	s_cbranch_execz .LBB146_37
; %bb.36:                               ;   in Loop: Header=BB146_29 Depth=1
	v_add_nc_u32_e32 v16, v3, v4
	v_mov_b32_e32 v17, v7
	s_delay_alu instid0(VALU_DEP_1) | instskip(SKIP_1) | instid1(VALU_DEP_2)
	v_mul_u64_e32 v[18:19], s[12:13], v[16:17]
	v_mul_u64_e32 v[16:17], s[14:15], v[16:17]
	v_lshl_add_u64 v[18:19], v[18:19], 2, s[16:17]
	s_delay_alu instid0(VALU_DEP_2)
	v_lshl_add_u64 v[16:17], v[16:17], 3, s[18:19]
	global_store_b32 v[18:19], v14, off
	global_store_b64 v[16:17], v[6:7], off
.LBB146_37:                             ;   in Loop: Header=BB146_29 Depth=1
	s_wait_xcnt 0x0
	s_or_b32 exec_lo, exec_lo, s21
	v_mov_b32_e32 v3, v7
	s_delay_alu instid0(VALU_DEP_1)
	v_cmp_le_u64_e32 vcc_lo, s[6:7], v[2:3]
	s_cbranch_vccnz .LBB146_28
; %bb.38:                               ;   in Loop: Header=BB146_29 Depth=1
	ds_store_b32 v5, v0
	s_wait_storecnt_dscnt 0x0
	s_barrier_signal -1
	s_barrier_wait -1
	s_and_saveexec_b32 s21, s0
	s_cbranch_execz .LBB146_40
; %bb.39:                               ;   in Loop: Header=BB146_29 Depth=1
	ds_load_2addr_b32 v[16:17], v10 offset1:1
	ds_load_2addr_b32 v[18:19], v10 offset0:2 offset1:3
	ds_load_2addr_b32 v[20:21], v10 offset0:4 offset1:5
	;; [unrolled: 1-line block ×3, first 2 shown]
	v_cmp_ne_u32_e32 vcc_lo, 0, v11
	; wave barrier
	s_wait_dscnt 0x3
	v_add_nc_u32_e32 v1, v17, v16
	s_wait_dscnt 0x2
	s_delay_alu instid0(VALU_DEP_1) | instskip(SKIP_1) | instid1(VALU_DEP_1)
	v_add3_u32 v1, v1, v18, v19
	s_wait_dscnt 0x1
	v_add3_u32 v1, v1, v20, v21
	s_wait_dscnt 0x0
	s_delay_alu instid0(VALU_DEP_1) | instskip(NEXT) | instid1(VALU_DEP_1)
	v_add3_u32 v1, v1, v22, v23
	v_mov_b32_dpp v3, v1 row_shr:1 row_mask:0xf bank_mask:0xf
	s_delay_alu instid0(VALU_DEP_1) | instskip(SKIP_1) | instid1(VALU_DEP_2)
	v_cndmask_b32_e32 v3, 0, v3, vcc_lo
	v_cmp_lt_u32_e32 vcc_lo, 1, v11
	v_add_nc_u32_e32 v1, v3, v1
	s_delay_alu instid0(VALU_DEP_1) | instskip(NEXT) | instid1(VALU_DEP_1)
	v_mov_b32_dpp v3, v1 row_shr:2 row_mask:0xf bank_mask:0xf
	v_cndmask_b32_e32 v3, 0, v3, vcc_lo
	v_cmp_lt_u32_e32 vcc_lo, 3, v11
	s_delay_alu instid0(VALU_DEP_2) | instskip(NEXT) | instid1(VALU_DEP_1)
	v_add_nc_u32_e32 v1, v1, v3
	v_mov_b32_dpp v3, v1 row_shr:4 row_mask:0xf bank_mask:0xf
	s_delay_alu instid0(VALU_DEP_1) | instskip(SKIP_1) | instid1(VALU_DEP_2)
	v_cndmask_b32_e32 v3, 0, v3, vcc_lo
	v_cmp_lt_u32_e32 vcc_lo, 7, v11
	v_add_nc_u32_e32 v1, v1, v3
	s_delay_alu instid0(VALU_DEP_1) | instskip(NEXT) | instid1(VALU_DEP_1)
	v_mov_b32_dpp v3, v1 row_shr:8 row_mask:0xf bank_mask:0xf
	v_cndmask_b32_e32 v3, 0, v3, vcc_lo
	v_cmp_gt_i32_e32 vcc_lo, 0, v13
	s_delay_alu instid0(VALU_DEP_2) | instskip(SKIP_4) | instid1(VALU_DEP_1)
	v_add_nc_u32_e32 v1, v1, v3
	v_cndmask_b32_e32 v17, v13, v8, vcc_lo
	ds_swizzle_b32 v3, v1 offset:swizzle(BROADCAST,32,15)
	s_wait_dscnt 0x0
	v_dual_lshlrev_b32 v17, 2, v17 :: v_dual_bitop2_b32 v3, v12, v3 bitop3:0x40
	v_add_nc_u32_e32 v1, v1, v3
	ds_bpermute_b32 v1, v17, v1
	s_wait_dscnt 0x0
	v_add_nc_u32_e32 v1, v1, v16
	s_delay_alu instid0(VALU_DEP_1)
	v_cndmask_b32_e64 v1, v1, v0, s3
	ds_store_b32 v10, v1
	; wave barrier
	ds_load_2addr_b32 v[16:17], v10 offset0:1 offset1:2
	ds_load_2addr_b32 v[18:19], v10 offset0:3 offset1:4
	;; [unrolled: 1-line block ×3, first 2 shown]
	ds_load_b32 v3, v10 offset:28
	s_wait_dscnt 0x3
	v_add_nc_u32_e32 v1, v16, v1
	s_delay_alu instid0(VALU_DEP_1) | instskip(SKIP_1) | instid1(VALU_DEP_1)
	v_add_nc_u32_e32 v16, v17, v1
	s_wait_dscnt 0x2
	v_add_nc_u32_e32 v17, v18, v16
	s_delay_alu instid0(VALU_DEP_1) | instskip(SKIP_1) | instid1(VALU_DEP_1)
	v_add_nc_u32_e32 v18, v19, v17
	;; [unrolled: 4-line block ×3, first 2 shown]
	s_wait_dscnt 0x0
	v_add_nc_u32_e32 v3, v3, v20
	ds_store_2addr_b32 v10, v1, v16 offset0:1 offset1:2
	ds_store_2addr_b32 v10, v17, v18 offset0:3 offset1:4
	;; [unrolled: 1-line block ×3, first 2 shown]
	ds_store_b32 v10, v3 offset:28
.LBB146_40:                             ;   in Loop: Header=BB146_29 Depth=1
	s_or_b32 exec_lo, exec_lo, s21
	v_mov_b32_e32 v1, 0
	s_wait_dscnt 0x0
	s_barrier_signal -1
	s_barrier_wait -1
	s_and_saveexec_b32 s21, s2
; %bb.41:                               ;   in Loop: Header=BB146_29 Depth=1
	ds_load_b32 v1, v9
; %bb.42:                               ;   in Loop: Header=BB146_29 Depth=1
	s_or_b32 exec_lo, exec_lo, s21
	ds_load_b32 v3, v7 offset:1048
	s_mov_b32 s21, exec_lo
	s_wait_dscnt 0x0
	s_barrier_signal -1
	s_barrier_wait -1
	v_cmpx_ne_u32_e32 0, v0
	s_cbranch_execz .LBB146_27
; %bb.43:                               ;   in Loop: Header=BB146_29 Depth=1
	v_dual_mov_b32 v1, v7 :: v_dual_add_nc_u32 v0, v1, v2
	s_delay_alu instid0(VALU_DEP_1)
	v_cmp_gt_u64_e32 vcc_lo, s[6:7], v[0:1]
	s_and_b32 exec_lo, exec_lo, vcc_lo
	s_cbranch_execz .LBB146_27
; %bb.44:                               ;   in Loop: Header=BB146_29 Depth=1
	v_mul_u64_e32 v[16:17], s[12:13], v[0:1]
	v_mul_u64_e32 v[0:1], s[14:15], v[0:1]
	s_delay_alu instid0(VALU_DEP_2) | instskip(NEXT) | instid1(VALU_DEP_2)
	v_lshl_add_u64 v[16:17], v[16:17], 2, s[16:17]
	v_lshl_add_u64 v[0:1], v[0:1], 3, s[18:19]
	global_store_b32 v[16:17], v14, off
	global_store_b64 v[0:1], v[6:7], off
	s_branch .LBB146_27
.LBB146_45:                             ;   in Loop: Header=BB146_46 Depth=1
	s_add_co_i32 s14, s14, 1
	s_wait_kmcnt 0x0
	s_add_co_i32 s17, s15, s17
	s_add_nc_u64 s[10:11], s[10:11], 4
	s_cmp_lt_u32 s14, s29
	s_add_nc_u64 s[12:13], s[12:13], 4
	s_cbranch_scc0 .LBB146_24
.LBB146_46:                             ; =>This Inner Loop Header: Depth=1
	s_load_b32 s15, s[10:11], 0x0
	s_cmp_ge_u32 s14, s49
	s_cbranch_scc1 .LBB146_45
; %bb.47:                               ;   in Loop: Header=BB146_46 Depth=1
	s_load_b32 s16, s[12:13], 0x0
	s_wait_kmcnt 0x0
	s_add_co_i32 s9, s15, s9
	s_add_co_i32 s8, s16, s8
	s_branch .LBB146_45
.LBB146_48:
	s_endpgm
	.section	.rodata,"a",@progbits
	.p2align	6, 0x0
	.amdhsa_kernel _ZN2at6native6mbtopk10gatherTopKIimLi2EEEvNS_4cuda6detail10TensorInfoIKT_T0_EES8_S8_bjS8_NS5_IS6_S8_EES8_NS5_IlS8_EES8_jjPS6_PjSD_j
		.amdhsa_group_segment_fixed_size 1068
		.amdhsa_private_segment_fixed_size 0
		.amdhsa_kernarg_size 1592
		.amdhsa_user_sgpr_count 2
		.amdhsa_user_sgpr_dispatch_ptr 0
		.amdhsa_user_sgpr_queue_ptr 0
		.amdhsa_user_sgpr_kernarg_segment_ptr 1
		.amdhsa_user_sgpr_dispatch_id 0
		.amdhsa_user_sgpr_kernarg_preload_length 0
		.amdhsa_user_sgpr_kernarg_preload_offset 0
		.amdhsa_user_sgpr_private_segment_size 0
		.amdhsa_wavefront_size32 1
		.amdhsa_uses_dynamic_stack 0
		.amdhsa_enable_private_segment 0
		.amdhsa_system_sgpr_workgroup_id_x 1
		.amdhsa_system_sgpr_workgroup_id_y 1
		.amdhsa_system_sgpr_workgroup_id_z 1
		.amdhsa_system_sgpr_workgroup_info 0
		.amdhsa_system_vgpr_workitem_id 0
		.amdhsa_next_free_vgpr 24
		.amdhsa_next_free_sgpr 50
		.amdhsa_named_barrier_count 0
		.amdhsa_reserve_vcc 1
		.amdhsa_float_round_mode_32 0
		.amdhsa_float_round_mode_16_64 0
		.amdhsa_float_denorm_mode_32 3
		.amdhsa_float_denorm_mode_16_64 3
		.amdhsa_fp16_overflow 0
		.amdhsa_memory_ordered 1
		.amdhsa_forward_progress 1
		.amdhsa_inst_pref_size 24
		.amdhsa_round_robin_scheduling 0
		.amdhsa_exception_fp_ieee_invalid_op 0
		.amdhsa_exception_fp_denorm_src 0
		.amdhsa_exception_fp_ieee_div_zero 0
		.amdhsa_exception_fp_ieee_overflow 0
		.amdhsa_exception_fp_ieee_underflow 0
		.amdhsa_exception_fp_ieee_inexact 0
		.amdhsa_exception_int_div_zero 0
	.end_amdhsa_kernel
	.section	.text._ZN2at6native6mbtopk10gatherTopKIimLi2EEEvNS_4cuda6detail10TensorInfoIKT_T0_EES8_S8_bjS8_NS5_IS6_S8_EES8_NS5_IlS8_EES8_jjPS6_PjSD_j,"axG",@progbits,_ZN2at6native6mbtopk10gatherTopKIimLi2EEEvNS_4cuda6detail10TensorInfoIKT_T0_EES8_S8_bjS8_NS5_IS6_S8_EES8_NS5_IlS8_EES8_jjPS6_PjSD_j,comdat
.Lfunc_end146:
	.size	_ZN2at6native6mbtopk10gatherTopKIimLi2EEEvNS_4cuda6detail10TensorInfoIKT_T0_EES8_S8_bjS8_NS5_IS6_S8_EES8_NS5_IlS8_EES8_jjPS6_PjSD_j, .Lfunc_end146-_ZN2at6native6mbtopk10gatherTopKIimLi2EEEvNS_4cuda6detail10TensorInfoIKT_T0_EES8_S8_bjS8_NS5_IS6_S8_EES8_NS5_IlS8_EES8_jjPS6_PjSD_j
                                        ; -- End function
	.set _ZN2at6native6mbtopk10gatherTopKIimLi2EEEvNS_4cuda6detail10TensorInfoIKT_T0_EES8_S8_bjS8_NS5_IS6_S8_EES8_NS5_IlS8_EES8_jjPS6_PjSD_j.num_vgpr, 24
	.set _ZN2at6native6mbtopk10gatherTopKIimLi2EEEvNS_4cuda6detail10TensorInfoIKT_T0_EES8_S8_bjS8_NS5_IS6_S8_EES8_NS5_IlS8_EES8_jjPS6_PjSD_j.num_agpr, 0
	.set _ZN2at6native6mbtopk10gatherTopKIimLi2EEEvNS_4cuda6detail10TensorInfoIKT_T0_EES8_S8_bjS8_NS5_IS6_S8_EES8_NS5_IlS8_EES8_jjPS6_PjSD_j.numbered_sgpr, 50
	.set _ZN2at6native6mbtopk10gatherTopKIimLi2EEEvNS_4cuda6detail10TensorInfoIKT_T0_EES8_S8_bjS8_NS5_IS6_S8_EES8_NS5_IlS8_EES8_jjPS6_PjSD_j.num_named_barrier, 0
	.set _ZN2at6native6mbtopk10gatherTopKIimLi2EEEvNS_4cuda6detail10TensorInfoIKT_T0_EES8_S8_bjS8_NS5_IS6_S8_EES8_NS5_IlS8_EES8_jjPS6_PjSD_j.private_seg_size, 0
	.set _ZN2at6native6mbtopk10gatherTopKIimLi2EEEvNS_4cuda6detail10TensorInfoIKT_T0_EES8_S8_bjS8_NS5_IS6_S8_EES8_NS5_IlS8_EES8_jjPS6_PjSD_j.uses_vcc, 1
	.set _ZN2at6native6mbtopk10gatherTopKIimLi2EEEvNS_4cuda6detail10TensorInfoIKT_T0_EES8_S8_bjS8_NS5_IS6_S8_EES8_NS5_IlS8_EES8_jjPS6_PjSD_j.uses_flat_scratch, 0
	.set _ZN2at6native6mbtopk10gatherTopKIimLi2EEEvNS_4cuda6detail10TensorInfoIKT_T0_EES8_S8_bjS8_NS5_IS6_S8_EES8_NS5_IlS8_EES8_jjPS6_PjSD_j.has_dyn_sized_stack, 0
	.set _ZN2at6native6mbtopk10gatherTopKIimLi2EEEvNS_4cuda6detail10TensorInfoIKT_T0_EES8_S8_bjS8_NS5_IS6_S8_EES8_NS5_IlS8_EES8_jjPS6_PjSD_j.has_recursion, 0
	.set _ZN2at6native6mbtopk10gatherTopKIimLi2EEEvNS_4cuda6detail10TensorInfoIKT_T0_EES8_S8_bjS8_NS5_IS6_S8_EES8_NS5_IlS8_EES8_jjPS6_PjSD_j.has_indirect_call, 0
	.section	.AMDGPU.csdata,"",@progbits
; Kernel info:
; codeLenInByte = 3008
; TotalNumSgprs: 52
; NumVgprs: 24
; ScratchSize: 0
; MemoryBound: 0
; FloatMode: 240
; IeeeMode: 1
; LDSByteSize: 1068 bytes/workgroup (compile time only)
; SGPRBlocks: 0
; VGPRBlocks: 1
; NumSGPRsForWavesPerEU: 52
; NumVGPRsForWavesPerEU: 24
; NamedBarCnt: 0
; Occupancy: 16
; WaveLimiterHint : 1
; COMPUTE_PGM_RSRC2:SCRATCH_EN: 0
; COMPUTE_PGM_RSRC2:USER_SGPR: 2
; COMPUTE_PGM_RSRC2:TRAP_HANDLER: 0
; COMPUTE_PGM_RSRC2:TGID_X_EN: 1
; COMPUTE_PGM_RSRC2:TGID_Y_EN: 1
; COMPUTE_PGM_RSRC2:TGID_Z_EN: 1
; COMPUTE_PGM_RSRC2:TIDIG_COMP_CNT: 0
	.section	.text._ZN2at6native6sbtopk10gatherTopKIimLi2ELb0EEEvNS_4cuda6detail10TensorInfoIKT_T0_EES8_S8_bS8_S8_NS5_IS6_S8_EES8_NS5_IlS8_EES8_PS6_,"axG",@progbits,_ZN2at6native6sbtopk10gatherTopKIimLi2ELb0EEEvNS_4cuda6detail10TensorInfoIKT_T0_EES8_S8_bS8_S8_NS5_IS6_S8_EES8_NS5_IlS8_EES8_PS6_,comdat
	.protected	_ZN2at6native6sbtopk10gatherTopKIimLi2ELb0EEEvNS_4cuda6detail10TensorInfoIKT_T0_EES8_S8_bS8_S8_NS5_IS6_S8_EES8_NS5_IlS8_EES8_PS6_ ; -- Begin function _ZN2at6native6sbtopk10gatherTopKIimLi2ELb0EEEvNS_4cuda6detail10TensorInfoIKT_T0_EES8_S8_bS8_S8_NS5_IS6_S8_EES8_NS5_IlS8_EES8_PS6_
	.globl	_ZN2at6native6sbtopk10gatherTopKIimLi2ELb0EEEvNS_4cuda6detail10TensorInfoIKT_T0_EES8_S8_bS8_S8_NS5_IS6_S8_EES8_NS5_IlS8_EES8_PS6_
	.p2align	8
	.type	_ZN2at6native6sbtopk10gatherTopKIimLi2ELb0EEEvNS_4cuda6detail10TensorInfoIKT_T0_EES8_S8_bS8_S8_NS5_IS6_S8_EES8_NS5_IlS8_EES8_PS6_,@function
_ZN2at6native6sbtopk10gatherTopKIimLi2ELb0EEEvNS_4cuda6detail10TensorInfoIKT_T0_EES8_S8_bS8_S8_NS5_IS6_S8_EES8_NS5_IlS8_EES8_PS6_: ; @_ZN2at6native6sbtopk10gatherTopKIimLi2ELb0EEEvNS_4cuda6detail10TensorInfoIKT_T0_EES8_S8_bS8_S8_NS5_IS6_S8_EES8_NS5_IlS8_EES8_PS6_
; %bb.0:
	s_clause 0x1
	s_load_b128 s[28:31], s[0:1], 0x1b8
	s_load_b64 s[12:13], s[0:1], 0x520
	s_bfe_u32 s2, ttmp6, 0x40010
	s_and_b32 s3, ttmp7, 0xffff
	s_add_co_i32 s2, s2, 1
	s_bfe_u32 s5, ttmp6, 0x4000c
	s_mul_i32 s2, s3, s2
	s_bfe_u32 s4, ttmp6, 0x40004
	s_add_co_i32 s5, s5, 1
	s_bfe_u32 s6, ttmp6, 0x40014
	s_add_co_i32 s4, s4, s2
	s_and_b32 s2, ttmp6, 15
	s_mul_i32 s5, ttmp9, s5
	s_lshr_b32 s7, ttmp7, 16
	s_add_co_i32 s6, s6, 1
	s_add_co_i32 s2, s2, s5
	s_mul_i32 s5, s7, s6
	s_bfe_u32 s6, ttmp6, 0x40008
	s_getreg_b32 s8, hwreg(HW_REG_IB_STS2, 6, 4)
	s_add_co_i32 s6, s6, s5
	s_cmp_eq_u32 s8, 0
	s_mov_b32 s51, 0
	s_cselect_b32 s5, s7, s6
	s_cselect_b32 s3, s3, s4
	s_wait_kmcnt 0x0
	s_mul_i32 s5, s13, s5
	s_cselect_b32 s13, ttmp9, s2
	s_add_co_i32 s2, s5, s3
	s_delay_alu instid0(SALU_CYCLE_1) | instskip(NEXT) | instid1(SALU_CYCLE_1)
	s_mul_i32 s2, s2, s12
	s_add_co_i32 s50, s2, s13
	s_delay_alu instid0(SALU_CYCLE_1)
	v_cmp_le_u64_e64 s2, s[28:29], s[50:51]
	s_and_b32 vcc_lo, exec_lo, s2
	s_cbranch_vccnz .LBB147_477
; %bb.1:
	s_clause 0x1
	s_load_b64 s[2:3], s[0:1], 0x10
	s_load_b64 s[54:55], s[0:1], 0x1d8
	s_mov_b64 s[52:53], 0
	s_mov_b64 s[6:7], 0
	s_wait_kmcnt 0x0
	v_cmp_lt_u64_e64 s4, s[50:51], s[2:3]
	s_and_b32 vcc_lo, exec_lo, s4
	s_cbranch_vccz .LBB147_478
; %bb.2:
	s_load_b64 s[56:57], s[0:1], 0x380
	v_cmp_lt_u64_e64 s4, s[50:51], s[54:55]
	s_and_b32 vcc_lo, exec_lo, s4
	s_cbranch_vccz .LBB147_479
.LBB147_3:
	s_wait_kmcnt 0x0
	v_cmp_lt_u64_e64 s4, s[50:51], s[56:57]
	s_mov_b64 s[58:59], 0
	s_and_b32 vcc_lo, exec_lo, s4
	s_cbranch_vccnz .LBB147_5
.LBB147_4:
	v_cvt_f32_u32_e32 v1, s56
	s_sub_co_i32 s5, 0, s56
	s_mov_b32 s59, 0
	s_delay_alu instid0(VALU_DEP_1) | instskip(SKIP_1) | instid1(TRANS32_DEP_1)
	v_rcp_iflag_f32_e32 v1, v1
	v_nop
	v_mul_f32_e32 v1, 0x4f7ffffe, v1
	s_delay_alu instid0(VALU_DEP_1) | instskip(NEXT) | instid1(VALU_DEP_1)
	v_cvt_u32_f32_e32 v1, v1
	v_readfirstlane_b32 s4, v1
	s_mul_i32 s5, s5, s4
	s_delay_alu instid0(SALU_CYCLE_1) | instskip(NEXT) | instid1(SALU_CYCLE_1)
	s_mul_hi_u32 s5, s4, s5
	s_add_co_i32 s4, s4, s5
	s_delay_alu instid0(SALU_CYCLE_1) | instskip(NEXT) | instid1(SALU_CYCLE_1)
	s_mul_hi_u32 s4, s50, s4
	s_mul_i32 s5, s4, s56
	s_add_co_i32 s8, s4, 1
	s_sub_co_i32 s5, s50, s5
	s_delay_alu instid0(SALU_CYCLE_1)
	s_sub_co_i32 s9, s5, s56
	s_cmp_ge_u32 s5, s56
	s_cselect_b32 s4, s8, s4
	s_cselect_b32 s5, s9, s5
	s_add_co_i32 s8, s4, 1
	s_cmp_ge_u32 s5, s56
	s_cselect_b32 s58, s8, s4
.LBB147_5:
	s_clause 0x2
	s_load_b128 s[8:11], s[0:1], 0xd0
	s_load_b64 s[16:17], s[0:1], 0x0
	s_load_b128 s[36:39], s[0:1], 0x1a0
	v_cmp_eq_u32_e64 s5, 0, v0
	s_add_nc_u64 s[14:15], s[0:1], 0x520
	s_mov_b32 s29, 0
	s_and_saveexec_b32 s4, s5
	s_cbranch_execz .LBB147_7
; %bb.6:
	s_wait_kmcnt 0x0
	v_dual_mov_b32 v2, 0 :: v_dual_mov_b32 v4, s36
	s_delay_alu instid0(VALU_DEP_1)
	v_dual_mov_b32 v5, s37 :: v_dual_mov_b32 v3, v2
	ds_store_b32 v2, v2 offset:5144
	ds_store_b128 v2, v[2:5] offset:5120
.LBB147_7:
	s_or_b32 exec_lo, exec_lo, s4
	s_clause 0x1
	s_load_b128 s[20:23], s[0:1], 0x440
	; meta instruction
	s_load_b64 s[18:19], s[0:1], 0x370
	v_dual_mov_b32 v3, 0 :: v_dual_add_nc_u32 v2, 2, v0
	s_mul_u64 s[2:3], s[6:7], s[2:3]
	v_lshlrev_b32_e32 v16, 2, v0
	s_wait_kmcnt 0x0
	s_mul_u64 s[8:9], s[6:7], s[8:9]
	v_mov_b32_e32 v1, v3
	v_max_u64 v[6:7], s[36:37], v[2:3]
	s_clause 0x1
	s_load_b64 s[6:7], s[0:1], 0x1c8
	s_load_b32 s4, s[0:1], 0x1b0
	s_wait_dscnt 0x0
	v_mul_u64_e32 v[4:5], s[30:31], v[0:1]
	s_barrier_signal -1
	s_barrier_wait -1
	v_mbcnt_lo_u32_b32 v13, -1, 0
	s_sub_nc_u64 s[2:3], s[50:51], s[2:3]
	s_lshl_b64 s[8:9], s[8:9], 2
	s_mul_u64 s[10:11], s[2:3], s[10:11]
	v_writelane_b32 v45, s20, 0
	v_dual_mov_b32 v9, -1 :: v_dual_mov_b32 v17, v3
	v_not_b32_e32 v8, v0
	v_cmp_gt_u32_e32 vcc_lo, 32, v0
	v_writelane_b32 v45, s21, 1
	s_add_nc_u64 s[8:9], s[16:17], s[8:9]
	s_lshl_b64 s[10:11], s[10:11], 2
	v_lshlrev_b64_e64 v[10:11], v13, -1
	s_add_nc_u64 s[34:35], s[8:9], s[10:11]
	v_writelane_b32 v45, s22, 2
	s_wait_kmcnt 0x0
	s_bitcmp1_b32 s4, 0
	v_cmp_lt_u64_e64 s33, 0x300, s[36:37]
	s_cselect_b32 s4, -1, 0
	v_cmp_gt_u64_e64 s3, s[36:37], v[0:1]
	v_writelane_b32 v45, s23, 3
	s_load_b128 s[20:23], s[0:1], 0x298
	s_xor_b32 s89, s4, -1
	v_mov_b64_e32 v[26:27], s[38:39]
	s_mov_b32 s49, s29
	v_writelane_b32 v45, s18, 4
	v_cmp_eq_u32_e64 s2, 0, v13
	v_not_b32_e32 v12, v10
	v_dual_lshlrev_b32 v35, 4, v0 :: v_dual_mov_b32 v25, 0
	v_writelane_b32 v45, s19, 5
	s_load_b32 s18, s[14:15], 0xc
	v_lshl_add_u64 v[14:15], v[4:5], 2, s[34:35]
	v_add_nc_u64_e32 v[4:5], v[6:7], v[8:9]
	v_add_nc_u32_e32 v32, 0xc00, v16
	v_mov_b32_e32 v22, 1
	v_lshl_or_b32 v36, v13, 3, 0xc00
	v_dual_mov_b32 v34, 0 :: v_dual_mov_b32 v37, 0
	s_mov_b32 s68, s30
	v_and_b32_e32 v18, -2, v4
	s_wait_kmcnt 0x0
	v_writelane_b32 v45, s20, 6
	v_mov_b32_e32 v19, v5
	s_mov_b32 s69, s31
	s_mov_b32 s96, 30
	;; [unrolled: 1-line block ×3, first 2 shown]
	v_writelane_b32 v45, s21, 7
	v_add_nc_u64_e32 v[20:21], v[18:19], v[0:1]
	s_mov_b32 s97, 0
	s_mov_b32 s100, 0
                                        ; implicit-def: $sgpr99
                                        ; implicit-def: $sgpr103
                                        ; implicit-def: $sgpr102
                                        ; implicit-def: $sgpr104
                                        ; implicit-def: $sgpr101
                                        ; implicit-def: $sgpr62
                                        ; implicit-def: $sgpr63
                                        ; implicit-def: $vcc_hi
                                        ; implicit-def: $sgpr61
                                        ; implicit-def: $sgpr60
	v_writelane_b32 v45, s22, 8
	s_and_b32 s48, s18, 0xffff
	s_bfe_u32 s8, s18, 0xb0005
	s_add_nc_u64 s[64:65], s[48:49], -1
	v_writelane_b32 v45, s23, 9
	s_add_nc_u64 s[66:67], s[64:65], s[36:37]
	v_writelane_b32 v45, s6, 10
	v_writelane_b32 v45, s7, 11
	v_cmp_gt_i32_e64 s7, 4, v13
	v_cmp_gt_u32_e64 s6, 2, v0
	s_and_b32 s88, vcc_lo, s7
	s_cmp_gt_u32 s48, 31
	s_movk_i32 s7, 0x3e0
	s_cselect_b32 s90, -1, 0
	s_cmp_lt_u32 s13, s12
	v_and_or_b32 v33, v0, s7, 0xc00
	s_cselect_b32 s28, 12, 18
	s_add_co_i32 s9, s8, -1
	s_bfe_u32 s91, s48, 0x30005
	s_and_b32 s9, s9, 0xffff
	v_cmp_lt_u64_e64 s7, 1, v[4:5]
	s_cmp_gt_u32 s9, 6
	s_add_nc_u64 s[70:71], s[14:15], s[28:29]
	s_cselect_b32 s92, -1, 0
	s_and_b32 s93, s8, 0x7f8
	v_cmp_ne_u64_e64 s8, v[4:5], v[18:19]
	s_cmp_lg_u32 s91, 0
	s_cselect_b32 s94, -1, 0
	s_lshl_b32 s95, s48, 2
	s_and_b64 s[72:73], s[36:37], 0xffffffff00000000
	v_writelane_b32 v45, s8, 12
	s_branch .LBB147_10
.LBB147_8:                              ;   in Loop: Header=BB147_10 Depth=1
	s_or_b32 exec_lo, exec_lo, s12
	v_mov_b64_e32 v[26:27], v[4:5]
	s_and_not1_b32 s8, s60, exec_lo
	s_and_b32 s11, s11, exec_lo
	s_and_not1_b32 s61, s61, exec_lo
	s_or_b32 s60, s8, s11
	s_and_not1_b32 vcc_hi, vcc_hi, exec_lo
	s_and_not1_b32 s63, s63, exec_lo
	s_and_not1_b32 s62, s62, exec_lo
	s_or_not1_b32 s10, s10, exec_lo
.LBB147_9:                              ;   in Loop: Header=BB147_10 Depth=1
	s_or_b32 exec_lo, exec_lo, s9
	s_delay_alu instid0(SALU_CYCLE_1) | instskip(NEXT) | instid1(SALU_CYCLE_1)
	s_and_b32 s9, exec_lo, s10
	s_or_b32 s97, s9, s97
	s_and_not1_b32 s9, s101, exec_lo
	s_and_b32 s10, s60, exec_lo
	s_and_not1_b32 s11, s104, exec_lo
	s_or_b32 s101, s9, s10
	s_and_b32 s9, s61, exec_lo
	s_and_not1_b32 s10, s102, exec_lo
	s_and_b32 s12, vcc_hi, exec_lo
	s_or_b32 s104, s11, s9
	s_or_b32 s102, s10, s12
	s_and_not1_b32 s9, s103, exec_lo
	s_and_b32 s10, s63, exec_lo
	s_and_not1_b32 s11, s99, exec_lo
	s_and_b32 s12, s62, exec_lo
	s_or_b32 s103, s9, s10
	s_or_b32 s99, s11, s12
	s_and_not1_b32 exec_lo, exec_lo, s97
	s_cbranch_execz .LBB147_473
.LBB147_10:                             ; =>This Loop Header: Depth=1
                                        ;     Child Loop BB147_16 Depth 2
                                        ;     Child Loop BB147_30 Depth 2
	;; [unrolled: 1-line block ×25, first 2 shown]
	ds_load_b128 v[4:7], v3 offset:5120
	s_wait_dscnt 0x0
	v_readfirstlane_b32 s75, v5
	v_readfirstlane_b32 s74, v4
	s_cmp_lg_u64 s[74:75], 0
	s_cbranch_scc1 .LBB147_43
; %bb.11:                               ;   in Loop: Header=BB147_10 Depth=1
	s_and_b32 vcc_lo, exec_lo, s33
	s_cbranch_vccz .LBB147_24
; %bb.12:                               ;   in Loop: Header=BB147_10 Depth=1
	v_cmp_gt_u64_e32 vcc_lo, 0x301, v[6:7]
	s_mov_b32 s11, 0
	s_mov_b32 s9, 0
	s_cbranch_vccz .LBB147_25
; %bb.13:                               ;   in Loop: Header=BB147_10 Depth=1
	s_and_saveexec_b32 s12, s3
	s_cbranch_execz .LBB147_97
; %bb.14:                               ;   in Loop: Header=BB147_10 Depth=1
	global_load_u16 v2, v3, s[70:71]
	global_load_b32 v6, v[14:15], off
	v_mov_b64_e32 v[4:5], v[0:1]
	s_mov_b32 s13, 0
	s_wait_loadcnt 0x1
	v_and_b32_e32 v2, 0xffff, v2
	s_branch .LBB147_16
.LBB147_15:                             ;   in Loop: Header=BB147_16 Depth=2
	s_or_b32 exec_lo, exec_lo, s10
	v_mov_b32_e32 v6, v7
	s_and_not1_b32 exec_lo, exec_lo, s13
	s_cbranch_execz .LBB147_97
.LBB147_16:                             ;   Parent Loop BB147_10 Depth=1
                                        ; =>  This Inner Loop Header: Depth=2
	s_delay_alu instid0(VALU_DEP_1) | instskip(SKIP_3) | instid1(VALU_DEP_2)
	v_add_nc_u64_e32 v[4:5], v[4:5], v[2:3]
	s_wait_dscnt 0x0
	v_dual_mov_b32 v8, 0 :: v_dual_mov_b32 v7, 0
	s_mov_b32 s10, exec_lo
	v_cmp_le_u64_e32 vcc_lo, s[36:37], v[4:5]
	s_wait_xcnt 0x0
	v_cmpx_gt_u64_e64 s[36:37], v[4:5]
	s_cbranch_execz .LBB147_18
; %bb.17:                               ;   in Loop: Header=BB147_16 Depth=2
	v_mul_u64_e32 v[10:11], s[30:31], v[4:5]
	s_delay_alu instid0(VALU_DEP_1)
	v_lshl_add_u64 v[10:11], v[10:11], 2, s[34:35]
	global_load_b32 v7, v[10:11], off
.LBB147_18:                             ;   in Loop: Header=BB147_16 Depth=2
	s_wait_xcnt 0x0
	s_or_b32 exec_lo, exec_lo, s10
	s_wait_loadcnt 0x0
	v_bitop3_b32 v9, v6, v37, 0x80000000 bitop3:0x48
	s_delay_alu instid0(VALU_DEP_1) | instskip(SKIP_2) | instid1(SALU_CYCLE_1)
	v_cmp_eq_u32_e64 s9, v9, v34
	s_cmp_lg_u32 s9, 0
	s_cselect_b32 s10, -1, 0
	s_and_b32 s10, s2, s10
	s_delay_alu instid0(SALU_CYCLE_1)
	s_and_saveexec_b32 s14, s10
	s_cbranch_execz .LBB147_22
; %bb.19:                               ;   in Loop: Header=BB147_16 Depth=2
	s_mov_b32 s17, exec_lo
	s_bcnt1_i32_b32 s15, s9
	v_mbcnt_lo_u32_b32 v8, s17, 0
	s_mov_b32 s16, exec_lo
                                        ; implicit-def: $vgpr9
	s_delay_alu instid0(VALU_DEP_1)
	v_cmpx_eq_u32_e32 0, v8
; %bb.20:                               ;   in Loop: Header=BB147_16 Depth=2
	s_bcnt1_i32_b32 s10, s17
	s_delay_alu instid0(SALU_CYCLE_1) | instskip(NEXT) | instid1(SALU_CYCLE_1)
	s_mul_i32 s10, s15, s10
	v_mov_b32_e32 v9, s10
	ds_add_rtn_u32 v9, v3, v9 offset:5144
; %bb.21:                               ;   in Loop: Header=BB147_16 Depth=2
	s_or_b32 exec_lo, exec_lo, s16
	s_wait_dscnt 0x0
	v_readfirstlane_b32 s10, v9
	s_delay_alu instid0(VALU_DEP_1)
	v_mad_u32_u24 v8, s15, v8, s10
.LBB147_22:                             ;   in Loop: Header=BB147_16 Depth=2
	s_or_b32 exec_lo, exec_lo, s14
	ds_bpermute_b32 v8, v3, v8
	s_and_b32 s10, exec_lo, vcc_lo
	s_delay_alu instid0(SALU_CYCLE_1)
	s_or_b32 s13, s10, s13
	s_and_saveexec_b32 s10, s9
	s_cbranch_execz .LBB147_15
; %bb.23:                               ;   in Loop: Header=BB147_16 Depth=2
	v_and_b32_e32 v9, s9, v12
	s_delay_alu instid0(VALU_DEP_1) | instskip(NEXT) | instid1(VALU_DEP_1)
	v_bcnt_u32_b32 v9, v9, 0
	v_lshlrev_b32_e32 v9, 2, v9
	s_wait_dscnt 0x0
	s_delay_alu instid0(VALU_DEP_1)
	v_lshl_add_u32 v8, v8, 2, v9
	ds_store_b32 v8, v6
	s_branch .LBB147_15
.LBB147_24:                             ;   in Loop: Header=BB147_10 Depth=1
	s_mov_b32 s11, -1
	s_mov_b32 s9, 0
.LBB147_25:                             ;   in Loop: Header=BB147_10 Depth=1
	s_and_b32 vcc_lo, exec_lo, s11
	s_cbranch_vccz .LBB147_41
.LBB147_26:                             ;   in Loop: Header=BB147_10 Depth=1
	s_and_saveexec_b32 s9, s3
	s_cbranch_execz .LBB147_38
; %bb.27:                               ;   in Loop: Header=BB147_10 Depth=1
	global_load_u16 v4, v3, s[70:71]
	global_load_b32 v10, v[14:15], off
	s_mov_b32 s12, exec_lo
	v_mov_b32_e32 v8, v0
	s_wait_loadcnt 0x1
	v_and_b32_e32 v2, 0xffff, v4
	v_readfirstlane_b32 s10, v4
	s_delay_alu instid0(VALU_DEP_2) | instskip(SKIP_1) | instid1(VALU_DEP_1)
	v_add_nc_u32_e32 v2, v2, v0
	s_wait_xcnt 0x0
	v_cmpx_gt_u64_e64 s[36:37], v[2:3]
	s_cbranch_execz .LBB147_37
; %bb.28:                               ;   in Loop: Header=BB147_10 Depth=1
	s_and_b32 s28, s10, 0xffff
	v_mov_b64_e32 v[6:7], v[0:1]
	v_mov_b64_e32 v[4:5], v[2:3]
	s_cmp_eq_u32 s28, 1
	s_mov_b32 s11, -1
	s_cselect_b32 s10, -1, 0
                                        ; implicit-def: $vgpr11
                                        ; implicit-def: $vgpr8_vgpr9
	s_delay_alu instid0(SALU_CYCLE_1) | instskip(NEXT) | instid1(SALU_CYCLE_1)
	s_and_b32 s13, s7, s10
	s_and_saveexec_b32 s10, s13
	s_cbranch_execz .LBB147_32
; %bb.29:                               ;   in Loop: Header=BB147_10 Depth=1
	v_add_nc_u64_e32 v[4:5], 1, v[2:3]
	v_mov_b64_e32 v[8:9], v[18:19]
	v_mov_b32_e32 v23, v16
	s_mov_b32 s11, 0
	s_delay_alu instid0(VALU_DEP_3)
	v_mov_b64_e32 v[6:7], v[4:5]
	v_mov_b64_e32 v[4:5], v[2:3]
.LBB147_30:                             ;   Parent Loop BB147_10 Depth=1
                                        ; =>  This Inner Loop Header: Depth=2
	s_delay_alu instid0(VALU_DEP_1) | instskip(NEXT) | instid1(VALU_DEP_3)
	v_mul_u64_e32 v[28:29], s[68:69], v[4:5]
	v_mul_u64_e32 v[30:31], s[30:31], v[6:7]
	v_add_nc_u64_e32 v[8:9], -2, v[8:9]
	v_add_nc_u64_e32 v[6:7], 2, v[6:7]
	v_add_nc_u64_e32 v[4:5], 2, v[4:5]
	s_delay_alu instid0(VALU_DEP_3)
	v_cmp_eq_u64_e32 vcc_lo, 0, v[8:9]
	s_or_b32 s11, vcc_lo, s11
	v_lshl_add_u64 v[28:29], v[28:29], 2, s[34:35]
	v_lshl_add_u64 v[30:31], v[30:31], 2, s[34:35]
	s_clause 0x1
	global_load_b32 v24, v[28:29], off
	global_load_b32 v11, v[30:31], off
	s_wait_loadcnt 0x1
	ds_store_2addr_b32 v23, v10, v24 offset1:1
	s_wait_loadcnt 0x0
	v_dual_mov_b32 v10, v11 :: v_dual_add_nc_u32 v23, 8, v23
	s_wait_xcnt 0x0
	s_and_not1_b32 exec_lo, exec_lo, s11
	s_cbranch_execnz .LBB147_30
; %bb.31:                               ;   in Loop: Header=BB147_10 Depth=1
	s_or_b32 exec_lo, exec_lo, s11
	v_add_nc_u64_e32 v[4:5], v[2:3], v[18:19]
	v_mov_b64_e32 v[6:7], v[20:21]
	v_readlane_b32 s8, v45, 12
	v_mov_b32_e32 v10, v11
	s_or_not1_b32 s11, s8, exec_lo
	v_add_nc_u64_e32 v[8:9], -1, v[4:5]
.LBB147_32:                             ;   in Loop: Header=BB147_10 Depth=1
	s_or_b32 exec_lo, exec_lo, s10
	s_and_saveexec_b32 s13, s11
	s_cbranch_execz .LBB147_36
; %bb.33:                               ;   in Loop: Header=BB147_10 Depth=1
	s_sub_nc_u64 s[10:11], 0, s[28:29]
	s_mov_b32 s14, 0
.LBB147_34:                             ;   Parent Loop BB147_10 Depth=1
                                        ; =>  This Inner Loop Header: Depth=2
	v_mov_b64_e32 v[8:9], v[4:5]
	s_delay_alu instid0(VALU_DEP_1) | instskip(NEXT) | instid1(VALU_DEP_1)
	v_mul_u64_e32 v[4:5], s[30:31], v[8:9]
	v_lshl_add_u64 v[4:5], v[4:5], 2, s[34:35]
	global_load_b32 v11, v[4:5], off
	s_wait_xcnt 0x0
	v_add_nc_u64_e32 v[4:5], s[28:29], v[8:9]
	v_lshlrev_b32_e32 v2, 2, v6
	v_mov_b64_e32 v[6:7], v[8:9]
	s_wait_loadcnt 0x1
	ds_store_b32 v2, v10
	v_cmp_le_u64_e32 vcc_lo, s[36:37], v[4:5]
	s_or_b32 s14, vcc_lo, s14
	s_wait_loadcnt 0x0
	v_mov_b32_e32 v10, v11
	s_and_not1_b32 exec_lo, exec_lo, s14
	s_cbranch_execnz .LBB147_34
; %bb.35:                               ;   in Loop: Header=BB147_10 Depth=1
	s_or_b32 exec_lo, exec_lo, s14
	v_add_nc_u64_e32 v[8:9], s[10:11], v[4:5]
.LBB147_36:                             ;   in Loop: Header=BB147_10 Depth=1
	s_or_b32 exec_lo, exec_lo, s13
	s_wait_loadcnt 0x0
	v_mov_b32_e32 v10, v11
.LBB147_37:                             ;   in Loop: Header=BB147_10 Depth=1
	s_or_b32 exec_lo, exec_lo, s12
	s_delay_alu instid0(VALU_DEP_2)
	v_lshlrev_b32_e32 v2, 2, v8
	s_wait_loadcnt 0x0
	ds_store_b32 v2, v10
.LBB147_38:                             ;   in Loop: Header=BB147_10 Depth=1
	s_or_b32 exec_lo, exec_lo, s9
	s_wait_dscnt 0x0
	s_barrier_signal -1
	s_barrier_wait -1
	s_and_saveexec_b32 s9, s5
; %bb.39:                               ;   in Loop: Header=BB147_10 Depth=1
	v_mov_b64_e32 v[4:5], s[36:37]
	ds_store_b64 v3, v[4:5] offset:5120
; %bb.40:                               ;   in Loop: Header=BB147_10 Depth=1
	s_or_b32 exec_lo, exec_lo, s9
	s_mov_b32 s9, -1
	s_wait_dscnt 0x0
	s_barrier_signal -1
	s_barrier_wait -1
.LBB147_41:                             ;   in Loop: Header=BB147_10 Depth=1
	s_and_b32 vcc_lo, exec_lo, s9
	s_mov_b64 s[74:75], 0
	s_cbranch_vccz .LBB147_43
; %bb.42:                               ;   in Loop: Header=BB147_10 Depth=1
	ds_load_b64 v[4:5], v3 offset:5120
	s_wait_dscnt 0x0
	v_readfirstlane_b32 s74, v4
	v_readfirstlane_b32 s75, v5
.LBB147_43:                             ;   in Loop: Header=BB147_10 Depth=1
	s_delay_alu instid0(VALU_DEP_2)
	s_cmp_lt_i32 s74, 1
	s_mov_b32 s9, -1
                                        ; implicit-def: $vgpr4_vgpr5
                                        ; implicit-def: $vgpr8_vgpr9
	s_cbranch_scc1 .LBB147_53
; %bb.44:                               ;   in Loop: Header=BB147_10 Depth=1
	s_and_b32 vcc_lo, exec_lo, s9
	s_cbranch_vccnz .LBB147_67
.LBB147_45:                             ;   in Loop: Header=BB147_10 Depth=1
	s_lshl_b32 s9, s100, 7
	s_and_saveexec_b32 s10, s2
	s_cbranch_execz .LBB147_47
.LBB147_46:                             ;   in Loop: Header=BB147_10 Depth=1
	v_lshl_add_u32 v2, s9, 3, v33
	ds_store_b128 v2, v[4:7]
	ds_store_b128 v2, v[8:11] offset:16
.LBB147_47:                             ;   in Loop: Header=BB147_10 Depth=1
	s_or_b32 exec_lo, exec_lo, s10
	s_wait_dscnt 0x0
	s_barrier_signal -1
	s_barrier_wait -1
	s_and_saveexec_b32 s10, s88
	s_cbranch_execz .LBB147_81
; %bb.48:                               ;   in Loop: Header=BB147_10 Depth=1
	v_mov_b64_e32 v[4:5], 0
	s_and_not1_b32 vcc_lo, exec_lo, s90
	s_cbranch_vccnz .LBB147_80
; %bb.49:                               ;   in Loop: Header=BB147_10 Depth=1
	v_mov_b64_e32 v[4:5], 0
	s_and_not1_b32 vcc_lo, exec_lo, s92
	s_cbranch_vccnz .LBB147_77
; %bb.50:                               ;   in Loop: Header=BB147_10 Depth=1
	v_lshl_add_u32 v2, s100, 10, v36
	s_mov_b32 s11, 0
.LBB147_51:                             ;   Parent Loop BB147_10 Depth=1
                                        ; =>  This Inner Loop Header: Depth=2
	ds_load_2addr_b64 v[6:9], v2 offset1:4
	ds_load_2addr_b64 v[28:31], v2 offset0:8 offset1:12
	s_add_co_i32 s11, s11, 8
	s_delay_alu instid0(SALU_CYCLE_1) | instskip(SKIP_2) | instid1(VALU_DEP_1)
	s_cmp_eq_u32 s93, s11
	s_wait_dscnt 0x1
	v_add_nc_u64_e32 v[4:5], v[6:7], v[4:5]
	v_add_nc_u64_e32 v[8:9], v[8:9], v[4:5]
	ds_load_2addr_b64 v[4:7], v2 offset0:16 offset1:20
	s_wait_dscnt 0x1
	v_add_nc_u64_e32 v[8:9], v[28:29], v[8:9]
	s_delay_alu instid0(VALU_DEP_1) | instskip(SKIP_4) | instid1(VALU_DEP_1)
	v_add_nc_u64_e32 v[28:29], v[30:31], v[8:9]
	ds_load_2addr_b64 v[8:11], v2 offset0:24 offset1:28
	v_add_nc_u32_e32 v2, 0x100, v2
	s_wait_dscnt 0x1
	v_add_nc_u64_e32 v[4:5], v[4:5], v[28:29]
	v_add_nc_u64_e32 v[4:5], v[6:7], v[4:5]
	s_wait_dscnt 0x0
	s_delay_alu instid0(VALU_DEP_1) | instskip(NEXT) | instid1(VALU_DEP_1)
	v_add_nc_u64_e32 v[4:5], v[8:9], v[4:5]
	v_add_nc_u64_e32 v[4:5], v[10:11], v[4:5]
	s_cbranch_scc0 .LBB147_51
; %bb.52:                               ;   in Loop: Header=BB147_10 Depth=1
	s_mov_b32 s11, s93
	s_and_not1_b32 vcc_lo, exec_lo, s94
	s_cbranch_vccz .LBB147_78
	s_branch .LBB147_80
.LBB147_53:                             ;   in Loop: Header=BB147_10 Depth=1
	global_load_u16 v2, v3, s[70:71]
	s_mov_b32 s21, s29
	s_wait_loadcnt 0x0
	v_readfirstlane_b32 s9, v2
	s_and_b32 s9, 0xffff, s9
	s_delay_alu instid0(SALU_CYCLE_1)
	s_lshl_b32 s20, s9, 2
	s_cmp_lg_u64 s[72:73], 0
	s_cbranch_scc0 .LBB147_76
; %bb.54:                               ;   in Loop: Header=BB147_10 Depth=1
	s_cvt_f32_u32 s9, s20
	s_sub_nc_u64 s[12:13], 0, s[20:21]
	s_delay_alu instid0(SALU_CYCLE_2) | instskip(NEXT) | instid1(SALU_CYCLE_3)
	s_fmamk_f32 s9, s98, 0x0, s9
	v_s_rcp_f32 s9, s9
	s_delay_alu instid0(TRANS32_DEP_1) | instskip(NEXT) | instid1(SALU_CYCLE_3)
	s_mul_f32 s9, s9, 0x5f7ffffc
	s_mul_f32 s10, s9, 0x2f800000
	s_delay_alu instid0(SALU_CYCLE_3) | instskip(NEXT) | instid1(SALU_CYCLE_3)
	s_trunc_f32 s10, s10
	s_fmamk_f32 s9, s10, 0xcf800000, s9
	s_cvt_u32_f32 s11, s10
	s_delay_alu instid0(SALU_CYCLE_2) | instskip(NEXT) | instid1(SALU_CYCLE_3)
	s_cvt_u32_f32 s10, s9
	s_mul_u64 s[14:15], s[12:13], s[10:11]
	s_delay_alu instid0(SALU_CYCLE_1)
	s_mul_hi_u32 s17, s10, s15
	s_mul_i32 s16, s10, s15
	s_mul_hi_u32 s28, s10, s14
	s_mul_i32 s18, s11, s14
	s_add_nc_u64 s[16:17], s[28:29], s[16:17]
	s_mul_hi_u32 s9, s11, s14
	s_mul_hi_u32 s19, s11, s15
	s_mul_i32 s14, s11, s15
	s_add_co_u32 s15, s16, s18
	s_add_co_ci_u32 s28, s17, s9
	s_add_co_ci_u32 s15, s19, 0
	s_delay_alu instid0(SALU_CYCLE_1) | instskip(NEXT) | instid1(SALU_CYCLE_1)
	s_add_nc_u64 s[14:15], s[28:29], s[14:15]
	s_add_co_u32 s10, s10, s14
	s_cselect_b32 s9, -1, 0
	s_delay_alu instid0(SALU_CYCLE_1) | instskip(SKIP_1) | instid1(SALU_CYCLE_1)
	s_cmp_lg_u32 s9, 0
	s_add_co_ci_u32 s11, s11, s15
	s_mul_u64 s[12:13], s[12:13], s[10:11]
	s_delay_alu instid0(SALU_CYCLE_1)
	s_mul_hi_u32 s15, s10, s13
	s_mul_i32 s14, s10, s13
	s_mul_hi_u32 s28, s10, s12
	s_mul_i32 s16, s11, s12
	s_add_nc_u64 s[14:15], s[28:29], s[14:15]
	s_mul_hi_u32 s9, s11, s12
	s_mul_hi_u32 s17, s11, s13
	s_mul_i32 s12, s11, s13
	s_add_co_u32 s13, s14, s16
	s_add_co_ci_u32 s28, s15, s9
	s_add_co_ci_u32 s13, s17, 0
	s_delay_alu instid0(SALU_CYCLE_1) | instskip(NEXT) | instid1(SALU_CYCLE_1)
	s_add_nc_u64 s[12:13], s[28:29], s[12:13]
	s_add_co_u32 s9, s10, s12
	s_cselect_b32 s10, -1, 0
	s_mul_hi_u32 s28, s36, s9
	s_cmp_lg_u32 s10, 0
	s_mul_hi_u32 s14, s37, s9
	s_add_co_ci_u32 s12, s11, s13
	s_mul_i32 s9, s37, s9
	s_mul_hi_u32 s11, s36, s12
	s_mul_i32 s10, s36, s12
	s_mul_hi_u32 s13, s37, s12
	s_add_nc_u64 s[10:11], s[28:29], s[10:11]
	s_mul_i32 s12, s37, s12
	s_add_co_u32 s9, s10, s9
	s_add_co_ci_u32 s28, s11, s14
	s_add_co_ci_u32 s13, s13, 0
	s_delay_alu instid0(SALU_CYCLE_1) | instskip(NEXT) | instid1(SALU_CYCLE_1)
	s_add_nc_u64 s[10:11], s[28:29], s[12:13]
	s_and_b64 s[12:13], s[10:11], 0xffffffff00000000
	s_delay_alu instid0(SALU_CYCLE_1) | instskip(NEXT) | instid1(SALU_CYCLE_1)
	s_or_b32 s12, s12, s10
	s_mul_u64 s[10:11], s[20:21], s[12:13]
	s_delay_alu instid0(SALU_CYCLE_1) | instskip(SKIP_1) | instid1(SALU_CYCLE_1)
	s_sub_co_u32 s9, s36, s10
	s_cselect_b32 s10, -1, 0
	s_cmp_lg_u32 s10, 0
	s_sub_co_ci_u32 s10, s37, s11
	s_sub_co_u32 s11, s9, s20
	s_cselect_b32 s12, -1, 0
	s_delay_alu instid0(SALU_CYCLE_1) | instskip(SKIP_3) | instid1(SALU_CYCLE_1)
	s_cmp_lg_u32 s12, 0
	s_sub_co_ci_u32 s12, s10, 0
	s_sub_co_u32 s13, s11, s20
	s_cselect_b32 s14, -1, 0
	s_cmp_lg_u32 s14, 0
	s_sub_co_ci_u32 s14, s12, 0
	s_cmp_ge_u32 s11, s20
	s_cselect_b32 s15, -1, 0
	s_cmp_eq_u32 s12, 0
	s_cselect_b32 s15, s15, -1
	s_delay_alu instid0(SALU_CYCLE_1)
	s_cmp_lg_u32 s15, 0
	s_cselect_b32 s12, s14, s12
	s_cselect_b32 s13, s13, s11
	s_cmp_ge_u32 s9, s20
	s_cselect_b32 s11, -1, 0
	s_cmp_eq_u32 s10, 0
	s_cselect_b32 s11, s11, -1
	s_delay_alu instid0(SALU_CYCLE_1)
	s_cmp_lg_u32 s11, 0
	s_cselect_b32 s11, s12, s10
	s_cselect_b32 s10, s13, s9
	s_cbranch_execnz .LBB147_56
.LBB147_55:                             ;   in Loop: Header=BB147_10 Depth=1
	v_cvt_f32_u32_e32 v4, s20
	s_sub_co_i32 s10, 0, s20
	s_delay_alu instid0(VALU_DEP_1) | instskip(SKIP_1) | instid1(TRANS32_DEP_1)
	v_rcp_iflag_f32_e32 v4, v4
	v_nop
	v_mul_f32_e32 v4, 0x4f7ffffe, v4
	s_delay_alu instid0(VALU_DEP_1) | instskip(NEXT) | instid1(VALU_DEP_1)
	v_cvt_u32_f32_e32 v4, v4
	v_readfirstlane_b32 s9, v4
	s_mul_i32 s10, s10, s9
	s_delay_alu instid0(SALU_CYCLE_1) | instskip(NEXT) | instid1(SALU_CYCLE_1)
	s_mul_hi_u32 s10, s9, s10
	s_add_co_i32 s9, s9, s10
	s_delay_alu instid0(SALU_CYCLE_1) | instskip(NEXT) | instid1(SALU_CYCLE_1)
	s_mul_hi_u32 s9, s36, s9
	s_mul_i32 s9, s9, s20
	s_delay_alu instid0(SALU_CYCLE_1) | instskip(NEXT) | instid1(SALU_CYCLE_1)
	s_sub_co_i32 s9, s36, s9
	s_sub_co_i32 s10, s9, s20
	s_cmp_ge_u32 s9, s20
	s_cselect_b32 s9, s10, s9
	s_delay_alu instid0(SALU_CYCLE_1) | instskip(SKIP_2) | instid1(SALU_CYCLE_1)
	s_sub_co_i32 s10, s9, s20
	s_cmp_ge_u32 s9, s20
	s_cselect_b32 s28, s10, s9
	s_mov_b64 s[10:11], s[28:29]
.LBB147_56:                             ;   in Loop: Header=BB147_10 Depth=1
	v_mov_b64_e32 v[4:5], 0
	v_mov_b64_e32 v[6:7], 0
	;; [unrolled: 1-line block ×4, first 2 shown]
	s_sub_nc_u64 s[22:23], s[36:37], s[10:11]
	s_mov_b32 s19, exec_lo
	s_wait_xcnt 0x0
	v_cmpx_gt_u64_e64 s[22:23], v[16:17]
	s_cbranch_execz .LBB147_60
; %bb.57:                               ;   in Loop: Header=BB147_10 Depth=1
	v_mov_b64_e32 v[28:29], v[16:17]
	s_mov_b64 s[24:25], 0
	s_mov_b32 s40, 0
	s_mov_b64 s[26:27], 0
	s_mov_b64 s[76:77], 0
	;; [unrolled: 1-line block ×3, first 2 shown]
.LBB147_58:                             ;   Parent Loop BB147_10 Depth=1
                                        ; =>  This Inner Loop Header: Depth=2
	s_delay_alu instid0(VALU_DEP_1) | instskip(SKIP_2) | instid1(VALU_DEP_1)
	v_mul_u64_e32 v[4:5], s[30:31], v[28:29]
	s_lshl_b64 s[10:11], s[30:31], 2
	v_add_nc_u64_e32 v[28:29], s[20:21], v[28:29]
	v_cmp_le_u64_e32 vcc_lo, s[22:23], v[28:29]
	s_delay_alu instid0(VALU_DEP_3)
	v_lshl_add_u64 v[4:5], v[4:5], 2, s[34:35]
	global_load_b32 v6, v[4:5], off
	s_wait_xcnt 0x0
	v_add_nc_u64_e32 v[4:5], s[10:11], v[4:5]
	global_load_b32 v7, v[4:5], off
	s_wait_xcnt 0x0
	v_add_nc_u64_e32 v[4:5], s[10:11], v[4:5]
	;; [unrolled: 3-line block ×3, first 2 shown]
	global_load_b32 v4, v[4:5], off
	s_wait_loadcnt 0x3
	s_wait_xcnt 0x0
	v_xor_b32_e32 v5, 0x80000000, v6
	v_bitop3_b32 v6, v6, v37, 0x80000000 bitop3:0x48
	s_delay_alu instid0(VALU_DEP_2) | instskip(NEXT) | instid1(VALU_DEP_2)
	v_bfe_u32 v5, v5, s96, 2
	v_cmp_eq_u32_e64 s9, v6, v34
	s_wait_loadcnt 0x2
	v_xor_b32_e32 v6, 0x80000000, v7
	v_bitop3_b32 v7, v7, v37, 0x80000000 bitop3:0x48
	v_cmp_eq_u32_e64 s10, 0, v5
	v_cmp_eq_u32_e64 s11, 1, v5
	;; [unrolled: 1-line block ×4, first 2 shown]
	v_bfe_u32 v5, v6, s96, 2
	s_and_b32 s10, s9, s10
	s_wait_loadcnt 0x1
	v_xor_b32_e32 v6, 0x80000000, v8
	s_and_b32 s11, s9, s11
	s_and_b32 s12, s9, s12
	;; [unrolled: 1-line block ×3, first 2 shown]
	v_cmp_eq_u32_e64 s14, v7, v34
	v_cndmask_b32_e64 v11, 0, 1, s9
	v_cmp_eq_u32_e64 s9, 0, v5
	v_bitop3_b32 v7, v8, v37, 0x80000000 bitop3:0x48
	v_cndmask_b32_e64 v8, 0, 1, s10
	v_cndmask_b32_e64 v9, 0, 1, s11
	;; [unrolled: 1-line block ×3, first 2 shown]
	v_cmp_eq_u32_e64 s10, 1, v5
	v_cmp_eq_u32_e64 s11, 2, v5
	;; [unrolled: 1-line block ×3, first 2 shown]
	v_bfe_u32 v5, v6, s96, 2
	s_wait_loadcnt 0x0
	v_xor_b32_e32 v6, 0x80000000, v4
	v_bitop3_b32 v4, v4, v37, 0x80000000 bitop3:0x48
	s_and_b32 s9, s14, s9
	v_cmp_eq_u32_e64 s13, v7, v34
	v_cmp_ne_u32_e64 s15, 0, v8
	s_and_b32 s10, s14, s10
	s_and_b32 s11, s14, s11
	;; [unrolled: 1-line block ×3, first 2 shown]
	v_cndmask_b32_e64 v7, 0, 1, s9
	v_cmp_eq_u32_e64 s9, 0, v5
	v_cmp_ne_u32_e64 s16, 0, v9
	v_cmp_ne_u32_e64 s17, 0, v10
	v_cmp_ne_u32_e64 s18, 0, v11
	v_cndmask_b32_e64 v8, 0, 1, s10
	v_cndmask_b32_e64 v9, 0, 1, s11
	;; [unrolled: 1-line block ×3, first 2 shown]
	v_cmp_eq_u32_e64 s10, 1, v5
	v_cmp_eq_u32_e64 s14, v4, v34
	v_bfe_u32 v4, v6, s96, 2
	v_cmp_eq_u32_e64 s11, 2, v5
	v_cmp_eq_u32_e64 s12, 3, v5
	s_bcnt1_i32_b32 s28, s15
	v_cmp_ne_u32_e64 s15, 0, v7
	s_and_b32 s9, s13, s9
	s_bcnt1_i32_b32 s41, s16
	s_bcnt1_i32_b32 s42, s17
	;; [unrolled: 1-line block ×3, first 2 shown]
	v_cmp_ne_u32_e64 s16, 0, v8
	v_cmp_ne_u32_e64 s17, 0, v9
	;; [unrolled: 1-line block ×3, first 2 shown]
	s_and_b32 s10, s13, s10
	v_cndmask_b32_e64 v5, 0, 1, s9
	v_cmp_eq_u32_e64 s9, 0, v4
	s_and_b32 s11, s13, s11
	v_cndmask_b32_e64 v6, 0, 1, s10
	v_cmp_eq_u32_e64 s10, 1, v4
	s_and_b32 s12, s13, s12
	s_bcnt1_i32_b32 s13, s15
	v_cndmask_b32_e64 v7, 0, 1, s11
	v_cmp_eq_u32_e64 s11, 2, v4
	s_bcnt1_i32_b32 s15, s16
	s_bcnt1_i32_b32 s16, s17
	;; [unrolled: 1-line block ×3, first 2 shown]
	s_add_co_i32 s18, s13, s28
	v_cmp_ne_u32_e64 s13, 0, v5
	s_and_b32 s9, s14, s9
	v_cndmask_b32_e64 v8, 0, 1, s12
	v_cmp_eq_u32_e64 s12, 3, v4
	s_add_co_i32 s28, s15, s41
	v_cmp_ne_u32_e64 s15, 0, v6
	s_and_b32 s10, s14, s10
	v_cndmask_b32_e64 v4, 0, 1, s9
	s_add_co_i32 s41, s16, s42
	v_cmp_ne_u32_e64 s16, 0, v7
	s_and_b32 s11, s14, s11
	v_cndmask_b32_e64 v5, 0, 1, s10
	s_bcnt1_i32_b32 s9, s13
	s_and_b32 s12, s14, s12
	v_cndmask_b32_e64 v6, 0, 1, s11
	s_bcnt1_i32_b32 s10, s15
	s_add_co_i32 s14, s18, s9
	v_cmp_ne_u32_e64 s9, 0, v4
	v_cndmask_b32_e64 v7, 0, 1, s12
	s_bcnt1_i32_b32 s11, s16
	s_add_co_i32 s15, s28, s10
	v_cmp_ne_u32_e64 s10, 0, v5
	s_add_co_i32 s42, s17, s43
	v_cmp_ne_u32_e64 s17, 0, v8
	;; [unrolled: 2-line block ×3, first 2 shown]
	s_bcnt1_i32_b32 s9, s9
	v_cmp_ne_u32_e64 s12, 0, v7
	s_bcnt1_i32_b32 s10, s10
	s_add_co_i32 s28, s14, s9
	s_bcnt1_i32_b32 s13, s17
	s_bcnt1_i32_b32 s11, s11
	s_add_nc_u64 s[78:79], s[78:79], s[28:29]
	s_add_co_i32 s28, s15, s10
	s_add_co_i32 s13, s42, s13
	s_bcnt1_i32_b32 s12, s12
	s_add_nc_u64 s[76:77], s[76:77], s[28:29]
	s_add_co_i32 s28, s16, s11
	v_mov_b64_e32 v[4:5], s[78:79]
	s_add_nc_u64 s[26:27], s[26:27], s[28:29]
	s_add_co_i32 s28, s13, s12
	v_mov_b64_e32 v[6:7], s[76:77]
	s_add_nc_u64 s[24:25], s[24:25], s[28:29]
	v_mov_b64_e32 v[8:9], s[26:27]
	v_mov_b64_e32 v[10:11], s[24:25]
	s_or_b32 s40, vcc_lo, s40
	s_delay_alu instid0(SALU_CYCLE_1)
	s_and_not1_b32 exec_lo, exec_lo, s40
	s_cbranch_execnz .LBB147_58
; %bb.59:                               ;   in Loop: Header=BB147_10 Depth=1
	s_or_b32 exec_lo, exec_lo, s40
.LBB147_60:                             ;   in Loop: Header=BB147_10 Depth=1
	s_delay_alu instid0(SALU_CYCLE_1) | instskip(SKIP_3) | instid1(VALU_DEP_2)
	s_or_b32 exec_lo, exec_lo, s19
	v_add_nc_u64_e32 v[28:29], s[22:23], v[0:1]
	v_and_b32_e32 v2, 0xffff, v2
	s_mov_b32 s12, exec_lo
	v_cmpx_gt_u64_e64 s[36:37], v[28:29]
	s_cbranch_execz .LBB147_66
; %bb.61:                               ;   in Loop: Header=BB147_10 Depth=1
	v_mul_u64_e32 v[30:31], s[30:31], v[28:29]
	s_mov_b32 s13, 0
	s_delay_alu instid0(VALU_DEP_1)
	v_lshl_add_u64 v[30:31], v[30:31], 2, s[34:35]
	global_load_b32 v24, v[30:31], off
	s_branch .LBB147_63
.LBB147_62:                             ;   in Loop: Header=BB147_63 Depth=2
	s_wait_xcnt 0x0
	s_or_b32 exec_lo, exec_lo, s10
	s_wait_loadcnt 0x0
	v_xor_b32_e32 v30, 0x80000000, v24
	v_bitop3_b32 v24, v24, v37, 0x80000000 bitop3:0x48
	s_and_b32 s11, exec_lo, vcc_lo
	s_delay_alu instid0(SALU_CYCLE_1) | instskip(NEXT) | instid1(VALU_DEP_2)
	s_or_b32 s13, s11, s13
	v_bfe_u32 v30, v30, s96, 2
	s_delay_alu instid0(VALU_DEP_2) | instskip(NEXT) | instid1(VALU_DEP_2)
	v_cmp_eq_u32_e64 s9, v24, v34
	v_cmp_eq_u32_e64 s10, 0, v30
	v_cmp_eq_u32_e32 vcc_lo, 1, v30
	s_and_b32 s10, s9, s10
	s_and_b32 s11, s9, vcc_lo
	v_cndmask_b32_e64 v24, 0, 1, s10
	v_cmp_eq_u32_e64 s10, 2, v30
	v_cmp_eq_u32_e32 vcc_lo, 3, v30
	v_cndmask_b32_e64 v31, 0, 1, s11
	s_delay_alu instid0(VALU_DEP_4)
	v_cmp_ne_u32_e64 s11, 0, v24
	s_and_b32 s10, s9, s10
	s_and_b32 s9, s9, vcc_lo
	v_cndmask_b32_e64 v24, 0, 1, s10
	v_cndmask_b32_e64 v30, 0, 1, s9
	v_cmp_ne_u32_e64 s10, 0, v31
	s_bcnt1_i32_b32 s28, s11
	v_cmp_ne_u32_e32 vcc_lo, 0, v24
	v_cmp_ne_u32_e64 s9, 0, v30
	v_add_nc_u64_e32 v[4:5], s[28:29], v[4:5]
	s_bcnt1_i32_b32 s28, s10
	v_mov_b32_e32 v24, v23
	v_add_nc_u64_e32 v[6:7], s[28:29], v[6:7]
	s_bcnt1_i32_b32 s28, vcc_lo
	s_delay_alu instid0(SALU_CYCLE_1) | instskip(SKIP_1) | instid1(SALU_CYCLE_1)
	v_add_nc_u64_e32 v[8:9], s[28:29], v[8:9]
	s_bcnt1_i32_b32 s28, s9
	v_add_nc_u64_e32 v[10:11], s[28:29], v[10:11]
	s_and_not1_b32 exec_lo, exec_lo, s13
	s_cbranch_execz .LBB147_65
.LBB147_63:                             ;   Parent Loop BB147_10 Depth=1
                                        ; =>  This Inner Loop Header: Depth=2
	v_add_nc_u64_e32 v[28:29], v[28:29], v[2:3]
	v_mov_b32_e32 v23, 0
	s_mov_b32 s10, exec_lo
	s_delay_alu instid0(VALU_DEP_2)
	v_cmp_le_u64_e32 vcc_lo, s[36:37], v[28:29]
	s_wait_xcnt 0x0
	v_cmpx_gt_u64_e64 s[36:37], v[28:29]
	s_cbranch_execz .LBB147_62
; %bb.64:                               ;   in Loop: Header=BB147_63 Depth=2
	v_mul_u64_e32 v[30:31], s[30:31], v[28:29]
	s_delay_alu instid0(VALU_DEP_1)
	v_lshl_add_u64 v[30:31], v[30:31], 2, s[34:35]
	global_load_b32 v23, v[30:31], off
	s_branch .LBB147_62
.LBB147_65:                             ;   in Loop: Header=BB147_10 Depth=1
	s_or_b32 exec_lo, exec_lo, s13
.LBB147_66:                             ;   in Loop: Header=BB147_10 Depth=1
	s_delay_alu instid0(SALU_CYCLE_1)
	s_or_b32 exec_lo, exec_lo, s12
	s_branch .LBB147_45
.LBB147_67:                             ;   in Loop: Header=BB147_10 Depth=1
	global_load_u16 v2, v3, s[70:71]
	s_mov_b32 s79, s29
	v_mov_b64_e32 v[6:7], 0
	v_mov_b64_e32 v[8:9], 0
	;; [unrolled: 1-line block ×3, first 2 shown]
	s_mov_b32 s41, exec_lo
	s_wait_loadcnt 0x0
	v_readfirstlane_b32 s9, v2
	v_and_b32_e32 v2, 0xffff, v2
	s_and_b32 s40, 0xffff, s9
	s_delay_alu instid0(SALU_CYCLE_1) | instskip(NEXT) | instid1(SALU_CYCLE_1)
	s_lshl_b32 s76, s40, 2
	s_cvt_f32_u32 s9, s76
	s_sub_co_i32 s10, 0, s76
	s_delay_alu instid0(SALU_CYCLE_2) | instskip(SKIP_1) | instid1(TRANS32_DEP_1)
	v_rcp_iflag_f32_e32 v4, s9
	v_nop
	v_readfirstlane_b32 s9, v4
	s_mul_f32 s9, s9, 0x4f7ffffe
	s_delay_alu instid0(SALU_CYCLE_3) | instskip(NEXT) | instid1(SALU_CYCLE_3)
	s_cvt_u32_f32 s9, s9
	s_mul_i32 s10, s10, s9
	s_delay_alu instid0(SALU_CYCLE_1) | instskip(NEXT) | instid1(SALU_CYCLE_1)
	s_mul_hi_u32 s10, s9, s10
	s_add_co_i32 s9, s9, s10
	s_delay_alu instid0(SALU_CYCLE_1) | instskip(NEXT) | instid1(SALU_CYCLE_1)
	s_mul_hi_u32 s9, s74, s9
	s_mul_i32 s10, s9, s76
	s_add_co_i32 s11, s9, 1
	s_sub_co_i32 s10, s74, s10
	s_delay_alu instid0(SALU_CYCLE_1)
	s_sub_co_i32 s12, s10, s76
	s_cmp_ge_u32 s10, s76
	s_cselect_b32 s9, s11, s9
	s_cselect_b32 s10, s12, s10
	s_add_co_i32 s11, s9, 1
	s_cmp_ge_u32 s10, s76
	s_cselect_b32 s78, s11, s9
	s_delay_alu instid0(SALU_CYCLE_1) | instskip(NEXT) | instid1(VALU_DEP_1)
	v_mul_u64_e32 v[4:5], s[78:79], v[2:3]
	v_lshlrev_b64_e32 v[28:29], 2, v[4:5]
	v_mov_b64_e32 v[4:5], 0
	s_wait_xcnt 0x0
	s_delay_alu instid0(VALU_DEP_2)
	v_cmpx_gt_u64_e64 v[28:29], v[16:17]
	s_cbranch_execz .LBB147_71
; %bb.68:                               ;   in Loop: Header=BB147_10 Depth=1
	v_mov_b64_e32 v[30:31], v[16:17]
	v_mov_b32_e32 v23, v35
	s_mov_b32 s77, s29
	s_lshl_b32 s42, s40, 4
	s_mov_b64 s[80:81], 0
	s_mov_b32 s43, 0
	s_mov_b64 s[82:83], 0
	s_mov_b64 s[84:85], 0
	;; [unrolled: 1-line block ×3, first 2 shown]
.LBB147_69:                             ;   Parent Loop BB147_10 Depth=1
                                        ; =>  This Inner Loop Header: Depth=2
	ds_load_b128 v[4:7], v23
	v_add_nc_u64_e32 v[30:31], s[76:77], v[30:31]
	v_add_nc_u32_e32 v23, s42, v23
	s_delay_alu instid0(VALU_DEP_2)
	v_cmp_ge_u64_e32 vcc_lo, v[30:31], v[28:29]
	s_wait_dscnt 0x0
	v_xor_b32_e32 v8, 0x80000000, v4
	v_xor_b32_e32 v9, 0x80000000, v5
	v_bitop3_b32 v4, v4, v37, 0x80000000 bitop3:0x48
	v_bitop3_b32 v5, v5, v37, 0x80000000 bitop3:0x48
	v_xor_b32_e32 v10, 0x80000000, v6
	v_bitop3_b32 v6, v6, v37, 0x80000000 bitop3:0x48
	v_xor_b32_e32 v11, 0x80000000, v7
	v_cmp_eq_u32_e64 s9, v4, v34
	v_cmp_eq_u32_e64 s10, v5, v34
	v_bfe_u32 v4, v8, s96, 2
	v_bfe_u32 v5, v9, s96, 2
	v_cmp_eq_u32_e64 s11, v6, v34
	v_bfe_u32 v6, v10, s96, 2
	v_bitop3_b32 v7, v7, v37, 0x80000000 bitop3:0x48
	v_bfe_u32 v8, v11, s96, 2
	v_cmp_eq_u32_e64 s13, 0, v4
	v_cmp_eq_u32_e64 s14, 0, v5
	;; [unrolled: 1-line block ×12, first 2 shown]
	s_and_b32 s13, s9, s13
	s_and_b32 s14, s10, s14
	v_cmp_eq_u32_e64 s20, 1, v8
	v_cmp_eq_u32_e64 s23, 2, v6
	;; [unrolled: 1-line block ×3, first 2 shown]
	s_and_b32 s15, s11, s15
	s_and_b32 s17, s9, s17
	;; [unrolled: 1-line block ×3, first 2 shown]
	v_cndmask_b32_e64 v4, 0, 1, s13
	v_cndmask_b32_e64 v5, 0, 1, s14
	v_cmp_eq_u32_e64 s24, 2, v8
	v_cmp_eq_u32_e64 s28, 3, v8
	s_and_b32 s16, s12, s16
	s_and_b32 s19, s11, s19
	;; [unrolled: 1-line block ×4, first 2 shown]
	v_cndmask_b32_e64 v6, 0, 1, s15
	v_cndmask_b32_e64 v8, 0, 1, s17
	v_cndmask_b32_e64 v9, 0, 1, s18
	s_and_b32 s9, s9, s25
	s_and_b32 s10, s10, s26
	;; [unrolled: 1-line block ×4, first 2 shown]
	v_cndmask_b32_e64 v7, 0, 1, s16
	v_cndmask_b32_e64 v10, 0, 1, s19
	;; [unrolled: 1-line block ×4, first 2 shown]
	s_and_b32 s11, s11, s27
	v_cndmask_b32_e64 v41, 0, 1, s9
	v_cndmask_b32_e64 v42, 0, 1, s10
	v_cmp_ne_u32_e64 s9, 0, v4
	v_cmp_ne_u32_e64 s10, 0, v5
	s_and_b32 s24, s12, s24
	v_cndmask_b32_e64 v11, 0, 1, s20
	v_cndmask_b32_e64 v39, 0, 1, s23
	s_and_b32 s12, s12, s28
	v_cndmask_b32_e64 v43, 0, 1, s11
	v_cmp_ne_u32_e64 s11, 0, v6
	v_cmp_ne_u32_e64 s13, 0, v8
	;; [unrolled: 1-line block ×3, first 2 shown]
	v_cndmask_b32_e64 v40, 0, 1, s24
	v_cndmask_b32_e64 v44, 0, 1, s12
	v_cmp_ne_u32_e64 s12, 0, v7
	v_cmp_ne_u32_e64 s15, 0, v10
	;; [unrolled: 1-line block ×4, first 2 shown]
	s_bcnt1_i32_b32 s9, s9
	s_bcnt1_i32_b32 s10, s10
	v_cmp_ne_u32_e64 s16, 0, v11
	v_cmp_ne_u32_e64 s19, 0, v39
	;; [unrolled: 1-line block ×4, first 2 shown]
	s_bcnt1_i32_b32 s11, s11
	s_bcnt1_i32_b32 s13, s13
	;; [unrolled: 1-line block ×3, first 2 shown]
	s_add_co_i32 s9, s10, s9
	v_cmp_ne_u32_e64 s20, 0, v40
	v_cmp_ne_u32_e64 s23, 0, v43
	s_bcnt1_i32_b32 s12, s12
	s_bcnt1_i32_b32 s15, s15
	;; [unrolled: 1-line block ×4, first 2 shown]
	s_add_co_i32 s10, s14, s13
	s_add_co_i32 s9, s9, s11
	v_cmp_ne_u32_e64 s24, 0, v44
	s_bcnt1_i32_b32 s16, s16
	s_bcnt1_i32_b32 s19, s19
	;; [unrolled: 1-line block ×4, first 2 shown]
	s_add_co_i32 s13, s18, s17
	s_add_co_i32 s10, s10, s15
	;; [unrolled: 1-line block ×3, first 2 shown]
	s_bcnt1_i32_b32 s20, s20
	s_bcnt1_i32_b32 s23, s23
	s_add_co_i32 s14, s22, s21
	s_add_co_i32 s11, s13, s19
	s_add_nc_u64 s[86:87], s[86:87], s[28:29]
	s_add_co_i32 s28, s10, s16
	s_bcnt1_i32_b32 s24, s24
	s_add_co_i32 s13, s14, s23
	s_add_nc_u64 s[84:85], s[84:85], s[28:29]
	s_add_co_i32 s28, s11, s20
	v_mov_b64_e32 v[4:5], s[86:87]
	s_add_nc_u64 s[82:83], s[82:83], s[28:29]
	s_add_co_i32 s28, s13, s24
	v_mov_b64_e32 v[6:7], s[84:85]
	s_add_nc_u64 s[80:81], s[80:81], s[28:29]
	v_mov_b64_e32 v[8:9], s[82:83]
	v_mov_b64_e32 v[10:11], s[80:81]
	s_or_b32 s43, vcc_lo, s43
	s_delay_alu instid0(SALU_CYCLE_1)
	s_and_not1_b32 exec_lo, exec_lo, s43
	s_cbranch_execnz .LBB147_69
; %bb.70:                               ;   in Loop: Header=BB147_10 Depth=1
	s_or_b32 exec_lo, exec_lo, s43
.LBB147_71:                             ;   in Loop: Header=BB147_10 Depth=1
	s_delay_alu instid0(SALU_CYCLE_1) | instskip(SKIP_3) | instid1(VALU_DEP_1)
	s_or_b32 exec_lo, exec_lo, s41
	v_add_nc_u64_e32 v[28:29], v[28:29], v[0:1]
	s_and_b64 s[14:15], s[74:75], 0x7fffffff
	s_mov_b32 s16, exec_lo
	v_cmpx_gt_u64_e64 s[14:15], v[28:29]
	s_cbranch_execz .LBB147_75
; %bb.72:                               ;   in Loop: Header=BB147_10 Depth=1
	s_mul_i32 s9, s78, s40
	s_mov_b32 s17, 0
	v_lshl_add_u32 v23, s9, 4, v16
.LBB147_73:                             ;   Parent Loop BB147_10 Depth=1
                                        ; =>  This Inner Loop Header: Depth=2
	ds_load_b32 v24, v23
	v_add_nc_u64_e32 v[28:29], v[28:29], v[2:3]
	v_add_nc_u32_e32 v23, s76, v23
	s_delay_alu instid0(VALU_DEP_2) | instskip(SKIP_3) | instid1(VALU_DEP_2)
	v_cmp_le_u64_e32 vcc_lo, s[14:15], v[28:29]
	s_wait_dscnt 0x0
	v_xor_b32_e32 v30, 0x80000000, v24
	v_bitop3_b32 v24, v24, v37, 0x80000000 bitop3:0x48
	v_bfe_u32 v30, v30, s96, 2
	s_delay_alu instid0(VALU_DEP_2) | instskip(NEXT) | instid1(VALU_DEP_2)
	v_cmp_eq_u32_e64 s9, v24, v34
	v_cmp_eq_u32_e64 s10, 0, v30
	;; [unrolled: 1-line block ×5, first 2 shown]
	s_and_b32 s10, s9, s10
	s_delay_alu instid0(SALU_CYCLE_1) | instskip(SKIP_1) | instid1(SALU_CYCLE_1)
	v_cndmask_b32_e64 v24, 0, 1, s10
	s_and_b32 s10, s9, s11
	v_cndmask_b32_e64 v30, 0, 1, s10
	s_and_b32 s10, s9, s12
	s_and_b32 s9, s9, s13
	v_cndmask_b32_e64 v31, 0, 1, s10
	v_cndmask_b32_e64 v38, 0, 1, s9
	v_cmp_ne_u32_e64 s9, 0, v24
	v_cmp_ne_u32_e64 s10, 0, v30
	s_delay_alu instid0(VALU_DEP_4) | instskip(NEXT) | instid1(VALU_DEP_4)
	v_cmp_ne_u32_e64 s11, 0, v31
	v_cmp_ne_u32_e64 s12, 0, v38
	s_bcnt1_i32_b32 s28, s9
	s_delay_alu instid0(SALU_CYCLE_1) | instskip(SKIP_1) | instid1(SALU_CYCLE_1)
	v_add_nc_u64_e32 v[4:5], s[28:29], v[4:5]
	s_bcnt1_i32_b32 s28, s10
	v_add_nc_u64_e32 v[6:7], s[28:29], v[6:7]
	s_bcnt1_i32_b32 s28, s11
	s_delay_alu instid0(SALU_CYCLE_1)
	v_add_nc_u64_e32 v[8:9], s[28:29], v[8:9]
	s_bcnt1_i32_b32 s28, s12
	s_or_b32 s17, vcc_lo, s17
	v_add_nc_u64_e32 v[10:11], s[28:29], v[10:11]
	s_and_not1_b32 exec_lo, exec_lo, s17
	s_cbranch_execnz .LBB147_73
; %bb.74:                               ;   in Loop: Header=BB147_10 Depth=1
	s_or_b32 exec_lo, exec_lo, s17
.LBB147_75:                             ;   in Loop: Header=BB147_10 Depth=1
	s_delay_alu instid0(SALU_CYCLE_1)
	s_or_b32 exec_lo, exec_lo, s16
	s_lshl_b32 s9, s100, 7
	s_and_saveexec_b32 s10, s2
	s_cbranch_execnz .LBB147_46
	s_branch .LBB147_47
.LBB147_76:                             ;   in Loop: Header=BB147_10 Depth=1
                                        ; implicit-def: $sgpr10_sgpr11
	s_branch .LBB147_55
.LBB147_77:                             ;   in Loop: Header=BB147_10 Depth=1
	s_mov_b32 s11, 0
	s_and_not1_b32 vcc_lo, exec_lo, s94
	s_cbranch_vccnz .LBB147_80
.LBB147_78:                             ;   in Loop: Header=BB147_10 Depth=1
	s_lshl_b32 s12, s100, 10
	s_lshl_b32 s11, s11, 5
	s_delay_alu instid0(SALU_CYCLE_1)
	v_add3_u32 v2, s12, s11, v36
	s_mov_b32 s11, s91
.LBB147_79:                             ;   Parent Loop BB147_10 Depth=1
                                        ; =>  This Inner Loop Header: Depth=2
	ds_load_b64 v[6:7], v2
	v_add_nc_u32_e32 v2, 32, v2
	s_add_co_i32 s11, s11, -1
	s_delay_alu instid0(SALU_CYCLE_1)
	s_cmp_lg_u32 s11, 0
	s_wait_dscnt 0x0
	v_add_nc_u64_e32 v[4:5], v[6:7], v[4:5]
	s_cbranch_scc1 .LBB147_79
.LBB147_80:                             ;   in Loop: Header=BB147_10 Depth=1
	v_add_lshl_u32 v2, s9, v13, 3
	ds_store_b64 v2, v[4:5] offset:3072
.LBB147_81:                             ;   in Loop: Header=BB147_10 Depth=1
	s_or_b32 exec_lo, exec_lo, s10
	s_lshl_b32 s9, s9, 3
	s_wait_dscnt 0x0
	v_mov_b32_e32 v2, s9
	s_barrier_signal -1
	s_barrier_wait -1
	v_cmp_eq_u64_e64 s9, 1, v[26:27]
	ds_load_b128 v[4:7], v2 offset:3072
	ds_load_b128 v[8:11], v2 offset:3088
	s_lshl_b32 s24, 3, s96
	s_mov_b32 s77, -1
	s_not_b32 s26, s24
	s_mov_b32 s25, 0
	s_and_not1_b32 vcc_lo, exec_lo, s89
	s_mov_b32 s74, 0
	s_mov_b32 s27, 0
                                        ; implicit-def: $sgpr75
                                        ; implicit-def: $sgpr76
                                        ; implicit-def: $vgpr2
	s_wait_dscnt 0x1
	v_readfirstlane_b32 s13, v5
	v_readfirstlane_b32 s12, v4
	;; [unrolled: 1-line block ×4, first 2 shown]
	s_wait_dscnt 0x0
	v_readfirstlane_b32 s17, v9
	v_readfirstlane_b32 s16, v8
	;; [unrolled: 1-line block ×4, first 2 shown]
                                        ; implicit-def: $vgpr4_vgpr5
                                        ; implicit-def: $vgpr10
                                        ; implicit-def: $vgpr11
                                        ; implicit-def: $vgpr7
	s_cbranch_vccnz .LBB147_276
; %bb.82:                               ;   in Loop: Header=BB147_10 Depth=1
	s_cmp_eq_u64 s[12:13], 1
	v_dual_mov_b32 v10, v34 :: v_dual_mov_b32 v11, v37
	v_mov_b32_e32 v7, v25
	s_cselect_b32 s10, -1, 0
                                        ; implicit-def: $sgpr76
                                        ; implicit-def: $sgpr75
	s_delay_alu instid0(SALU_CYCLE_1)
	s_and_b32 s79, s10, s9
	s_mov_b32 s10, -1
	s_and_saveexec_b32 s27, s79
	s_cbranch_execz .LBB147_117
; %bb.83:                               ;   in Loop: Header=BB147_10 Depth=1
	ds_load_b64 v[4:5], v3 offset:5120
	s_wait_dscnt 0x0
	s_barrier_signal -1
	s_barrier_wait -1
	v_readfirstlane_b32 s10, v4
	v_readfirstlane_b32 s11, v5
	s_and_saveexec_b32 s20, s6
; %bb.84:                               ;   in Loop: Header=BB147_10 Depth=1
	ds_store_b32 v32, v3
; %bb.85:                               ;   in Loop: Header=BB147_10 Depth=1
	s_or_b32 exec_lo, exec_lo, s20
	v_and_b32_e32 v10, s26, v34
	v_or_b32_e32 v11, s24, v37
	s_mov_b32 s75, -1
	s_mov_b32 s76, 0
	s_cmp_eq_u64 s[10:11], 0
	s_mov_b32 s22, 0
	s_mov_b32 s23, -1
	s_wait_dscnt 0x0
	s_barrier_signal -1
	s_barrier_wait -1
                                        ; implicit-def: $vgpr7
	s_cbranch_scc1 .LBB147_102
; %bb.86:                               ;   in Loop: Header=BB147_10 Depth=1
	s_add_nc_u64 s[20:21], s[10:11], s[64:65]
	s_delay_alu instid0(SALU_CYCLE_1) | instskip(NEXT) | instid1(SALU_CYCLE_1)
	s_and_b64 s[22:23], s[20:21], 0xffffffff00000000
	s_cmp_lg_u64 s[22:23], 0
	s_cbranch_scc0 .LBB147_143
; %bb.87:                               ;   in Loop: Header=BB147_10 Depth=1
	s_cvt_f32_u32 s8, s48
	s_sub_nc_u64 s[40:41], 0, s[48:49]
	s_delay_alu instid0(SALU_CYCLE_2) | instskip(NEXT) | instid1(SALU_CYCLE_3)
	s_fmamk_f32 s8, s98, 0x0, s8
	v_s_rcp_f32 s8, s8
	s_delay_alu instid0(TRANS32_DEP_1) | instskip(NEXT) | instid1(SALU_CYCLE_3)
	s_mul_f32 s8, s8, 0x5f7ffffc
	s_mul_f32 s22, s8, 0x2f800000
	s_delay_alu instid0(SALU_CYCLE_3) | instskip(NEXT) | instid1(SALU_CYCLE_3)
	s_trunc_f32 s22, s22
	s_fmamk_f32 s8, s22, 0xcf800000, s8
	s_cvt_u32_f32 s23, s22
	s_delay_alu instid0(SALU_CYCLE_2) | instskip(NEXT) | instid1(SALU_CYCLE_3)
	s_cvt_u32_f32 s22, s8
	s_mul_u64 s[42:43], s[40:41], s[22:23]
	s_delay_alu instid0(SALU_CYCLE_1)
	s_mul_hi_u32 s45, s22, s43
	s_mul_i32 s44, s22, s43
	s_mul_hi_u32 s28, s22, s42
	s_mul_i32 s46, s23, s42
	s_add_nc_u64 s[44:45], s[28:29], s[44:45]
	s_mul_hi_u32 s8, s23, s42
	s_mul_hi_u32 s47, s23, s43
	s_add_co_u32 s28, s44, s46
	s_add_co_ci_u32 s28, s45, s8
	s_mul_i32 s42, s23, s43
	s_add_co_ci_u32 s43, s47, 0
	s_delay_alu instid0(SALU_CYCLE_1) | instskip(NEXT) | instid1(SALU_CYCLE_1)
	s_add_nc_u64 s[42:43], s[28:29], s[42:43]
	s_add_co_u32 s22, s22, s42
	s_cselect_b32 s8, -1, 0
	s_delay_alu instid0(SALU_CYCLE_1) | instskip(SKIP_1) | instid1(SALU_CYCLE_1)
	s_cmp_lg_u32 s8, 0
	s_add_co_ci_u32 s23, s23, s43
	s_mul_u64 s[40:41], s[40:41], s[22:23]
	s_delay_alu instid0(SALU_CYCLE_1)
	s_mul_hi_u32 s43, s22, s41
	s_mul_i32 s42, s22, s41
	s_mul_hi_u32 s28, s22, s40
	s_mul_i32 s44, s23, s40
	s_add_nc_u64 s[42:43], s[28:29], s[42:43]
	s_mul_hi_u32 s8, s23, s40
	s_mul_hi_u32 s45, s23, s41
	s_add_co_u32 s28, s42, s44
	s_add_co_ci_u32 s28, s43, s8
	s_mul_i32 s40, s23, s41
	s_add_co_ci_u32 s41, s45, 0
	s_delay_alu instid0(SALU_CYCLE_1) | instskip(NEXT) | instid1(SALU_CYCLE_1)
	s_add_nc_u64 s[40:41], s[28:29], s[40:41]
	s_add_co_u32 s8, s22, s40
	s_cselect_b32 s22, -1, 0
	s_mul_hi_u32 s28, s20, s8
	s_cmp_lg_u32 s22, 0
	s_mul_hi_u32 s42, s21, s8
	s_add_co_ci_u32 s40, s23, s41
	s_mul_i32 s8, s21, s8
	s_mul_hi_u32 s23, s20, s40
	s_mul_i32 s22, s20, s40
	s_mul_hi_u32 s41, s21, s40
	s_add_nc_u64 s[22:23], s[28:29], s[22:23]
	s_mul_i32 s40, s21, s40
	s_add_co_u32 s8, s22, s8
	s_add_co_ci_u32 s28, s23, s42
	s_add_co_ci_u32 s41, s41, 0
	s_delay_alu instid0(SALU_CYCLE_1) | instskip(NEXT) | instid1(SALU_CYCLE_1)
	s_add_nc_u64 s[22:23], s[28:29], s[40:41]
	s_and_b64 s[40:41], s[22:23], 0xffffffff00000000
	s_delay_alu instid0(SALU_CYCLE_1) | instskip(NEXT) | instid1(SALU_CYCLE_1)
	s_or_b32 s40, s40, s22
	s_mul_u64 s[22:23], s[48:49], s[40:41]
	s_delay_alu instid0(SALU_CYCLE_1) | instskip(SKIP_1) | instid1(SALU_CYCLE_1)
	s_sub_co_u32 s8, s20, s22
	s_cselect_b32 s22, -1, 0
	s_cmp_lg_u32 s22, 0
	s_sub_co_ci_u32 s22, s21, s23
	s_sub_co_u32 s23, s8, s48
	s_cselect_b32 s28, -1, 0
	s_delay_alu instid0(SALU_CYCLE_1) | instskip(SKIP_3) | instid1(SALU_CYCLE_1)
	s_cmp_lg_u32 s28, 0
	s_sub_co_ci_u32 s28, s22, 0
	s_sub_co_u32 s40, s23, s48
	s_cselect_b32 s41, -1, 0
	s_cmp_lg_u32 s41, 0
	s_sub_co_ci_u32 s41, s28, 0
	s_cmp_ge_u32 s23, s48
	s_cselect_b32 s42, -1, 0
	s_cmp_eq_u32 s28, 0
	s_cselect_b32 s42, s42, -1
	s_delay_alu instid0(SALU_CYCLE_1)
	s_cmp_lg_u32 s42, 0
	s_cselect_b32 s28, s41, s28
	s_cselect_b32 s40, s40, s23
	s_cmp_ge_u32 s8, s48
	s_cselect_b32 s23, -1, 0
	s_cmp_eq_u32 s22, 0
	s_cselect_b32 s23, s23, -1
	s_delay_alu instid0(SALU_CYCLE_1)
	s_cmp_lg_u32 s23, 0
	s_cselect_b32 s23, s28, s22
	s_cselect_b32 s22, s40, s8
	s_cbranch_execnz .LBB147_89
.LBB147_88:                             ;   in Loop: Header=BB147_10 Depth=1
	v_cvt_f32_u32_e32 v2, s48
	s_sub_co_i32 s22, 0, s48
	s_delay_alu instid0(VALU_DEP_1) | instskip(SKIP_1) | instid1(TRANS32_DEP_1)
	v_rcp_iflag_f32_e32 v2, v2
	v_nop
	v_mul_f32_e32 v2, 0x4f7ffffe, v2
	s_delay_alu instid0(VALU_DEP_1) | instskip(NEXT) | instid1(VALU_DEP_1)
	v_cvt_u32_f32_e32 v2, v2
	v_readfirstlane_b32 s8, v2
	s_mul_i32 s22, s22, s8
	s_delay_alu instid0(SALU_CYCLE_1) | instskip(NEXT) | instid1(SALU_CYCLE_1)
	s_mul_hi_u32 s22, s8, s22
	s_add_co_i32 s8, s8, s22
	s_delay_alu instid0(SALU_CYCLE_1) | instskip(NEXT) | instid1(SALU_CYCLE_1)
	s_mul_hi_u32 s8, s20, s8
	s_mul_i32 s8, s8, s48
	s_delay_alu instid0(SALU_CYCLE_1) | instskip(NEXT) | instid1(SALU_CYCLE_1)
	s_sub_co_i32 s8, s20, s8
	s_sub_co_i32 s22, s8, s48
	s_cmp_ge_u32 s8, s48
	s_cselect_b32 s8, s22, s8
	s_delay_alu instid0(SALU_CYCLE_1) | instskip(SKIP_2) | instid1(SALU_CYCLE_1)
	s_sub_co_i32 s22, s8, s48
	s_cmp_ge_u32 s8, s48
	s_cselect_b32 s28, s22, s8
	s_mov_b64 s[22:23], s[28:29]
.LBB147_89:                             ;   in Loop: Header=BB147_10 Depth=1
	s_delay_alu instid0(SALU_CYCLE_1)
	s_sub_nc_u64 s[20:21], s[20:21], s[22:23]
	s_mov_b32 s23, 0
	s_mov_b32 s22, 0
	s_mov_b32 s28, exec_lo
                                        ; implicit-def: $vgpr7
	v_cmpx_gt_u64_e64 s[20:21], v[0:1]
	s_cbranch_execz .LBB147_101
; %bb.90:                               ;   in Loop: Header=BB147_10 Depth=1
	v_mov_b64_e32 v[4:5], v[0:1]
	v_mov_b32_e32 v2, v16
                                        ; implicit-def: $sgpr40
	s_branch .LBB147_93
.LBB147_91:                             ;   in Loop: Header=BB147_93 Depth=2
	s_or_b32 exec_lo, exec_lo, s41
	s_wait_dscnt 0x0
	s_barrier_signal -1
	s_barrier_wait -1
	ds_load_b64 v[6:7], v3 offset:3072
	s_mov_b32 s41, -1
	s_mov_b32 s42, -1
	s_wait_dscnt 0x0
	s_barrier_signal -1
	s_barrier_wait -1
	v_cmp_ne_u32_e32 vcc_lo, 0, v6
	s_cbranch_vccz .LBB147_96
.LBB147_92:                             ;   in Loop: Header=BB147_93 Depth=2
	s_and_b32 s8, exec_lo, s41
	s_delay_alu instid0(SALU_CYCLE_1) | instskip(SKIP_2) | instid1(SALU_CYCLE_1)
	s_or_b32 s22, s8, s22
	s_and_not1_b32 s8, s40, exec_lo
	s_and_b32 s40, s42, exec_lo
	s_or_b32 s40, s8, s40
	s_and_not1_b32 exec_lo, exec_lo, s22
	s_cbranch_execz .LBB147_100
.LBB147_93:                             ;   Parent Loop BB147_10 Depth=1
                                        ; =>  This Inner Loop Header: Depth=2
	s_mov_b32 s41, exec_lo
	s_delay_alu instid0(VALU_DEP_2)
	v_cmpx_gt_u64_e64 s[10:11], v[4:5]
	s_cbranch_execz .LBB147_91
; %bb.94:                               ;   in Loop: Header=BB147_93 Depth=2
	ds_load_b32 v23, v2
	s_wait_dscnt 0x0
	v_bitop3_b32 v6, v23, v11, 0x80000000 bitop3:0x48
	s_delay_alu instid0(VALU_DEP_1)
	v_cmp_eq_u32_e32 vcc_lo, v6, v10
	s_and_b32 exec_lo, exec_lo, vcc_lo
	s_cbranch_execz .LBB147_91
; %bb.95:                               ;   in Loop: Header=BB147_93 Depth=2
	ds_store_b64 v3, v[22:23] offset:3072
	s_branch .LBB147_91
.LBB147_96:                             ;   in Loop: Header=BB147_93 Depth=2
	v_add_nc_u64_e32 v[4:5], s[48:49], v[4:5]
	v_add_nc_u32_e32 v2, s95, v2
	s_mov_b32 s42, 0
	s_delay_alu instid0(VALU_DEP_2)
	v_cmp_le_u64_e32 vcc_lo, s[20:21], v[4:5]
	s_or_not1_b32 s41, vcc_lo, exec_lo
	s_branch .LBB147_92
.LBB147_97:                             ;   in Loop: Header=BB147_10 Depth=1
	s_or_b32 exec_lo, exec_lo, s12
	s_wait_dscnt 0x0
	s_barrier_signal -1
	s_barrier_wait -1
	s_and_saveexec_b32 s9, s5
	s_cbranch_execz .LBB147_99
; %bb.98:                               ;   in Loop: Header=BB147_10 Depth=1
	ds_load_b32 v4, v3 offset:5144
	s_wait_dscnt 0x0
	v_ashrrev_i32_e32 v5, 31, v4
	ds_store_b64 v3, v[4:5] offset:5120
.LBB147_99:                             ;   in Loop: Header=BB147_10 Depth=1
	s_or_b32 exec_lo, exec_lo, s9
	s_wait_dscnt 0x0
	s_barrier_signal -1
	s_mov_b32 s9, -1
	s_barrier_wait -1
	s_and_b32 vcc_lo, exec_lo, s11
	s_cbranch_vccnz .LBB147_26
	s_branch .LBB147_41
.LBB147_100:                            ;   in Loop: Header=BB147_10 Depth=1
	s_or_b32 exec_lo, exec_lo, s22
	s_delay_alu instid0(SALU_CYCLE_1)
	s_and_b32 s22, s40, exec_lo
.LBB147_101:                            ;   in Loop: Header=BB147_10 Depth=1
	s_or_b32 exec_lo, exec_lo, s28
.LBB147_102:                            ;   in Loop: Header=BB147_10 Depth=1
	s_delay_alu instid0(SALU_CYCLE_1)
	s_and_b32 vcc_lo, exec_lo, s23
	s_cbranch_vccz .LBB147_116
; %bb.103:                              ;   in Loop: Header=BB147_10 Depth=1
	s_and_b64 s[10:11], s[66:67], 0xffffffff00000000
	s_delay_alu instid0(SALU_CYCLE_1)
	s_cmp_lg_u64 s[10:11], 0
	s_cbranch_scc0 .LBB147_144
; %bb.104:                              ;   in Loop: Header=BB147_10 Depth=1
	s_cvt_f32_u32 s8, s48
	s_sub_nc_u64 s[20:21], 0, s[48:49]
	s_delay_alu instid0(SALU_CYCLE_2) | instskip(NEXT) | instid1(SALU_CYCLE_3)
	s_fmamk_f32 s8, s98, 0x0, s8
	v_s_rcp_f32 s8, s8
	s_delay_alu instid0(TRANS32_DEP_1) | instskip(NEXT) | instid1(SALU_CYCLE_3)
	s_mul_f32 s8, s8, 0x5f7ffffc
	s_mul_f32 s10, s8, 0x2f800000
	s_delay_alu instid0(SALU_CYCLE_3) | instskip(NEXT) | instid1(SALU_CYCLE_3)
	s_trunc_f32 s10, s10
	s_fmamk_f32 s8, s10, 0xcf800000, s8
	s_cvt_u32_f32 s11, s10
	s_delay_alu instid0(SALU_CYCLE_2) | instskip(NEXT) | instid1(SALU_CYCLE_3)
	s_cvt_u32_f32 s10, s8
	s_mul_u64 s[40:41], s[20:21], s[10:11]
	s_delay_alu instid0(SALU_CYCLE_1)
	s_mul_hi_u32 s43, s10, s41
	s_mul_i32 s42, s10, s41
	s_mul_hi_u32 s28, s10, s40
	s_mul_i32 s23, s11, s40
	s_add_nc_u64 s[42:43], s[28:29], s[42:43]
	s_mul_hi_u32 s8, s11, s40
	s_mul_hi_u32 s44, s11, s41
	s_add_co_u32 s23, s42, s23
	s_add_co_ci_u32 s28, s43, s8
	s_mul_i32 s40, s11, s41
	s_add_co_ci_u32 s41, s44, 0
	s_delay_alu instid0(SALU_CYCLE_1) | instskip(NEXT) | instid1(SALU_CYCLE_1)
	s_add_nc_u64 s[40:41], s[28:29], s[40:41]
	s_add_co_u32 s10, s10, s40
	s_cselect_b32 s8, -1, 0
	s_delay_alu instid0(SALU_CYCLE_1) | instskip(SKIP_1) | instid1(SALU_CYCLE_1)
	s_cmp_lg_u32 s8, 0
	s_add_co_ci_u32 s11, s11, s41
	s_mul_u64 s[20:21], s[20:21], s[10:11]
	s_delay_alu instid0(SALU_CYCLE_1)
	s_mul_hi_u32 s41, s10, s21
	s_mul_i32 s40, s10, s21
	s_mul_hi_u32 s28, s10, s20
	s_mul_i32 s23, s11, s20
	s_add_nc_u64 s[40:41], s[28:29], s[40:41]
	s_mul_hi_u32 s8, s11, s20
	s_mul_hi_u32 s42, s11, s21
	s_mul_i32 s20, s11, s21
	s_add_co_u32 s21, s40, s23
	s_add_co_ci_u32 s28, s41, s8
	s_add_co_ci_u32 s21, s42, 0
	s_delay_alu instid0(SALU_CYCLE_1) | instskip(NEXT) | instid1(SALU_CYCLE_1)
	s_add_nc_u64 s[20:21], s[28:29], s[20:21]
	s_add_co_u32 s8, s10, s20
	s_cselect_b32 s10, -1, 0
	s_mul_hi_u32 s28, s66, s8
	s_cmp_lg_u32 s10, 0
	s_mul_hi_u32 s23, s67, s8
	s_add_co_ci_u32 s20, s11, s21
	s_mul_i32 s8, s67, s8
	s_mul_hi_u32 s11, s66, s20
	s_mul_i32 s10, s66, s20
	s_mul_hi_u32 s21, s67, s20
	s_add_nc_u64 s[10:11], s[28:29], s[10:11]
	s_mul_i32 s20, s67, s20
	s_add_co_u32 s8, s10, s8
	s_add_co_ci_u32 s28, s11, s23
	s_add_co_ci_u32 s21, s21, 0
	s_delay_alu instid0(SALU_CYCLE_1) | instskip(NEXT) | instid1(SALU_CYCLE_1)
	s_add_nc_u64 s[10:11], s[28:29], s[20:21]
	s_and_b64 s[20:21], s[10:11], 0xffffffff00000000
	s_delay_alu instid0(SALU_CYCLE_1) | instskip(NEXT) | instid1(SALU_CYCLE_1)
	s_or_b32 s20, s20, s10
	s_mul_u64 s[10:11], s[48:49], s[20:21]
	s_delay_alu instid0(SALU_CYCLE_1) | instskip(SKIP_1) | instid1(SALU_CYCLE_1)
	s_sub_co_u32 s8, s66, s10
	s_cselect_b32 s10, -1, 0
	s_cmp_lg_u32 s10, 0
	s_sub_co_ci_u32 s10, s67, s11
	s_sub_co_u32 s11, s8, s48
	s_cselect_b32 s20, -1, 0
	s_delay_alu instid0(SALU_CYCLE_1) | instskip(SKIP_3) | instid1(SALU_CYCLE_1)
	s_cmp_lg_u32 s20, 0
	s_sub_co_ci_u32 s20, s10, 0
	s_sub_co_u32 s21, s11, s48
	s_cselect_b32 s23, -1, 0
	s_cmp_lg_u32 s23, 0
	s_sub_co_ci_u32 s23, s20, 0
	s_cmp_ge_u32 s11, s48
	s_cselect_b32 s28, -1, 0
	s_cmp_eq_u32 s20, 0
	s_cselect_b32 s28, s28, -1
	s_delay_alu instid0(SALU_CYCLE_1)
	s_cmp_lg_u32 s28, 0
	s_cselect_b32 s20, s23, s20
	s_cselect_b32 s21, s21, s11
	s_cmp_ge_u32 s8, s48
	s_cselect_b32 s11, -1, 0
	s_cmp_eq_u32 s10, 0
	s_cselect_b32 s11, s11, -1
	s_delay_alu instid0(SALU_CYCLE_1)
	s_cmp_lg_u32 s11, 0
	s_cselect_b32 s11, s20, s10
	s_cselect_b32 s10, s21, s8
	s_cbranch_execnz .LBB147_106
.LBB147_105:                            ;   in Loop: Header=BB147_10 Depth=1
	v_cvt_f32_u32_e32 v2, s48
	s_sub_co_i32 s10, 0, s48
	s_delay_alu instid0(VALU_DEP_1) | instskip(SKIP_1) | instid1(TRANS32_DEP_1)
	v_rcp_iflag_f32_e32 v2, v2
	v_nop
	v_mul_f32_e32 v2, 0x4f7ffffe, v2
	s_delay_alu instid0(VALU_DEP_1) | instskip(NEXT) | instid1(VALU_DEP_1)
	v_cvt_u32_f32_e32 v2, v2
	v_readfirstlane_b32 s8, v2
	s_mul_i32 s10, s10, s8
	s_delay_alu instid0(SALU_CYCLE_1) | instskip(NEXT) | instid1(SALU_CYCLE_1)
	s_mul_hi_u32 s10, s8, s10
	s_add_co_i32 s8, s8, s10
	s_delay_alu instid0(SALU_CYCLE_1) | instskip(NEXT) | instid1(SALU_CYCLE_1)
	s_mul_hi_u32 s8, s66, s8
	s_mul_i32 s8, s8, s48
	s_delay_alu instid0(SALU_CYCLE_1) | instskip(NEXT) | instid1(SALU_CYCLE_1)
	s_sub_co_i32 s8, s66, s8
	s_sub_co_i32 s10, s8, s48
	s_cmp_ge_u32 s8, s48
	s_cselect_b32 s8, s10, s8
	s_delay_alu instid0(SALU_CYCLE_1) | instskip(SKIP_2) | instid1(SALU_CYCLE_1)
	s_sub_co_i32 s10, s8, s48
	s_cmp_ge_u32 s8, s48
	s_cselect_b32 s28, s10, s8
	s_mov_b64 s[10:11], s[28:29]
.LBB147_106:                            ;   in Loop: Header=BB147_10 Depth=1
	s_delay_alu instid0(SALU_CYCLE_1)
	s_sub_nc_u64 s[10:11], s[66:67], s[10:11]
	s_mov_b32 s20, exec_lo
                                        ; implicit-def: $vgpr7
	v_cmpx_gt_u64_e64 s[10:11], v[0:1]
	s_cbranch_execz .LBB147_115
; %bb.107:                              ;   in Loop: Header=BB147_10 Depth=1
	v_mov_b64_e32 v[4:5], v[0:1]
	s_mov_b32 s21, 0
                                        ; implicit-def: $sgpr23
	s_branch .LBB147_110
.LBB147_108:                            ;   in Loop: Header=BB147_110 Depth=2
	s_or_b32 exec_lo, exec_lo, s28
	s_wait_dscnt 0x0
	s_barrier_signal -1
	s_barrier_wait -1
	ds_load_b64 v[6:7], v3 offset:3072
	s_mov_b32 s40, -1
	s_mov_b32 s28, -1
	s_wait_dscnt 0x0
	s_barrier_signal -1
	s_barrier_wait -1
	v_cmp_ne_u32_e32 vcc_lo, 0, v6
	s_cbranch_vccz .LBB147_113
.LBB147_109:                            ;   in Loop: Header=BB147_110 Depth=2
	s_and_b32 s8, exec_lo, s40
	s_delay_alu instid0(SALU_CYCLE_1) | instskip(SKIP_2) | instid1(SALU_CYCLE_1)
	s_or_b32 s21, s8, s21
	s_and_not1_b32 s8, s23, exec_lo
	s_and_b32 s23, s28, exec_lo
	s_or_b32 s23, s8, s23
	s_and_not1_b32 exec_lo, exec_lo, s21
	s_cbranch_execz .LBB147_114
.LBB147_110:                            ;   Parent Loop BB147_10 Depth=1
                                        ; =>  This Inner Loop Header: Depth=2
	s_mov_b32 s28, exec_lo
	s_delay_alu instid0(VALU_DEP_1)
	v_cmpx_gt_u64_e64 s[36:37], v[4:5]
	s_cbranch_execz .LBB147_108
; %bb.111:                              ;   in Loop: Header=BB147_110 Depth=2
	v_mul_u64_e32 v[6:7], s[30:31], v[4:5]
	s_delay_alu instid0(VALU_DEP_1) | instskip(SKIP_3) | instid1(VALU_DEP_1)
	v_lshl_add_u64 v[6:7], v[6:7], 2, s[34:35]
	global_load_b32 v23, v[6:7], off
	s_wait_loadcnt 0x0
	v_bitop3_b32 v2, v23, v11, 0x80000000 bitop3:0x48
	v_cmp_eq_u32_e32 vcc_lo, v2, v10
	s_wait_xcnt 0x0
	s_and_b32 exec_lo, exec_lo, vcc_lo
	s_cbranch_execz .LBB147_108
; %bb.112:                              ;   in Loop: Header=BB147_110 Depth=2
	ds_store_b64 v3, v[22:23] offset:3072
	s_branch .LBB147_108
.LBB147_113:                            ;   in Loop: Header=BB147_110 Depth=2
	v_add_nc_u64_e32 v[4:5], s[48:49], v[4:5]
	s_mov_b32 s28, 0
	s_delay_alu instid0(VALU_DEP_1)
	v_cmp_le_u64_e32 vcc_lo, s[10:11], v[4:5]
	s_or_not1_b32 s40, vcc_lo, exec_lo
	s_branch .LBB147_109
.LBB147_114:                            ;   in Loop: Header=BB147_10 Depth=1
	s_or_b32 exec_lo, exec_lo, s21
	s_delay_alu instid0(SALU_CYCLE_1) | instskip(SKIP_1) | instid1(SALU_CYCLE_1)
	s_and_not1_b32 s8, s22, exec_lo
	s_and_b32 s10, s23, exec_lo
	s_or_b32 s22, s8, s10
.LBB147_115:                            ;   in Loop: Header=BB147_10 Depth=1
	s_or_b32 exec_lo, exec_lo, s20
	s_mov_b32 s75, 0
	s_mov_b32 s76, -1
.LBB147_116:                            ;   in Loop: Header=BB147_10 Depth=1
	s_or_not1_b32 s10, s22, exec_lo
.LBB147_117:                            ;   in Loop: Header=BB147_10 Depth=1
	s_or_b32 exec_lo, exec_lo, s27
	s_mov_b32 s77, 0
	s_mov_b32 s74, 0
	s_mov_b32 s27, 0
                                        ; implicit-def: $vgpr4_vgpr5
                                        ; implicit-def: $vgpr2
	s_and_saveexec_b32 s78, s10
	s_cbranch_execz .LBB147_275
; %bb.118:                              ;   in Loop: Header=BB147_10 Depth=1
	v_mov_b64_e32 v[4:5], 1
	v_mov_b32_e32 v2, 1
	s_xor_b32 s8, s79, -1
	s_mov_b32 s11, 0
	s_and_saveexec_b32 s10, s8
	s_cbranch_execz .LBB147_127
; %bb.119:                              ;   in Loop: Header=BB147_10 Depth=1
	s_mov_b32 s8, exec_lo
	v_cmpx_ge_u64_e64 s[12:13], v[26:27]
	s_xor_b32 s11, exec_lo, s8
	s_cbranch_execz .LBB147_124
; %bb.120:                              ;   in Loop: Header=BB147_10 Depth=1
	ds_load_b64 v[4:5], v3 offset:5120
	v_and_b32_e32 v10, s26, v10
	v_or_b32_e32 v11, s24, v11
	s_wait_dscnt 0x0
	v_cmp_ne_u64_e32 vcc_lo, 0, v[4:5]
	s_cbranch_vccnz .LBB147_124
; %bb.121:                              ;   in Loop: Header=BB147_10 Depth=1
	s_and_saveexec_b32 s20, s5
; %bb.122:                              ;   in Loop: Header=BB147_10 Depth=1
	v_mov_b64_e32 v[4:5], s[12:13]
	ds_store_b64 v3, v[4:5] offset:5128
; %bb.123:                              ;   in Loop: Header=BB147_10 Depth=1
	s_or_b32 exec_lo, exec_lo, s20
	s_wait_dscnt 0x0
	s_barrier_signal -1
	s_barrier_wait -1
.LBB147_124:                            ;   in Loop: Header=BB147_10 Depth=1
	s_or_saveexec_b32 s11, s11
	v_mov_b64_e32 v[4:5], v[26:27]
	v_mov_b32_e32 v2, 8
	s_mov_b32 s20, 0
	s_xor_b32 exec_lo, exec_lo, s11
; %bb.125:                              ;   in Loop: Header=BB147_10 Depth=1
	v_sub_nc_u64_e64 v[4:5], v[26:27], s[12:13]
	v_mov_b32_e32 v2, 0
	s_mov_b32 s20, exec_lo
; %bb.126:                              ;   in Loop: Header=BB147_10 Depth=1
	s_or_b32 exec_lo, exec_lo, s11
	s_delay_alu instid0(SALU_CYCLE_1)
	s_and_b32 s11, s20, exec_lo
.LBB147_127:                            ;   in Loop: Header=BB147_10 Depth=1
	s_or_b32 exec_lo, exec_lo, s10
	s_mov_b32 s10, -1
                                        ; implicit-def: $sgpr74
                                        ; implicit-def: $sgpr79
	s_and_saveexec_b32 s8, s11
	s_delay_alu instid0(SALU_CYCLE_1)
	s_xor_b32 s27, exec_lo, s8
	s_cbranch_execz .LBB147_272
; %bb.128:                              ;   in Loop: Header=BB147_10 Depth=1
	v_cmp_eq_u64_e32 vcc_lo, 1, v[4:5]
	s_cmp_eq_u64 s[14:15], 1
                                        ; implicit-def: $sgpr79
                                        ; implicit-def: $sgpr74
	s_cselect_b32 s10, -1, 0
	s_delay_alu instid0(SALU_CYCLE_1)
	s_and_b32 s81, s10, vcc_lo
	s_mov_b32 s10, -1
	s_and_saveexec_b32 s80, s81
	s_cbranch_execz .LBB147_162
; %bb.129:                              ;   in Loop: Header=BB147_10 Depth=1
	ds_load_b64 v[6:7], v3 offset:5120
	s_wait_dscnt 0x0
	s_barrier_signal -1
	s_barrier_wait -1
	v_readfirstlane_b32 s10, v6
	v_readfirstlane_b32 s11, v7
	s_and_saveexec_b32 s20, s6
; %bb.130:                              ;   in Loop: Header=BB147_10 Depth=1
	ds_store_b32 v32, v3
; %bb.131:                              ;   in Loop: Header=BB147_10 Depth=1
	s_or_b32 exec_lo, exec_lo, s20
	s_lshl_b32 s20, 1, s96
	v_or_b32_e32 v11, s24, v11
	v_and_or_b32 v10, v10, s26, s20
	s_mov_b32 s74, -1
	s_mov_b32 s79, 0
	s_cmp_eq_u64 s[10:11], 0
	s_mov_b32 s22, 0
	s_mov_b32 s23, -1
	s_wait_dscnt 0x0
	s_barrier_signal -1
	s_barrier_wait -1
                                        ; implicit-def: $vgpr7
	s_cbranch_scc1 .LBB147_147
; %bb.132:                              ;   in Loop: Header=BB147_10 Depth=1
	s_add_nc_u64 s[20:21], s[10:11], s[64:65]
	s_delay_alu instid0(SALU_CYCLE_1) | instskip(NEXT) | instid1(SALU_CYCLE_1)
	s_and_b64 s[22:23], s[20:21], 0xffffffff00000000
	s_cmp_lg_u64 s[22:23], 0
	s_cbranch_scc0 .LBB147_188
; %bb.133:                              ;   in Loop: Header=BB147_10 Depth=1
	s_cvt_f32_u32 s22, s48
	s_sub_nc_u64 s[40:41], 0, s[48:49]
	s_delay_alu instid0(SALU_CYCLE_2) | instskip(NEXT) | instid1(SALU_CYCLE_3)
	s_fmamk_f32 s22, s98, 0x0, s22
	v_s_rcp_f32 s22, s22
	s_delay_alu instid0(TRANS32_DEP_1) | instskip(NEXT) | instid1(SALU_CYCLE_3)
	s_mul_f32 s22, s22, 0x5f7ffffc
	s_mul_f32 s23, s22, 0x2f800000
	s_delay_alu instid0(SALU_CYCLE_3) | instskip(NEXT) | instid1(SALU_CYCLE_3)
	s_trunc_f32 s23, s23
	s_fmamk_f32 s22, s23, 0xcf800000, s22
	s_cvt_u32_f32 s23, s23
	s_delay_alu instid0(SALU_CYCLE_2) | instskip(NEXT) | instid1(SALU_CYCLE_3)
	s_cvt_u32_f32 s22, s22
	s_mul_u64 s[42:43], s[40:41], s[22:23]
	s_delay_alu instid0(SALU_CYCLE_1)
	s_mul_hi_u32 s45, s22, s43
	s_mul_i32 s44, s22, s43
	s_mul_hi_u32 s28, s22, s42
	s_mul_i32 s47, s23, s42
	s_add_nc_u64 s[44:45], s[28:29], s[44:45]
	s_mul_hi_u32 s46, s23, s42
	s_mul_hi_u32 s82, s23, s43
	s_add_co_u32 s28, s44, s47
	s_add_co_ci_u32 s28, s45, s46
	s_mul_i32 s42, s23, s43
	s_add_co_ci_u32 s43, s82, 0
	s_delay_alu instid0(SALU_CYCLE_1) | instskip(NEXT) | instid1(SALU_CYCLE_1)
	s_add_nc_u64 s[42:43], s[28:29], s[42:43]
	s_add_co_u32 s22, s22, s42
	s_cselect_b32 s28, -1, 0
	s_delay_alu instid0(SALU_CYCLE_1) | instskip(SKIP_1) | instid1(SALU_CYCLE_1)
	s_cmp_lg_u32 s28, 0
	s_add_co_ci_u32 s23, s23, s43
	s_mul_u64 s[40:41], s[40:41], s[22:23]
	s_delay_alu instid0(SALU_CYCLE_1)
	s_mul_hi_u32 s43, s22, s41
	s_mul_i32 s42, s22, s41
	s_mul_hi_u32 s28, s22, s40
	s_mul_i32 s45, s23, s40
	s_add_nc_u64 s[42:43], s[28:29], s[42:43]
	s_mul_hi_u32 s44, s23, s40
	s_mul_hi_u32 s46, s23, s41
	s_add_co_u32 s28, s42, s45
	s_add_co_ci_u32 s28, s43, s44
	s_mul_i32 s40, s23, s41
	s_add_co_ci_u32 s41, s46, 0
	s_delay_alu instid0(SALU_CYCLE_1) | instskip(NEXT) | instid1(SALU_CYCLE_1)
	s_add_nc_u64 s[40:41], s[28:29], s[40:41]
	s_add_co_u32 s22, s22, s40
	s_cselect_b32 s40, -1, 0
	s_mul_hi_u32 s28, s20, s22
	s_cmp_lg_u32 s40, 0
	s_mul_hi_u32 s42, s21, s22
	s_add_co_ci_u32 s40, s23, s41
	s_mul_i32 s41, s21, s22
	s_mul_hi_u32 s23, s20, s40
	s_mul_i32 s22, s20, s40
	s_mul_hi_u32 s43, s21, s40
	s_add_nc_u64 s[22:23], s[28:29], s[22:23]
	s_mul_i32 s40, s21, s40
	s_add_co_u32 s22, s22, s41
	s_add_co_ci_u32 s28, s23, s42
	s_add_co_ci_u32 s41, s43, 0
	s_delay_alu instid0(SALU_CYCLE_1) | instskip(NEXT) | instid1(SALU_CYCLE_1)
	s_add_nc_u64 s[22:23], s[28:29], s[40:41]
	s_and_b64 s[40:41], s[22:23], 0xffffffff00000000
	s_delay_alu instid0(SALU_CYCLE_1) | instskip(NEXT) | instid1(SALU_CYCLE_1)
	s_or_b32 s40, s40, s22
	s_mul_u64 s[22:23], s[48:49], s[40:41]
	s_delay_alu instid0(SALU_CYCLE_1) | instskip(SKIP_1) | instid1(SALU_CYCLE_1)
	s_sub_co_u32 s22, s20, s22
	s_cselect_b32 s28, -1, 0
	s_cmp_lg_u32 s28, 0
	s_sub_co_ci_u32 s23, s21, s23
	s_sub_co_u32 s28, s22, s48
	s_cselect_b32 s40, -1, 0
	s_delay_alu instid0(SALU_CYCLE_1) | instskip(SKIP_3) | instid1(SALU_CYCLE_1)
	s_cmp_lg_u32 s40, 0
	s_sub_co_ci_u32 s40, s23, 0
	s_sub_co_u32 s41, s28, s48
	s_cselect_b32 s42, -1, 0
	s_cmp_lg_u32 s42, 0
	s_sub_co_ci_u32 s42, s40, 0
	s_cmp_ge_u32 s28, s48
	s_cselect_b32 s43, -1, 0
	s_cmp_eq_u32 s40, 0
	s_cselect_b32 s43, s43, -1
	s_delay_alu instid0(SALU_CYCLE_1)
	s_cmp_lg_u32 s43, 0
	s_cselect_b32 s40, s42, s40
	s_cselect_b32 s28, s41, s28
	s_cmp_ge_u32 s22, s48
	s_cselect_b32 s41, -1, 0
	s_cmp_eq_u32 s23, 0
	s_cselect_b32 s41, s41, -1
	s_delay_alu instid0(SALU_CYCLE_1)
	s_cmp_lg_u32 s41, 0
	s_cselect_b32 s23, s40, s23
	s_cselect_b32 s22, s28, s22
	s_cbranch_execnz .LBB147_135
.LBB147_134:                            ;   in Loop: Header=BB147_10 Depth=1
	v_cvt_f32_u32_e32 v6, s48
	s_sub_co_i32 s23, 0, s48
	s_delay_alu instid0(VALU_DEP_1) | instskip(SKIP_1) | instid1(TRANS32_DEP_1)
	v_rcp_iflag_f32_e32 v6, v6
	v_nop
	v_mul_f32_e32 v6, 0x4f7ffffe, v6
	s_delay_alu instid0(VALU_DEP_1) | instskip(NEXT) | instid1(VALU_DEP_1)
	v_cvt_u32_f32_e32 v6, v6
	v_readfirstlane_b32 s22, v6
	s_mul_i32 s23, s23, s22
	s_delay_alu instid0(SALU_CYCLE_1) | instskip(NEXT) | instid1(SALU_CYCLE_1)
	s_mul_hi_u32 s23, s22, s23
	s_add_co_i32 s22, s22, s23
	s_delay_alu instid0(SALU_CYCLE_1) | instskip(NEXT) | instid1(SALU_CYCLE_1)
	s_mul_hi_u32 s22, s20, s22
	s_mul_i32 s22, s22, s48
	s_delay_alu instid0(SALU_CYCLE_1) | instskip(NEXT) | instid1(SALU_CYCLE_1)
	s_sub_co_i32 s22, s20, s22
	s_sub_co_i32 s23, s22, s48
	s_cmp_ge_u32 s22, s48
	s_cselect_b32 s22, s23, s22
	s_delay_alu instid0(SALU_CYCLE_1) | instskip(SKIP_2) | instid1(SALU_CYCLE_1)
	s_sub_co_i32 s23, s22, s48
	s_cmp_ge_u32 s22, s48
	s_cselect_b32 s28, s23, s22
	s_mov_b64 s[22:23], s[28:29]
.LBB147_135:                            ;   in Loop: Header=BB147_10 Depth=1
	s_delay_alu instid0(SALU_CYCLE_1)
	s_sub_nc_u64 s[20:21], s[20:21], s[22:23]
	s_mov_b32 s23, 0
	s_mov_b32 s22, 0
	s_mov_b32 s28, exec_lo
                                        ; implicit-def: $vgpr7
	v_cmpx_gt_u64_e64 s[20:21], v[0:1]
	s_cbranch_execz .LBB147_146
; %bb.136:                              ;   in Loop: Header=BB147_10 Depth=1
	v_mov_b64_e32 v[8:9], v[0:1]
	v_mov_b32_e32 v24, v16
                                        ; implicit-def: $sgpr40
	s_branch .LBB147_139
.LBB147_137:                            ;   in Loop: Header=BB147_139 Depth=2
	s_or_b32 exec_lo, exec_lo, s41
	s_wait_dscnt 0x0
	s_barrier_signal -1
	s_barrier_wait -1
	ds_load_b64 v[6:7], v3 offset:3072
	s_mov_b32 s41, -1
	s_mov_b32 s42, -1
	s_wait_dscnt 0x0
	s_barrier_signal -1
	s_barrier_wait -1
	v_cmp_ne_u32_e32 vcc_lo, 0, v6
	s_cbranch_vccz .LBB147_142
.LBB147_138:                            ;   in Loop: Header=BB147_139 Depth=2
	s_and_b32 s8, exec_lo, s41
	s_delay_alu instid0(SALU_CYCLE_1) | instskip(SKIP_2) | instid1(SALU_CYCLE_1)
	s_or_b32 s22, s8, s22
	s_and_not1_b32 s8, s40, exec_lo
	s_and_b32 s40, s42, exec_lo
	s_or_b32 s40, s8, s40
	s_and_not1_b32 exec_lo, exec_lo, s22
	s_cbranch_execz .LBB147_145
.LBB147_139:                            ;   Parent Loop BB147_10 Depth=1
                                        ; =>  This Inner Loop Header: Depth=2
	s_mov_b32 s41, exec_lo
	s_delay_alu instid0(VALU_DEP_2)
	v_cmpx_gt_u64_e64 s[10:11], v[8:9]
	s_cbranch_execz .LBB147_137
; %bb.140:                              ;   in Loop: Header=BB147_139 Depth=2
	ds_load_b32 v23, v24
	s_wait_dscnt 0x0
	v_bitop3_b32 v6, v23, v11, 0x80000000 bitop3:0x48
	s_delay_alu instid0(VALU_DEP_1)
	v_cmp_eq_u32_e32 vcc_lo, v6, v10
	s_and_b32 exec_lo, exec_lo, vcc_lo
	s_cbranch_execz .LBB147_137
; %bb.141:                              ;   in Loop: Header=BB147_139 Depth=2
	ds_store_b64 v3, v[22:23] offset:3072
	s_branch .LBB147_137
.LBB147_142:                            ;   in Loop: Header=BB147_139 Depth=2
	v_add_nc_u64_e32 v[8:9], s[48:49], v[8:9]
	v_add_nc_u32_e32 v24, s95, v24
	s_mov_b32 s42, 0
	s_delay_alu instid0(VALU_DEP_2)
	v_cmp_le_u64_e32 vcc_lo, s[20:21], v[8:9]
	s_or_not1_b32 s41, vcc_lo, exec_lo
	s_branch .LBB147_138
.LBB147_143:                            ;   in Loop: Header=BB147_10 Depth=1
                                        ; implicit-def: $sgpr22_sgpr23
	s_branch .LBB147_88
.LBB147_144:                            ;   in Loop: Header=BB147_10 Depth=1
                                        ; implicit-def: $sgpr10_sgpr11
	s_branch .LBB147_105
.LBB147_145:                            ;   in Loop: Header=BB147_10 Depth=1
	s_or_b32 exec_lo, exec_lo, s22
	s_delay_alu instid0(SALU_CYCLE_1)
	s_and_b32 s22, s40, exec_lo
.LBB147_146:                            ;   in Loop: Header=BB147_10 Depth=1
	s_or_b32 exec_lo, exec_lo, s28
.LBB147_147:                            ;   in Loop: Header=BB147_10 Depth=1
	s_delay_alu instid0(SALU_CYCLE_1)
	s_and_b32 vcc_lo, exec_lo, s23
	s_cbranch_vccz .LBB147_161
; %bb.148:                              ;   in Loop: Header=BB147_10 Depth=1
	s_and_b64 s[10:11], s[66:67], 0xffffffff00000000
	s_delay_alu instid0(SALU_CYCLE_1)
	s_cmp_lg_u64 s[10:11], 0
	s_cbranch_scc0 .LBB147_189
; %bb.149:                              ;   in Loop: Header=BB147_10 Depth=1
	s_cvt_f32_u32 s10, s48
	s_sub_nc_u64 s[20:21], 0, s[48:49]
	s_delay_alu instid0(SALU_CYCLE_2) | instskip(NEXT) | instid1(SALU_CYCLE_3)
	s_fmamk_f32 s10, s98, 0x0, s10
	v_s_rcp_f32 s10, s10
	s_delay_alu instid0(TRANS32_DEP_1) | instskip(NEXT) | instid1(SALU_CYCLE_3)
	s_mul_f32 s10, s10, 0x5f7ffffc
	s_mul_f32 s11, s10, 0x2f800000
	s_delay_alu instid0(SALU_CYCLE_3) | instskip(NEXT) | instid1(SALU_CYCLE_3)
	s_trunc_f32 s11, s11
	s_fmamk_f32 s10, s11, 0xcf800000, s10
	s_cvt_u32_f32 s11, s11
	s_delay_alu instid0(SALU_CYCLE_2) | instskip(NEXT) | instid1(SALU_CYCLE_3)
	s_cvt_u32_f32 s10, s10
	s_mul_u64 s[40:41], s[20:21], s[10:11]
	s_delay_alu instid0(SALU_CYCLE_1)
	s_mul_hi_u32 s43, s10, s41
	s_mul_i32 s42, s10, s41
	s_mul_hi_u32 s28, s10, s40
	s_mul_i32 s44, s11, s40
	s_add_nc_u64 s[42:43], s[28:29], s[42:43]
	s_mul_hi_u32 s23, s11, s40
	s_mul_hi_u32 s45, s11, s41
	s_add_co_u32 s28, s42, s44
	s_add_co_ci_u32 s28, s43, s23
	s_mul_i32 s40, s11, s41
	s_add_co_ci_u32 s41, s45, 0
	s_delay_alu instid0(SALU_CYCLE_1) | instskip(NEXT) | instid1(SALU_CYCLE_1)
	s_add_nc_u64 s[40:41], s[28:29], s[40:41]
	s_add_co_u32 s10, s10, s40
	s_cselect_b32 s23, -1, 0
	s_delay_alu instid0(SALU_CYCLE_1) | instskip(SKIP_1) | instid1(SALU_CYCLE_1)
	s_cmp_lg_u32 s23, 0
	s_add_co_ci_u32 s11, s11, s41
	s_mul_u64 s[20:21], s[20:21], s[10:11]
	s_delay_alu instid0(SALU_CYCLE_1)
	s_mul_hi_u32 s41, s10, s21
	s_mul_i32 s40, s10, s21
	s_mul_hi_u32 s28, s10, s20
	s_mul_i32 s42, s11, s20
	s_add_nc_u64 s[40:41], s[28:29], s[40:41]
	s_mul_hi_u32 s23, s11, s20
	s_mul_hi_u32 s43, s11, s21
	s_mul_i32 s20, s11, s21
	s_add_co_u32 s21, s40, s42
	s_add_co_ci_u32 s28, s41, s23
	s_add_co_ci_u32 s21, s43, 0
	s_delay_alu instid0(SALU_CYCLE_1) | instskip(NEXT) | instid1(SALU_CYCLE_1)
	s_add_nc_u64 s[20:21], s[28:29], s[20:21]
	s_add_co_u32 s10, s10, s20
	s_cselect_b32 s20, -1, 0
	s_mul_hi_u32 s28, s66, s10
	s_cmp_lg_u32 s20, 0
	s_mul_hi_u32 s23, s67, s10
	s_add_co_ci_u32 s20, s11, s21
	s_mul_i32 s21, s67, s10
	s_mul_hi_u32 s11, s66, s20
	s_mul_i32 s10, s66, s20
	s_mul_hi_u32 s40, s67, s20
	s_add_nc_u64 s[10:11], s[28:29], s[10:11]
	s_mul_i32 s20, s67, s20
	s_add_co_u32 s10, s10, s21
	s_add_co_ci_u32 s28, s11, s23
	s_add_co_ci_u32 s21, s40, 0
	s_delay_alu instid0(SALU_CYCLE_1) | instskip(NEXT) | instid1(SALU_CYCLE_1)
	s_add_nc_u64 s[10:11], s[28:29], s[20:21]
	s_and_b64 s[20:21], s[10:11], 0xffffffff00000000
	s_delay_alu instid0(SALU_CYCLE_1) | instskip(NEXT) | instid1(SALU_CYCLE_1)
	s_or_b32 s20, s20, s10
	s_mul_u64 s[10:11], s[48:49], s[20:21]
	s_delay_alu instid0(SALU_CYCLE_1) | instskip(SKIP_1) | instid1(SALU_CYCLE_1)
	s_sub_co_u32 s10, s66, s10
	s_cselect_b32 s20, -1, 0
	s_cmp_lg_u32 s20, 0
	s_sub_co_ci_u32 s11, s67, s11
	s_sub_co_u32 s20, s10, s48
	s_cselect_b32 s21, -1, 0
	s_delay_alu instid0(SALU_CYCLE_1) | instskip(SKIP_3) | instid1(SALU_CYCLE_1)
	s_cmp_lg_u32 s21, 0
	s_sub_co_ci_u32 s21, s11, 0
	s_sub_co_u32 s23, s20, s48
	s_cselect_b32 s28, -1, 0
	s_cmp_lg_u32 s28, 0
	s_sub_co_ci_u32 s28, s21, 0
	s_cmp_ge_u32 s20, s48
	s_cselect_b32 s40, -1, 0
	s_cmp_eq_u32 s21, 0
	s_cselect_b32 s40, s40, -1
	s_delay_alu instid0(SALU_CYCLE_1)
	s_cmp_lg_u32 s40, 0
	s_cselect_b32 s21, s28, s21
	s_cselect_b32 s20, s23, s20
	s_cmp_ge_u32 s10, s48
	s_cselect_b32 s23, -1, 0
	s_cmp_eq_u32 s11, 0
	s_cselect_b32 s23, s23, -1
	s_delay_alu instid0(SALU_CYCLE_1)
	s_cmp_lg_u32 s23, 0
	s_cselect_b32 s11, s21, s11
	s_cselect_b32 s10, s20, s10
	s_cbranch_execnz .LBB147_151
.LBB147_150:                            ;   in Loop: Header=BB147_10 Depth=1
	v_cvt_f32_u32_e32 v6, s48
	s_sub_co_i32 s11, 0, s48
	s_delay_alu instid0(VALU_DEP_1) | instskip(SKIP_1) | instid1(TRANS32_DEP_1)
	v_rcp_iflag_f32_e32 v6, v6
	v_nop
	v_mul_f32_e32 v6, 0x4f7ffffe, v6
	s_delay_alu instid0(VALU_DEP_1) | instskip(NEXT) | instid1(VALU_DEP_1)
	v_cvt_u32_f32_e32 v6, v6
	v_readfirstlane_b32 s10, v6
	s_mul_i32 s11, s11, s10
	s_delay_alu instid0(SALU_CYCLE_1) | instskip(NEXT) | instid1(SALU_CYCLE_1)
	s_mul_hi_u32 s11, s10, s11
	s_add_co_i32 s10, s10, s11
	s_delay_alu instid0(SALU_CYCLE_1) | instskip(NEXT) | instid1(SALU_CYCLE_1)
	s_mul_hi_u32 s10, s66, s10
	s_mul_i32 s10, s10, s48
	s_delay_alu instid0(SALU_CYCLE_1) | instskip(NEXT) | instid1(SALU_CYCLE_1)
	s_sub_co_i32 s10, s66, s10
	s_sub_co_i32 s11, s10, s48
	s_cmp_ge_u32 s10, s48
	s_cselect_b32 s10, s11, s10
	s_delay_alu instid0(SALU_CYCLE_1) | instskip(SKIP_2) | instid1(SALU_CYCLE_1)
	s_sub_co_i32 s11, s10, s48
	s_cmp_ge_u32 s10, s48
	s_cselect_b32 s28, s11, s10
	s_mov_b64 s[10:11], s[28:29]
.LBB147_151:                            ;   in Loop: Header=BB147_10 Depth=1
	s_delay_alu instid0(SALU_CYCLE_1)
	s_sub_nc_u64 s[10:11], s[66:67], s[10:11]
	s_mov_b32 s20, exec_lo
                                        ; implicit-def: $vgpr7
	v_nop
	v_cmpx_gt_u64_e64 s[10:11], v[0:1]
	s_cbranch_execz .LBB147_160
; %bb.152:                              ;   in Loop: Header=BB147_10 Depth=1
	v_mov_b64_e32 v[8:9], v[0:1]
	s_mov_b32 s21, 0
                                        ; implicit-def: $sgpr23
	s_branch .LBB147_155
.LBB147_153:                            ;   in Loop: Header=BB147_155 Depth=2
	s_or_b32 exec_lo, exec_lo, s28
	s_wait_dscnt 0x0
	s_barrier_signal -1
	s_barrier_wait -1
	ds_load_b64 v[6:7], v3 offset:3072
	s_mov_b32 s40, -1
	s_mov_b32 s28, -1
	s_wait_dscnt 0x0
	s_barrier_signal -1
	s_barrier_wait -1
	v_cmp_eq_u32_e32 vcc_lo, 0, v6
	s_cbranch_vccnz .LBB147_158
.LBB147_154:                            ;   in Loop: Header=BB147_155 Depth=2
	s_and_b32 s8, exec_lo, s40
	s_delay_alu instid0(SALU_CYCLE_1) | instskip(SKIP_2) | instid1(SALU_CYCLE_1)
	s_or_b32 s21, s8, s21
	s_and_not1_b32 s8, s23, exec_lo
	s_and_b32 s23, s28, exec_lo
	s_or_b32 s23, s8, s23
	s_and_not1_b32 exec_lo, exec_lo, s21
	s_cbranch_execz .LBB147_159
.LBB147_155:                            ;   Parent Loop BB147_10 Depth=1
                                        ; =>  This Inner Loop Header: Depth=2
	s_mov_b32 s28, exec_lo
	s_delay_alu instid0(VALU_DEP_1)
	v_cmpx_gt_u64_e64 s[36:37], v[8:9]
	s_cbranch_execz .LBB147_153
; %bb.156:                              ;   in Loop: Header=BB147_155 Depth=2
	v_mul_u64_e32 v[6:7], s[30:31], v[8:9]
	s_delay_alu instid0(VALU_DEP_1) | instskip(SKIP_4) | instid1(VALU_DEP_1)
	v_lshl_add_u64 v[6:7], v[6:7], 2, s[34:35]
	global_load_b32 v23, v[6:7], off
	s_wait_loadcnt 0x0
	s_wait_xcnt 0x0
	v_bitop3_b32 v6, v23, v11, 0x80000000 bitop3:0x48
	v_cmp_eq_u32_e32 vcc_lo, v6, v10
	s_and_b32 exec_lo, exec_lo, vcc_lo
	s_cbranch_execz .LBB147_153
; %bb.157:                              ;   in Loop: Header=BB147_155 Depth=2
	ds_store_b64 v3, v[22:23] offset:3072
	s_branch .LBB147_153
.LBB147_158:                            ;   in Loop: Header=BB147_155 Depth=2
	v_add_nc_u64_e32 v[8:9], s[48:49], v[8:9]
	s_mov_b32 s28, 0
	s_delay_alu instid0(VALU_DEP_1)
	v_cmp_le_u64_e32 vcc_lo, s[10:11], v[8:9]
	s_or_not1_b32 s40, vcc_lo, exec_lo
	s_branch .LBB147_154
.LBB147_159:                            ;   in Loop: Header=BB147_10 Depth=1
	s_or_b32 exec_lo, exec_lo, s21
	s_delay_alu instid0(SALU_CYCLE_1) | instskip(SKIP_1) | instid1(SALU_CYCLE_1)
	s_and_not1_b32 s8, s22, exec_lo
	s_and_b32 s10, s23, exec_lo
	s_or_b32 s22, s8, s10
.LBB147_160:                            ;   in Loop: Header=BB147_10 Depth=1
	s_or_b32 exec_lo, exec_lo, s20
	s_mov_b32 s74, 0
	s_mov_b32 s79, -1
.LBB147_161:                            ;   in Loop: Header=BB147_10 Depth=1
	s_or_not1_b32 s10, s22, exec_lo
.LBB147_162:                            ;   in Loop: Header=BB147_10 Depth=1
	s_or_b32 exec_lo, exec_lo, s80
	s_mov_b32 s11, 0
	s_and_saveexec_b32 s80, s10
	s_cbranch_execz .LBB147_271
; %bb.163:                              ;   in Loop: Header=BB147_10 Depth=1
	v_mov_b64_e32 v[8:9], 1
	v_mov_b32_e32 v2, 1
	s_xor_b32 s20, s81, -1
	s_delay_alu instid0(SALU_CYCLE_1)
	s_and_saveexec_b32 s10, s20
	s_cbranch_execz .LBB147_172
; %bb.164:                              ;   in Loop: Header=BB147_10 Depth=1
	s_mov_b32 s11, exec_lo
	v_cmpx_ge_u64_e64 s[14:15], v[4:5]
	s_xor_b32 s11, exec_lo, s11
	s_cbranch_execz .LBB147_169
; %bb.165:                              ;   in Loop: Header=BB147_10 Depth=1
	ds_load_b64 v[8:9], v3 offset:5120
	s_lshl_b32 s20, 1, s96
	v_or_b32_e32 v11, s24, v11
	v_and_or_b32 v10, v10, s26, s20
	s_wait_dscnt 0x0
	v_cmp_ne_u64_e32 vcc_lo, 0, v[8:9]
	s_cbranch_vccnz .LBB147_169
; %bb.166:                              ;   in Loop: Header=BB147_10 Depth=1
	s_and_saveexec_b32 s20, s5
; %bb.167:                              ;   in Loop: Header=BB147_10 Depth=1
	v_mov_b64_e32 v[8:9], s[14:15]
	ds_store_b64 v3, v[8:9] offset:5128
; %bb.168:                              ;   in Loop: Header=BB147_10 Depth=1
	s_or_b32 exec_lo, exec_lo, s20
	s_wait_dscnt 0x0
	s_barrier_signal -1
	s_barrier_wait -1
.LBB147_169:                            ;   in Loop: Header=BB147_10 Depth=1
	s_or_saveexec_b32 s11, s11
	v_mov_b32_e32 v2, 8
	s_mov_b32 s20, 0
	s_xor_b32 exec_lo, exec_lo, s11
; %bb.170:                              ;   in Loop: Header=BB147_10 Depth=1
	v_sub_nc_u64_e64 v[4:5], v[4:5], s[14:15]
	v_mov_b32_e32 v2, 0
	s_mov_b32 s20, exec_lo
; %bb.171:                              ;   in Loop: Header=BB147_10 Depth=1
	s_or_b32 exec_lo, exec_lo, s11
	s_delay_alu instid0(VALU_DEP_2)
	v_mov_b64_e32 v[8:9], v[4:5]
	s_and_b32 s11, s20, exec_lo
.LBB147_172:                            ;   in Loop: Header=BB147_10 Depth=1
	s_or_b32 exec_lo, exec_lo, s10
	s_mov_b32 s10, -1
                                        ; implicit-def: $sgpr82
                                        ; implicit-def: $sgpr83
	s_and_saveexec_b32 s81, s11
	s_cbranch_execz .LBB147_270
; %bb.173:                              ;   in Loop: Header=BB147_10 Depth=1
	s_delay_alu instid0(VALU_DEP_1) | instskip(SKIP_2) | instid1(SALU_CYCLE_1)
	v_cmp_eq_u64_e32 vcc_lo, 1, v[8:9]
	s_cmp_eq_u64 s[16:17], 1
                                        ; implicit-def: $sgpr83
                                        ; implicit-def: $sgpr82
	s_cselect_b32 s10, -1, 0
	s_and_b32 s85, s10, vcc_lo
	s_mov_b32 s10, -1
	s_and_saveexec_b32 s84, s85
	s_cbranch_execz .LBB147_207
; %bb.174:                              ;   in Loop: Header=BB147_10 Depth=1
	ds_load_b64 v[4:5], v3 offset:5120
	s_wait_dscnt 0x0
	s_barrier_signal -1
	s_barrier_wait -1
	v_readfirstlane_b32 s10, v4
	v_readfirstlane_b32 s11, v5
	s_and_saveexec_b32 s20, s6
; %bb.175:                              ;   in Loop: Header=BB147_10 Depth=1
	ds_store_b32 v32, v3
; %bb.176:                              ;   in Loop: Header=BB147_10 Depth=1
	s_or_b32 exec_lo, exec_lo, s20
	s_lshl_b32 s20, 2, s96
	v_or_b32_e32 v11, s24, v11
	v_and_or_b32 v10, v10, s26, s20
	s_mov_b32 s82, -1
	s_mov_b32 s83, 0
	s_cmp_eq_u64 s[10:11], 0
	s_mov_b32 s22, 0
	s_mov_b32 s23, -1
	s_wait_dscnt 0x0
	s_barrier_signal -1
	s_barrier_wait -1
                                        ; implicit-def: $vgpr7
	s_cbranch_scc1 .LBB147_192
; %bb.177:                              ;   in Loop: Header=BB147_10 Depth=1
	s_add_nc_u64 s[20:21], s[10:11], s[64:65]
	s_delay_alu instid0(SALU_CYCLE_1) | instskip(NEXT) | instid1(SALU_CYCLE_1)
	s_and_b64 s[22:23], s[20:21], 0xffffffff00000000
	s_cmp_lg_u64 s[22:23], 0
	s_cbranch_scc0 .LBB147_224
; %bb.178:                              ;   in Loop: Header=BB147_10 Depth=1
	s_cvt_f32_u32 s22, s48
	s_sub_nc_u64 s[40:41], 0, s[48:49]
	s_delay_alu instid0(SALU_CYCLE_2) | instskip(NEXT) | instid1(SALU_CYCLE_3)
	s_fmamk_f32 s22, s98, 0x0, s22
	v_s_rcp_f32 s22, s22
	s_delay_alu instid0(TRANS32_DEP_1) | instskip(NEXT) | instid1(SALU_CYCLE_3)
	s_mul_f32 s22, s22, 0x5f7ffffc
	s_mul_f32 s23, s22, 0x2f800000
	s_delay_alu instid0(SALU_CYCLE_3) | instskip(NEXT) | instid1(SALU_CYCLE_3)
	s_trunc_f32 s23, s23
	s_fmamk_f32 s22, s23, 0xcf800000, s22
	s_cvt_u32_f32 s23, s23
	s_delay_alu instid0(SALU_CYCLE_2) | instskip(NEXT) | instid1(SALU_CYCLE_3)
	s_cvt_u32_f32 s22, s22
	s_mul_u64 s[42:43], s[40:41], s[22:23]
	s_delay_alu instid0(SALU_CYCLE_1)
	s_mul_hi_u32 s45, s22, s43
	s_mul_i32 s44, s22, s43
	s_mul_hi_u32 s28, s22, s42
	s_mul_i32 s47, s23, s42
	s_add_nc_u64 s[44:45], s[28:29], s[44:45]
	s_mul_hi_u32 s46, s23, s42
	s_mul_hi_u32 s86, s23, s43
	s_add_co_u32 s28, s44, s47
	s_add_co_ci_u32 s28, s45, s46
	s_mul_i32 s42, s23, s43
	s_add_co_ci_u32 s43, s86, 0
	s_delay_alu instid0(SALU_CYCLE_1) | instskip(NEXT) | instid1(SALU_CYCLE_1)
	s_add_nc_u64 s[42:43], s[28:29], s[42:43]
	s_add_co_u32 s22, s22, s42
	s_cselect_b32 s28, -1, 0
	s_delay_alu instid0(SALU_CYCLE_1) | instskip(SKIP_1) | instid1(SALU_CYCLE_1)
	s_cmp_lg_u32 s28, 0
	s_add_co_ci_u32 s23, s23, s43
	s_mul_u64 s[40:41], s[40:41], s[22:23]
	s_delay_alu instid0(SALU_CYCLE_1)
	s_mul_hi_u32 s43, s22, s41
	s_mul_i32 s42, s22, s41
	s_mul_hi_u32 s28, s22, s40
	s_mul_i32 s45, s23, s40
	s_add_nc_u64 s[42:43], s[28:29], s[42:43]
	s_mul_hi_u32 s44, s23, s40
	s_mul_hi_u32 s46, s23, s41
	s_add_co_u32 s28, s42, s45
	s_add_co_ci_u32 s28, s43, s44
	s_mul_i32 s40, s23, s41
	s_add_co_ci_u32 s41, s46, 0
	s_delay_alu instid0(SALU_CYCLE_1) | instskip(NEXT) | instid1(SALU_CYCLE_1)
	s_add_nc_u64 s[40:41], s[28:29], s[40:41]
	s_add_co_u32 s22, s22, s40
	s_cselect_b32 s40, -1, 0
	s_mul_hi_u32 s28, s20, s22
	s_cmp_lg_u32 s40, 0
	s_mul_hi_u32 s42, s21, s22
	s_add_co_ci_u32 s40, s23, s41
	s_mul_i32 s41, s21, s22
	s_mul_hi_u32 s23, s20, s40
	s_mul_i32 s22, s20, s40
	s_mul_hi_u32 s43, s21, s40
	s_add_nc_u64 s[22:23], s[28:29], s[22:23]
	s_mul_i32 s40, s21, s40
	s_add_co_u32 s22, s22, s41
	s_add_co_ci_u32 s28, s23, s42
	s_add_co_ci_u32 s41, s43, 0
	s_delay_alu instid0(SALU_CYCLE_1) | instskip(NEXT) | instid1(SALU_CYCLE_1)
	s_add_nc_u64 s[22:23], s[28:29], s[40:41]
	s_and_b64 s[40:41], s[22:23], 0xffffffff00000000
	s_delay_alu instid0(SALU_CYCLE_1) | instskip(NEXT) | instid1(SALU_CYCLE_1)
	s_or_b32 s40, s40, s22
	s_mul_u64 s[22:23], s[48:49], s[40:41]
	s_delay_alu instid0(SALU_CYCLE_1) | instskip(SKIP_1) | instid1(SALU_CYCLE_1)
	s_sub_co_u32 s22, s20, s22
	s_cselect_b32 s28, -1, 0
	s_cmp_lg_u32 s28, 0
	s_sub_co_ci_u32 s23, s21, s23
	s_sub_co_u32 s28, s22, s48
	s_cselect_b32 s40, -1, 0
	s_delay_alu instid0(SALU_CYCLE_1) | instskip(SKIP_3) | instid1(SALU_CYCLE_1)
	s_cmp_lg_u32 s40, 0
	s_sub_co_ci_u32 s40, s23, 0
	s_sub_co_u32 s41, s28, s48
	s_cselect_b32 s42, -1, 0
	s_cmp_lg_u32 s42, 0
	s_sub_co_ci_u32 s42, s40, 0
	s_cmp_ge_u32 s28, s48
	s_cselect_b32 s43, -1, 0
	s_cmp_eq_u32 s40, 0
	s_cselect_b32 s43, s43, -1
	s_delay_alu instid0(SALU_CYCLE_1)
	s_cmp_lg_u32 s43, 0
	s_cselect_b32 s40, s42, s40
	s_cselect_b32 s28, s41, s28
	s_cmp_ge_u32 s22, s48
	s_cselect_b32 s41, -1, 0
	s_cmp_eq_u32 s23, 0
	s_cselect_b32 s41, s41, -1
	s_delay_alu instid0(SALU_CYCLE_1)
	s_cmp_lg_u32 s41, 0
	s_cselect_b32 s23, s40, s23
	s_cselect_b32 s22, s28, s22
	s_cbranch_execnz .LBB147_180
.LBB147_179:                            ;   in Loop: Header=BB147_10 Depth=1
	v_cvt_f32_u32_e32 v4, s48
	s_sub_co_i32 s23, 0, s48
	s_delay_alu instid0(VALU_DEP_1) | instskip(SKIP_1) | instid1(TRANS32_DEP_1)
	v_rcp_iflag_f32_e32 v4, v4
	v_nop
	v_mul_f32_e32 v4, 0x4f7ffffe, v4
	s_delay_alu instid0(VALU_DEP_1) | instskip(NEXT) | instid1(VALU_DEP_1)
	v_cvt_u32_f32_e32 v4, v4
	v_readfirstlane_b32 s22, v4
	s_mul_i32 s23, s23, s22
	s_delay_alu instid0(SALU_CYCLE_1) | instskip(NEXT) | instid1(SALU_CYCLE_1)
	s_mul_hi_u32 s23, s22, s23
	s_add_co_i32 s22, s22, s23
	s_delay_alu instid0(SALU_CYCLE_1) | instskip(NEXT) | instid1(SALU_CYCLE_1)
	s_mul_hi_u32 s22, s20, s22
	s_mul_i32 s22, s22, s48
	s_delay_alu instid0(SALU_CYCLE_1) | instskip(NEXT) | instid1(SALU_CYCLE_1)
	s_sub_co_i32 s22, s20, s22
	s_sub_co_i32 s23, s22, s48
	s_cmp_ge_u32 s22, s48
	s_cselect_b32 s22, s23, s22
	s_delay_alu instid0(SALU_CYCLE_1) | instskip(SKIP_2) | instid1(SALU_CYCLE_1)
	s_sub_co_i32 s23, s22, s48
	s_cmp_ge_u32 s22, s48
	s_cselect_b32 s28, s23, s22
	s_mov_b64 s[22:23], s[28:29]
.LBB147_180:                            ;   in Loop: Header=BB147_10 Depth=1
	s_delay_alu instid0(SALU_CYCLE_1)
	s_sub_nc_u64 s[20:21], s[20:21], s[22:23]
	s_mov_b32 s23, 0
	s_mov_b32 s22, 0
	s_mov_b32 s28, exec_lo
                                        ; implicit-def: $vgpr7
	v_cmpx_gt_u64_e64 s[20:21], v[0:1]
	s_cbranch_execz .LBB147_191
; %bb.181:                              ;   in Loop: Header=BB147_10 Depth=1
	v_mov_b64_e32 v[4:5], v[0:1]
	v_mov_b32_e32 v24, v16
                                        ; implicit-def: $sgpr40
	s_branch .LBB147_184
.LBB147_182:                            ;   in Loop: Header=BB147_184 Depth=2
	s_or_b32 exec_lo, exec_lo, s41
	s_wait_dscnt 0x0
	s_barrier_signal -1
	s_barrier_wait -1
	ds_load_b64 v[6:7], v3 offset:3072
	s_mov_b32 s41, -1
	s_mov_b32 s42, -1
	s_wait_dscnt 0x0
	s_barrier_signal -1
	s_barrier_wait -1
	v_cmp_ne_u32_e32 vcc_lo, 0, v6
	s_cbranch_vccz .LBB147_187
.LBB147_183:                            ;   in Loop: Header=BB147_184 Depth=2
	s_and_b32 s8, exec_lo, s41
	s_delay_alu instid0(SALU_CYCLE_1) | instskip(SKIP_2) | instid1(SALU_CYCLE_1)
	s_or_b32 s22, s8, s22
	s_and_not1_b32 s8, s40, exec_lo
	s_and_b32 s40, s42, exec_lo
	s_or_b32 s40, s8, s40
	s_and_not1_b32 exec_lo, exec_lo, s22
	s_cbranch_execz .LBB147_190
.LBB147_184:                            ;   Parent Loop BB147_10 Depth=1
                                        ; =>  This Inner Loop Header: Depth=2
	s_mov_b32 s41, exec_lo
	s_delay_alu instid0(VALU_DEP_2)
	v_cmpx_gt_u64_e64 s[10:11], v[4:5]
	s_cbranch_execz .LBB147_182
; %bb.185:                              ;   in Loop: Header=BB147_184 Depth=2
	ds_load_b32 v23, v24
	s_wait_dscnt 0x0
	v_bitop3_b32 v6, v23, v11, 0x80000000 bitop3:0x48
	s_delay_alu instid0(VALU_DEP_1)
	v_cmp_eq_u32_e32 vcc_lo, v6, v10
	s_and_b32 exec_lo, exec_lo, vcc_lo
	s_cbranch_execz .LBB147_182
; %bb.186:                              ;   in Loop: Header=BB147_184 Depth=2
	ds_store_b64 v3, v[22:23] offset:3072
	s_branch .LBB147_182
.LBB147_187:                            ;   in Loop: Header=BB147_184 Depth=2
	v_add_nc_u64_e32 v[4:5], s[48:49], v[4:5]
	v_add_nc_u32_e32 v24, s95, v24
	s_mov_b32 s42, 0
	s_delay_alu instid0(VALU_DEP_2)
	v_cmp_le_u64_e32 vcc_lo, s[20:21], v[4:5]
	s_or_not1_b32 s41, vcc_lo, exec_lo
	s_branch .LBB147_183
.LBB147_188:                            ;   in Loop: Header=BB147_10 Depth=1
                                        ; implicit-def: $sgpr22_sgpr23
	s_branch .LBB147_134
.LBB147_189:                            ;   in Loop: Header=BB147_10 Depth=1
                                        ; implicit-def: $sgpr10_sgpr11
	s_branch .LBB147_150
.LBB147_190:                            ;   in Loop: Header=BB147_10 Depth=1
	s_or_b32 exec_lo, exec_lo, s22
	s_delay_alu instid0(SALU_CYCLE_1)
	s_and_b32 s22, s40, exec_lo
.LBB147_191:                            ;   in Loop: Header=BB147_10 Depth=1
	s_or_b32 exec_lo, exec_lo, s28
.LBB147_192:                            ;   in Loop: Header=BB147_10 Depth=1
	s_delay_alu instid0(SALU_CYCLE_1)
	s_and_b32 vcc_lo, exec_lo, s23
	s_cbranch_vccz .LBB147_206
; %bb.193:                              ;   in Loop: Header=BB147_10 Depth=1
	s_and_b64 s[10:11], s[66:67], 0xffffffff00000000
	s_delay_alu instid0(SALU_CYCLE_1)
	s_cmp_lg_u64 s[10:11], 0
	s_cbranch_scc0 .LBB147_225
; %bb.194:                              ;   in Loop: Header=BB147_10 Depth=1
	s_cvt_f32_u32 s10, s48
	s_sub_nc_u64 s[20:21], 0, s[48:49]
	s_delay_alu instid0(SALU_CYCLE_2) | instskip(NEXT) | instid1(SALU_CYCLE_3)
	s_fmamk_f32 s10, s98, 0x0, s10
	v_s_rcp_f32 s10, s10
	s_delay_alu instid0(TRANS32_DEP_1) | instskip(NEXT) | instid1(SALU_CYCLE_3)
	s_mul_f32 s10, s10, 0x5f7ffffc
	s_mul_f32 s11, s10, 0x2f800000
	s_delay_alu instid0(SALU_CYCLE_3) | instskip(NEXT) | instid1(SALU_CYCLE_3)
	s_trunc_f32 s11, s11
	s_fmamk_f32 s10, s11, 0xcf800000, s10
	s_cvt_u32_f32 s11, s11
	s_delay_alu instid0(SALU_CYCLE_2) | instskip(NEXT) | instid1(SALU_CYCLE_3)
	s_cvt_u32_f32 s10, s10
	s_mul_u64 s[40:41], s[20:21], s[10:11]
	s_delay_alu instid0(SALU_CYCLE_1)
	s_mul_hi_u32 s43, s10, s41
	s_mul_i32 s42, s10, s41
	s_mul_hi_u32 s28, s10, s40
	s_mul_i32 s44, s11, s40
	s_add_nc_u64 s[42:43], s[28:29], s[42:43]
	s_mul_hi_u32 s23, s11, s40
	s_mul_hi_u32 s45, s11, s41
	s_add_co_u32 s28, s42, s44
	s_add_co_ci_u32 s28, s43, s23
	s_mul_i32 s40, s11, s41
	s_add_co_ci_u32 s41, s45, 0
	s_delay_alu instid0(SALU_CYCLE_1) | instskip(NEXT) | instid1(SALU_CYCLE_1)
	s_add_nc_u64 s[40:41], s[28:29], s[40:41]
	s_add_co_u32 s10, s10, s40
	s_cselect_b32 s23, -1, 0
	s_delay_alu instid0(SALU_CYCLE_1) | instskip(SKIP_1) | instid1(SALU_CYCLE_1)
	s_cmp_lg_u32 s23, 0
	s_add_co_ci_u32 s11, s11, s41
	s_mul_u64 s[20:21], s[20:21], s[10:11]
	s_delay_alu instid0(SALU_CYCLE_1)
	s_mul_hi_u32 s41, s10, s21
	s_mul_i32 s40, s10, s21
	s_mul_hi_u32 s28, s10, s20
	s_mul_i32 s42, s11, s20
	s_add_nc_u64 s[40:41], s[28:29], s[40:41]
	s_mul_hi_u32 s23, s11, s20
	s_mul_hi_u32 s43, s11, s21
	s_mul_i32 s20, s11, s21
	s_add_co_u32 s21, s40, s42
	s_add_co_ci_u32 s28, s41, s23
	s_add_co_ci_u32 s21, s43, 0
	s_delay_alu instid0(SALU_CYCLE_1) | instskip(NEXT) | instid1(SALU_CYCLE_1)
	s_add_nc_u64 s[20:21], s[28:29], s[20:21]
	s_add_co_u32 s10, s10, s20
	s_cselect_b32 s20, -1, 0
	s_mul_hi_u32 s28, s66, s10
	s_cmp_lg_u32 s20, 0
	s_mul_hi_u32 s23, s67, s10
	s_add_co_ci_u32 s20, s11, s21
	s_mul_i32 s21, s67, s10
	s_mul_hi_u32 s11, s66, s20
	s_mul_i32 s10, s66, s20
	s_mul_hi_u32 s40, s67, s20
	s_add_nc_u64 s[10:11], s[28:29], s[10:11]
	s_mul_i32 s20, s67, s20
	s_add_co_u32 s10, s10, s21
	s_add_co_ci_u32 s28, s11, s23
	s_add_co_ci_u32 s21, s40, 0
	s_delay_alu instid0(SALU_CYCLE_1) | instskip(NEXT) | instid1(SALU_CYCLE_1)
	s_add_nc_u64 s[10:11], s[28:29], s[20:21]
	s_and_b64 s[20:21], s[10:11], 0xffffffff00000000
	s_delay_alu instid0(SALU_CYCLE_1) | instskip(NEXT) | instid1(SALU_CYCLE_1)
	s_or_b32 s20, s20, s10
	s_mul_u64 s[10:11], s[48:49], s[20:21]
	s_delay_alu instid0(SALU_CYCLE_1) | instskip(SKIP_1) | instid1(SALU_CYCLE_1)
	s_sub_co_u32 s10, s66, s10
	s_cselect_b32 s20, -1, 0
	s_cmp_lg_u32 s20, 0
	s_sub_co_ci_u32 s11, s67, s11
	s_sub_co_u32 s20, s10, s48
	s_cselect_b32 s21, -1, 0
	s_delay_alu instid0(SALU_CYCLE_1) | instskip(SKIP_3) | instid1(SALU_CYCLE_1)
	s_cmp_lg_u32 s21, 0
	s_sub_co_ci_u32 s21, s11, 0
	s_sub_co_u32 s23, s20, s48
	s_cselect_b32 s28, -1, 0
	s_cmp_lg_u32 s28, 0
	s_sub_co_ci_u32 s28, s21, 0
	s_cmp_ge_u32 s20, s48
	s_cselect_b32 s40, -1, 0
	s_cmp_eq_u32 s21, 0
	s_cselect_b32 s40, s40, -1
	s_delay_alu instid0(SALU_CYCLE_1)
	s_cmp_lg_u32 s40, 0
	s_cselect_b32 s21, s28, s21
	s_cselect_b32 s20, s23, s20
	s_cmp_ge_u32 s10, s48
	s_cselect_b32 s23, -1, 0
	s_cmp_eq_u32 s11, 0
	s_cselect_b32 s23, s23, -1
	s_delay_alu instid0(SALU_CYCLE_1)
	s_cmp_lg_u32 s23, 0
	s_cselect_b32 s11, s21, s11
	s_cselect_b32 s10, s20, s10
	s_cbranch_execnz .LBB147_196
.LBB147_195:                            ;   in Loop: Header=BB147_10 Depth=1
	v_cvt_f32_u32_e32 v4, s48
	s_sub_co_i32 s11, 0, s48
	s_delay_alu instid0(VALU_DEP_1) | instskip(SKIP_1) | instid1(TRANS32_DEP_1)
	v_rcp_iflag_f32_e32 v4, v4
	v_nop
	v_mul_f32_e32 v4, 0x4f7ffffe, v4
	s_delay_alu instid0(VALU_DEP_1) | instskip(NEXT) | instid1(VALU_DEP_1)
	v_cvt_u32_f32_e32 v4, v4
	v_readfirstlane_b32 s10, v4
	s_mul_i32 s11, s11, s10
	s_delay_alu instid0(SALU_CYCLE_1) | instskip(NEXT) | instid1(SALU_CYCLE_1)
	s_mul_hi_u32 s11, s10, s11
	s_add_co_i32 s10, s10, s11
	s_delay_alu instid0(SALU_CYCLE_1) | instskip(NEXT) | instid1(SALU_CYCLE_1)
	s_mul_hi_u32 s10, s66, s10
	s_mul_i32 s10, s10, s48
	s_delay_alu instid0(SALU_CYCLE_1) | instskip(NEXT) | instid1(SALU_CYCLE_1)
	s_sub_co_i32 s10, s66, s10
	s_sub_co_i32 s11, s10, s48
	s_cmp_ge_u32 s10, s48
	s_cselect_b32 s10, s11, s10
	s_delay_alu instid0(SALU_CYCLE_1) | instskip(SKIP_2) | instid1(SALU_CYCLE_1)
	s_sub_co_i32 s11, s10, s48
	s_cmp_ge_u32 s10, s48
	s_cselect_b32 s28, s11, s10
	s_mov_b64 s[10:11], s[28:29]
.LBB147_196:                            ;   in Loop: Header=BB147_10 Depth=1
	s_delay_alu instid0(SALU_CYCLE_1)
	s_sub_nc_u64 s[10:11], s[66:67], s[10:11]
	s_mov_b32 s20, exec_lo
                                        ; implicit-def: $vgpr7
	v_nop
	v_cmpx_gt_u64_e64 s[10:11], v[0:1]
	s_cbranch_execz .LBB147_205
; %bb.197:                              ;   in Loop: Header=BB147_10 Depth=1
	v_mov_b64_e32 v[4:5], v[0:1]
	s_mov_b32 s21, 0
                                        ; implicit-def: $sgpr23
	s_branch .LBB147_200
.LBB147_198:                            ;   in Loop: Header=BB147_200 Depth=2
	s_or_b32 exec_lo, exec_lo, s28
	s_wait_dscnt 0x0
	s_barrier_signal -1
	s_barrier_wait -1
	ds_load_b64 v[6:7], v3 offset:3072
	s_mov_b32 s40, -1
	s_mov_b32 s28, -1
	s_wait_dscnt 0x0
	s_barrier_signal -1
	s_barrier_wait -1
	v_cmp_eq_u32_e32 vcc_lo, 0, v6
	s_cbranch_vccnz .LBB147_203
.LBB147_199:                            ;   in Loop: Header=BB147_200 Depth=2
	s_and_b32 s8, exec_lo, s40
	s_delay_alu instid0(SALU_CYCLE_1) | instskip(SKIP_2) | instid1(SALU_CYCLE_1)
	s_or_b32 s21, s8, s21
	s_and_not1_b32 s8, s23, exec_lo
	s_and_b32 s23, s28, exec_lo
	s_or_b32 s23, s8, s23
	s_and_not1_b32 exec_lo, exec_lo, s21
	s_cbranch_execz .LBB147_204
.LBB147_200:                            ;   Parent Loop BB147_10 Depth=1
                                        ; =>  This Inner Loop Header: Depth=2
	s_mov_b32 s28, exec_lo
	s_delay_alu instid0(VALU_DEP_1)
	v_cmpx_gt_u64_e64 s[36:37], v[4:5]
	s_cbranch_execz .LBB147_198
; %bb.201:                              ;   in Loop: Header=BB147_200 Depth=2
	v_mul_u64_e32 v[6:7], s[30:31], v[4:5]
	s_delay_alu instid0(VALU_DEP_1) | instskip(SKIP_4) | instid1(VALU_DEP_1)
	v_lshl_add_u64 v[6:7], v[6:7], 2, s[34:35]
	global_load_b32 v23, v[6:7], off
	s_wait_loadcnt 0x0
	s_wait_xcnt 0x0
	v_bitop3_b32 v6, v23, v11, 0x80000000 bitop3:0x48
	v_cmp_eq_u32_e32 vcc_lo, v6, v10
	s_and_b32 exec_lo, exec_lo, vcc_lo
	s_cbranch_execz .LBB147_198
; %bb.202:                              ;   in Loop: Header=BB147_200 Depth=2
	ds_store_b64 v3, v[22:23] offset:3072
	s_branch .LBB147_198
.LBB147_203:                            ;   in Loop: Header=BB147_200 Depth=2
	v_add_nc_u64_e32 v[4:5], s[48:49], v[4:5]
	s_mov_b32 s28, 0
	s_delay_alu instid0(VALU_DEP_1)
	v_cmp_le_u64_e32 vcc_lo, s[10:11], v[4:5]
	s_or_not1_b32 s40, vcc_lo, exec_lo
	s_branch .LBB147_199
.LBB147_204:                            ;   in Loop: Header=BB147_10 Depth=1
	s_or_b32 exec_lo, exec_lo, s21
	s_delay_alu instid0(SALU_CYCLE_1) | instskip(SKIP_1) | instid1(SALU_CYCLE_1)
	s_and_not1_b32 s8, s22, exec_lo
	s_and_b32 s10, s23, exec_lo
	s_or_b32 s22, s8, s10
.LBB147_205:                            ;   in Loop: Header=BB147_10 Depth=1
	s_or_b32 exec_lo, exec_lo, s20
	s_mov_b32 s82, 0
	s_mov_b32 s83, -1
.LBB147_206:                            ;   in Loop: Header=BB147_10 Depth=1
	s_or_not1_b32 s10, s22, exec_lo
.LBB147_207:                            ;   in Loop: Header=BB147_10 Depth=1
	s_or_b32 exec_lo, exec_lo, s84
	s_mov_b32 s11, 0
	s_and_saveexec_b32 s84, s10
	s_cbranch_execz .LBB147_269
; %bb.208:                              ;   in Loop: Header=BB147_10 Depth=1
	v_mov_b64_e32 v[4:5], 1
	v_mov_b32_e32 v2, 1
	s_xor_b32 s20, s85, -1
	s_delay_alu instid0(SALU_CYCLE_1)
	s_and_saveexec_b32 s10, s20
	s_cbranch_execz .LBB147_217
; %bb.209:                              ;   in Loop: Header=BB147_10 Depth=1
	s_mov_b32 s11, exec_lo
	v_cmpx_ge_u64_e64 s[16:17], v[8:9]
	s_xor_b32 s11, exec_lo, s11
	s_cbranch_execz .LBB147_214
; %bb.210:                              ;   in Loop: Header=BB147_10 Depth=1
	ds_load_b64 v[4:5], v3 offset:5120
	s_lshl_b32 s20, 2, s96
	v_or_b32_e32 v11, s24, v11
	v_and_or_b32 v10, v10, s26, s20
	s_wait_dscnt 0x0
	v_cmp_ne_u64_e32 vcc_lo, 0, v[4:5]
	s_cbranch_vccnz .LBB147_214
; %bb.211:                              ;   in Loop: Header=BB147_10 Depth=1
	s_and_saveexec_b32 s20, s5
; %bb.212:                              ;   in Loop: Header=BB147_10 Depth=1
	v_mov_b64_e32 v[4:5], s[16:17]
	ds_store_b64 v3, v[4:5] offset:5128
; %bb.213:                              ;   in Loop: Header=BB147_10 Depth=1
	s_or_b32 exec_lo, exec_lo, s20
	s_wait_dscnt 0x0
	s_barrier_signal -1
	s_barrier_wait -1
.LBB147_214:                            ;   in Loop: Header=BB147_10 Depth=1
	s_or_saveexec_b32 s11, s11
	v_mov_b32_e32 v2, 8
	s_mov_b32 s20, 0
	s_xor_b32 exec_lo, exec_lo, s11
; %bb.215:                              ;   in Loop: Header=BB147_10 Depth=1
	v_sub_nc_u64_e64 v[8:9], v[8:9], s[16:17]
	v_mov_b32_e32 v2, 0
	s_mov_b32 s20, exec_lo
; %bb.216:                              ;   in Loop: Header=BB147_10 Depth=1
	s_or_b32 exec_lo, exec_lo, s11
	s_delay_alu instid0(VALU_DEP_2)
	v_mov_b64_e32 v[4:5], v[8:9]
	s_and_b32 s11, s20, exec_lo
.LBB147_217:                            ;   in Loop: Header=BB147_10 Depth=1
	s_or_b32 exec_lo, exec_lo, s10
	s_mov_b32 s10, -1
                                        ; implicit-def: $sgpr41
                                        ; implicit-def: $sgpr40
	s_and_saveexec_b32 s85, s11
	s_cbranch_execz .LBB147_268
; %bb.218:                              ;   in Loop: Header=BB147_10 Depth=1
	s_delay_alu instid0(VALU_DEP_1) | instskip(SKIP_3) | instid1(SALU_CYCLE_1)
	v_cmp_eq_u64_e32 vcc_lo, 1, v[4:5]
	s_cmp_eq_u64 s[18:19], 1
	s_mov_b32 s11, -1
	s_cselect_b32 s10, -1, 0
                                        ; implicit-def: $sgpr41
                                        ; implicit-def: $sgpr40
	s_and_b32 s86, s10, vcc_lo
	s_delay_alu instid0(SALU_CYCLE_1)
	s_and_saveexec_b32 s87, s86
	s_cbranch_execz .LBB147_256
; %bb.219:                              ;   in Loop: Header=BB147_10 Depth=1
	ds_load_b64 v[6:7], v3 offset:5120
	s_wait_dscnt 0x0
	s_barrier_signal -1
	s_barrier_wait -1
	v_readfirstlane_b32 s10, v6
	v_readfirstlane_b32 s11, v7
	s_and_saveexec_b32 s20, s6
; %bb.220:                              ;   in Loop: Header=BB147_10 Depth=1
	ds_store_b32 v32, v3
; %bb.221:                              ;   in Loop: Header=BB147_10 Depth=1
	s_or_b32 exec_lo, exec_lo, s20
	v_or_b32_e32 v10, s24, v10
	v_or_b32_e32 v11, s24, v11
	s_mov_b32 s40, -1
	s_mov_b32 s41, 0
	s_cmp_eq_u64 s[10:11], 0
	s_mov_b32 s22, 0
	s_mov_b32 s23, -1
	s_wait_dscnt 0x0
	s_barrier_signal -1
	s_barrier_wait -1
                                        ; implicit-def: $vgpr7
	s_cbranch_scc1 .LBB147_239
; %bb.222:                              ;   in Loop: Header=BB147_10 Depth=1
	s_add_nc_u64 s[20:21], s[10:11], s[64:65]
	s_wait_kmcnt 0x0
	s_mov_b64 s[56:57], s[58:59]
	s_and_b64 s[22:23], s[20:21], 0xffffffff00000000
	s_mov_b64 s[58:59], s[52:53]
	s_mov_b64 s[52:53], s[54:55]
	s_cmp_lg_u64 s[22:23], 0
	s_cbranch_scc0 .LBB147_226
; %bb.223:                              ;   in Loop: Header=BB147_10 Depth=1
	s_cvt_f32_u32 s22, s48
	s_sub_nc_u64 s[42:43], 0, s[48:49]
	s_delay_alu instid0(SALU_CYCLE_2) | instskip(NEXT) | instid1(SALU_CYCLE_3)
	s_fmamk_f32 s22, s98, 0x0, s22
	v_s_rcp_f32 s22, s22
	s_delay_alu instid0(TRANS32_DEP_1) | instskip(NEXT) | instid1(SALU_CYCLE_3)
	s_mul_f32 s22, s22, 0x5f7ffffc
	s_mul_f32 s23, s22, 0x2f800000
	s_delay_alu instid0(SALU_CYCLE_3) | instskip(NEXT) | instid1(SALU_CYCLE_3)
	s_trunc_f32 s23, s23
	s_fmamk_f32 s22, s23, 0xcf800000, s22
	s_cvt_u32_f32 s23, s23
	s_delay_alu instid0(SALU_CYCLE_2) | instskip(NEXT) | instid1(SALU_CYCLE_3)
	s_cvt_u32_f32 s22, s22
	s_mul_u64 s[44:45], s[42:43], s[22:23]
	s_delay_alu instid0(SALU_CYCLE_1)
	s_mul_hi_u32 s47, s22, s45
	s_mul_i32 s46, s22, s45
	s_mul_hi_u32 s28, s22, s44
	s_mul_i32 s8, s23, s44
	s_add_nc_u64 s[46:47], s[28:29], s[46:47]
	s_mul_hi_u32 vcc_lo, s23, s44
	s_mul_hi_u32 s54, s23, s45
	s_add_co_u32 s8, s46, s8
	s_add_co_ci_u32 s28, s47, vcc_lo
	s_mul_i32 s44, s23, s45
	s_add_co_ci_u32 s45, s54, 0
	s_delay_alu instid0(SALU_CYCLE_1) | instskip(NEXT) | instid1(SALU_CYCLE_1)
	s_add_nc_u64 s[44:45], s[28:29], s[44:45]
	s_add_co_u32 s22, s22, s44
	s_cselect_b32 s8, -1, 0
	s_delay_alu instid0(SALU_CYCLE_1) | instskip(SKIP_1) | instid1(SALU_CYCLE_1)
	s_cmp_lg_u32 s8, 0
	s_add_co_ci_u32 s23, s23, s45
	s_mul_u64 s[42:43], s[42:43], s[22:23]
	s_delay_alu instid0(SALU_CYCLE_1)
	s_mul_hi_u32 s45, s22, s43
	s_mul_i32 s44, s22, s43
	s_mul_hi_u32 s28, s22, s42
	s_mul_i32 s46, s23, s42
	s_add_nc_u64 s[44:45], s[28:29], s[44:45]
	s_mul_hi_u32 s8, s23, s42
	s_mul_hi_u32 s47, s23, s43
	s_add_co_u32 s28, s44, s46
	s_add_co_ci_u32 s28, s45, s8
	s_mul_i32 s42, s23, s43
	s_add_co_ci_u32 s43, s47, 0
	s_delay_alu instid0(SALU_CYCLE_1) | instskip(NEXT) | instid1(SALU_CYCLE_1)
	s_add_nc_u64 s[42:43], s[28:29], s[42:43]
	s_add_co_u32 s8, s22, s42
	s_cselect_b32 s22, -1, 0
	s_mul_hi_u32 s28, s20, s8
	s_cmp_lg_u32 s22, 0
	s_mul_hi_u32 s44, s21, s8
	s_add_co_ci_u32 s42, s23, s43
	s_mul_i32 s8, s21, s8
	s_mul_hi_u32 s23, s20, s42
	s_mul_i32 s22, s20, s42
	s_mul_hi_u32 s43, s21, s42
	s_add_nc_u64 s[22:23], s[28:29], s[22:23]
	s_mul_i32 s42, s21, s42
	s_add_co_u32 s8, s22, s8
	s_add_co_ci_u32 s28, s23, s44
	s_add_co_ci_u32 s43, s43, 0
	s_delay_alu instid0(SALU_CYCLE_1) | instskip(NEXT) | instid1(SALU_CYCLE_1)
	s_add_nc_u64 s[22:23], s[28:29], s[42:43]
	s_and_b64 s[42:43], s[22:23], 0xffffffff00000000
	s_delay_alu instid0(SALU_CYCLE_1) | instskip(NEXT) | instid1(SALU_CYCLE_1)
	s_or_b32 s42, s42, s22
	s_mul_u64 s[22:23], s[48:49], s[42:43]
	s_delay_alu instid0(SALU_CYCLE_1) | instskip(SKIP_1) | instid1(SALU_CYCLE_1)
	s_sub_co_u32 s8, s20, s22
	s_cselect_b32 s22, -1, 0
	s_cmp_lg_u32 s22, 0
	s_sub_co_ci_u32 s22, s21, s23
	s_sub_co_u32 s23, s8, s48
	s_cselect_b32 s28, -1, 0
	s_delay_alu instid0(SALU_CYCLE_1) | instskip(SKIP_3) | instid1(SALU_CYCLE_1)
	s_cmp_lg_u32 s28, 0
	s_sub_co_ci_u32 s28, s22, 0
	s_sub_co_u32 s42, s23, s48
	s_cselect_b32 s43, -1, 0
	s_cmp_lg_u32 s43, 0
	s_sub_co_ci_u32 s43, s28, 0
	s_cmp_ge_u32 s23, s48
	s_cselect_b32 s44, -1, 0
	s_cmp_eq_u32 s28, 0
	s_cselect_b32 s44, s44, -1
	s_delay_alu instid0(SALU_CYCLE_1)
	s_cmp_lg_u32 s44, 0
	s_cselect_b32 s28, s43, s28
	s_cselect_b32 s42, s42, s23
	s_cmp_ge_u32 s8, s48
	s_cselect_b32 s23, -1, 0
	s_cmp_eq_u32 s22, 0
	s_cselect_b32 s23, s23, -1
	s_delay_alu instid0(SALU_CYCLE_1)
	s_cmp_lg_u32 s23, 0
	s_cselect_b32 s23, s28, s22
	s_cselect_b32 s22, s42, s8
	s_mov_b32 s28, 0
	s_branch .LBB147_227
.LBB147_224:                            ;   in Loop: Header=BB147_10 Depth=1
                                        ; implicit-def: $sgpr22_sgpr23
	s_branch .LBB147_179
.LBB147_225:                            ;   in Loop: Header=BB147_10 Depth=1
                                        ; implicit-def: $sgpr10_sgpr11
	s_branch .LBB147_195
.LBB147_226:                            ;   in Loop: Header=BB147_10 Depth=1
	s_mov_b32 s28, -1
                                        ; implicit-def: $sgpr22_sgpr23
.LBB147_227:                            ;   in Loop: Header=BB147_10 Depth=1
	s_delay_alu instid0(SALU_CYCLE_1)
	s_and_not1_b32 vcc_lo, exec_lo, s28
	s_cbranch_vccnz .LBB147_229
; %bb.228:                              ;   in Loop: Header=BB147_10 Depth=1
	v_cvt_f32_u32_e32 v6, s48
	s_sub_co_i32 s23, 0, s48
	s_delay_alu instid0(VALU_DEP_1) | instskip(SKIP_1) | instid1(TRANS32_DEP_1)
	v_rcp_iflag_f32_e32 v6, v6
	v_nop
	v_mul_f32_e32 v6, 0x4f7ffffe, v6
	s_delay_alu instid0(VALU_DEP_1) | instskip(NEXT) | instid1(VALU_DEP_1)
	v_cvt_u32_f32_e32 v6, v6
	v_readfirstlane_b32 s22, v6
	s_mul_i32 s23, s23, s22
	s_delay_alu instid0(SALU_CYCLE_1) | instskip(NEXT) | instid1(SALU_CYCLE_1)
	s_mul_hi_u32 s23, s22, s23
	s_add_co_i32 s22, s22, s23
	s_delay_alu instid0(SALU_CYCLE_1) | instskip(NEXT) | instid1(SALU_CYCLE_1)
	s_mul_hi_u32 s22, s20, s22
	s_mul_i32 s22, s22, s48
	s_delay_alu instid0(SALU_CYCLE_1) | instskip(NEXT) | instid1(SALU_CYCLE_1)
	s_sub_co_i32 s22, s20, s22
	s_sub_co_i32 s23, s22, s48
	s_cmp_ge_u32 s22, s48
	s_cselect_b32 s22, s23, s22
	s_delay_alu instid0(SALU_CYCLE_1) | instskip(SKIP_2) | instid1(SALU_CYCLE_1)
	s_sub_co_i32 s23, s22, s48
	s_cmp_ge_u32 s22, s48
	s_cselect_b32 s28, s23, s22
	s_mov_b64 s[22:23], s[28:29]
.LBB147_229:                            ;   in Loop: Header=BB147_10 Depth=1
	s_delay_alu instid0(SALU_CYCLE_1)
	s_sub_nc_u64 s[20:21], s[20:21], s[22:23]
	s_mov_b32 s23, 0
	s_mov_b32 s22, 0
	s_mov_b32 s28, exec_lo
                                        ; implicit-def: $vgpr7
	v_cmpx_gt_u64_e64 s[20:21], v[0:1]
	s_mov_b64 s[54:55], s[52:53]
	s_mov_b64 s[52:53], s[58:59]
	;; [unrolled: 1-line block ×3, first 2 shown]
	s_load_b64 s[56:57], s[0:1], 0x380
	s_cbranch_execz .LBB147_238
; %bb.230:                              ;   in Loop: Header=BB147_10 Depth=1
	v_mov_b64_e32 v[8:9], v[0:1]
	v_mov_b32_e32 v24, v16
                                        ; implicit-def: $sgpr42
	s_branch .LBB147_233
.LBB147_231:                            ;   in Loop: Header=BB147_233 Depth=2
	s_or_b32 exec_lo, exec_lo, s43
	s_wait_dscnt 0x0
	s_barrier_signal -1
	s_barrier_wait -1
	ds_load_b64 v[6:7], v3 offset:3072
	s_mov_b32 s43, -1
	s_mov_b32 s44, -1
	s_wait_dscnt 0x0
	s_barrier_signal -1
	s_barrier_wait -1
	v_cmp_ne_u32_e32 vcc_lo, 0, v6
	s_cbranch_vccz .LBB147_236
.LBB147_232:                            ;   in Loop: Header=BB147_233 Depth=2
	s_and_b32 s8, exec_lo, s43
	s_delay_alu instid0(SALU_CYCLE_1) | instskip(SKIP_2) | instid1(SALU_CYCLE_1)
	s_or_b32 s22, s8, s22
	s_and_not1_b32 s8, s42, exec_lo
	s_and_b32 s42, s44, exec_lo
	s_or_b32 s42, s8, s42
	s_and_not1_b32 exec_lo, exec_lo, s22
	s_cbranch_execz .LBB147_237
.LBB147_233:                            ;   Parent Loop BB147_10 Depth=1
                                        ; =>  This Inner Loop Header: Depth=2
	s_mov_b32 s43, exec_lo
	s_delay_alu instid0(VALU_DEP_2)
	v_cmpx_gt_u64_e64 s[10:11], v[8:9]
	s_cbranch_execz .LBB147_231
; %bb.234:                              ;   in Loop: Header=BB147_233 Depth=2
	ds_load_b32 v23, v24
	s_wait_dscnt 0x0
	v_bitop3_b32 v6, v23, v11, 0x80000000 bitop3:0x48
	s_delay_alu instid0(VALU_DEP_1)
	v_cmp_eq_u32_e32 vcc_lo, v6, v10
	s_and_b32 exec_lo, exec_lo, vcc_lo
	s_cbranch_execz .LBB147_231
; %bb.235:                              ;   in Loop: Header=BB147_233 Depth=2
	ds_store_b64 v3, v[22:23] offset:3072
	s_branch .LBB147_231
.LBB147_236:                            ;   in Loop: Header=BB147_233 Depth=2
	v_add_nc_u64_e32 v[8:9], s[48:49], v[8:9]
	v_add_nc_u32_e32 v24, s95, v24
	s_mov_b32 s44, 0
	s_delay_alu instid0(VALU_DEP_2)
	v_cmp_le_u64_e32 vcc_lo, s[20:21], v[8:9]
	s_or_not1_b32 s43, vcc_lo, exec_lo
	s_branch .LBB147_232
.LBB147_237:                            ;   in Loop: Header=BB147_10 Depth=1
	s_or_b32 exec_lo, exec_lo, s22
	s_delay_alu instid0(SALU_CYCLE_1)
	s_and_b32 s22, s42, exec_lo
.LBB147_238:                            ;   in Loop: Header=BB147_10 Depth=1
	s_or_b32 exec_lo, exec_lo, s28
.LBB147_239:                            ;   in Loop: Header=BB147_10 Depth=1
	s_delay_alu instid0(SALU_CYCLE_1)
	s_and_b32 vcc_lo, exec_lo, s23
	s_cbranch_vccz .LBB147_255
; %bb.240:                              ;   in Loop: Header=BB147_10 Depth=1
	s_and_b64 s[10:11], s[66:67], 0xffffffff00000000
	s_delay_alu instid0(SALU_CYCLE_1)
	s_cmp_lg_u64 s[10:11], 0
	s_cbranch_scc0 .LBB147_242
; %bb.241:                              ;   in Loop: Header=BB147_10 Depth=1
	s_cvt_f32_u32 s8, s48
	s_sub_nc_u64 s[20:21], 0, s[48:49]
	s_delay_alu instid0(SALU_CYCLE_2) | instskip(NEXT) | instid1(SALU_CYCLE_3)
	s_fmamk_f32 s8, s98, 0x0, s8
	v_s_rcp_f32 s8, s8
	s_delay_alu instid0(TRANS32_DEP_1) | instskip(NEXT) | instid1(SALU_CYCLE_3)
	s_mul_f32 s8, s8, 0x5f7ffffc
	s_mul_f32 s10, s8, 0x2f800000
	s_delay_alu instid0(SALU_CYCLE_3) | instskip(NEXT) | instid1(SALU_CYCLE_3)
	s_trunc_f32 s10, s10
	s_fmamk_f32 s8, s10, 0xcf800000, s8
	s_cvt_u32_f32 s11, s10
	s_delay_alu instid0(SALU_CYCLE_2) | instskip(NEXT) | instid1(SALU_CYCLE_3)
	s_cvt_u32_f32 s10, s8
	s_mul_u64 s[40:41], s[20:21], s[10:11]
	s_delay_alu instid0(SALU_CYCLE_1)
	s_mul_hi_u32 s43, s10, s41
	s_mul_i32 s42, s10, s41
	s_mul_hi_u32 s28, s10, s40
	s_mul_i32 s23, s11, s40
	s_add_nc_u64 s[42:43], s[28:29], s[42:43]
	s_mul_hi_u32 s8, s11, s40
	s_mul_hi_u32 s44, s11, s41
	s_add_co_u32 s23, s42, s23
	s_add_co_ci_u32 s28, s43, s8
	s_mul_i32 s40, s11, s41
	s_add_co_ci_u32 s41, s44, 0
	s_delay_alu instid0(SALU_CYCLE_1) | instskip(NEXT) | instid1(SALU_CYCLE_1)
	s_add_nc_u64 s[40:41], s[28:29], s[40:41]
	s_add_co_u32 s10, s10, s40
	s_cselect_b32 s8, -1, 0
	s_delay_alu instid0(SALU_CYCLE_1) | instskip(SKIP_1) | instid1(SALU_CYCLE_1)
	s_cmp_lg_u32 s8, 0
	s_add_co_ci_u32 s11, s11, s41
	s_mul_u64 s[20:21], s[20:21], s[10:11]
	s_delay_alu instid0(SALU_CYCLE_1)
	s_mul_hi_u32 s41, s10, s21
	s_mul_i32 s40, s10, s21
	s_mul_hi_u32 s28, s10, s20
	s_mul_i32 s23, s11, s20
	s_add_nc_u64 s[40:41], s[28:29], s[40:41]
	s_mul_hi_u32 s8, s11, s20
	s_mul_hi_u32 s42, s11, s21
	s_mul_i32 s20, s11, s21
	s_add_co_u32 s21, s40, s23
	s_add_co_ci_u32 s28, s41, s8
	s_add_co_ci_u32 s21, s42, 0
	s_delay_alu instid0(SALU_CYCLE_1) | instskip(NEXT) | instid1(SALU_CYCLE_1)
	s_add_nc_u64 s[20:21], s[28:29], s[20:21]
	s_add_co_u32 s8, s10, s20
	s_cselect_b32 s10, -1, 0
	s_mul_hi_u32 s28, s66, s8
	s_cmp_lg_u32 s10, 0
	s_mul_hi_u32 s23, s67, s8
	s_add_co_ci_u32 s20, s11, s21
	s_mul_i32 s8, s67, s8
	s_mul_hi_u32 s11, s66, s20
	s_mul_i32 s10, s66, s20
	s_mul_hi_u32 s21, s67, s20
	s_add_nc_u64 s[10:11], s[28:29], s[10:11]
	s_mul_i32 s20, s67, s20
	s_add_co_u32 s8, s10, s8
	s_add_co_ci_u32 s28, s11, s23
	s_add_co_ci_u32 s21, s21, 0
	s_delay_alu instid0(SALU_CYCLE_1) | instskip(NEXT) | instid1(SALU_CYCLE_1)
	s_add_nc_u64 s[10:11], s[28:29], s[20:21]
	s_and_b64 s[20:21], s[10:11], 0xffffffff00000000
	s_delay_alu instid0(SALU_CYCLE_1) | instskip(NEXT) | instid1(SALU_CYCLE_1)
	s_or_b32 s20, s20, s10
	s_mul_u64 s[10:11], s[48:49], s[20:21]
	s_delay_alu instid0(SALU_CYCLE_1) | instskip(SKIP_1) | instid1(SALU_CYCLE_1)
	s_sub_co_u32 s8, s66, s10
	s_cselect_b32 s10, -1, 0
	s_cmp_lg_u32 s10, 0
	s_sub_co_ci_u32 s10, s67, s11
	s_sub_co_u32 s11, s8, s48
	s_cselect_b32 s20, -1, 0
	s_delay_alu instid0(SALU_CYCLE_1) | instskip(SKIP_3) | instid1(SALU_CYCLE_1)
	s_cmp_lg_u32 s20, 0
	s_sub_co_ci_u32 s20, s10, 0
	s_sub_co_u32 s21, s11, s48
	s_cselect_b32 s23, -1, 0
	s_cmp_lg_u32 s23, 0
	s_sub_co_ci_u32 s23, s20, 0
	s_cmp_ge_u32 s11, s48
	s_cselect_b32 s28, -1, 0
	s_cmp_eq_u32 s20, 0
	s_cselect_b32 s28, s28, -1
	s_delay_alu instid0(SALU_CYCLE_1)
	s_cmp_lg_u32 s28, 0
	s_cselect_b32 s20, s23, s20
	s_cselect_b32 s21, s21, s11
	s_cmp_ge_u32 s8, s48
	s_cselect_b32 s11, -1, 0
	s_cmp_eq_u32 s10, 0
	s_cselect_b32 s11, s11, -1
	s_delay_alu instid0(SALU_CYCLE_1)
	s_cmp_lg_u32 s11, 0
	s_cselect_b32 s11, s20, s10
	s_cselect_b32 s10, s21, s8
	s_mov_b32 s20, 0
	s_branch .LBB147_243
.LBB147_242:                            ;   in Loop: Header=BB147_10 Depth=1
	s_mov_b32 s20, -1
                                        ; implicit-def: $sgpr10_sgpr11
.LBB147_243:                            ;   in Loop: Header=BB147_10 Depth=1
	s_delay_alu instid0(SALU_CYCLE_1)
	s_and_not1_b32 vcc_lo, exec_lo, s20
	s_cbranch_vccnz .LBB147_245
; %bb.244:                              ;   in Loop: Header=BB147_10 Depth=1
	v_cvt_f32_u32_e32 v6, s48
	s_sub_co_i32 s10, 0, s48
	s_delay_alu instid0(VALU_DEP_1) | instskip(SKIP_1) | instid1(TRANS32_DEP_1)
	v_rcp_iflag_f32_e32 v6, v6
	v_nop
	v_mul_f32_e32 v6, 0x4f7ffffe, v6
	s_delay_alu instid0(VALU_DEP_1) | instskip(NEXT) | instid1(VALU_DEP_1)
	v_cvt_u32_f32_e32 v6, v6
	v_readfirstlane_b32 s8, v6
	s_mul_i32 s10, s10, s8
	s_delay_alu instid0(SALU_CYCLE_1) | instskip(NEXT) | instid1(SALU_CYCLE_1)
	s_mul_hi_u32 s10, s8, s10
	s_add_co_i32 s8, s8, s10
	s_delay_alu instid0(SALU_CYCLE_1) | instskip(NEXT) | instid1(SALU_CYCLE_1)
	s_mul_hi_u32 s8, s66, s8
	s_mul_i32 s8, s8, s48
	s_delay_alu instid0(SALU_CYCLE_1) | instskip(NEXT) | instid1(SALU_CYCLE_1)
	s_sub_co_i32 s8, s66, s8
	s_sub_co_i32 s10, s8, s48
	s_cmp_ge_u32 s8, s48
	s_cselect_b32 s8, s10, s8
	s_delay_alu instid0(SALU_CYCLE_1) | instskip(SKIP_2) | instid1(SALU_CYCLE_1)
	s_sub_co_i32 s10, s8, s48
	s_cmp_ge_u32 s8, s48
	s_cselect_b32 s28, s10, s8
	s_mov_b64 s[10:11], s[28:29]
.LBB147_245:                            ;   in Loop: Header=BB147_10 Depth=1
	s_delay_alu instid0(SALU_CYCLE_1)
	s_sub_nc_u64 s[10:11], s[66:67], s[10:11]
	s_mov_b32 s20, exec_lo
                                        ; implicit-def: $vgpr7
	v_cmpx_gt_u64_e64 s[10:11], v[0:1]
	s_cbranch_execz .LBB147_254
; %bb.246:                              ;   in Loop: Header=BB147_10 Depth=1
	v_mov_b64_e32 v[8:9], v[0:1]
	s_mov_b32 s21, 0
                                        ; implicit-def: $sgpr23
	s_branch .LBB147_249
.LBB147_247:                            ;   in Loop: Header=BB147_249 Depth=2
	s_or_b32 exec_lo, exec_lo, s28
	s_wait_dscnt 0x0
	s_barrier_signal -1
	s_barrier_wait -1
	ds_load_b64 v[6:7], v3 offset:3072
	s_mov_b32 s40, -1
	s_mov_b32 s28, -1
	s_wait_dscnt 0x0
	s_barrier_signal -1
	s_barrier_wait -1
	v_cmp_eq_u32_e32 vcc_lo, 0, v6
	s_cbranch_vccnz .LBB147_252
.LBB147_248:                            ;   in Loop: Header=BB147_249 Depth=2
	s_and_b32 s8, exec_lo, s40
	s_delay_alu instid0(SALU_CYCLE_1) | instskip(SKIP_2) | instid1(SALU_CYCLE_1)
	s_or_b32 s21, s8, s21
	s_and_not1_b32 s8, s23, exec_lo
	s_and_b32 s23, s28, exec_lo
	s_or_b32 s23, s8, s23
	s_and_not1_b32 exec_lo, exec_lo, s21
	s_cbranch_execz .LBB147_253
.LBB147_249:                            ;   Parent Loop BB147_10 Depth=1
                                        ; =>  This Inner Loop Header: Depth=2
	s_mov_b32 s28, exec_lo
	s_delay_alu instid0(VALU_DEP_1)
	v_cmpx_gt_u64_e64 s[36:37], v[8:9]
	s_cbranch_execz .LBB147_247
; %bb.250:                              ;   in Loop: Header=BB147_249 Depth=2
	v_mul_u64_e32 v[6:7], s[30:31], v[8:9]
	s_delay_alu instid0(VALU_DEP_1) | instskip(SKIP_3) | instid1(VALU_DEP_1)
	v_lshl_add_u64 v[6:7], v[6:7], 2, s[34:35]
	global_load_b32 v23, v[6:7], off
	s_wait_loadcnt 0x0
	v_bitop3_b32 v6, v23, v11, 0x80000000 bitop3:0x48
	v_cmp_eq_u32_e32 vcc_lo, v6, v10
	s_and_b32 exec_lo, exec_lo, vcc_lo
	s_cbranch_execz .LBB147_247
; %bb.251:                              ;   in Loop: Header=BB147_249 Depth=2
	ds_store_b64 v3, v[22:23] offset:3072
	s_branch .LBB147_247
.LBB147_252:                            ;   in Loop: Header=BB147_249 Depth=2
	v_add_nc_u64_e32 v[8:9], s[48:49], v[8:9]
	s_mov_b32 s28, 0
	s_delay_alu instid0(VALU_DEP_1)
	v_cmp_le_u64_e32 vcc_lo, s[10:11], v[8:9]
	s_or_not1_b32 s40, vcc_lo, exec_lo
	s_branch .LBB147_248
.LBB147_253:                            ;   in Loop: Header=BB147_10 Depth=1
	s_or_b32 exec_lo, exec_lo, s21
	s_delay_alu instid0(SALU_CYCLE_1) | instskip(SKIP_1) | instid1(SALU_CYCLE_1)
	s_and_not1_b32 s8, s22, exec_lo
	s_and_b32 s10, s23, exec_lo
	s_or_b32 s22, s8, s10
.LBB147_254:                            ;   in Loop: Header=BB147_10 Depth=1
	s_or_b32 exec_lo, exec_lo, s20
	s_mov_b32 s40, 0
	s_mov_b32 s41, -1
.LBB147_255:                            ;   in Loop: Header=BB147_10 Depth=1
	s_or_not1_b32 s11, s22, exec_lo
.LBB147_256:                            ;   in Loop: Header=BB147_10 Depth=1
	s_or_b32 exec_lo, exec_lo, s87
	s_mov_b32 s20, 0
	s_and_saveexec_b32 s10, s11
	s_cbranch_execz .LBB147_267
; %bb.257:                              ;   in Loop: Header=BB147_10 Depth=1
	v_mov_b64_e32 v[8:9], 1
	v_mov_b32_e32 v2, 1
	s_xor_b32 s8, s86, -1
	s_delay_alu instid0(SALU_CYCLE_1)
	s_and_saveexec_b32 s11, s8
	s_cbranch_execz .LBB147_266
; %bb.258:                              ;   in Loop: Header=BB147_10 Depth=1
	s_mov_b32 s8, exec_lo
	v_cmpx_ge_u64_e64 s[18:19], v[4:5]
	s_xor_b32 s20, exec_lo, s8
	s_cbranch_execz .LBB147_263
; %bb.259:                              ;   in Loop: Header=BB147_10 Depth=1
	ds_load_b64 v[8:9], v3 offset:5120
	v_or_b32_e32 v10, s24, v10
	v_or_b32_e32 v11, s24, v11
	s_wait_dscnt 0x0
	v_cmp_ne_u64_e32 vcc_lo, 0, v[8:9]
	s_cbranch_vccnz .LBB147_263
; %bb.260:                              ;   in Loop: Header=BB147_10 Depth=1
	s_and_saveexec_b32 s21, s5
; %bb.261:                              ;   in Loop: Header=BB147_10 Depth=1
	v_mov_b64_e32 v[8:9], s[18:19]
	ds_store_b64 v3, v[8:9] offset:5128
; %bb.262:                              ;   in Loop: Header=BB147_10 Depth=1
	s_or_b32 exec_lo, exec_lo, s21
	s_wait_dscnt 0x0
	s_barrier_signal -1
	s_barrier_wait -1
.LBB147_263:                            ;   in Loop: Header=BB147_10 Depth=1
	s_and_not1_saveexec_b32 s20, s20
; %bb.264:                              ;   in Loop: Header=BB147_10 Depth=1
	v_sub_nc_u64_e64 v[4:5], v[4:5], s[18:19]
; %bb.265:                              ;   in Loop: Header=BB147_10 Depth=1
	s_or_b32 exec_lo, exec_lo, s20
	s_delay_alu instid0(VALU_DEP_1)
	v_mov_b64_e32 v[8:9], v[4:5]
	v_mov_b32_e32 v2, 8
.LBB147_266:                            ;   in Loop: Header=BB147_10 Depth=1
	s_or_b32 exec_lo, exec_lo, s11
	s_delay_alu instid0(VALU_DEP_2)
	v_mov_b64_e32 v[4:5], v[8:9]
	s_mov_b32 s20, exec_lo
.LBB147_267:                            ;   in Loop: Header=BB147_10 Depth=1
	s_or_b32 exec_lo, exec_lo, s10
	s_delay_alu instid0(SALU_CYCLE_1)
	s_or_not1_b32 s10, s20, exec_lo
.LBB147_268:                            ;   in Loop: Header=BB147_10 Depth=1
	s_or_b32 exec_lo, exec_lo, s85
	s_delay_alu instid0(VALU_DEP_1)
	v_mov_b64_e32 v[8:9], v[4:5]
	s_and_not1_b32 s11, s83, exec_lo
	s_and_b32 s20, s41, exec_lo
	s_and_not1_b32 s21, s82, exec_lo
	s_and_b32 s22, s40, exec_lo
	s_or_b32 s83, s11, s20
	s_or_b32 s82, s21, s22
	s_and_b32 s11, s10, exec_lo
.LBB147_269:                            ;   in Loop: Header=BB147_10 Depth=1
	s_or_b32 exec_lo, exec_lo, s84
	s_delay_alu instid0(SALU_CYCLE_1)
	s_or_not1_b32 s10, s11, exec_lo
.LBB147_270:                            ;   in Loop: Header=BB147_10 Depth=1
	s_or_b32 exec_lo, exec_lo, s81
	v_mov_b64_e32 v[4:5], v[8:9]
	s_and_not1_b32 s11, s79, exec_lo
	s_and_b32 s20, s83, exec_lo
	s_and_not1_b32 s21, s74, exec_lo
	s_and_b32 s22, s82, exec_lo
	s_or_b32 s79, s11, s20
	s_or_b32 s74, s21, s22
	s_and_b32 s11, s10, exec_lo
.LBB147_271:                            ;   in Loop: Header=BB147_10 Depth=1
	s_or_b32 exec_lo, exec_lo, s80
	s_delay_alu instid0(SALU_CYCLE_1)
	s_or_not1_b32 s10, s11, exec_lo
.LBB147_272:                            ;   in Loop: Header=BB147_10 Depth=1
	s_or_b32 exec_lo, exec_lo, s27
	s_mov_b32 s11, 0
	s_mov_b32 s20, 0
	s_and_saveexec_b32 s21, s10
	s_delay_alu instid0(SALU_CYCLE_1)
	s_xor_b32 s21, exec_lo, s21
; %bb.273:                              ;   in Loop: Header=BB147_10 Depth=1
	v_cmp_ne_u32_e32 vcc_lo, 8, v2
	v_cmp_eq_u32_e64 s10, 8, v2
	s_and_b32 s20, vcc_lo, exec_lo
	s_and_b32 s11, s10, exec_lo
; %bb.274:                              ;   in Loop: Header=BB147_10 Depth=1
	s_or_b32 exec_lo, exec_lo, s21
	s_delay_alu instid0(SALU_CYCLE_1)
	s_and_not1_b32 s10, s76, exec_lo
	s_and_b32 s21, s79, exec_lo
	s_and_not1_b32 s22, s75, exec_lo
	s_and_b32 s23, s74, exec_lo
	s_or_b32 s76, s10, s21
	s_or_b32 s75, s22, s23
	s_and_b32 s27, s20, exec_lo
	s_and_b32 s74, s11, exec_lo
.LBB147_275:                            ;   in Loop: Header=BB147_10 Depth=1
	s_or_b32 exec_lo, exec_lo, s78
.LBB147_276:                            ;   in Loop: Header=BB147_10 Depth=1
	s_delay_alu instid0(SALU_CYCLE_1)
	s_and_b32 vcc_lo, exec_lo, s77
	s_cbranch_vccz .LBB147_292
; %bb.277:                              ;   in Loop: Header=BB147_10 Depth=1
	s_cmp_eq_u64 s[18:19], 1
                                        ; implicit-def: $sgpr77
                                        ; implicit-def: $sgpr25
	s_cselect_b32 s10, -1, 0
	s_delay_alu instid0(SALU_CYCLE_1)
	s_and_b32 s9, s10, s9
	s_mov_b32 s10, -1
	s_and_saveexec_b32 s75, s9
	s_cbranch_execz .LBB147_310
; %bb.278:                              ;   in Loop: Header=BB147_10 Depth=1
	ds_load_b64 v[4:5], v3 offset:5120
	s_wait_dscnt 0x0
	s_barrier_signal -1
	s_barrier_wait -1
	v_readfirstlane_b32 s10, v4
	v_readfirstlane_b32 s11, v5
	s_and_saveexec_b32 s20, s6
; %bb.279:                              ;   in Loop: Header=BB147_10 Depth=1
	ds_store_b32 v32, v3
; %bb.280:                              ;   in Loop: Header=BB147_10 Depth=1
	s_or_b32 exec_lo, exec_lo, s20
	v_or_b32_e32 v34, s24, v34
	v_or_b32_e32 v37, s24, v37
	s_mov_b32 s25, -1
	s_mov_b32 s77, 0
	s_cmp_eq_u64 s[10:11], 0
	s_mov_b32 s22, 0
	s_mov_b32 s23, -1
	s_wait_dscnt 0x0
	s_barrier_signal -1
	s_barrier_wait -1
                                        ; implicit-def: $vgpr25
	s_cbranch_scc1 .LBB147_295
; %bb.281:                              ;   in Loop: Header=BB147_10 Depth=1
	s_add_nc_u64 s[20:21], s[10:11], s[64:65]
	s_delay_alu instid0(SALU_CYCLE_1) | instskip(NEXT) | instid1(SALU_CYCLE_1)
	s_and_b64 s[22:23], s[20:21], 0xffffffff00000000
	s_cmp_lg_u64 s[22:23], 0
	s_cbranch_scc0 .LBB147_336
; %bb.282:                              ;   in Loop: Header=BB147_10 Depth=1
	s_cvt_f32_u32 s22, s48
	s_sub_nc_u64 s[40:41], 0, s[48:49]
	s_delay_alu instid0(SALU_CYCLE_2) | instskip(NEXT) | instid1(SALU_CYCLE_3)
	s_fmamk_f32 s22, s98, 0x0, s22
	v_s_rcp_f32 s22, s22
	s_delay_alu instid0(TRANS32_DEP_1) | instskip(NEXT) | instid1(SALU_CYCLE_3)
	s_mul_f32 s22, s22, 0x5f7ffffc
	s_mul_f32 s23, s22, 0x2f800000
	s_delay_alu instid0(SALU_CYCLE_3) | instskip(NEXT) | instid1(SALU_CYCLE_3)
	s_trunc_f32 s23, s23
	s_fmamk_f32 s22, s23, 0xcf800000, s22
	s_cvt_u32_f32 s23, s23
	s_delay_alu instid0(SALU_CYCLE_2) | instskip(NEXT) | instid1(SALU_CYCLE_3)
	s_cvt_u32_f32 s22, s22
	s_mul_u64 s[42:43], s[40:41], s[22:23]
	s_delay_alu instid0(SALU_CYCLE_1)
	s_mul_hi_u32 s45, s22, s43
	s_mul_i32 s44, s22, s43
	s_mul_hi_u32 s28, s22, s42
	s_mul_i32 s47, s23, s42
	s_add_nc_u64 s[44:45], s[28:29], s[44:45]
	s_mul_hi_u32 s46, s23, s42
	s_mul_hi_u32 s76, s23, s43
	s_add_co_u32 s28, s44, s47
	s_add_co_ci_u32 s28, s45, s46
	s_mul_i32 s42, s23, s43
	s_add_co_ci_u32 s43, s76, 0
	s_delay_alu instid0(SALU_CYCLE_1) | instskip(NEXT) | instid1(SALU_CYCLE_1)
	s_add_nc_u64 s[42:43], s[28:29], s[42:43]
	s_add_co_u32 s22, s22, s42
	s_cselect_b32 s28, -1, 0
	s_delay_alu instid0(SALU_CYCLE_1) | instskip(SKIP_1) | instid1(SALU_CYCLE_1)
	s_cmp_lg_u32 s28, 0
	s_add_co_ci_u32 s23, s23, s43
	s_mul_u64 s[40:41], s[40:41], s[22:23]
	s_delay_alu instid0(SALU_CYCLE_1)
	s_mul_hi_u32 s43, s22, s41
	s_mul_i32 s42, s22, s41
	s_mul_hi_u32 s28, s22, s40
	s_mul_i32 s45, s23, s40
	s_add_nc_u64 s[42:43], s[28:29], s[42:43]
	s_mul_hi_u32 s44, s23, s40
	s_mul_hi_u32 s46, s23, s41
	s_add_co_u32 s28, s42, s45
	s_add_co_ci_u32 s28, s43, s44
	s_mul_i32 s40, s23, s41
	s_add_co_ci_u32 s41, s46, 0
	s_delay_alu instid0(SALU_CYCLE_1) | instskip(NEXT) | instid1(SALU_CYCLE_1)
	s_add_nc_u64 s[40:41], s[28:29], s[40:41]
	s_add_co_u32 s22, s22, s40
	s_cselect_b32 s40, -1, 0
	s_mul_hi_u32 s28, s20, s22
	s_cmp_lg_u32 s40, 0
	s_mul_hi_u32 s42, s21, s22
	s_add_co_ci_u32 s40, s23, s41
	s_mul_i32 s41, s21, s22
	s_mul_hi_u32 s23, s20, s40
	s_mul_i32 s22, s20, s40
	s_mul_hi_u32 s43, s21, s40
	s_add_nc_u64 s[22:23], s[28:29], s[22:23]
	s_mul_i32 s40, s21, s40
	s_add_co_u32 s22, s22, s41
	s_add_co_ci_u32 s28, s23, s42
	s_add_co_ci_u32 s41, s43, 0
	s_delay_alu instid0(SALU_CYCLE_1) | instskip(NEXT) | instid1(SALU_CYCLE_1)
	s_add_nc_u64 s[22:23], s[28:29], s[40:41]
	s_and_b64 s[40:41], s[22:23], 0xffffffff00000000
	s_delay_alu instid0(SALU_CYCLE_1) | instskip(NEXT) | instid1(SALU_CYCLE_1)
	s_or_b32 s40, s40, s22
	s_mul_u64 s[22:23], s[48:49], s[40:41]
	s_delay_alu instid0(SALU_CYCLE_1) | instskip(SKIP_1) | instid1(SALU_CYCLE_1)
	s_sub_co_u32 s22, s20, s22
	s_cselect_b32 s28, -1, 0
	s_cmp_lg_u32 s28, 0
	s_sub_co_ci_u32 s23, s21, s23
	s_sub_co_u32 s28, s22, s48
	s_cselect_b32 s40, -1, 0
	s_delay_alu instid0(SALU_CYCLE_1) | instskip(SKIP_3) | instid1(SALU_CYCLE_1)
	s_cmp_lg_u32 s40, 0
	s_sub_co_ci_u32 s40, s23, 0
	s_sub_co_u32 s41, s28, s48
	s_cselect_b32 s42, -1, 0
	s_cmp_lg_u32 s42, 0
	s_sub_co_ci_u32 s42, s40, 0
	s_cmp_ge_u32 s28, s48
	s_cselect_b32 s43, -1, 0
	s_cmp_eq_u32 s40, 0
	s_cselect_b32 s43, s43, -1
	s_delay_alu instid0(SALU_CYCLE_1)
	s_cmp_lg_u32 s43, 0
	s_cselect_b32 s40, s42, s40
	s_cselect_b32 s28, s41, s28
	s_cmp_ge_u32 s22, s48
	s_cselect_b32 s41, -1, 0
	s_cmp_eq_u32 s23, 0
	s_cselect_b32 s41, s41, -1
	s_delay_alu instid0(SALU_CYCLE_1)
	s_cmp_lg_u32 s41, 0
	s_cselect_b32 s23, s40, s23
	s_cselect_b32 s22, s28, s22
	s_cbranch_execnz .LBB147_284
.LBB147_283:                            ;   in Loop: Header=BB147_10 Depth=1
	v_cvt_f32_u32_e32 v2, s48
	s_sub_co_i32 s23, 0, s48
	s_delay_alu instid0(VALU_DEP_1) | instskip(SKIP_1) | instid1(TRANS32_DEP_1)
	v_rcp_iflag_f32_e32 v2, v2
	v_nop
	v_mul_f32_e32 v2, 0x4f7ffffe, v2
	s_delay_alu instid0(VALU_DEP_1) | instskip(NEXT) | instid1(VALU_DEP_1)
	v_cvt_u32_f32_e32 v2, v2
	v_readfirstlane_b32 s22, v2
	s_mul_i32 s23, s23, s22
	s_delay_alu instid0(SALU_CYCLE_1) | instskip(NEXT) | instid1(SALU_CYCLE_1)
	s_mul_hi_u32 s23, s22, s23
	s_add_co_i32 s22, s22, s23
	s_delay_alu instid0(SALU_CYCLE_1) | instskip(NEXT) | instid1(SALU_CYCLE_1)
	s_mul_hi_u32 s22, s20, s22
	s_mul_i32 s22, s22, s48
	s_delay_alu instid0(SALU_CYCLE_1) | instskip(NEXT) | instid1(SALU_CYCLE_1)
	s_sub_co_i32 s22, s20, s22
	s_sub_co_i32 s23, s22, s48
	s_cmp_ge_u32 s22, s48
	s_cselect_b32 s22, s23, s22
	s_delay_alu instid0(SALU_CYCLE_1) | instskip(SKIP_2) | instid1(SALU_CYCLE_1)
	s_sub_co_i32 s23, s22, s48
	s_cmp_ge_u32 s22, s48
	s_cselect_b32 s28, s23, s22
	s_mov_b64 s[22:23], s[28:29]
.LBB147_284:                            ;   in Loop: Header=BB147_10 Depth=1
	s_delay_alu instid0(SALU_CYCLE_1)
	s_sub_nc_u64 s[20:21], s[20:21], s[22:23]
	s_mov_b32 s23, 0
	s_mov_b32 s22, 0
	s_mov_b32 s28, exec_lo
                                        ; implicit-def: $vgpr25
	v_cmpx_gt_u64_e64 s[20:21], v[0:1]
	s_cbranch_execz .LBB147_294
; %bb.285:                              ;   in Loop: Header=BB147_10 Depth=1
	v_mov_b64_e32 v[4:5], v[0:1]
	v_mov_b32_e32 v2, v16
                                        ; implicit-def: $sgpr40
	s_branch .LBB147_288
.LBB147_286:                            ;   in Loop: Header=BB147_288 Depth=2
	s_or_b32 exec_lo, exec_lo, s41
	s_wait_dscnt 0x0
	s_barrier_signal -1
	s_barrier_wait -1
	ds_load_b64 v[24:25], v3 offset:3072
	s_mov_b32 s41, -1
	s_mov_b32 s42, -1
	s_wait_dscnt 0x0
	s_barrier_signal -1
	s_barrier_wait -1
	v_cmp_ne_u32_e32 vcc_lo, 0, v24
	s_cbranch_vccz .LBB147_291
.LBB147_287:                            ;   in Loop: Header=BB147_288 Depth=2
	s_and_b32 s8, exec_lo, s41
	s_delay_alu instid0(SALU_CYCLE_1) | instskip(SKIP_2) | instid1(SALU_CYCLE_1)
	s_or_b32 s22, s8, s22
	s_and_not1_b32 s8, s40, exec_lo
	s_and_b32 s40, s42, exec_lo
	s_or_b32 s40, s8, s40
	s_and_not1_b32 exec_lo, exec_lo, s22
	s_cbranch_execz .LBB147_293
.LBB147_288:                            ;   Parent Loop BB147_10 Depth=1
                                        ; =>  This Inner Loop Header: Depth=2
	s_mov_b32 s41, exec_lo
	s_delay_alu instid0(VALU_DEP_2)
	v_cmpx_gt_u64_e64 s[10:11], v[4:5]
	s_cbranch_execz .LBB147_286
; %bb.289:                              ;   in Loop: Header=BB147_288 Depth=2
	ds_load_b32 v23, v2
	s_wait_dscnt 0x0
	v_bitop3_b32 v6, v23, v37, 0x80000000 bitop3:0x48
	s_delay_alu instid0(VALU_DEP_1)
	v_cmp_eq_u32_e32 vcc_lo, v6, v34
	s_and_b32 exec_lo, exec_lo, vcc_lo
	s_cbranch_execz .LBB147_286
; %bb.290:                              ;   in Loop: Header=BB147_288 Depth=2
	ds_store_b64 v3, v[22:23] offset:3072
	s_branch .LBB147_286
.LBB147_291:                            ;   in Loop: Header=BB147_288 Depth=2
	v_add_nc_u64_e32 v[4:5], s[48:49], v[4:5]
	v_add_nc_u32_e32 v2, s95, v2
	s_mov_b32 s42, 0
	s_delay_alu instid0(VALU_DEP_2)
	v_cmp_le_u64_e32 vcc_lo, s[20:21], v[4:5]
	s_or_not1_b32 s41, vcc_lo, exec_lo
	s_branch .LBB147_287
.LBB147_292:                            ;   in Loop: Header=BB147_10 Depth=1
	v_dual_mov_b32 v34, v10 :: v_dual_mov_b32 v37, v11
	v_mov_b32_e32 v25, v7
	s_mov_b32 s77, 0
	s_and_saveexec_b32 s9, s74
	s_cbranch_execnz .LBB147_469
	s_branch .LBB147_470
.LBB147_293:                            ;   in Loop: Header=BB147_10 Depth=1
	s_or_b32 exec_lo, exec_lo, s22
	s_delay_alu instid0(SALU_CYCLE_1)
	s_and_b32 s22, s40, exec_lo
.LBB147_294:                            ;   in Loop: Header=BB147_10 Depth=1
	s_or_b32 exec_lo, exec_lo, s28
.LBB147_295:                            ;   in Loop: Header=BB147_10 Depth=1
	s_delay_alu instid0(SALU_CYCLE_1)
	s_and_b32 vcc_lo, exec_lo, s23
	s_cbranch_vccz .LBB147_309
; %bb.296:                              ;   in Loop: Header=BB147_10 Depth=1
	s_and_b64 s[10:11], s[66:67], 0xffffffff00000000
	s_delay_alu instid0(SALU_CYCLE_1)
	s_cmp_lg_u64 s[10:11], 0
	s_cbranch_scc0 .LBB147_337
; %bb.297:                              ;   in Loop: Header=BB147_10 Depth=1
	s_cvt_f32_u32 s10, s48
	s_sub_nc_u64 s[20:21], 0, s[48:49]
	s_delay_alu instid0(SALU_CYCLE_2) | instskip(NEXT) | instid1(SALU_CYCLE_3)
	s_fmamk_f32 s10, s98, 0x0, s10
	v_s_rcp_f32 s10, s10
	s_delay_alu instid0(TRANS32_DEP_1) | instskip(NEXT) | instid1(SALU_CYCLE_3)
	s_mul_f32 s10, s10, 0x5f7ffffc
	s_mul_f32 s11, s10, 0x2f800000
	s_delay_alu instid0(SALU_CYCLE_3) | instskip(NEXT) | instid1(SALU_CYCLE_3)
	s_trunc_f32 s11, s11
	s_fmamk_f32 s10, s11, 0xcf800000, s10
	s_cvt_u32_f32 s11, s11
	s_delay_alu instid0(SALU_CYCLE_2) | instskip(NEXT) | instid1(SALU_CYCLE_3)
	s_cvt_u32_f32 s10, s10
	s_mul_u64 s[40:41], s[20:21], s[10:11]
	s_delay_alu instid0(SALU_CYCLE_1)
	s_mul_hi_u32 s43, s10, s41
	s_mul_i32 s42, s10, s41
	s_mul_hi_u32 s28, s10, s40
	s_mul_i32 s25, s11, s40
	s_add_nc_u64 s[42:43], s[28:29], s[42:43]
	s_mul_hi_u32 s23, s11, s40
	s_mul_hi_u32 s44, s11, s41
	s_add_co_u32 s25, s42, s25
	s_add_co_ci_u32 s28, s43, s23
	s_mul_i32 s40, s11, s41
	s_add_co_ci_u32 s41, s44, 0
	s_delay_alu instid0(SALU_CYCLE_1) | instskip(NEXT) | instid1(SALU_CYCLE_1)
	s_add_nc_u64 s[40:41], s[28:29], s[40:41]
	s_add_co_u32 s10, s10, s40
	s_cselect_b32 s23, -1, 0
	s_delay_alu instid0(SALU_CYCLE_1) | instskip(SKIP_1) | instid1(SALU_CYCLE_1)
	s_cmp_lg_u32 s23, 0
	s_add_co_ci_u32 s11, s11, s41
	s_mul_u64 s[20:21], s[20:21], s[10:11]
	s_delay_alu instid0(SALU_CYCLE_1)
	s_mul_hi_u32 s41, s10, s21
	s_mul_i32 s40, s10, s21
	s_mul_hi_u32 s28, s10, s20
	s_mul_i32 s25, s11, s20
	s_add_nc_u64 s[40:41], s[28:29], s[40:41]
	s_mul_hi_u32 s23, s11, s20
	s_mul_hi_u32 s42, s11, s21
	s_mul_i32 s20, s11, s21
	s_add_co_u32 s21, s40, s25
	s_add_co_ci_u32 s28, s41, s23
	s_add_co_ci_u32 s21, s42, 0
	s_delay_alu instid0(SALU_CYCLE_1) | instskip(NEXT) | instid1(SALU_CYCLE_1)
	s_add_nc_u64 s[20:21], s[28:29], s[20:21]
	s_add_co_u32 s10, s10, s20
	s_cselect_b32 s20, -1, 0
	s_mul_hi_u32 s28, s66, s10
	s_cmp_lg_u32 s20, 0
	s_mul_hi_u32 s23, s67, s10
	s_add_co_ci_u32 s20, s11, s21
	s_mul_i32 s21, s67, s10
	s_mul_hi_u32 s11, s66, s20
	s_mul_i32 s10, s66, s20
	s_mul_hi_u32 s25, s67, s20
	s_add_nc_u64 s[10:11], s[28:29], s[10:11]
	s_mul_i32 s20, s67, s20
	s_add_co_u32 s10, s10, s21
	s_add_co_ci_u32 s28, s11, s23
	s_add_co_ci_u32 s21, s25, 0
	s_delay_alu instid0(SALU_CYCLE_1) | instskip(NEXT) | instid1(SALU_CYCLE_1)
	s_add_nc_u64 s[10:11], s[28:29], s[20:21]
	s_and_b64 s[20:21], s[10:11], 0xffffffff00000000
	s_delay_alu instid0(SALU_CYCLE_1) | instskip(NEXT) | instid1(SALU_CYCLE_1)
	s_or_b32 s20, s20, s10
	s_mul_u64 s[10:11], s[48:49], s[20:21]
	s_delay_alu instid0(SALU_CYCLE_1) | instskip(SKIP_1) | instid1(SALU_CYCLE_1)
	s_sub_co_u32 s10, s66, s10
	s_cselect_b32 s20, -1, 0
	s_cmp_lg_u32 s20, 0
	s_sub_co_ci_u32 s11, s67, s11
	s_sub_co_u32 s20, s10, s48
	s_cselect_b32 s21, -1, 0
	s_delay_alu instid0(SALU_CYCLE_1) | instskip(SKIP_3) | instid1(SALU_CYCLE_1)
	s_cmp_lg_u32 s21, 0
	s_sub_co_ci_u32 s21, s11, 0
	s_sub_co_u32 s23, s20, s48
	s_cselect_b32 s25, -1, 0
	s_cmp_lg_u32 s25, 0
	s_sub_co_ci_u32 s25, s21, 0
	s_cmp_ge_u32 s20, s48
	s_cselect_b32 s28, -1, 0
	s_cmp_eq_u32 s21, 0
	s_cselect_b32 s28, s28, -1
	s_delay_alu instid0(SALU_CYCLE_1)
	s_cmp_lg_u32 s28, 0
	s_cselect_b32 s21, s25, s21
	s_cselect_b32 s20, s23, s20
	s_cmp_ge_u32 s10, s48
	s_cselect_b32 s23, -1, 0
	s_cmp_eq_u32 s11, 0
	s_cselect_b32 s23, s23, -1
	s_delay_alu instid0(SALU_CYCLE_1)
	s_cmp_lg_u32 s23, 0
	s_cselect_b32 s11, s21, s11
	s_cselect_b32 s10, s20, s10
	s_cbranch_execnz .LBB147_299
.LBB147_298:                            ;   in Loop: Header=BB147_10 Depth=1
	v_cvt_f32_u32_e32 v2, s48
	s_sub_co_i32 s11, 0, s48
	s_delay_alu instid0(VALU_DEP_1) | instskip(SKIP_1) | instid1(TRANS32_DEP_1)
	v_rcp_iflag_f32_e32 v2, v2
	v_nop
	v_mul_f32_e32 v2, 0x4f7ffffe, v2
	s_delay_alu instid0(VALU_DEP_1) | instskip(NEXT) | instid1(VALU_DEP_1)
	v_cvt_u32_f32_e32 v2, v2
	v_readfirstlane_b32 s10, v2
	s_mul_i32 s11, s11, s10
	s_delay_alu instid0(SALU_CYCLE_1) | instskip(NEXT) | instid1(SALU_CYCLE_1)
	s_mul_hi_u32 s11, s10, s11
	s_add_co_i32 s10, s10, s11
	s_delay_alu instid0(SALU_CYCLE_1) | instskip(NEXT) | instid1(SALU_CYCLE_1)
	s_mul_hi_u32 s10, s66, s10
	s_mul_i32 s10, s10, s48
	s_delay_alu instid0(SALU_CYCLE_1) | instskip(NEXT) | instid1(SALU_CYCLE_1)
	s_sub_co_i32 s10, s66, s10
	s_sub_co_i32 s11, s10, s48
	s_cmp_ge_u32 s10, s48
	s_cselect_b32 s10, s11, s10
	s_delay_alu instid0(SALU_CYCLE_1) | instskip(SKIP_2) | instid1(SALU_CYCLE_1)
	s_sub_co_i32 s11, s10, s48
	s_cmp_ge_u32 s10, s48
	s_cselect_b32 s28, s11, s10
	s_mov_b64 s[10:11], s[28:29]
.LBB147_299:                            ;   in Loop: Header=BB147_10 Depth=1
	s_delay_alu instid0(SALU_CYCLE_1)
	s_sub_nc_u64 s[10:11], s[66:67], s[10:11]
	s_mov_b32 s20, exec_lo
                                        ; implicit-def: $vgpr25
	v_nop
	v_cmpx_gt_u64_e64 s[10:11], v[0:1]
	s_cbranch_execz .LBB147_308
; %bb.300:                              ;   in Loop: Header=BB147_10 Depth=1
	v_mov_b64_e32 v[4:5], v[0:1]
	s_mov_b32 s21, 0
                                        ; implicit-def: $sgpr23
	s_branch .LBB147_303
.LBB147_301:                            ;   in Loop: Header=BB147_303 Depth=2
	s_or_b32 exec_lo, exec_lo, s25
	s_wait_dscnt 0x0
	s_barrier_signal -1
	s_barrier_wait -1
	ds_load_b64 v[24:25], v3 offset:3072
	s_mov_b32 s28, -1
	s_mov_b32 s25, -1
	s_wait_dscnt 0x0
	s_barrier_signal -1
	s_barrier_wait -1
	v_cmp_ne_u32_e32 vcc_lo, 0, v24
	s_cbranch_vccz .LBB147_306
.LBB147_302:                            ;   in Loop: Header=BB147_303 Depth=2
	s_and_b32 s8, exec_lo, s28
	s_delay_alu instid0(SALU_CYCLE_1) | instskip(SKIP_2) | instid1(SALU_CYCLE_1)
	s_or_b32 s21, s8, s21
	s_and_not1_b32 s8, s23, exec_lo
	s_and_b32 s23, s25, exec_lo
	s_or_b32 s23, s8, s23
	s_and_not1_b32 exec_lo, exec_lo, s21
	s_cbranch_execz .LBB147_307
.LBB147_303:                            ;   Parent Loop BB147_10 Depth=1
                                        ; =>  This Inner Loop Header: Depth=2
	s_mov_b32 s25, exec_lo
	s_delay_alu instid0(VALU_DEP_1)
	v_cmpx_gt_u64_e64 s[36:37], v[4:5]
	s_cbranch_execz .LBB147_301
; %bb.304:                              ;   in Loop: Header=BB147_303 Depth=2
	v_mul_u64_e32 v[6:7], s[30:31], v[4:5]
	s_delay_alu instid0(VALU_DEP_1) | instskip(SKIP_3) | instid1(VALU_DEP_1)
	v_lshl_add_u64 v[6:7], v[6:7], 2, s[34:35]
	global_load_b32 v23, v[6:7], off
	s_wait_loadcnt 0x0
	v_bitop3_b32 v2, v23, v37, 0x80000000 bitop3:0x48
	v_cmp_eq_u32_e32 vcc_lo, v2, v34
	s_and_b32 exec_lo, exec_lo, vcc_lo
	s_cbranch_execz .LBB147_301
; %bb.305:                              ;   in Loop: Header=BB147_303 Depth=2
	ds_store_b64 v3, v[22:23] offset:3072
	s_branch .LBB147_301
.LBB147_306:                            ;   in Loop: Header=BB147_303 Depth=2
	v_add_nc_u64_e32 v[4:5], s[48:49], v[4:5]
	s_mov_b32 s25, 0
	s_delay_alu instid0(VALU_DEP_1)
	v_cmp_le_u64_e32 vcc_lo, s[10:11], v[4:5]
	s_or_not1_b32 s28, vcc_lo, exec_lo
	s_branch .LBB147_302
.LBB147_307:                            ;   in Loop: Header=BB147_10 Depth=1
	s_or_b32 exec_lo, exec_lo, s21
	s_delay_alu instid0(SALU_CYCLE_1) | instskip(SKIP_1) | instid1(SALU_CYCLE_1)
	s_and_not1_b32 s8, s22, exec_lo
	s_and_b32 s10, s23, exec_lo
	s_or_b32 s22, s8, s10
.LBB147_308:                            ;   in Loop: Header=BB147_10 Depth=1
	s_or_b32 exec_lo, exec_lo, s20
	s_mov_b32 s25, 0
	s_mov_b32 s77, -1
.LBB147_309:                            ;   in Loop: Header=BB147_10 Depth=1
	s_or_not1_b32 s10, s22, exec_lo
.LBB147_310:                            ;   in Loop: Header=BB147_10 Depth=1
	s_or_b32 exec_lo, exec_lo, s75
                                        ; implicit-def: $vgpr4_vgpr5
                                        ; implicit-def: $vgpr2
	s_and_saveexec_b32 s22, s10
	s_cbranch_execz .LBB147_468
; %bb.311:                              ;   in Loop: Header=BB147_10 Depth=1
	v_mov_b64_e32 v[4:5], 1
	v_mov_b32_e32 v2, 1
	s_xor_b32 s10, s9, -1
	s_mov_b32 s11, 0
	s_and_saveexec_b32 s9, s10
	s_cbranch_execz .LBB147_320
; %bb.312:                              ;   in Loop: Header=BB147_10 Depth=1
	s_mov_b32 s10, exec_lo
	v_cmpx_ge_u64_e64 s[18:19], v[26:27]
	s_xor_b32 s10, exec_lo, s10
	s_cbranch_execz .LBB147_317
; %bb.313:                              ;   in Loop: Header=BB147_10 Depth=1
	ds_load_b64 v[4:5], v3 offset:5120
	v_or_b32_e32 v34, s24, v34
	v_or_b32_e32 v37, s24, v37
	s_wait_dscnt 0x0
	v_cmp_ne_u64_e32 vcc_lo, 0, v[4:5]
	s_cbranch_vccnz .LBB147_317
; %bb.314:                              ;   in Loop: Header=BB147_10 Depth=1
	s_and_saveexec_b32 s11, s5
; %bb.315:                              ;   in Loop: Header=BB147_10 Depth=1
	v_mov_b64_e32 v[4:5], s[18:19]
	ds_store_b64 v3, v[4:5] offset:5128
; %bb.316:                              ;   in Loop: Header=BB147_10 Depth=1
	s_or_b32 exec_lo, exec_lo, s11
	s_wait_dscnt 0x0
	s_barrier_signal -1
	s_barrier_wait -1
.LBB147_317:                            ;   in Loop: Header=BB147_10 Depth=1
	s_or_saveexec_b32 s10, s10
	v_mov_b32_e32 v2, 5
	s_mov_b32 s11, 0
	s_xor_b32 exec_lo, exec_lo, s10
; %bb.318:                              ;   in Loop: Header=BB147_10 Depth=1
	v_sub_nc_u64_e64 v[26:27], v[26:27], s[18:19]
	v_mov_b32_e32 v2, 0
	s_mov_b32 s11, exec_lo
; %bb.319:                              ;   in Loop: Header=BB147_10 Depth=1
	s_or_b32 exec_lo, exec_lo, s10
	s_delay_alu instid0(VALU_DEP_2)
	v_mov_b64_e32 v[4:5], v[26:27]
	s_and_b32 s11, s11, exec_lo
.LBB147_320:                            ;   in Loop: Header=BB147_10 Depth=1
	s_or_b32 exec_lo, exec_lo, s9
	s_mov_b32 s10, -1
                                        ; implicit-def: $sgpr23
                                        ; implicit-def: $sgpr75
	s_and_saveexec_b32 s9, s11
	s_delay_alu instid0(SALU_CYCLE_1)
	s_xor_b32 s9, exec_lo, s9
	s_cbranch_execz .LBB147_465
; %bb.321:                              ;   in Loop: Header=BB147_10 Depth=1
	v_cmp_eq_u64_e32 vcc_lo, 1, v[4:5]
	s_cmp_eq_u64 s[16:17], 1
                                        ; implicit-def: $sgpr75
                                        ; implicit-def: $sgpr23
	s_cselect_b32 s10, -1, 0
	s_delay_alu instid0(SALU_CYCLE_1)
	s_and_b32 s76, s10, vcc_lo
	s_mov_b32 s10, -1
	s_and_saveexec_b32 s78, s76
	s_cbranch_execz .LBB147_355
; %bb.322:                              ;   in Loop: Header=BB147_10 Depth=1
	ds_load_b64 v[6:7], v3 offset:5120
	s_wait_dscnt 0x0
	s_barrier_signal -1
	s_barrier_wait -1
	v_readfirstlane_b32 s10, v6
	v_readfirstlane_b32 s11, v7
	s_and_saveexec_b32 s18, s6
; %bb.323:                              ;   in Loop: Header=BB147_10 Depth=1
	ds_store_b32 v32, v3
; %bb.324:                              ;   in Loop: Header=BB147_10 Depth=1
	s_or_b32 exec_lo, exec_lo, s18
	s_lshl_b32 s18, 2, s96
	v_or_b32_e32 v37, s24, v37
	v_and_or_b32 v34, v34, s26, s18
	s_mov_b32 s23, -1
	s_mov_b32 s75, 0
	s_cmp_eq_u64 s[10:11], 0
	s_mov_b32 s20, 0
	s_mov_b32 s21, -1
	s_wait_dscnt 0x0
	s_barrier_signal -1
	s_barrier_wait -1
                                        ; implicit-def: $vgpr25
	s_cbranch_scc1 .LBB147_340
; %bb.325:                              ;   in Loop: Header=BB147_10 Depth=1
	s_add_nc_u64 s[18:19], s[10:11], s[64:65]
	s_delay_alu instid0(SALU_CYCLE_1) | instskip(NEXT) | instid1(SALU_CYCLE_1)
	s_and_b64 s[20:21], s[18:19], 0xffffffff00000000
	s_cmp_lg_u64 s[20:21], 0
	s_cbranch_scc0 .LBB147_381
; %bb.326:                              ;   in Loop: Header=BB147_10 Depth=1
	s_cvt_f32_u32 s20, s48
	s_sub_nc_u64 s[40:41], 0, s[48:49]
	s_delay_alu instid0(SALU_CYCLE_2) | instskip(NEXT) | instid1(SALU_CYCLE_3)
	s_fmamk_f32 s20, s98, 0x0, s20
	v_s_rcp_f32 s20, s20
	s_delay_alu instid0(TRANS32_DEP_1) | instskip(NEXT) | instid1(SALU_CYCLE_3)
	s_mul_f32 s20, s20, 0x5f7ffffc
	s_mul_f32 s21, s20, 0x2f800000
	s_delay_alu instid0(SALU_CYCLE_3) | instskip(NEXT) | instid1(SALU_CYCLE_3)
	s_trunc_f32 s21, s21
	s_fmamk_f32 s20, s21, 0xcf800000, s20
	s_cvt_u32_f32 s21, s21
	s_delay_alu instid0(SALU_CYCLE_2) | instskip(NEXT) | instid1(SALU_CYCLE_3)
	s_cvt_u32_f32 s20, s20
	s_mul_u64 s[42:43], s[40:41], s[20:21]
	s_delay_alu instid0(SALU_CYCLE_1)
	s_mul_hi_u32 s45, s20, s43
	s_mul_i32 s44, s20, s43
	s_mul_hi_u32 s28, s20, s42
	s_mul_i32 s47, s21, s42
	s_add_nc_u64 s[44:45], s[28:29], s[44:45]
	s_mul_hi_u32 s46, s21, s42
	s_mul_hi_u32 s79, s21, s43
	s_add_co_u32 s28, s44, s47
	s_add_co_ci_u32 s28, s45, s46
	s_mul_i32 s42, s21, s43
	s_add_co_ci_u32 s43, s79, 0
	s_delay_alu instid0(SALU_CYCLE_1) | instskip(NEXT) | instid1(SALU_CYCLE_1)
	s_add_nc_u64 s[42:43], s[28:29], s[42:43]
	s_add_co_u32 s20, s20, s42
	s_cselect_b32 s28, -1, 0
	s_delay_alu instid0(SALU_CYCLE_1) | instskip(SKIP_1) | instid1(SALU_CYCLE_1)
	s_cmp_lg_u32 s28, 0
	s_add_co_ci_u32 s21, s21, s43
	s_mul_u64 s[40:41], s[40:41], s[20:21]
	s_delay_alu instid0(SALU_CYCLE_1)
	s_mul_hi_u32 s43, s20, s41
	s_mul_i32 s42, s20, s41
	s_mul_hi_u32 s28, s20, s40
	s_mul_i32 s45, s21, s40
	s_add_nc_u64 s[42:43], s[28:29], s[42:43]
	s_mul_hi_u32 s44, s21, s40
	s_mul_hi_u32 s46, s21, s41
	s_add_co_u32 s28, s42, s45
	s_add_co_ci_u32 s28, s43, s44
	s_mul_i32 s40, s21, s41
	s_add_co_ci_u32 s41, s46, 0
	s_delay_alu instid0(SALU_CYCLE_1) | instskip(NEXT) | instid1(SALU_CYCLE_1)
	s_add_nc_u64 s[40:41], s[28:29], s[40:41]
	s_add_co_u32 s20, s20, s40
	s_cselect_b32 s40, -1, 0
	s_mul_hi_u32 s28, s18, s20
	s_cmp_lg_u32 s40, 0
	s_mul_hi_u32 s42, s19, s20
	s_add_co_ci_u32 s40, s21, s41
	s_mul_i32 s41, s19, s20
	s_mul_hi_u32 s21, s18, s40
	s_mul_i32 s20, s18, s40
	s_mul_hi_u32 s43, s19, s40
	s_add_nc_u64 s[20:21], s[28:29], s[20:21]
	s_mul_i32 s40, s19, s40
	s_add_co_u32 s20, s20, s41
	s_add_co_ci_u32 s28, s21, s42
	s_add_co_ci_u32 s41, s43, 0
	s_delay_alu instid0(SALU_CYCLE_1) | instskip(NEXT) | instid1(SALU_CYCLE_1)
	s_add_nc_u64 s[20:21], s[28:29], s[40:41]
	s_and_b64 s[40:41], s[20:21], 0xffffffff00000000
	s_delay_alu instid0(SALU_CYCLE_1) | instskip(NEXT) | instid1(SALU_CYCLE_1)
	s_or_b32 s40, s40, s20
	s_mul_u64 s[20:21], s[48:49], s[40:41]
	s_delay_alu instid0(SALU_CYCLE_1) | instskip(SKIP_1) | instid1(SALU_CYCLE_1)
	s_sub_co_u32 s20, s18, s20
	s_cselect_b32 s28, -1, 0
	s_cmp_lg_u32 s28, 0
	s_sub_co_ci_u32 s21, s19, s21
	s_sub_co_u32 s28, s20, s48
	s_cselect_b32 s40, -1, 0
	s_delay_alu instid0(SALU_CYCLE_1) | instskip(SKIP_3) | instid1(SALU_CYCLE_1)
	s_cmp_lg_u32 s40, 0
	s_sub_co_ci_u32 s40, s21, 0
	s_sub_co_u32 s41, s28, s48
	s_cselect_b32 s42, -1, 0
	s_cmp_lg_u32 s42, 0
	s_sub_co_ci_u32 s42, s40, 0
	s_cmp_ge_u32 s28, s48
	s_cselect_b32 s43, -1, 0
	s_cmp_eq_u32 s40, 0
	s_cselect_b32 s43, s43, -1
	s_delay_alu instid0(SALU_CYCLE_1)
	s_cmp_lg_u32 s43, 0
	s_cselect_b32 s40, s42, s40
	s_cselect_b32 s28, s41, s28
	s_cmp_ge_u32 s20, s48
	s_cselect_b32 s41, -1, 0
	s_cmp_eq_u32 s21, 0
	s_cselect_b32 s41, s41, -1
	s_delay_alu instid0(SALU_CYCLE_1)
	s_cmp_lg_u32 s41, 0
	s_cselect_b32 s21, s40, s21
	s_cselect_b32 s20, s28, s20
	s_cbranch_execnz .LBB147_328
.LBB147_327:                            ;   in Loop: Header=BB147_10 Depth=1
	v_cvt_f32_u32_e32 v6, s48
	s_sub_co_i32 s21, 0, s48
	s_delay_alu instid0(VALU_DEP_1) | instskip(SKIP_1) | instid1(TRANS32_DEP_1)
	v_rcp_iflag_f32_e32 v6, v6
	v_nop
	v_mul_f32_e32 v6, 0x4f7ffffe, v6
	s_delay_alu instid0(VALU_DEP_1) | instskip(NEXT) | instid1(VALU_DEP_1)
	v_cvt_u32_f32_e32 v6, v6
	v_readfirstlane_b32 s20, v6
	s_mul_i32 s21, s21, s20
	s_delay_alu instid0(SALU_CYCLE_1) | instskip(NEXT) | instid1(SALU_CYCLE_1)
	s_mul_hi_u32 s21, s20, s21
	s_add_co_i32 s20, s20, s21
	s_delay_alu instid0(SALU_CYCLE_1) | instskip(NEXT) | instid1(SALU_CYCLE_1)
	s_mul_hi_u32 s20, s18, s20
	s_mul_i32 s20, s20, s48
	s_delay_alu instid0(SALU_CYCLE_1) | instskip(NEXT) | instid1(SALU_CYCLE_1)
	s_sub_co_i32 s20, s18, s20
	s_sub_co_i32 s21, s20, s48
	s_cmp_ge_u32 s20, s48
	s_cselect_b32 s20, s21, s20
	s_delay_alu instid0(SALU_CYCLE_1) | instskip(SKIP_2) | instid1(SALU_CYCLE_1)
	s_sub_co_i32 s21, s20, s48
	s_cmp_ge_u32 s20, s48
	s_cselect_b32 s28, s21, s20
	s_mov_b64 s[20:21], s[28:29]
.LBB147_328:                            ;   in Loop: Header=BB147_10 Depth=1
	s_delay_alu instid0(SALU_CYCLE_1)
	s_sub_nc_u64 s[18:19], s[18:19], s[20:21]
	s_mov_b32 s21, 0
	s_mov_b32 s20, 0
	s_mov_b32 s28, exec_lo
                                        ; implicit-def: $vgpr25
	v_cmpx_gt_u64_e64 s[18:19], v[0:1]
	s_cbranch_execz .LBB147_339
; %bb.329:                              ;   in Loop: Header=BB147_10 Depth=1
	v_mov_b64_e32 v[6:7], v[0:1]
	v_mov_b32_e32 v8, v16
                                        ; implicit-def: $sgpr40
	s_branch .LBB147_332
.LBB147_330:                            ;   in Loop: Header=BB147_332 Depth=2
	s_or_b32 exec_lo, exec_lo, s41
	s_wait_dscnt 0x0
	s_barrier_signal -1
	s_barrier_wait -1
	ds_load_b64 v[24:25], v3 offset:3072
	s_mov_b32 s41, -1
	s_mov_b32 s42, -1
	s_wait_dscnt 0x0
	s_barrier_signal -1
	s_barrier_wait -1
	v_cmp_ne_u32_e32 vcc_lo, 0, v24
	s_cbranch_vccz .LBB147_335
.LBB147_331:                            ;   in Loop: Header=BB147_332 Depth=2
	s_and_b32 s8, exec_lo, s41
	s_delay_alu instid0(SALU_CYCLE_1) | instskip(SKIP_2) | instid1(SALU_CYCLE_1)
	s_or_b32 s20, s8, s20
	s_and_not1_b32 s8, s40, exec_lo
	s_and_b32 s40, s42, exec_lo
	s_or_b32 s40, s8, s40
	s_and_not1_b32 exec_lo, exec_lo, s20
	s_cbranch_execz .LBB147_338
.LBB147_332:                            ;   Parent Loop BB147_10 Depth=1
                                        ; =>  This Inner Loop Header: Depth=2
	s_mov_b32 s41, exec_lo
	s_delay_alu instid0(VALU_DEP_2)
	v_cmpx_gt_u64_e64 s[10:11], v[6:7]
	s_cbranch_execz .LBB147_330
; %bb.333:                              ;   in Loop: Header=BB147_332 Depth=2
	ds_load_b32 v23, v8
	s_wait_dscnt 0x0
	v_bitop3_b32 v9, v23, v37, 0x80000000 bitop3:0x48
	s_delay_alu instid0(VALU_DEP_1)
	v_cmp_eq_u32_e32 vcc_lo, v9, v34
	s_and_b32 exec_lo, exec_lo, vcc_lo
	s_cbranch_execz .LBB147_330
; %bb.334:                              ;   in Loop: Header=BB147_332 Depth=2
	ds_store_b64 v3, v[22:23] offset:3072
	s_branch .LBB147_330
.LBB147_335:                            ;   in Loop: Header=BB147_332 Depth=2
	v_add_nc_u64_e32 v[6:7], s[48:49], v[6:7]
	v_add_nc_u32_e32 v8, s95, v8
	s_mov_b32 s42, 0
	s_delay_alu instid0(VALU_DEP_2)
	v_cmp_le_u64_e32 vcc_lo, s[18:19], v[6:7]
	s_or_not1_b32 s41, vcc_lo, exec_lo
	s_branch .LBB147_331
.LBB147_336:                            ;   in Loop: Header=BB147_10 Depth=1
                                        ; implicit-def: $sgpr22_sgpr23
	s_branch .LBB147_283
.LBB147_337:                            ;   in Loop: Header=BB147_10 Depth=1
                                        ; implicit-def: $sgpr10_sgpr11
	s_branch .LBB147_298
.LBB147_338:                            ;   in Loop: Header=BB147_10 Depth=1
	s_or_b32 exec_lo, exec_lo, s20
	s_delay_alu instid0(SALU_CYCLE_1)
	s_and_b32 s20, s40, exec_lo
.LBB147_339:                            ;   in Loop: Header=BB147_10 Depth=1
	s_or_b32 exec_lo, exec_lo, s28
.LBB147_340:                            ;   in Loop: Header=BB147_10 Depth=1
	s_delay_alu instid0(SALU_CYCLE_1)
	s_and_b32 vcc_lo, exec_lo, s21
	s_cbranch_vccz .LBB147_354
; %bb.341:                              ;   in Loop: Header=BB147_10 Depth=1
	s_and_b64 s[10:11], s[66:67], 0xffffffff00000000
	s_delay_alu instid0(SALU_CYCLE_1)
	s_cmp_lg_u64 s[10:11], 0
	s_cbranch_scc0 .LBB147_382
; %bb.342:                              ;   in Loop: Header=BB147_10 Depth=1
	s_cvt_f32_u32 s10, s48
	s_sub_nc_u64 s[18:19], 0, s[48:49]
	s_delay_alu instid0(SALU_CYCLE_2) | instskip(NEXT) | instid1(SALU_CYCLE_3)
	s_fmamk_f32 s10, s98, 0x0, s10
	v_s_rcp_f32 s10, s10
	s_delay_alu instid0(TRANS32_DEP_1) | instskip(NEXT) | instid1(SALU_CYCLE_3)
	s_mul_f32 s10, s10, 0x5f7ffffc
	s_mul_f32 s11, s10, 0x2f800000
	s_delay_alu instid0(SALU_CYCLE_3) | instskip(NEXT) | instid1(SALU_CYCLE_3)
	s_trunc_f32 s11, s11
	s_fmamk_f32 s10, s11, 0xcf800000, s10
	s_cvt_u32_f32 s11, s11
	s_delay_alu instid0(SALU_CYCLE_2) | instskip(NEXT) | instid1(SALU_CYCLE_3)
	s_cvt_u32_f32 s10, s10
	s_mul_u64 s[40:41], s[18:19], s[10:11]
	s_delay_alu instid0(SALU_CYCLE_1)
	s_mul_hi_u32 s43, s10, s41
	s_mul_i32 s42, s10, s41
	s_mul_hi_u32 s28, s10, s40
	s_mul_i32 s23, s11, s40
	s_add_nc_u64 s[42:43], s[28:29], s[42:43]
	s_mul_hi_u32 s21, s11, s40
	s_mul_hi_u32 s44, s11, s41
	s_add_co_u32 s23, s42, s23
	s_add_co_ci_u32 s28, s43, s21
	s_mul_i32 s40, s11, s41
	s_add_co_ci_u32 s41, s44, 0
	s_delay_alu instid0(SALU_CYCLE_1) | instskip(NEXT) | instid1(SALU_CYCLE_1)
	s_add_nc_u64 s[40:41], s[28:29], s[40:41]
	s_add_co_u32 s10, s10, s40
	s_cselect_b32 s21, -1, 0
	s_delay_alu instid0(SALU_CYCLE_1) | instskip(SKIP_1) | instid1(SALU_CYCLE_1)
	s_cmp_lg_u32 s21, 0
	s_add_co_ci_u32 s11, s11, s41
	s_mul_u64 s[18:19], s[18:19], s[10:11]
	s_delay_alu instid0(SALU_CYCLE_1)
	s_mul_hi_u32 s41, s10, s19
	s_mul_i32 s40, s10, s19
	s_mul_hi_u32 s28, s10, s18
	s_mul_i32 s23, s11, s18
	s_add_nc_u64 s[40:41], s[28:29], s[40:41]
	s_mul_hi_u32 s21, s11, s18
	s_mul_hi_u32 s42, s11, s19
	s_mul_i32 s18, s11, s19
	s_add_co_u32 s19, s40, s23
	s_add_co_ci_u32 s28, s41, s21
	s_add_co_ci_u32 s19, s42, 0
	s_delay_alu instid0(SALU_CYCLE_1) | instskip(NEXT) | instid1(SALU_CYCLE_1)
	s_add_nc_u64 s[18:19], s[28:29], s[18:19]
	s_add_co_u32 s10, s10, s18
	s_cselect_b32 s18, -1, 0
	s_mul_hi_u32 s28, s66, s10
	s_cmp_lg_u32 s18, 0
	s_mul_hi_u32 s21, s67, s10
	s_add_co_ci_u32 s18, s11, s19
	s_mul_i32 s19, s67, s10
	s_mul_hi_u32 s11, s66, s18
	s_mul_i32 s10, s66, s18
	s_mul_hi_u32 s23, s67, s18
	s_add_nc_u64 s[10:11], s[28:29], s[10:11]
	s_mul_i32 s18, s67, s18
	s_add_co_u32 s10, s10, s19
	s_add_co_ci_u32 s28, s11, s21
	s_add_co_ci_u32 s19, s23, 0
	s_delay_alu instid0(SALU_CYCLE_1) | instskip(NEXT) | instid1(SALU_CYCLE_1)
	s_add_nc_u64 s[10:11], s[28:29], s[18:19]
	s_and_b64 s[18:19], s[10:11], 0xffffffff00000000
	s_delay_alu instid0(SALU_CYCLE_1) | instskip(NEXT) | instid1(SALU_CYCLE_1)
	s_or_b32 s18, s18, s10
	s_mul_u64 s[10:11], s[48:49], s[18:19]
	s_delay_alu instid0(SALU_CYCLE_1) | instskip(SKIP_1) | instid1(SALU_CYCLE_1)
	s_sub_co_u32 s10, s66, s10
	s_cselect_b32 s18, -1, 0
	s_cmp_lg_u32 s18, 0
	s_sub_co_ci_u32 s11, s67, s11
	s_sub_co_u32 s18, s10, s48
	s_cselect_b32 s19, -1, 0
	s_delay_alu instid0(SALU_CYCLE_1) | instskip(SKIP_3) | instid1(SALU_CYCLE_1)
	s_cmp_lg_u32 s19, 0
	s_sub_co_ci_u32 s19, s11, 0
	s_sub_co_u32 s21, s18, s48
	s_cselect_b32 s23, -1, 0
	s_cmp_lg_u32 s23, 0
	s_sub_co_ci_u32 s23, s19, 0
	s_cmp_ge_u32 s18, s48
	s_cselect_b32 s28, -1, 0
	s_cmp_eq_u32 s19, 0
	s_cselect_b32 s28, s28, -1
	s_delay_alu instid0(SALU_CYCLE_1)
	s_cmp_lg_u32 s28, 0
	s_cselect_b32 s19, s23, s19
	s_cselect_b32 s18, s21, s18
	s_cmp_ge_u32 s10, s48
	s_cselect_b32 s21, -1, 0
	s_cmp_eq_u32 s11, 0
	s_cselect_b32 s21, s21, -1
	s_delay_alu instid0(SALU_CYCLE_1)
	s_cmp_lg_u32 s21, 0
	s_cselect_b32 s11, s19, s11
	s_cselect_b32 s10, s18, s10
	s_cbranch_execnz .LBB147_344
.LBB147_343:                            ;   in Loop: Header=BB147_10 Depth=1
	v_cvt_f32_u32_e32 v6, s48
	s_sub_co_i32 s11, 0, s48
	s_delay_alu instid0(VALU_DEP_1) | instskip(SKIP_1) | instid1(TRANS32_DEP_1)
	v_rcp_iflag_f32_e32 v6, v6
	v_nop
	v_mul_f32_e32 v6, 0x4f7ffffe, v6
	s_delay_alu instid0(VALU_DEP_1) | instskip(NEXT) | instid1(VALU_DEP_1)
	v_cvt_u32_f32_e32 v6, v6
	v_readfirstlane_b32 s10, v6
	s_mul_i32 s11, s11, s10
	s_delay_alu instid0(SALU_CYCLE_1) | instskip(NEXT) | instid1(SALU_CYCLE_1)
	s_mul_hi_u32 s11, s10, s11
	s_add_co_i32 s10, s10, s11
	s_delay_alu instid0(SALU_CYCLE_1) | instskip(NEXT) | instid1(SALU_CYCLE_1)
	s_mul_hi_u32 s10, s66, s10
	s_mul_i32 s10, s10, s48
	s_delay_alu instid0(SALU_CYCLE_1) | instskip(NEXT) | instid1(SALU_CYCLE_1)
	s_sub_co_i32 s10, s66, s10
	s_sub_co_i32 s11, s10, s48
	s_cmp_ge_u32 s10, s48
	s_cselect_b32 s10, s11, s10
	s_delay_alu instid0(SALU_CYCLE_1) | instskip(SKIP_2) | instid1(SALU_CYCLE_1)
	s_sub_co_i32 s11, s10, s48
	s_cmp_ge_u32 s10, s48
	s_cselect_b32 s28, s11, s10
	s_mov_b64 s[10:11], s[28:29]
.LBB147_344:                            ;   in Loop: Header=BB147_10 Depth=1
	s_delay_alu instid0(SALU_CYCLE_1)
	s_sub_nc_u64 s[10:11], s[66:67], s[10:11]
	s_mov_b32 s18, exec_lo
                                        ; implicit-def: $vgpr25
	v_nop
	v_cmpx_gt_u64_e64 s[10:11], v[0:1]
	s_cbranch_execz .LBB147_353
; %bb.345:                              ;   in Loop: Header=BB147_10 Depth=1
	v_mov_b64_e32 v[6:7], v[0:1]
	s_mov_b32 s19, 0
                                        ; implicit-def: $sgpr21
	s_branch .LBB147_348
.LBB147_346:                            ;   in Loop: Header=BB147_348 Depth=2
	s_or_b32 exec_lo, exec_lo, s23
	s_wait_dscnt 0x0
	s_barrier_signal -1
	s_barrier_wait -1
	ds_load_b64 v[24:25], v3 offset:3072
	s_mov_b32 s28, -1
	s_mov_b32 s23, -1
	s_wait_dscnt 0x0
	s_barrier_signal -1
	s_barrier_wait -1
	v_cmp_eq_u32_e32 vcc_lo, 0, v24
	s_cbranch_vccnz .LBB147_351
.LBB147_347:                            ;   in Loop: Header=BB147_348 Depth=2
	s_and_b32 s8, exec_lo, s28
	s_delay_alu instid0(SALU_CYCLE_1) | instskip(SKIP_2) | instid1(SALU_CYCLE_1)
	s_or_b32 s19, s8, s19
	s_and_not1_b32 s8, s21, exec_lo
	s_and_b32 s21, s23, exec_lo
	s_or_b32 s21, s8, s21
	s_and_not1_b32 exec_lo, exec_lo, s19
	s_cbranch_execz .LBB147_352
.LBB147_348:                            ;   Parent Loop BB147_10 Depth=1
                                        ; =>  This Inner Loop Header: Depth=2
	s_mov_b32 s23, exec_lo
	s_delay_alu instid0(VALU_DEP_1)
	v_cmpx_gt_u64_e64 s[36:37], v[6:7]
	s_cbranch_execz .LBB147_346
; %bb.349:                              ;   in Loop: Header=BB147_348 Depth=2
	v_mul_u64_e32 v[8:9], s[30:31], v[6:7]
	s_delay_alu instid0(VALU_DEP_1) | instskip(SKIP_3) | instid1(VALU_DEP_1)
	v_lshl_add_u64 v[8:9], v[8:9], 2, s[34:35]
	global_load_b32 v23, v[8:9], off
	s_wait_loadcnt 0x0
	v_bitop3_b32 v8, v23, v37, 0x80000000 bitop3:0x48
	v_cmp_eq_u32_e32 vcc_lo, v8, v34
	s_and_b32 exec_lo, exec_lo, vcc_lo
	s_cbranch_execz .LBB147_346
; %bb.350:                              ;   in Loop: Header=BB147_348 Depth=2
	ds_store_b64 v3, v[22:23] offset:3072
	s_branch .LBB147_346
.LBB147_351:                            ;   in Loop: Header=BB147_348 Depth=2
	v_add_nc_u64_e32 v[6:7], s[48:49], v[6:7]
	s_mov_b32 s23, 0
	s_delay_alu instid0(VALU_DEP_1)
	v_cmp_le_u64_e32 vcc_lo, s[10:11], v[6:7]
	s_or_not1_b32 s28, vcc_lo, exec_lo
	s_branch .LBB147_347
.LBB147_352:                            ;   in Loop: Header=BB147_10 Depth=1
	s_or_b32 exec_lo, exec_lo, s19
	s_delay_alu instid0(SALU_CYCLE_1) | instskip(SKIP_1) | instid1(SALU_CYCLE_1)
	s_and_not1_b32 s8, s20, exec_lo
	s_and_b32 s10, s21, exec_lo
	s_or_b32 s20, s8, s10
.LBB147_353:                            ;   in Loop: Header=BB147_10 Depth=1
	s_or_b32 exec_lo, exec_lo, s18
	s_mov_b32 s23, 0
	s_mov_b32 s75, -1
.LBB147_354:                            ;   in Loop: Header=BB147_10 Depth=1
	s_or_not1_b32 s10, s20, exec_lo
.LBB147_355:                            ;   in Loop: Header=BB147_10 Depth=1
	s_or_b32 exec_lo, exec_lo, s78
	s_mov_b32 s11, 0
	s_and_saveexec_b32 s20, s10
	s_cbranch_execz .LBB147_464
; %bb.356:                              ;   in Loop: Header=BB147_10 Depth=1
	v_mov_b64_e32 v[6:7], 1
	v_mov_b32_e32 v2, 1
	s_xor_b32 s18, s76, -1
	s_delay_alu instid0(SALU_CYCLE_1)
	s_and_saveexec_b32 s10, s18
	s_cbranch_execz .LBB147_365
; %bb.357:                              ;   in Loop: Header=BB147_10 Depth=1
	s_mov_b32 s11, exec_lo
	v_cmpx_ge_u64_e64 s[16:17], v[4:5]
	s_xor_b32 s11, exec_lo, s11
	s_cbranch_execz .LBB147_362
; %bb.358:                              ;   in Loop: Header=BB147_10 Depth=1
	ds_load_b64 v[6:7], v3 offset:5120
	s_lshl_b32 s18, 2, s96
	v_or_b32_e32 v37, s24, v37
	v_and_or_b32 v34, v34, s26, s18
	s_wait_dscnt 0x0
	v_cmp_ne_u64_e32 vcc_lo, 0, v[6:7]
	s_cbranch_vccnz .LBB147_362
; %bb.359:                              ;   in Loop: Header=BB147_10 Depth=1
	s_and_saveexec_b32 s18, s5
; %bb.360:                              ;   in Loop: Header=BB147_10 Depth=1
	v_mov_b64_e32 v[6:7], s[16:17]
	ds_store_b64 v3, v[6:7] offset:5128
; %bb.361:                              ;   in Loop: Header=BB147_10 Depth=1
	s_or_b32 exec_lo, exec_lo, s18
	s_wait_dscnt 0x0
	s_barrier_signal -1
	s_barrier_wait -1
.LBB147_362:                            ;   in Loop: Header=BB147_10 Depth=1
	s_or_saveexec_b32 s11, s11
	v_mov_b32_e32 v2, 5
	s_mov_b32 s18, 0
	s_xor_b32 exec_lo, exec_lo, s11
; %bb.363:                              ;   in Loop: Header=BB147_10 Depth=1
	v_sub_nc_u64_e64 v[4:5], v[4:5], s[16:17]
	v_mov_b32_e32 v2, 0
	s_mov_b32 s18, exec_lo
; %bb.364:                              ;   in Loop: Header=BB147_10 Depth=1
	s_or_b32 exec_lo, exec_lo, s11
	s_delay_alu instid0(VALU_DEP_2)
	v_mov_b64_e32 v[6:7], v[4:5]
	s_and_b32 s11, s18, exec_lo
.LBB147_365:                            ;   in Loop: Header=BB147_10 Depth=1
	s_or_b32 exec_lo, exec_lo, s10
	s_mov_b32 s10, -1
                                        ; implicit-def: $sgpr76
                                        ; implicit-def: $sgpr78
	s_and_saveexec_b32 s21, s11
	s_cbranch_execz .LBB147_463
; %bb.366:                              ;   in Loop: Header=BB147_10 Depth=1
	s_delay_alu instid0(VALU_DEP_1) | instskip(SKIP_2) | instid1(SALU_CYCLE_1)
	v_cmp_eq_u64_e32 vcc_lo, 1, v[6:7]
	s_cmp_eq_u64 s[14:15], 1
                                        ; implicit-def: $sgpr78
                                        ; implicit-def: $sgpr76
	s_cselect_b32 s10, -1, 0
	s_and_b32 s79, s10, vcc_lo
	s_mov_b32 s10, -1
	s_and_saveexec_b32 s80, s79
	s_cbranch_execz .LBB147_400
; %bb.367:                              ;   in Loop: Header=BB147_10 Depth=1
	ds_load_b64 v[4:5], v3 offset:5120
	s_wait_dscnt 0x0
	s_barrier_signal -1
	s_barrier_wait -1
	v_readfirstlane_b32 s10, v4
	v_readfirstlane_b32 s11, v5
	s_and_saveexec_b32 s16, s6
; %bb.368:                              ;   in Loop: Header=BB147_10 Depth=1
	ds_store_b32 v32, v3
; %bb.369:                              ;   in Loop: Header=BB147_10 Depth=1
	s_or_b32 exec_lo, exec_lo, s16
	s_lshl_b32 s16, 1, s96
	v_or_b32_e32 v37, s24, v37
	v_and_or_b32 v34, v34, s26, s16
	s_mov_b32 s76, -1
	s_mov_b32 s78, 0
	s_cmp_eq_u64 s[10:11], 0
	s_mov_b32 s18, 0
	s_mov_b32 s19, -1
	s_wait_dscnt 0x0
	s_barrier_signal -1
	s_barrier_wait -1
                                        ; implicit-def: $vgpr25
	s_cbranch_scc1 .LBB147_385
; %bb.370:                              ;   in Loop: Header=BB147_10 Depth=1
	s_add_nc_u64 s[16:17], s[10:11], s[64:65]
	s_delay_alu instid0(SALU_CYCLE_1) | instskip(NEXT) | instid1(SALU_CYCLE_1)
	s_and_b64 s[18:19], s[16:17], 0xffffffff00000000
	s_cmp_lg_u64 s[18:19], 0
	s_cbranch_scc0 .LBB147_417
; %bb.371:                              ;   in Loop: Header=BB147_10 Depth=1
	s_cvt_f32_u32 s18, s48
	s_sub_nc_u64 s[40:41], 0, s[48:49]
	s_delay_alu instid0(SALU_CYCLE_2) | instskip(NEXT) | instid1(SALU_CYCLE_3)
	s_fmamk_f32 s18, s98, 0x0, s18
	v_s_rcp_f32 s18, s18
	s_delay_alu instid0(TRANS32_DEP_1) | instskip(NEXT) | instid1(SALU_CYCLE_3)
	s_mul_f32 s18, s18, 0x5f7ffffc
	s_mul_f32 s19, s18, 0x2f800000
	s_delay_alu instid0(SALU_CYCLE_3) | instskip(NEXT) | instid1(SALU_CYCLE_3)
	s_trunc_f32 s19, s19
	s_fmamk_f32 s18, s19, 0xcf800000, s18
	s_cvt_u32_f32 s19, s19
	s_delay_alu instid0(SALU_CYCLE_2) | instskip(NEXT) | instid1(SALU_CYCLE_3)
	s_cvt_u32_f32 s18, s18
	s_mul_u64 s[42:43], s[40:41], s[18:19]
	s_delay_alu instid0(SALU_CYCLE_1)
	s_mul_hi_u32 s45, s18, s43
	s_mul_i32 s44, s18, s43
	s_mul_hi_u32 s28, s18, s42
	s_mul_i32 s47, s19, s42
	s_add_nc_u64 s[44:45], s[28:29], s[44:45]
	s_mul_hi_u32 s46, s19, s42
	s_mul_hi_u32 s81, s19, s43
	s_add_co_u32 s28, s44, s47
	s_add_co_ci_u32 s28, s45, s46
	s_mul_i32 s42, s19, s43
	s_add_co_ci_u32 s43, s81, 0
	s_delay_alu instid0(SALU_CYCLE_1) | instskip(NEXT) | instid1(SALU_CYCLE_1)
	s_add_nc_u64 s[42:43], s[28:29], s[42:43]
	s_add_co_u32 s18, s18, s42
	s_cselect_b32 s28, -1, 0
	s_delay_alu instid0(SALU_CYCLE_1) | instskip(SKIP_1) | instid1(SALU_CYCLE_1)
	s_cmp_lg_u32 s28, 0
	s_add_co_ci_u32 s19, s19, s43
	s_mul_u64 s[40:41], s[40:41], s[18:19]
	s_delay_alu instid0(SALU_CYCLE_1)
	s_mul_hi_u32 s43, s18, s41
	s_mul_i32 s42, s18, s41
	s_mul_hi_u32 s28, s18, s40
	s_mul_i32 s45, s19, s40
	s_add_nc_u64 s[42:43], s[28:29], s[42:43]
	s_mul_hi_u32 s44, s19, s40
	s_mul_hi_u32 s46, s19, s41
	s_add_co_u32 s28, s42, s45
	s_add_co_ci_u32 s28, s43, s44
	s_mul_i32 s40, s19, s41
	s_add_co_ci_u32 s41, s46, 0
	s_delay_alu instid0(SALU_CYCLE_1) | instskip(NEXT) | instid1(SALU_CYCLE_1)
	s_add_nc_u64 s[40:41], s[28:29], s[40:41]
	s_add_co_u32 s18, s18, s40
	s_cselect_b32 s40, -1, 0
	s_mul_hi_u32 s28, s16, s18
	s_cmp_lg_u32 s40, 0
	s_mul_hi_u32 s42, s17, s18
	s_add_co_ci_u32 s40, s19, s41
	s_mul_i32 s41, s17, s18
	s_mul_hi_u32 s19, s16, s40
	s_mul_i32 s18, s16, s40
	s_mul_hi_u32 s43, s17, s40
	s_add_nc_u64 s[18:19], s[28:29], s[18:19]
	s_mul_i32 s40, s17, s40
	s_add_co_u32 s18, s18, s41
	s_add_co_ci_u32 s28, s19, s42
	s_add_co_ci_u32 s41, s43, 0
	s_delay_alu instid0(SALU_CYCLE_1) | instskip(NEXT) | instid1(SALU_CYCLE_1)
	s_add_nc_u64 s[18:19], s[28:29], s[40:41]
	s_and_b64 s[40:41], s[18:19], 0xffffffff00000000
	s_delay_alu instid0(SALU_CYCLE_1) | instskip(NEXT) | instid1(SALU_CYCLE_1)
	s_or_b32 s40, s40, s18
	s_mul_u64 s[18:19], s[48:49], s[40:41]
	s_delay_alu instid0(SALU_CYCLE_1) | instskip(SKIP_1) | instid1(SALU_CYCLE_1)
	s_sub_co_u32 s18, s16, s18
	s_cselect_b32 s28, -1, 0
	s_cmp_lg_u32 s28, 0
	s_sub_co_ci_u32 s19, s17, s19
	s_sub_co_u32 s28, s18, s48
	s_cselect_b32 s40, -1, 0
	s_delay_alu instid0(SALU_CYCLE_1) | instskip(SKIP_3) | instid1(SALU_CYCLE_1)
	s_cmp_lg_u32 s40, 0
	s_sub_co_ci_u32 s40, s19, 0
	s_sub_co_u32 s41, s28, s48
	s_cselect_b32 s42, -1, 0
	s_cmp_lg_u32 s42, 0
	s_sub_co_ci_u32 s42, s40, 0
	s_cmp_ge_u32 s28, s48
	s_cselect_b32 s43, -1, 0
	s_cmp_eq_u32 s40, 0
	s_cselect_b32 s43, s43, -1
	s_delay_alu instid0(SALU_CYCLE_1)
	s_cmp_lg_u32 s43, 0
	s_cselect_b32 s40, s42, s40
	s_cselect_b32 s28, s41, s28
	s_cmp_ge_u32 s18, s48
	s_cselect_b32 s41, -1, 0
	s_cmp_eq_u32 s19, 0
	s_cselect_b32 s41, s41, -1
	s_delay_alu instid0(SALU_CYCLE_1)
	s_cmp_lg_u32 s41, 0
	s_cselect_b32 s19, s40, s19
	s_cselect_b32 s18, s28, s18
	s_cbranch_execnz .LBB147_373
.LBB147_372:                            ;   in Loop: Header=BB147_10 Depth=1
	v_cvt_f32_u32_e32 v4, s48
	s_sub_co_i32 s19, 0, s48
	s_delay_alu instid0(VALU_DEP_1) | instskip(SKIP_1) | instid1(TRANS32_DEP_1)
	v_rcp_iflag_f32_e32 v4, v4
	v_nop
	v_mul_f32_e32 v4, 0x4f7ffffe, v4
	s_delay_alu instid0(VALU_DEP_1) | instskip(NEXT) | instid1(VALU_DEP_1)
	v_cvt_u32_f32_e32 v4, v4
	v_readfirstlane_b32 s18, v4
	s_mul_i32 s19, s19, s18
	s_delay_alu instid0(SALU_CYCLE_1) | instskip(NEXT) | instid1(SALU_CYCLE_1)
	s_mul_hi_u32 s19, s18, s19
	s_add_co_i32 s18, s18, s19
	s_delay_alu instid0(SALU_CYCLE_1) | instskip(NEXT) | instid1(SALU_CYCLE_1)
	s_mul_hi_u32 s18, s16, s18
	s_mul_i32 s18, s18, s48
	s_delay_alu instid0(SALU_CYCLE_1) | instskip(NEXT) | instid1(SALU_CYCLE_1)
	s_sub_co_i32 s18, s16, s18
	s_sub_co_i32 s19, s18, s48
	s_cmp_ge_u32 s18, s48
	s_cselect_b32 s18, s19, s18
	s_delay_alu instid0(SALU_CYCLE_1) | instskip(SKIP_2) | instid1(SALU_CYCLE_1)
	s_sub_co_i32 s19, s18, s48
	s_cmp_ge_u32 s18, s48
	s_cselect_b32 s28, s19, s18
	s_mov_b64 s[18:19], s[28:29]
.LBB147_373:                            ;   in Loop: Header=BB147_10 Depth=1
	s_delay_alu instid0(SALU_CYCLE_1)
	s_sub_nc_u64 s[16:17], s[16:17], s[18:19]
	s_mov_b32 s19, 0
	s_mov_b32 s18, 0
	s_mov_b32 s28, exec_lo
                                        ; implicit-def: $vgpr25
	v_cmpx_gt_u64_e64 s[16:17], v[0:1]
	s_cbranch_execz .LBB147_384
; %bb.374:                              ;   in Loop: Header=BB147_10 Depth=1
	v_mov_b64_e32 v[4:5], v[0:1]
	v_mov_b32_e32 v8, v16
                                        ; implicit-def: $sgpr40
	s_branch .LBB147_377
.LBB147_375:                            ;   in Loop: Header=BB147_377 Depth=2
	s_or_b32 exec_lo, exec_lo, s41
	s_wait_dscnt 0x0
	s_barrier_signal -1
	s_barrier_wait -1
	ds_load_b64 v[24:25], v3 offset:3072
	s_mov_b32 s41, -1
	s_mov_b32 s42, -1
	s_wait_dscnt 0x0
	s_barrier_signal -1
	s_barrier_wait -1
	v_cmp_ne_u32_e32 vcc_lo, 0, v24
	s_cbranch_vccz .LBB147_380
.LBB147_376:                            ;   in Loop: Header=BB147_377 Depth=2
	s_and_b32 s8, exec_lo, s41
	s_delay_alu instid0(SALU_CYCLE_1) | instskip(SKIP_2) | instid1(SALU_CYCLE_1)
	s_or_b32 s18, s8, s18
	s_and_not1_b32 s8, s40, exec_lo
	s_and_b32 s40, s42, exec_lo
	s_or_b32 s40, s8, s40
	s_and_not1_b32 exec_lo, exec_lo, s18
	s_cbranch_execz .LBB147_383
.LBB147_377:                            ;   Parent Loop BB147_10 Depth=1
                                        ; =>  This Inner Loop Header: Depth=2
	s_mov_b32 s41, exec_lo
	s_delay_alu instid0(VALU_DEP_2)
	v_cmpx_gt_u64_e64 s[10:11], v[4:5]
	s_cbranch_execz .LBB147_375
; %bb.378:                              ;   in Loop: Header=BB147_377 Depth=2
	ds_load_b32 v23, v8
	s_wait_dscnt 0x0
	v_bitop3_b32 v9, v23, v37, 0x80000000 bitop3:0x48
	s_delay_alu instid0(VALU_DEP_1)
	v_cmp_eq_u32_e32 vcc_lo, v9, v34
	s_and_b32 exec_lo, exec_lo, vcc_lo
	s_cbranch_execz .LBB147_375
; %bb.379:                              ;   in Loop: Header=BB147_377 Depth=2
	ds_store_b64 v3, v[22:23] offset:3072
	s_branch .LBB147_375
.LBB147_380:                            ;   in Loop: Header=BB147_377 Depth=2
	v_add_nc_u64_e32 v[4:5], s[48:49], v[4:5]
	v_add_nc_u32_e32 v8, s95, v8
	s_mov_b32 s42, 0
	s_delay_alu instid0(VALU_DEP_2)
	v_cmp_le_u64_e32 vcc_lo, s[16:17], v[4:5]
	s_or_not1_b32 s41, vcc_lo, exec_lo
	s_branch .LBB147_376
.LBB147_381:                            ;   in Loop: Header=BB147_10 Depth=1
                                        ; implicit-def: $sgpr20_sgpr21
	s_branch .LBB147_327
.LBB147_382:                            ;   in Loop: Header=BB147_10 Depth=1
                                        ; implicit-def: $sgpr10_sgpr11
	s_branch .LBB147_343
.LBB147_383:                            ;   in Loop: Header=BB147_10 Depth=1
	s_or_b32 exec_lo, exec_lo, s18
	s_delay_alu instid0(SALU_CYCLE_1)
	s_and_b32 s18, s40, exec_lo
.LBB147_384:                            ;   in Loop: Header=BB147_10 Depth=1
	s_or_b32 exec_lo, exec_lo, s28
.LBB147_385:                            ;   in Loop: Header=BB147_10 Depth=1
	s_delay_alu instid0(SALU_CYCLE_1)
	s_and_b32 vcc_lo, exec_lo, s19
	s_cbranch_vccz .LBB147_399
; %bb.386:                              ;   in Loop: Header=BB147_10 Depth=1
	s_and_b64 s[10:11], s[66:67], 0xffffffff00000000
	s_delay_alu instid0(SALU_CYCLE_1)
	s_cmp_lg_u64 s[10:11], 0
	s_cbranch_scc0 .LBB147_418
; %bb.387:                              ;   in Loop: Header=BB147_10 Depth=1
	s_cvt_f32_u32 s10, s48
	s_sub_nc_u64 s[16:17], 0, s[48:49]
	s_delay_alu instid0(SALU_CYCLE_2) | instskip(NEXT) | instid1(SALU_CYCLE_3)
	s_fmamk_f32 s10, s98, 0x0, s10
	v_s_rcp_f32 s10, s10
	s_delay_alu instid0(TRANS32_DEP_1) | instskip(NEXT) | instid1(SALU_CYCLE_3)
	s_mul_f32 s10, s10, 0x5f7ffffc
	s_mul_f32 s11, s10, 0x2f800000
	s_delay_alu instid0(SALU_CYCLE_3) | instskip(NEXT) | instid1(SALU_CYCLE_3)
	s_trunc_f32 s11, s11
	s_fmamk_f32 s10, s11, 0xcf800000, s10
	s_cvt_u32_f32 s11, s11
	s_delay_alu instid0(SALU_CYCLE_2) | instskip(NEXT) | instid1(SALU_CYCLE_3)
	s_cvt_u32_f32 s10, s10
	s_mul_u64 s[40:41], s[16:17], s[10:11]
	s_delay_alu instid0(SALU_CYCLE_1)
	s_mul_hi_u32 s43, s10, s41
	s_mul_i32 s42, s10, s41
	s_mul_hi_u32 s28, s10, s40
	s_mul_i32 s44, s11, s40
	s_add_nc_u64 s[42:43], s[28:29], s[42:43]
	s_mul_hi_u32 s19, s11, s40
	s_mul_hi_u32 s45, s11, s41
	s_add_co_u32 s28, s42, s44
	s_add_co_ci_u32 s28, s43, s19
	s_mul_i32 s40, s11, s41
	s_add_co_ci_u32 s41, s45, 0
	s_delay_alu instid0(SALU_CYCLE_1) | instskip(NEXT) | instid1(SALU_CYCLE_1)
	s_add_nc_u64 s[40:41], s[28:29], s[40:41]
	s_add_co_u32 s10, s10, s40
	s_cselect_b32 s19, -1, 0
	s_delay_alu instid0(SALU_CYCLE_1) | instskip(SKIP_1) | instid1(SALU_CYCLE_1)
	s_cmp_lg_u32 s19, 0
	s_add_co_ci_u32 s11, s11, s41
	s_mul_u64 s[16:17], s[16:17], s[10:11]
	s_delay_alu instid0(SALU_CYCLE_1)
	s_mul_hi_u32 s41, s10, s17
	s_mul_i32 s40, s10, s17
	s_mul_hi_u32 s28, s10, s16
	s_mul_i32 s42, s11, s16
	s_add_nc_u64 s[40:41], s[28:29], s[40:41]
	s_mul_hi_u32 s19, s11, s16
	s_mul_hi_u32 s43, s11, s17
	s_mul_i32 s16, s11, s17
	s_add_co_u32 s17, s40, s42
	s_add_co_ci_u32 s28, s41, s19
	s_add_co_ci_u32 s17, s43, 0
	s_delay_alu instid0(SALU_CYCLE_1) | instskip(NEXT) | instid1(SALU_CYCLE_1)
	s_add_nc_u64 s[16:17], s[28:29], s[16:17]
	s_add_co_u32 s10, s10, s16
	s_cselect_b32 s16, -1, 0
	s_mul_hi_u32 s28, s66, s10
	s_cmp_lg_u32 s16, 0
	s_mul_hi_u32 s19, s67, s10
	s_add_co_ci_u32 s16, s11, s17
	s_mul_i32 s17, s67, s10
	s_mul_hi_u32 s11, s66, s16
	s_mul_i32 s10, s66, s16
	s_mul_hi_u32 s40, s67, s16
	s_add_nc_u64 s[10:11], s[28:29], s[10:11]
	s_mul_i32 s16, s67, s16
	s_add_co_u32 s10, s10, s17
	s_add_co_ci_u32 s28, s11, s19
	s_add_co_ci_u32 s17, s40, 0
	s_delay_alu instid0(SALU_CYCLE_1) | instskip(NEXT) | instid1(SALU_CYCLE_1)
	s_add_nc_u64 s[10:11], s[28:29], s[16:17]
	s_and_b64 s[16:17], s[10:11], 0xffffffff00000000
	s_delay_alu instid0(SALU_CYCLE_1) | instskip(NEXT) | instid1(SALU_CYCLE_1)
	s_or_b32 s16, s16, s10
	s_mul_u64 s[10:11], s[48:49], s[16:17]
	s_delay_alu instid0(SALU_CYCLE_1) | instskip(SKIP_1) | instid1(SALU_CYCLE_1)
	s_sub_co_u32 s10, s66, s10
	s_cselect_b32 s16, -1, 0
	s_cmp_lg_u32 s16, 0
	s_sub_co_ci_u32 s11, s67, s11
	s_sub_co_u32 s16, s10, s48
	s_cselect_b32 s17, -1, 0
	s_delay_alu instid0(SALU_CYCLE_1) | instskip(SKIP_3) | instid1(SALU_CYCLE_1)
	s_cmp_lg_u32 s17, 0
	s_sub_co_ci_u32 s17, s11, 0
	s_sub_co_u32 s19, s16, s48
	s_cselect_b32 s28, -1, 0
	s_cmp_lg_u32 s28, 0
	s_sub_co_ci_u32 s28, s17, 0
	s_cmp_ge_u32 s16, s48
	s_cselect_b32 s40, -1, 0
	s_cmp_eq_u32 s17, 0
	s_cselect_b32 s40, s40, -1
	s_delay_alu instid0(SALU_CYCLE_1)
	s_cmp_lg_u32 s40, 0
	s_cselect_b32 s17, s28, s17
	s_cselect_b32 s16, s19, s16
	s_cmp_ge_u32 s10, s48
	s_cselect_b32 s19, -1, 0
	s_cmp_eq_u32 s11, 0
	s_cselect_b32 s19, s19, -1
	s_delay_alu instid0(SALU_CYCLE_1)
	s_cmp_lg_u32 s19, 0
	s_cselect_b32 s11, s17, s11
	s_cselect_b32 s10, s16, s10
	s_cbranch_execnz .LBB147_389
.LBB147_388:                            ;   in Loop: Header=BB147_10 Depth=1
	v_cvt_f32_u32_e32 v4, s48
	s_sub_co_i32 s11, 0, s48
	s_delay_alu instid0(VALU_DEP_1) | instskip(SKIP_1) | instid1(TRANS32_DEP_1)
	v_rcp_iflag_f32_e32 v4, v4
	v_nop
	v_mul_f32_e32 v4, 0x4f7ffffe, v4
	s_delay_alu instid0(VALU_DEP_1) | instskip(NEXT) | instid1(VALU_DEP_1)
	v_cvt_u32_f32_e32 v4, v4
	v_readfirstlane_b32 s10, v4
	s_mul_i32 s11, s11, s10
	s_delay_alu instid0(SALU_CYCLE_1) | instskip(NEXT) | instid1(SALU_CYCLE_1)
	s_mul_hi_u32 s11, s10, s11
	s_add_co_i32 s10, s10, s11
	s_delay_alu instid0(SALU_CYCLE_1) | instskip(NEXT) | instid1(SALU_CYCLE_1)
	s_mul_hi_u32 s10, s66, s10
	s_mul_i32 s10, s10, s48
	s_delay_alu instid0(SALU_CYCLE_1) | instskip(NEXT) | instid1(SALU_CYCLE_1)
	s_sub_co_i32 s10, s66, s10
	s_sub_co_i32 s11, s10, s48
	s_cmp_ge_u32 s10, s48
	s_cselect_b32 s10, s11, s10
	s_delay_alu instid0(SALU_CYCLE_1) | instskip(SKIP_2) | instid1(SALU_CYCLE_1)
	s_sub_co_i32 s11, s10, s48
	s_cmp_ge_u32 s10, s48
	s_cselect_b32 s28, s11, s10
	s_mov_b64 s[10:11], s[28:29]
.LBB147_389:                            ;   in Loop: Header=BB147_10 Depth=1
	s_delay_alu instid0(SALU_CYCLE_1)
	s_sub_nc_u64 s[10:11], s[66:67], s[10:11]
	s_mov_b32 s16, exec_lo
                                        ; implicit-def: $vgpr25
	v_nop
	v_cmpx_gt_u64_e64 s[10:11], v[0:1]
	s_cbranch_execz .LBB147_398
; %bb.390:                              ;   in Loop: Header=BB147_10 Depth=1
	v_mov_b64_e32 v[4:5], v[0:1]
	s_mov_b32 s17, 0
                                        ; implicit-def: $sgpr19
	s_branch .LBB147_393
.LBB147_391:                            ;   in Loop: Header=BB147_393 Depth=2
	s_or_b32 exec_lo, exec_lo, s28
	s_wait_dscnt 0x0
	s_barrier_signal -1
	s_barrier_wait -1
	ds_load_b64 v[24:25], v3 offset:3072
	s_mov_b32 s40, -1
	s_mov_b32 s28, -1
	s_wait_dscnt 0x0
	s_barrier_signal -1
	s_barrier_wait -1
	v_cmp_eq_u32_e32 vcc_lo, 0, v24
	s_cbranch_vccnz .LBB147_396
.LBB147_392:                            ;   in Loop: Header=BB147_393 Depth=2
	s_and_b32 s8, exec_lo, s40
	s_delay_alu instid0(SALU_CYCLE_1) | instskip(SKIP_2) | instid1(SALU_CYCLE_1)
	s_or_b32 s17, s8, s17
	s_and_not1_b32 s8, s19, exec_lo
	s_and_b32 s19, s28, exec_lo
	s_or_b32 s19, s8, s19
	s_and_not1_b32 exec_lo, exec_lo, s17
	s_cbranch_execz .LBB147_397
.LBB147_393:                            ;   Parent Loop BB147_10 Depth=1
                                        ; =>  This Inner Loop Header: Depth=2
	s_mov_b32 s28, exec_lo
	s_delay_alu instid0(VALU_DEP_1)
	v_cmpx_gt_u64_e64 s[36:37], v[4:5]
	s_cbranch_execz .LBB147_391
; %bb.394:                              ;   in Loop: Header=BB147_393 Depth=2
	v_mul_u64_e32 v[8:9], s[30:31], v[4:5]
	s_delay_alu instid0(VALU_DEP_1) | instskip(SKIP_3) | instid1(VALU_DEP_1)
	v_lshl_add_u64 v[8:9], v[8:9], 2, s[34:35]
	global_load_b32 v23, v[8:9], off
	s_wait_loadcnt 0x0
	v_bitop3_b32 v8, v23, v37, 0x80000000 bitop3:0x48
	v_cmp_eq_u32_e32 vcc_lo, v8, v34
	s_and_b32 exec_lo, exec_lo, vcc_lo
	s_cbranch_execz .LBB147_391
; %bb.395:                              ;   in Loop: Header=BB147_393 Depth=2
	ds_store_b64 v3, v[22:23] offset:3072
	s_branch .LBB147_391
.LBB147_396:                            ;   in Loop: Header=BB147_393 Depth=2
	v_add_nc_u64_e32 v[4:5], s[48:49], v[4:5]
	s_mov_b32 s28, 0
	s_delay_alu instid0(VALU_DEP_1)
	v_cmp_le_u64_e32 vcc_lo, s[10:11], v[4:5]
	s_or_not1_b32 s40, vcc_lo, exec_lo
	s_branch .LBB147_392
.LBB147_397:                            ;   in Loop: Header=BB147_10 Depth=1
	s_or_b32 exec_lo, exec_lo, s17
	s_delay_alu instid0(SALU_CYCLE_1) | instskip(SKIP_1) | instid1(SALU_CYCLE_1)
	s_and_not1_b32 s8, s18, exec_lo
	s_and_b32 s10, s19, exec_lo
	s_or_b32 s18, s8, s10
.LBB147_398:                            ;   in Loop: Header=BB147_10 Depth=1
	s_or_b32 exec_lo, exec_lo, s16
	s_mov_b32 s76, 0
	s_mov_b32 s78, -1
.LBB147_399:                            ;   in Loop: Header=BB147_10 Depth=1
	s_or_not1_b32 s10, s18, exec_lo
.LBB147_400:                            ;   in Loop: Header=BB147_10 Depth=1
	s_or_b32 exec_lo, exec_lo, s80
	s_mov_b32 s11, 0
	s_and_saveexec_b32 s18, s10
	s_cbranch_execz .LBB147_462
; %bb.401:                              ;   in Loop: Header=BB147_10 Depth=1
	v_mov_b64_e32 v[4:5], 1
	v_mov_b32_e32 v2, 1
	s_xor_b32 s16, s79, -1
	s_delay_alu instid0(SALU_CYCLE_1)
	s_and_saveexec_b32 s10, s16
	s_cbranch_execz .LBB147_410
; %bb.402:                              ;   in Loop: Header=BB147_10 Depth=1
	s_mov_b32 s11, exec_lo
	v_cmpx_ge_u64_e64 s[14:15], v[6:7]
	s_xor_b32 s11, exec_lo, s11
	s_cbranch_execz .LBB147_407
; %bb.403:                              ;   in Loop: Header=BB147_10 Depth=1
	ds_load_b64 v[4:5], v3 offset:5120
	s_lshl_b32 s16, 1, s96
	v_or_b32_e32 v37, s24, v37
	v_and_or_b32 v34, v34, s26, s16
	s_wait_dscnt 0x0
	v_cmp_ne_u64_e32 vcc_lo, 0, v[4:5]
	s_cbranch_vccnz .LBB147_407
; %bb.404:                              ;   in Loop: Header=BB147_10 Depth=1
	s_and_saveexec_b32 s16, s5
; %bb.405:                              ;   in Loop: Header=BB147_10 Depth=1
	v_mov_b64_e32 v[4:5], s[14:15]
	ds_store_b64 v3, v[4:5] offset:5128
; %bb.406:                              ;   in Loop: Header=BB147_10 Depth=1
	s_or_b32 exec_lo, exec_lo, s16
	s_wait_dscnt 0x0
	s_barrier_signal -1
	s_barrier_wait -1
.LBB147_407:                            ;   in Loop: Header=BB147_10 Depth=1
	s_or_saveexec_b32 s11, s11
	v_mov_b32_e32 v2, 5
	s_mov_b32 s16, 0
	s_xor_b32 exec_lo, exec_lo, s11
; %bb.408:                              ;   in Loop: Header=BB147_10 Depth=1
	v_sub_nc_u64_e64 v[6:7], v[6:7], s[14:15]
	v_mov_b32_e32 v2, 0
	s_mov_b32 s16, exec_lo
; %bb.409:                              ;   in Loop: Header=BB147_10 Depth=1
	s_or_b32 exec_lo, exec_lo, s11
	s_delay_alu instid0(VALU_DEP_2)
	v_mov_b64_e32 v[4:5], v[6:7]
	s_and_b32 s11, s16, exec_lo
.LBB147_410:                            ;   in Loop: Header=BB147_10 Depth=1
	s_or_b32 exec_lo, exec_lo, s10
	s_mov_b32 s10, -1
                                        ; implicit-def: $sgpr40
                                        ; implicit-def: $sgpr81
	s_and_saveexec_b32 s19, s11
	s_cbranch_execz .LBB147_461
; %bb.411:                              ;   in Loop: Header=BB147_10 Depth=1
	s_delay_alu instid0(VALU_DEP_1) | instskip(SKIP_3) | instid1(SALU_CYCLE_1)
	v_cmp_eq_u64_e32 vcc_lo, 1, v[4:5]
	s_cmp_eq_u64 s[12:13], 1
	s_mov_b32 s11, -1
	s_cselect_b32 s10, -1, 0
                                        ; implicit-def: $sgpr40
                                        ; implicit-def: $sgpr81
	s_and_b32 s79, s10, vcc_lo
	s_delay_alu instid0(SALU_CYCLE_1)
	s_and_saveexec_b32 s80, s79
	s_cbranch_execz .LBB147_449
; %bb.412:                              ;   in Loop: Header=BB147_10 Depth=1
	ds_load_b64 v[6:7], v3 offset:5120
	s_wait_dscnt 0x0
	s_barrier_signal -1
	s_barrier_wait -1
	v_readfirstlane_b32 s10, v6
	v_readfirstlane_b32 s11, v7
	s_and_saveexec_b32 s14, s6
; %bb.413:                              ;   in Loop: Header=BB147_10 Depth=1
	ds_store_b32 v32, v3
; %bb.414:                              ;   in Loop: Header=BB147_10 Depth=1
	s_or_b32 exec_lo, exec_lo, s14
	v_and_b32_e32 v34, s26, v34
	v_or_b32_e32 v37, s24, v37
	s_mov_b32 s81, -1
	s_mov_b32 s40, 0
	s_cmp_eq_u64 s[10:11], 0
	s_mov_b32 s16, 0
	s_mov_b32 s17, -1
	s_wait_dscnt 0x0
	s_barrier_signal -1
	s_barrier_wait -1
                                        ; implicit-def: $vgpr25
	s_cbranch_scc1 .LBB147_432
; %bb.415:                              ;   in Loop: Header=BB147_10 Depth=1
	s_add_nc_u64 s[14:15], s[10:11], s[64:65]
	s_delay_alu instid0(SALU_CYCLE_1) | instskip(NEXT) | instid1(SALU_CYCLE_1)
	s_and_b64 s[16:17], s[14:15], 0xffffffff00000000
	s_cmp_lg_u64 s[16:17], 0
	s_cbranch_scc0 .LBB147_419
; %bb.416:                              ;   in Loop: Header=BB147_10 Depth=1
	s_cvt_f32_u32 s16, s48
	s_sub_nc_u64 s[42:43], 0, s[48:49]
	s_delay_alu instid0(SALU_CYCLE_2) | instskip(NEXT) | instid1(SALU_CYCLE_3)
	s_fmamk_f32 s16, s98, 0x0, s16
	v_s_rcp_f32 s16, s16
	s_delay_alu instid0(TRANS32_DEP_1) | instskip(NEXT) | instid1(SALU_CYCLE_3)
	s_mul_f32 s16, s16, 0x5f7ffffc
	s_mul_f32 s17, s16, 0x2f800000
	s_delay_alu instid0(SALU_CYCLE_3) | instskip(NEXT) | instid1(SALU_CYCLE_3)
	s_trunc_f32 s17, s17
	s_fmamk_f32 s16, s17, 0xcf800000, s16
	s_cvt_u32_f32 s17, s17
	s_delay_alu instid0(SALU_CYCLE_2) | instskip(NEXT) | instid1(SALU_CYCLE_3)
	s_cvt_u32_f32 s16, s16
	s_mul_u64 s[44:45], s[42:43], s[16:17]
	s_delay_alu instid0(SALU_CYCLE_1)
	s_mul_hi_u32 s47, s16, s45
	s_mul_i32 s46, s16, s45
	s_mul_hi_u32 s28, s16, s44
	s_mul_i32 s82, s17, s44
	s_add_nc_u64 s[46:47], s[28:29], s[46:47]
	s_mul_hi_u32 s41, s17, s44
	s_mul_hi_u32 s83, s17, s45
	s_add_co_u32 s28, s46, s82
	s_add_co_ci_u32 s28, s47, s41
	s_mul_i32 s44, s17, s45
	s_add_co_ci_u32 s45, s83, 0
	s_delay_alu instid0(SALU_CYCLE_1) | instskip(NEXT) | instid1(SALU_CYCLE_1)
	s_add_nc_u64 s[44:45], s[28:29], s[44:45]
	s_add_co_u32 s16, s16, s44
	s_cselect_b32 s28, -1, 0
	s_delay_alu instid0(SALU_CYCLE_1) | instskip(SKIP_1) | instid1(SALU_CYCLE_1)
	s_cmp_lg_u32 s28, 0
	s_add_co_ci_u32 s17, s17, s45
	s_mul_u64 s[42:43], s[42:43], s[16:17]
	s_delay_alu instid0(SALU_CYCLE_1)
	s_mul_hi_u32 s45, s16, s43
	s_mul_i32 s44, s16, s43
	s_mul_hi_u32 s28, s16, s42
	s_mul_i32 s46, s17, s42
	s_add_nc_u64 s[44:45], s[28:29], s[44:45]
	s_mul_hi_u32 s41, s17, s42
	s_mul_hi_u32 s47, s17, s43
	s_add_co_u32 s28, s44, s46
	s_add_co_ci_u32 s28, s45, s41
	s_mul_i32 s42, s17, s43
	s_add_co_ci_u32 s43, s47, 0
	s_delay_alu instid0(SALU_CYCLE_1) | instskip(NEXT) | instid1(SALU_CYCLE_1)
	s_add_nc_u64 s[42:43], s[28:29], s[42:43]
	s_add_co_u32 s16, s16, s42
	s_cselect_b32 s41, -1, 0
	s_mul_hi_u32 s28, s14, s16
	s_cmp_lg_u32 s41, 0
	s_mul_hi_u32 s41, s15, s16
	s_add_co_ci_u32 s42, s17, s43
	s_mul_i32 s43, s15, s16
	s_mul_hi_u32 s17, s14, s42
	s_mul_i32 s16, s14, s42
	s_mul_hi_u32 s44, s15, s42
	s_add_nc_u64 s[16:17], s[28:29], s[16:17]
	s_mul_i32 s42, s15, s42
	s_add_co_u32 s16, s16, s43
	s_add_co_ci_u32 s28, s17, s41
	s_add_co_ci_u32 s43, s44, 0
	s_delay_alu instid0(SALU_CYCLE_1) | instskip(NEXT) | instid1(SALU_CYCLE_1)
	s_add_nc_u64 s[16:17], s[28:29], s[42:43]
	s_and_b64 s[42:43], s[16:17], 0xffffffff00000000
	s_delay_alu instid0(SALU_CYCLE_1) | instskip(NEXT) | instid1(SALU_CYCLE_1)
	s_or_b32 s42, s42, s16
	s_mul_u64 s[16:17], s[48:49], s[42:43]
	s_delay_alu instid0(SALU_CYCLE_1) | instskip(SKIP_1) | instid1(SALU_CYCLE_1)
	s_sub_co_u32 s16, s14, s16
	s_cselect_b32 s28, -1, 0
	s_cmp_lg_u32 s28, 0
	s_sub_co_ci_u32 s17, s15, s17
	s_sub_co_u32 s28, s16, s48
	s_cselect_b32 s41, -1, 0
	s_delay_alu instid0(SALU_CYCLE_1) | instskip(SKIP_3) | instid1(SALU_CYCLE_1)
	s_cmp_lg_u32 s41, 0
	s_sub_co_ci_u32 s41, s17, 0
	s_sub_co_u32 s42, s28, s48
	s_cselect_b32 s43, -1, 0
	s_cmp_lg_u32 s43, 0
	s_sub_co_ci_u32 s43, s41, 0
	s_cmp_ge_u32 s28, s48
	s_cselect_b32 s44, -1, 0
	s_cmp_eq_u32 s41, 0
	s_cselect_b32 s44, s44, -1
	s_delay_alu instid0(SALU_CYCLE_1)
	s_cmp_lg_u32 s44, 0
	s_cselect_b32 s41, s43, s41
	s_cselect_b32 s28, s42, s28
	s_cmp_ge_u32 s16, s48
	s_cselect_b32 s42, -1, 0
	s_cmp_eq_u32 s17, 0
	s_cselect_b32 s42, s42, -1
	s_delay_alu instid0(SALU_CYCLE_1)
	s_cmp_lg_u32 s42, 0
	s_cselect_b32 s17, s41, s17
	s_cselect_b32 s16, s28, s16
	s_mov_b32 s28, 0
	s_branch .LBB147_420
.LBB147_417:                            ;   in Loop: Header=BB147_10 Depth=1
                                        ; implicit-def: $sgpr18_sgpr19
	s_branch .LBB147_372
.LBB147_418:                            ;   in Loop: Header=BB147_10 Depth=1
                                        ; implicit-def: $sgpr10_sgpr11
	s_branch .LBB147_388
.LBB147_419:                            ;   in Loop: Header=BB147_10 Depth=1
	s_mov_b32 s28, -1
                                        ; implicit-def: $sgpr16_sgpr17
.LBB147_420:                            ;   in Loop: Header=BB147_10 Depth=1
	s_delay_alu instid0(SALU_CYCLE_1)
	s_and_not1_b32 vcc_lo, exec_lo, s28
	s_cbranch_vccnz .LBB147_422
; %bb.421:                              ;   in Loop: Header=BB147_10 Depth=1
	v_cvt_f32_u32_e32 v6, s48
	s_sub_co_i32 s17, 0, s48
	s_delay_alu instid0(VALU_DEP_1) | instskip(SKIP_1) | instid1(TRANS32_DEP_1)
	v_rcp_iflag_f32_e32 v6, v6
	v_nop
	v_mul_f32_e32 v6, 0x4f7ffffe, v6
	s_delay_alu instid0(VALU_DEP_1) | instskip(NEXT) | instid1(VALU_DEP_1)
	v_cvt_u32_f32_e32 v6, v6
	v_readfirstlane_b32 s16, v6
	s_mul_i32 s17, s17, s16
	s_delay_alu instid0(SALU_CYCLE_1) | instskip(NEXT) | instid1(SALU_CYCLE_1)
	s_mul_hi_u32 s17, s16, s17
	s_add_co_i32 s16, s16, s17
	s_delay_alu instid0(SALU_CYCLE_1) | instskip(NEXT) | instid1(SALU_CYCLE_1)
	s_mul_hi_u32 s16, s14, s16
	s_mul_i32 s16, s16, s48
	s_delay_alu instid0(SALU_CYCLE_1) | instskip(NEXT) | instid1(SALU_CYCLE_1)
	s_sub_co_i32 s16, s14, s16
	s_sub_co_i32 s17, s16, s48
	s_cmp_ge_u32 s16, s48
	s_cselect_b32 s16, s17, s16
	s_delay_alu instid0(SALU_CYCLE_1) | instskip(SKIP_2) | instid1(SALU_CYCLE_1)
	s_sub_co_i32 s17, s16, s48
	s_cmp_ge_u32 s16, s48
	s_cselect_b32 s28, s17, s16
	s_mov_b64 s[16:17], s[28:29]
.LBB147_422:                            ;   in Loop: Header=BB147_10 Depth=1
	s_delay_alu instid0(SALU_CYCLE_1)
	s_sub_nc_u64 s[14:15], s[14:15], s[16:17]
	s_mov_b32 s17, 0
	s_mov_b32 s16, 0
	s_mov_b32 s28, exec_lo
                                        ; implicit-def: $vgpr25
	v_cmpx_gt_u64_e64 s[14:15], v[0:1]
	s_cbranch_execz .LBB147_431
; %bb.423:                              ;   in Loop: Header=BB147_10 Depth=1
	v_mov_b64_e32 v[6:7], v[0:1]
	v_mov_b32_e32 v8, v16
                                        ; implicit-def: $sgpr41
	s_branch .LBB147_426
.LBB147_424:                            ;   in Loop: Header=BB147_426 Depth=2
	s_or_b32 exec_lo, exec_lo, s42
	s_wait_dscnt 0x0
	s_barrier_signal -1
	s_barrier_wait -1
	ds_load_b64 v[24:25], v3 offset:3072
	s_mov_b32 s42, -1
	s_mov_b32 s43, -1
	s_wait_dscnt 0x0
	s_barrier_signal -1
	s_barrier_wait -1
	v_cmp_ne_u32_e32 vcc_lo, 0, v24
	s_cbranch_vccz .LBB147_429
.LBB147_425:                            ;   in Loop: Header=BB147_426 Depth=2
	s_and_b32 s8, exec_lo, s42
	s_delay_alu instid0(SALU_CYCLE_1) | instskip(SKIP_2) | instid1(SALU_CYCLE_1)
	s_or_b32 s16, s8, s16
	s_and_not1_b32 s8, s41, exec_lo
	s_and_b32 s41, s43, exec_lo
	s_or_b32 s41, s8, s41
	s_and_not1_b32 exec_lo, exec_lo, s16
	s_cbranch_execz .LBB147_430
.LBB147_426:                            ;   Parent Loop BB147_10 Depth=1
                                        ; =>  This Inner Loop Header: Depth=2
	s_mov_b32 s42, exec_lo
	s_delay_alu instid0(VALU_DEP_2)
	v_cmpx_gt_u64_e64 s[10:11], v[6:7]
	s_cbranch_execz .LBB147_424
; %bb.427:                              ;   in Loop: Header=BB147_426 Depth=2
	ds_load_b32 v23, v8
	s_wait_dscnt 0x0
	v_bitop3_b32 v9, v23, v37, 0x80000000 bitop3:0x48
	s_delay_alu instid0(VALU_DEP_1)
	v_cmp_eq_u32_e32 vcc_lo, v9, v34
	s_and_b32 exec_lo, exec_lo, vcc_lo
	s_cbranch_execz .LBB147_424
; %bb.428:                              ;   in Loop: Header=BB147_426 Depth=2
	ds_store_b64 v3, v[22:23] offset:3072
	s_branch .LBB147_424
.LBB147_429:                            ;   in Loop: Header=BB147_426 Depth=2
	v_add_nc_u64_e32 v[6:7], s[48:49], v[6:7]
	v_add_nc_u32_e32 v8, s95, v8
	s_mov_b32 s43, 0
	s_delay_alu instid0(VALU_DEP_2)
	v_cmp_le_u64_e32 vcc_lo, s[14:15], v[6:7]
	s_or_not1_b32 s42, vcc_lo, exec_lo
	s_branch .LBB147_425
.LBB147_430:                            ;   in Loop: Header=BB147_10 Depth=1
	s_or_b32 exec_lo, exec_lo, s16
	s_delay_alu instid0(SALU_CYCLE_1)
	s_and_b32 s16, s41, exec_lo
.LBB147_431:                            ;   in Loop: Header=BB147_10 Depth=1
	s_or_b32 exec_lo, exec_lo, s28
.LBB147_432:                            ;   in Loop: Header=BB147_10 Depth=1
	s_delay_alu instid0(SALU_CYCLE_1)
	s_and_b32 vcc_lo, exec_lo, s17
	s_cbranch_vccz .LBB147_448
; %bb.433:                              ;   in Loop: Header=BB147_10 Depth=1
	s_and_b64 s[10:11], s[66:67], 0xffffffff00000000
	s_delay_alu instid0(SALU_CYCLE_1)
	s_cmp_lg_u64 s[10:11], 0
	s_cbranch_scc0 .LBB147_435
; %bb.434:                              ;   in Loop: Header=BB147_10 Depth=1
	s_cvt_f32_u32 s10, s48
	s_sub_nc_u64 s[14:15], 0, s[48:49]
	s_delay_alu instid0(SALU_CYCLE_2) | instskip(NEXT) | instid1(SALU_CYCLE_3)
	s_fmamk_f32 s10, s98, 0x0, s10
	v_s_rcp_f32 s10, s10
	s_delay_alu instid0(TRANS32_DEP_1) | instskip(NEXT) | instid1(SALU_CYCLE_3)
	s_mul_f32 s10, s10, 0x5f7ffffc
	s_mul_f32 s11, s10, 0x2f800000
	s_delay_alu instid0(SALU_CYCLE_3) | instskip(NEXT) | instid1(SALU_CYCLE_3)
	s_trunc_f32 s11, s11
	s_fmamk_f32 s10, s11, 0xcf800000, s10
	s_cvt_u32_f32 s11, s11
	s_delay_alu instid0(SALU_CYCLE_2) | instskip(NEXT) | instid1(SALU_CYCLE_3)
	s_cvt_u32_f32 s10, s10
	s_mul_u64 s[40:41], s[14:15], s[10:11]
	s_delay_alu instid0(SALU_CYCLE_1)
	s_mul_hi_u32 s43, s10, s41
	s_mul_i32 s42, s10, s41
	s_mul_hi_u32 s28, s10, s40
	s_mul_i32 s44, s11, s40
	s_add_nc_u64 s[42:43], s[28:29], s[42:43]
	s_mul_hi_u32 s17, s11, s40
	s_mul_hi_u32 s45, s11, s41
	s_add_co_u32 s28, s42, s44
	s_add_co_ci_u32 s28, s43, s17
	s_mul_i32 s40, s11, s41
	s_add_co_ci_u32 s41, s45, 0
	s_delay_alu instid0(SALU_CYCLE_1) | instskip(NEXT) | instid1(SALU_CYCLE_1)
	s_add_nc_u64 s[40:41], s[28:29], s[40:41]
	s_add_co_u32 s10, s10, s40
	s_cselect_b32 s17, -1, 0
	s_delay_alu instid0(SALU_CYCLE_1) | instskip(SKIP_1) | instid1(SALU_CYCLE_1)
	s_cmp_lg_u32 s17, 0
	s_add_co_ci_u32 s11, s11, s41
	s_mul_u64 s[14:15], s[14:15], s[10:11]
	s_delay_alu instid0(SALU_CYCLE_1)
	s_mul_hi_u32 s41, s10, s15
	s_mul_i32 s40, s10, s15
	s_mul_hi_u32 s28, s10, s14
	s_mul_i32 s42, s11, s14
	s_add_nc_u64 s[40:41], s[28:29], s[40:41]
	s_mul_hi_u32 s17, s11, s14
	s_mul_hi_u32 s43, s11, s15
	s_mul_i32 s14, s11, s15
	s_add_co_u32 s15, s40, s42
	s_add_co_ci_u32 s28, s41, s17
	s_add_co_ci_u32 s15, s43, 0
	s_delay_alu instid0(SALU_CYCLE_1) | instskip(NEXT) | instid1(SALU_CYCLE_1)
	s_add_nc_u64 s[14:15], s[28:29], s[14:15]
	s_add_co_u32 s10, s10, s14
	s_cselect_b32 s14, -1, 0
	s_mul_hi_u32 s28, s66, s10
	s_cmp_lg_u32 s14, 0
	s_mul_hi_u32 s17, s67, s10
	s_add_co_ci_u32 s14, s11, s15
	s_mul_i32 s15, s67, s10
	s_mul_hi_u32 s11, s66, s14
	s_mul_i32 s10, s66, s14
	s_mul_hi_u32 s40, s67, s14
	s_add_nc_u64 s[10:11], s[28:29], s[10:11]
	s_mul_i32 s14, s67, s14
	s_add_co_u32 s10, s10, s15
	s_add_co_ci_u32 s28, s11, s17
	s_add_co_ci_u32 s15, s40, 0
	s_delay_alu instid0(SALU_CYCLE_1) | instskip(NEXT) | instid1(SALU_CYCLE_1)
	s_add_nc_u64 s[10:11], s[28:29], s[14:15]
	s_and_b64 s[14:15], s[10:11], 0xffffffff00000000
	s_delay_alu instid0(SALU_CYCLE_1) | instskip(NEXT) | instid1(SALU_CYCLE_1)
	s_or_b32 s14, s14, s10
	s_mul_u64 s[10:11], s[48:49], s[14:15]
	s_delay_alu instid0(SALU_CYCLE_1) | instskip(SKIP_1) | instid1(SALU_CYCLE_1)
	s_sub_co_u32 s10, s66, s10
	s_cselect_b32 s14, -1, 0
	s_cmp_lg_u32 s14, 0
	s_sub_co_ci_u32 s11, s67, s11
	s_sub_co_u32 s14, s10, s48
	s_cselect_b32 s15, -1, 0
	s_delay_alu instid0(SALU_CYCLE_1) | instskip(SKIP_3) | instid1(SALU_CYCLE_1)
	s_cmp_lg_u32 s15, 0
	s_sub_co_ci_u32 s15, s11, 0
	s_sub_co_u32 s17, s14, s48
	s_cselect_b32 s28, -1, 0
	s_cmp_lg_u32 s28, 0
	s_sub_co_ci_u32 s28, s15, 0
	s_cmp_ge_u32 s14, s48
	s_cselect_b32 s40, -1, 0
	s_cmp_eq_u32 s15, 0
	s_cselect_b32 s40, s40, -1
	s_delay_alu instid0(SALU_CYCLE_1)
	s_cmp_lg_u32 s40, 0
	s_cselect_b32 s15, s28, s15
	s_cselect_b32 s14, s17, s14
	s_cmp_ge_u32 s10, s48
	s_cselect_b32 s17, -1, 0
	s_cmp_eq_u32 s11, 0
	s_cselect_b32 s17, s17, -1
	s_delay_alu instid0(SALU_CYCLE_1)
	s_cmp_lg_u32 s17, 0
	s_cselect_b32 s11, s15, s11
	s_cselect_b32 s10, s14, s10
	s_mov_b32 s14, 0
	s_branch .LBB147_436
.LBB147_435:                            ;   in Loop: Header=BB147_10 Depth=1
	s_mov_b32 s14, -1
                                        ; implicit-def: $sgpr10_sgpr11
.LBB147_436:                            ;   in Loop: Header=BB147_10 Depth=1
	s_delay_alu instid0(SALU_CYCLE_1)
	s_and_not1_b32 vcc_lo, exec_lo, s14
	s_cbranch_vccnz .LBB147_438
; %bb.437:                              ;   in Loop: Header=BB147_10 Depth=1
	v_cvt_f32_u32_e32 v6, s48
	s_sub_co_i32 s11, 0, s48
	s_delay_alu instid0(VALU_DEP_1) | instskip(SKIP_1) | instid1(TRANS32_DEP_1)
	v_rcp_iflag_f32_e32 v6, v6
	v_nop
	v_mul_f32_e32 v6, 0x4f7ffffe, v6
	s_delay_alu instid0(VALU_DEP_1) | instskip(NEXT) | instid1(VALU_DEP_1)
	v_cvt_u32_f32_e32 v6, v6
	v_readfirstlane_b32 s10, v6
	s_mul_i32 s11, s11, s10
	s_delay_alu instid0(SALU_CYCLE_1) | instskip(NEXT) | instid1(SALU_CYCLE_1)
	s_mul_hi_u32 s11, s10, s11
	s_add_co_i32 s10, s10, s11
	s_delay_alu instid0(SALU_CYCLE_1) | instskip(NEXT) | instid1(SALU_CYCLE_1)
	s_mul_hi_u32 s10, s66, s10
	s_mul_i32 s10, s10, s48
	s_delay_alu instid0(SALU_CYCLE_1) | instskip(NEXT) | instid1(SALU_CYCLE_1)
	s_sub_co_i32 s10, s66, s10
	s_sub_co_i32 s11, s10, s48
	s_cmp_ge_u32 s10, s48
	s_cselect_b32 s10, s11, s10
	s_delay_alu instid0(SALU_CYCLE_1) | instskip(SKIP_2) | instid1(SALU_CYCLE_1)
	s_sub_co_i32 s11, s10, s48
	s_cmp_ge_u32 s10, s48
	s_cselect_b32 s28, s11, s10
	s_mov_b64 s[10:11], s[28:29]
.LBB147_438:                            ;   in Loop: Header=BB147_10 Depth=1
	s_delay_alu instid0(SALU_CYCLE_1)
	s_sub_nc_u64 s[10:11], s[66:67], s[10:11]
	s_mov_b32 s14, exec_lo
                                        ; implicit-def: $vgpr25
	v_nop
	v_cmpx_gt_u64_e64 s[10:11], v[0:1]
	s_cbranch_execz .LBB147_447
; %bb.439:                              ;   in Loop: Header=BB147_10 Depth=1
	v_mov_b64_e32 v[6:7], v[0:1]
	s_mov_b32 s15, 0
                                        ; implicit-def: $sgpr17
	s_branch .LBB147_442
.LBB147_440:                            ;   in Loop: Header=BB147_442 Depth=2
	s_or_b32 exec_lo, exec_lo, s28
	s_wait_dscnt 0x0
	s_barrier_signal -1
	s_barrier_wait -1
	ds_load_b64 v[24:25], v3 offset:3072
	s_mov_b32 s40, -1
	s_mov_b32 s28, -1
	s_wait_dscnt 0x0
	s_barrier_signal -1
	s_barrier_wait -1
	v_cmp_eq_u32_e32 vcc_lo, 0, v24
	s_cbranch_vccnz .LBB147_445
.LBB147_441:                            ;   in Loop: Header=BB147_442 Depth=2
	s_and_b32 s8, exec_lo, s40
	s_delay_alu instid0(SALU_CYCLE_1) | instskip(SKIP_2) | instid1(SALU_CYCLE_1)
	s_or_b32 s15, s8, s15
	s_and_not1_b32 s8, s17, exec_lo
	s_and_b32 s17, s28, exec_lo
	s_or_b32 s17, s8, s17
	s_and_not1_b32 exec_lo, exec_lo, s15
	s_cbranch_execz .LBB147_446
.LBB147_442:                            ;   Parent Loop BB147_10 Depth=1
                                        ; =>  This Inner Loop Header: Depth=2
	s_mov_b32 s28, exec_lo
	s_delay_alu instid0(VALU_DEP_1)
	v_cmpx_gt_u64_e64 s[36:37], v[6:7]
	s_cbranch_execz .LBB147_440
; %bb.443:                              ;   in Loop: Header=BB147_442 Depth=2
	v_mul_u64_e32 v[8:9], s[30:31], v[6:7]
	s_delay_alu instid0(VALU_DEP_1) | instskip(SKIP_3) | instid1(VALU_DEP_1)
	v_lshl_add_u64 v[8:9], v[8:9], 2, s[34:35]
	global_load_b32 v23, v[8:9], off
	s_wait_loadcnt 0x0
	v_bitop3_b32 v8, v23, v37, 0x80000000 bitop3:0x48
	v_cmp_eq_u32_e32 vcc_lo, v8, v34
	s_and_b32 exec_lo, exec_lo, vcc_lo
	s_cbranch_execz .LBB147_440
; %bb.444:                              ;   in Loop: Header=BB147_442 Depth=2
	ds_store_b64 v3, v[22:23] offset:3072
	s_branch .LBB147_440
.LBB147_445:                            ;   in Loop: Header=BB147_442 Depth=2
	v_add_nc_u64_e32 v[6:7], s[48:49], v[6:7]
	s_mov_b32 s28, 0
	s_delay_alu instid0(VALU_DEP_1)
	v_cmp_le_u64_e32 vcc_lo, s[10:11], v[6:7]
	s_or_not1_b32 s40, vcc_lo, exec_lo
	s_branch .LBB147_441
.LBB147_446:                            ;   in Loop: Header=BB147_10 Depth=1
	s_or_b32 exec_lo, exec_lo, s15
	s_delay_alu instid0(SALU_CYCLE_1) | instskip(SKIP_1) | instid1(SALU_CYCLE_1)
	s_and_not1_b32 s8, s16, exec_lo
	s_and_b32 s10, s17, exec_lo
	s_or_b32 s16, s8, s10
.LBB147_447:                            ;   in Loop: Header=BB147_10 Depth=1
	s_or_b32 exec_lo, exec_lo, s14
	s_mov_b32 s81, 0
	s_mov_b32 s40, -1
.LBB147_448:                            ;   in Loop: Header=BB147_10 Depth=1
	s_or_not1_b32 s11, s16, exec_lo
.LBB147_449:                            ;   in Loop: Header=BB147_10 Depth=1
	s_or_b32 exec_lo, exec_lo, s80
	s_mov_b32 s14, 0
	s_and_saveexec_b32 s10, s11
	s_cbranch_execz .LBB147_460
; %bb.450:                              ;   in Loop: Header=BB147_10 Depth=1
	v_mov_b64_e32 v[6:7], 1
	v_mov_b32_e32 v2, 1
	s_xor_b32 s14, s79, -1
	s_delay_alu instid0(SALU_CYCLE_1)
	s_and_saveexec_b32 s11, s14
	s_cbranch_execz .LBB147_459
; %bb.451:                              ;   in Loop: Header=BB147_10 Depth=1
	s_mov_b32 s14, exec_lo
	v_cmpx_ge_u64_e64 s[12:13], v[4:5]
	s_xor_b32 s14, exec_lo, s14
	s_cbranch_execz .LBB147_456
; %bb.452:                              ;   in Loop: Header=BB147_10 Depth=1
	ds_load_b64 v[6:7], v3 offset:5120
	v_and_b32_e32 v34, s26, v34
	v_or_b32_e32 v37, s24, v37
	s_wait_dscnt 0x0
	v_cmp_ne_u64_e32 vcc_lo, 0, v[6:7]
	s_cbranch_vccnz .LBB147_456
; %bb.453:                              ;   in Loop: Header=BB147_10 Depth=1
	s_and_saveexec_b32 s15, s5
; %bb.454:                              ;   in Loop: Header=BB147_10 Depth=1
	v_mov_b64_e32 v[6:7], s[12:13]
	ds_store_b64 v3, v[6:7] offset:5128
; %bb.455:                              ;   in Loop: Header=BB147_10 Depth=1
	s_or_b32 exec_lo, exec_lo, s15
	s_wait_dscnt 0x0
	s_barrier_signal -1
	s_barrier_wait -1
.LBB147_456:                            ;   in Loop: Header=BB147_10 Depth=1
	s_and_not1_saveexec_b32 s14, s14
; %bb.457:                              ;   in Loop: Header=BB147_10 Depth=1
	v_sub_nc_u64_e64 v[4:5], v[4:5], s[12:13]
; %bb.458:                              ;   in Loop: Header=BB147_10 Depth=1
	s_or_b32 exec_lo, exec_lo, s14
	s_delay_alu instid0(VALU_DEP_1)
	v_mov_b64_e32 v[6:7], v[4:5]
	v_mov_b32_e32 v2, 5
.LBB147_459:                            ;   in Loop: Header=BB147_10 Depth=1
	s_or_b32 exec_lo, exec_lo, s11
	s_delay_alu instid0(VALU_DEP_2)
	v_mov_b64_e32 v[4:5], v[6:7]
	s_mov_b32 s14, exec_lo
.LBB147_460:                            ;   in Loop: Header=BB147_10 Depth=1
	s_or_b32 exec_lo, exec_lo, s10
	s_delay_alu instid0(SALU_CYCLE_1)
	s_or_not1_b32 s10, s14, exec_lo
.LBB147_461:                            ;   in Loop: Header=BB147_10 Depth=1
	s_or_b32 exec_lo, exec_lo, s19
	s_delay_alu instid0(VALU_DEP_1)
	v_mov_b64_e32 v[6:7], v[4:5]
	s_and_not1_b32 s11, s78, exec_lo
	s_and_b32 s12, s40, exec_lo
	s_and_not1_b32 s13, s76, exec_lo
	s_and_b32 s14, s81, exec_lo
	s_or_b32 s78, s11, s12
	s_or_b32 s76, s13, s14
	s_and_b32 s11, s10, exec_lo
.LBB147_462:                            ;   in Loop: Header=BB147_10 Depth=1
	s_or_b32 exec_lo, exec_lo, s18
	s_delay_alu instid0(SALU_CYCLE_1)
	s_or_not1_b32 s10, s11, exec_lo
.LBB147_463:                            ;   in Loop: Header=BB147_10 Depth=1
	s_or_b32 exec_lo, exec_lo, s21
	v_mov_b64_e32 v[4:5], v[6:7]
	s_and_not1_b32 s11, s75, exec_lo
	s_and_b32 s12, s78, exec_lo
	s_and_not1_b32 s13, s23, exec_lo
	s_and_b32 s14, s76, exec_lo
	s_or_b32 s75, s11, s12
	s_or_b32 s23, s13, s14
	s_and_b32 s11, s10, exec_lo
.LBB147_464:                            ;   in Loop: Header=BB147_10 Depth=1
	s_or_b32 exec_lo, exec_lo, s20
	s_delay_alu instid0(SALU_CYCLE_1)
	s_or_not1_b32 s10, s11, exec_lo
.LBB147_465:                            ;   in Loop: Header=BB147_10 Depth=1
	s_or_b32 exec_lo, exec_lo, s9
	s_mov_b32 s9, s74
	s_mov_b32 s11, s27
	s_and_saveexec_b32 s12, s10
; %bb.466:                              ;   in Loop: Header=BB147_10 Depth=1
	v_cmp_ne_u32_e32 vcc_lo, 5, v2
	v_cmp_eq_u32_e64 s9, 5, v2
	s_and_not1_b32 s10, s27, exec_lo
	s_and_not1_b32 s13, s74, exec_lo
	s_and_b32 s11, vcc_lo, exec_lo
	s_and_b32 s9, s9, exec_lo
	s_or_b32 s11, s10, s11
	s_or_b32 s9, s13, s9
; %bb.467:                              ;   in Loop: Header=BB147_10 Depth=1
	s_or_b32 exec_lo, exec_lo, s12
	s_delay_alu instid0(SALU_CYCLE_1)
	s_and_not1_b32 s8, s77, exec_lo
	s_and_b32 s10, s75, exec_lo
	s_and_not1_b32 s12, s25, exec_lo
	s_and_b32 s13, s23, exec_lo
	s_or_b32 s77, s8, s10
	s_and_not1_b32 s8, s27, exec_lo
	s_and_b32 s10, s11, exec_lo
	s_and_not1_b32 s11, s74, exec_lo
	s_and_b32 s9, s9, exec_lo
	s_or_b32 s25, s12, s13
	s_or_b32 s27, s8, s10
	s_or_b32 s74, s11, s9
.LBB147_468:                            ;   in Loop: Header=BB147_10 Depth=1
	s_or_b32 exec_lo, exec_lo, s22
	s_mov_b32 s75, 0
	s_mov_b32 s76, 0
	s_and_saveexec_b32 s9, s74
.LBB147_469:                            ;   in Loop: Header=BB147_10 Depth=1
	v_mov_b32_e32 v2, 0
	s_or_b32 s27, s27, exec_lo
.LBB147_470:                            ;   in Loop: Header=BB147_10 Depth=1
	s_or_b32 exec_lo, exec_lo, s9
	v_mov_b64_e32 v[26:27], v[4:5]
	s_and_not1_b32 s8, s61, exec_lo
	s_and_b32 s9, s77, exec_lo
	s_and_not1_b32 s11, vcc_hi, exec_lo
	s_and_b32 s12, s25, exec_lo
	s_or_b32 s61, s8, s9
	s_or_b32 vcc_hi, s11, s12
	s_and_not1_b32 s8, s63, exec_lo
	s_and_b32 s9, s76, exec_lo
	s_and_not1_b32 s11, s62, exec_lo
	s_and_b32 s12, s75, exec_lo
	s_mov_b32 s10, -1
	s_and_not1_b32 s60, s60, exec_lo
	s_or_b32 s63, s8, s9
	s_or_b32 s62, s11, s12
	s_and_saveexec_b32 s8, s27
	s_delay_alu instid0(SALU_CYCLE_1)
	s_xor_b32 s9, exec_lo, s8
	s_cbranch_execz .LBB147_9
; %bb.471:                              ;   in Loop: Header=BB147_10 Depth=1
	s_mov_b32 s11, -1
	s_mov_b32 s12, exec_lo
	v_cmpx_eq_u32_e32 0, v2
	s_cbranch_execz .LBB147_8
; %bb.472:                              ;   in Loop: Header=BB147_10 Depth=1
	s_xor_b32 s100, s100, 1
	s_add_co_i32 s13, s96, -2
	s_cmp_eq_u32 s96, 0
	s_mov_b32 s96, s13
	s_cselect_b32 s10, -1, 0
	s_xor_b32 s11, exec_lo, -1
	s_or_not1_b32 s10, s10, exec_lo
	s_branch .LBB147_8
.LBB147_473:
	s_or_b32 exec_lo, exec_lo, s97
	s_xor_b32 s7, s104, -1
	s_xor_b32 s9, s102, -1
	;; [unrolled: 1-line block ×5, first 2 shown]
	s_mov_b32 s8, 0
	s_and_saveexec_b32 s12, s11
	s_delay_alu instid0(SALU_CYCLE_1)
	s_xor_b32 s16, exec_lo, s12
	s_cbranch_execnz .LBB147_480
; %bb.474:
	s_wait_xcnt 0x0
	s_and_not1_saveexec_b32 s0, s16
	s_cbranch_execnz .LBB147_499
.LBB147_475:
	s_or_b32 exec_lo, exec_lo, s0
	s_and_saveexec_b32 s0, s8
.LBB147_476:
	; divergent unreachable
.LBB147_477:
	s_endpgm
.LBB147_478:
	v_cvt_f32_u32_e32 v1, s2
	s_sub_co_i32 s5, 0, s2
	s_delay_alu instid0(VALU_DEP_1) | instskip(SKIP_1) | instid1(TRANS32_DEP_1)
	v_rcp_iflag_f32_e32 v1, v1
	v_nop
	v_mul_f32_e32 v1, 0x4f7ffffe, v1
	s_delay_alu instid0(VALU_DEP_1) | instskip(NEXT) | instid1(VALU_DEP_1)
	v_cvt_u32_f32_e32 v1, v1
	v_readfirstlane_b32 s4, v1
	s_mul_i32 s5, s5, s4
	s_delay_alu instid0(SALU_CYCLE_1) | instskip(NEXT) | instid1(SALU_CYCLE_1)
	s_mul_hi_u32 s5, s4, s5
	s_add_co_i32 s4, s4, s5
	s_delay_alu instid0(SALU_CYCLE_1) | instskip(NEXT) | instid1(SALU_CYCLE_1)
	s_mul_hi_u32 s4, s50, s4
	s_mul_i32 s5, s4, s2
	s_add_co_i32 s6, s4, 1
	s_sub_co_i32 s5, s50, s5
	s_delay_alu instid0(SALU_CYCLE_1)
	s_sub_co_i32 s7, s5, s2
	s_cmp_ge_u32 s5, s2
	s_cselect_b32 s4, s6, s4
	s_cselect_b32 s5, s7, s5
	s_add_co_i32 s6, s4, 1
	s_cmp_ge_u32 s5, s2
	s_mov_b32 s7, 0
	s_cselect_b32 s6, s6, s4
	s_load_b64 s[56:57], s[0:1], 0x380
	v_cmp_lt_u64_e64 s4, s[50:51], s[54:55]
	s_and_b32 vcc_lo, exec_lo, s4
	s_cbranch_vccnz .LBB147_3
.LBB147_479:
	v_cvt_f32_u32_e32 v1, s54
	s_sub_co_i32 s5, 0, s54
	s_mov_b32 s53, 0
	s_delay_alu instid0(VALU_DEP_1) | instskip(SKIP_1) | instid1(TRANS32_DEP_1)
	v_rcp_iflag_f32_e32 v1, v1
	v_nop
	v_mul_f32_e32 v1, 0x4f7ffffe, v1
	s_delay_alu instid0(VALU_DEP_1) | instskip(NEXT) | instid1(VALU_DEP_1)
	v_cvt_u32_f32_e32 v1, v1
	v_readfirstlane_b32 s4, v1
	s_mul_i32 s5, s5, s4
	s_delay_alu instid0(SALU_CYCLE_1) | instskip(NEXT) | instid1(SALU_CYCLE_1)
	s_mul_hi_u32 s5, s4, s5
	s_add_co_i32 s4, s4, s5
	s_delay_alu instid0(SALU_CYCLE_1) | instskip(NEXT) | instid1(SALU_CYCLE_1)
	s_mul_hi_u32 s4, s50, s4
	s_mul_i32 s5, s4, s54
	s_add_co_i32 s8, s4, 1
	s_sub_co_i32 s5, s50, s5
	s_delay_alu instid0(SALU_CYCLE_1)
	s_sub_co_i32 s9, s5, s54
	s_cmp_ge_u32 s5, s54
	s_cselect_b32 s4, s8, s4
	s_cselect_b32 s5, s9, s5
	s_add_co_i32 s8, s4, 1
	s_cmp_ge_u32 s5, s54
	s_cselect_b32 s52, s8, s4
	s_wait_kmcnt 0x0
	v_cmp_lt_u64_e64 s4, s[50:51], s[56:57]
	s_mov_b64 s[58:59], 0
	s_and_b32 vcc_lo, exec_lo, s4
	s_cbranch_vccz .LBB147_4
	s_branch .LBB147_5
.LBB147_480:
	s_and_saveexec_b32 s11, s10
	s_delay_alu instid0(SALU_CYCLE_1)
	s_xor_b32 s17, exec_lo, s11
	s_cbranch_execz .LBB147_497
; %bb.481:
	s_and_saveexec_b32 s10, s9
	s_delay_alu instid0(SALU_CYCLE_1)
	s_xor_b32 s18, exec_lo, s10
	s_cbranch_execz .LBB147_495
; %bb.482:
	;; [unrolled: 5-line block ×3, first 2 shown]
	s_and_saveexec_b32 s7, s6
	s_delay_alu instid0(SALU_CYCLE_1)
	s_xor_b32 s6, exec_lo, s7
; %bb.484:
	v_xor_b32_e32 v25, 0x80000000, v34
; %bb.485:
	s_or_b32 exec_lo, exec_lo, s6
	s_and_saveexec_b32 s6, s5
; %bb.486:
	v_mov_b64_e32 v[2:3], 0
	v_mov_b32_e32 v4, 0
	ds_store_b64 v4, v[2:3] offset:5136
; %bb.487:
	s_or_b32 exec_lo, exec_lo, s6
	v_mov_b32_e32 v13, 0
	s_wait_dscnt 0x0
	s_barrier_signal -1
	s_barrier_wait -1
	s_and_saveexec_b32 s5, s3
	s_cbranch_execz .LBB147_489
; %bb.488:
	global_load_b32 v13, v[14:15], off
.LBB147_489:
	s_wait_xcnt 0x0
	s_or_b32 exec_lo, exec_lo, s5
	v_readlane_b32 s20, v45, 6
	v_readlane_b32 s21, v45, 7
	;; [unrolled: 1-line block ×4, first 2 shown]
	s_mul_u64 s[10:11], s[52:53], s[54:55]
	s_add_nc_u64 s[6:7], s[36:37], 31
	s_sub_nc_u64 s[12:13], s[50:51], s[10:11]
	s_mov_b64 s[8:9], 0xffffffffffffffe0
	s_mul_u64 s[12:13], s[12:13], s[22:23]
	s_mul_u64 s[14:15], s[52:53], s[20:21]
	v_readlane_b32 s20, v45, 0
	v_readlane_b32 s22, v45, 2
	;; [unrolled: 1-line block ×3, first 2 shown]
	s_and_b64 s[6:7], s[6:7], s[8:9]
	s_clause 0x1
	s_load_b64 s[8:9], s[0:1], 0x368
	s_load_b64 s[10:11], s[0:1], 0x510
	s_wait_kmcnt 0x0
	s_mul_u64 s[0:1], s[58:59], s[56:57]
	v_readlane_b32 s21, v45, 1
	s_sub_nc_u64 s[0:1], s[50:51], s[0:1]
	s_lshl_b64 s[14:15], s[14:15], 2
	s_mul_u64 s[0:1], s[0:1], s[22:23]
	v_readlane_b32 s22, v45, 10
	v_readlane_b32 s23, v45, 11
	s_mul_u64 s[20:21], s[58:59], s[20:21]
	v_cmp_gt_u64_e32 vcc_lo, s[6:7], v[0:1]
	s_lshl_b64 s[20:21], s[20:21], 3
	s_lshl_b64 s[12:13], s[12:13], 2
	s_add_nc_u64 s[14:15], s[22:23], s[14:15]
	v_readlane_b32 s22, v45, 4
	v_readlane_b32 s23, v45, 5
	s_lshl_b64 s[0:1], s[0:1], 3
	s_add_nc_u64 s[12:13], s[14:15], s[12:13]
	s_mov_b32 s5, 0
	s_add_nc_u64 s[20:21], s[22:23], s[20:21]
	s_delay_alu instid0(SALU_CYCLE_1)
	s_add_nc_u64 s[14:15], s[20:21], s[0:1]
	s_mov_b32 s0, -1
	s_mov_b32 s1, 0
	s_and_saveexec_b32 s20, vcc_lo
	s_cbranch_execnz .LBB147_500
; %bb.490:
	s_or_b32 exec_lo, exec_lo, s20
	s_and_saveexec_b32 s4, s0
	s_cbranch_execnz .LBB147_515
.LBB147_491:
	s_or_b32 exec_lo, exec_lo, s4
	s_and_saveexec_b32 s0, s1
	s_delay_alu instid0(SALU_CYCLE_1)
	s_xor_b32 s0, exec_lo, s0
	s_cbranch_execnz .LBB147_538
.LBB147_492:
	s_or_b32 exec_lo, exec_lo, s0
	s_delay_alu instid0(SALU_CYCLE_1)
	s_and_b32 s8, s5, exec_lo
.LBB147_493:
	s_wait_xcnt 0x0
	s_and_not1_saveexec_b32 s0, s19
	s_cbranch_execnz .LBB147_540
.LBB147_494:
	s_or_b32 exec_lo, exec_lo, s0
	s_delay_alu instid0(SALU_CYCLE_1)
	s_and_b32 s8, s8, exec_lo
.LBB147_495:
	s_wait_xcnt 0x0
	s_and_not1_saveexec_b32 s0, s18
	s_cbranch_execnz .LBB147_539
.LBB147_496:
	s_or_b32 exec_lo, exec_lo, s0
	s_delay_alu instid0(SALU_CYCLE_1)
	s_and_b32 s8, s8, exec_lo
.LBB147_497:
	s_wait_xcnt 0x0
	s_and_not1_saveexec_b32 s0, s17
	s_cbranch_execnz .LBB147_534
.LBB147_498:
	s_or_b32 exec_lo, exec_lo, s0
	s_delay_alu instid0(SALU_CYCLE_1)
	s_and_b32 s8, s8, exec_lo
	s_and_not1_saveexec_b32 s0, s16
	s_cbranch_execz .LBB147_475
.LBB147_499:
	s_or_b32 s8, s8, exec_lo
	s_trap 2
	s_or_b32 exec_lo, exec_lo, s0
	s_and_saveexec_b32 s0, s8
	s_cbranch_execnz .LBB147_476
	s_branch .LBB147_477
.LBB147_500:
	v_mov_b64_e32 v[8:9], v[0:1]
	v_xor_b32_e32 v16, 0x80000000, v25
	v_mov_b32_e32 v3, 0
	s_mov_b32 s21, 0
                                        ; implicit-def: $sgpr22
                                        ; implicit-def: $vgpr6_vgpr7
	s_branch .LBB147_502
.LBB147_501:                            ;   in Loop: Header=BB147_502 Depth=1
	s_or_b32 exec_lo, exec_lo, s24
	s_xor_b32 s0, s23, -1
	s_and_b32 s1, exec_lo, s1
	v_mov_b64_e32 v[8:9], v[4:5]
	v_mov_b32_e32 v13, v17
	s_or_b32 s21, s1, s21
	s_and_not1_b32 s1, s22, exec_lo
	s_and_b32 s0, s0, exec_lo
	s_delay_alu instid0(SALU_CYCLE_1)
	s_or_b32 s22, s1, s0
	s_and_not1_b32 exec_lo, exec_lo, s21
	s_cbranch_execz .LBB147_514
.LBB147_502:                            ; =>This Inner Loop Header: Depth=1
	s_delay_alu instid0(VALU_DEP_3) | instskip(SKIP_2) | instid1(VALU_DEP_2)
	v_add_nc_u64_e32 v[4:5], s[48:49], v[8:9]
	v_mov_b32_e32 v17, 0
	s_mov_b32 s1, exec_lo
	v_cmpx_gt_u64_e64 s[36:37], v[4:5]
	s_cbranch_execz .LBB147_504
; %bb.503:                              ;   in Loop: Header=BB147_502 Depth=1
	v_mul_u64_e32 v[10:11], s[30:31], v[4:5]
	s_delay_alu instid0(VALU_DEP_1)
	v_lshl_add_u64 v[10:11], v[10:11], 2, s[34:35]
	global_load_b32 v17, v[10:11], off
.LBB147_504:                            ;   in Loop: Header=BB147_502 Depth=1
	s_wait_xcnt 0x0
	s_or_b32 exec_lo, exec_lo, s1
	s_wait_loadcnt 0x0
	v_xor_b32_e32 v2, 0x80000000, v13
	s_delay_alu instid0(VALU_DEP_1) | instskip(NEXT) | instid1(VALU_DEP_1)
	v_cmp_gt_u32_e64 s0, v2, v16
	v_cndmask_b32_e64 v10, 0, 1, s0
	v_cmp_lt_u32_e64 s0, v2, v16
	s_delay_alu instid0(VALU_DEP_1) | instskip(SKIP_1) | instid1(VALU_DEP_2)
	v_cndmask_b32_e64 v2, 0, 1, s0
	v_cmp_gt_u64_e64 s0, s[36:37], v[8:9]
	v_cndmask_b32_e64 v2, v2, v10, s4
	s_delay_alu instid0(VALU_DEP_1) | instskip(NEXT) | instid1(VALU_DEP_1)
	v_and_b32_e32 v2, 1, v2
	v_cmp_eq_u32_e64 s1, 1, v2
	s_and_b32 s23, s0, s1
	s_delay_alu instid0(SALU_CYCLE_1) | instskip(NEXT) | instid1(VALU_DEP_1)
	v_cndmask_b32_e64 v2, 0, 1, s23
	v_cmp_ne_u32_e64 s0, 0, v2
	s_cmp_lg_u32 s0, 0
	s_cselect_b32 s1, -1, 0
	s_delay_alu instid0(SALU_CYCLE_1) | instskip(NEXT) | instid1(SALU_CYCLE_1)
	s_and_b32 s1, s2, s1
	s_and_saveexec_b32 s24, s1
	s_cbranch_execz .LBB147_508
; %bb.505:                              ;   in Loop: Header=BB147_502 Depth=1
	s_mov_b32 s27, exec_lo
	s_bcnt1_i32_b32 s25, s0
	v_mbcnt_lo_u32_b32 v10, s27, 0
	s_mov_b32 s26, exec_lo
                                        ; implicit-def: $vgpr6_vgpr7
	s_delay_alu instid0(VALU_DEP_1)
	v_cmpx_eq_u32_e32 0, v10
	s_cbranch_execz .LBB147_507
; %bb.506:                              ;   in Loop: Header=BB147_502 Depth=1
	s_bcnt1_i32_b32 s1, s27
	s_delay_alu instid0(SALU_CYCLE_1) | instskip(NEXT) | instid1(SALU_CYCLE_1)
	s_mul_i32 s1, s25, s1
	v_mov_b32_e32 v2, s1
	s_wait_dscnt 0x0
	ds_add_rtn_u64 v[6:7], v3, v[2:3] offset:5136
.LBB147_507:                            ;   in Loop: Header=BB147_502 Depth=1
	s_or_b32 exec_lo, exec_lo, s26
	s_wait_dscnt 0x0
	v_readfirstlane_b32 s27, v7
	v_readfirstlane_b32 s26, v6
	s_delay_alu instid0(VALU_DEP_1)
	v_mad_nc_u64_u32 v[6:7], s25, v10, s[26:27]
.LBB147_508:                            ;   in Loop: Header=BB147_502 Depth=1
	s_or_b32 exec_lo, exec_lo, s24
	s_wait_dscnt 0x1
	ds_bpermute_b32 v6, v3, v6
	s_wait_dscnt 0x1
	ds_bpermute_b32 v7, v3, v7
	s_mov_b32 s1, -1
	s_mov_b32 s25, -1
	s_and_saveexec_b32 s24, s23
	s_cbranch_execz .LBB147_512
; %bb.509:                              ;   in Loop: Header=BB147_502 Depth=1
	v_and_b32_e32 v2, s0, v12
	s_mov_b32 s23, 0
	s_mov_b32 s25, exec_lo
	s_delay_alu instid0(VALU_DEP_1) | instskip(SKIP_1) | instid1(VALU_DEP_1)
	v_bcnt_u32_b32 v2, v2, 0
	s_wait_dscnt 0x0
	v_add_nc_u64_e32 v[10:11], v[6:7], v[2:3]
	s_delay_alu instid0(VALU_DEP_1)
	v_cmpx_gt_u64_e64 s[38:39], v[10:11]
; %bb.510:                              ;   in Loop: Header=BB147_502 Depth=1
	v_mul_u64_e32 v[18:19], s[8:9], v[10:11]
	v_mul_u64_e32 v[10:11], s[10:11], v[10:11]
	s_mov_b32 s23, exec_lo
	s_delay_alu instid0(VALU_DEP_2) | instskip(NEXT) | instid1(VALU_DEP_2)
	v_lshl_add_u64 v[18:19], v[18:19], 2, s[12:13]
	v_lshl_add_u64 v[10:11], v[10:11], 3, s[14:15]
	global_store_b32 v[18:19], v13, off
	global_store_b64 v[10:11], v[8:9], off
; %bb.511:                              ;   in Loop: Header=BB147_502 Depth=1
	s_wait_xcnt 0x0
	s_or_b32 exec_lo, exec_lo, s25
	s_delay_alu instid0(SALU_CYCLE_1)
	s_or_not1_b32 s25, s23, exec_lo
.LBB147_512:                            ;   in Loop: Header=BB147_502 Depth=1
	s_or_b32 exec_lo, exec_lo, s24
	s_mov_b32 s23, -1
	s_and_saveexec_b32 s24, s25
	s_cbranch_execz .LBB147_501
; %bb.513:                              ;   in Loop: Header=BB147_502 Depth=1
	v_cmp_le_u64_e64 s0, s[6:7], v[4:5]
	s_xor_b32 s23, exec_lo, -1
	s_or_not1_b32 s1, s0, exec_lo
	s_branch .LBB147_501
.LBB147_514:
	s_or_b32 exec_lo, exec_lo, s21
	s_delay_alu instid0(SALU_CYCLE_1)
	s_mov_b32 s1, exec_lo
	s_or_not1_b32 s0, s22, exec_lo
	s_or_b32 exec_lo, exec_lo, s20
	s_and_saveexec_b32 s4, s0
	s_cbranch_execz .LBB147_491
.LBB147_515:
	v_mov_b32_e32 v2, 0
	s_wait_storecnt 0x0
	s_wait_loadcnt_dscnt 0x0
	s_barrier_signal -1
	s_barrier_wait -1
	s_and_saveexec_b32 s0, s3
	s_cbranch_execz .LBB147_517
; %bb.516:
	global_load_b32 v2, v[14:15], off
.LBB147_517:
	s_wait_xcnt 0x0
	s_or_b32 exec_lo, exec_lo, s0
	s_mov_b32 s0, 0
	s_and_saveexec_b32 s3, vcc_lo
	s_cbranch_execz .LBB147_537
; %bb.518:
	v_mov_b32_e32 v3, 0
	s_mov_b32 s5, 0
                                        ; implicit-def: $sgpr20
                                        ; implicit-def: $vgpr6_vgpr7
	s_branch .LBB147_521
.LBB147_519:                            ;   in Loop: Header=BB147_521 Depth=1
	s_or_b32 exec_lo, exec_lo, s21
	s_delay_alu instid0(SALU_CYCLE_1)
	s_or_not1_b32 s23, s23, exec_lo
	s_or_not1_b32 s22, s22, exec_lo
.LBB147_520:                            ;   in Loop: Header=BB147_521 Depth=1
	s_or_b32 exec_lo, exec_lo, s0
	s_xor_b32 s0, s23, -1
	s_and_b32 s21, exec_lo, s22
	v_mov_b64_e32 v[0:1], v[4:5]
	s_or_b32 s5, s21, s5
	v_mov_b32_e32 v2, v10
	s_and_not1_b32 s20, s20, exec_lo
	s_and_b32 s0, s0, exec_lo
	s_delay_alu instid0(SALU_CYCLE_1)
	s_or_b32 s20, s20, s0
	s_and_not1_b32 exec_lo, exec_lo, s5
	s_cbranch_execz .LBB147_535
.LBB147_521:                            ; =>This Inner Loop Header: Depth=1
	v_add_nc_u64_e32 v[4:5], s[48:49], v[0:1]
	v_mov_b32_e32 v10, 0
	s_mov_b32 s0, exec_lo
	s_delay_alu instid0(VALU_DEP_2)
	v_cmpx_gt_u64_e64 s[36:37], v[4:5]
	s_cbranch_execz .LBB147_523
; %bb.522:                              ;   in Loop: Header=BB147_521 Depth=1
	v_mul_u64_e32 v[8:9], s[30:31], v[4:5]
	s_delay_alu instid0(VALU_DEP_1)
	v_lshl_add_u64 v[8:9], v[8:9], 2, s[34:35]
	global_load_b32 v10, v[8:9], off
.LBB147_523:                            ;   in Loop: Header=BB147_521 Depth=1
	s_wait_xcnt 0x0
	s_or_b32 exec_lo, exec_lo, s0
	v_cmp_gt_u64_e32 vcc_lo, s[36:37], v[0:1]
	s_wait_loadcnt 0x0
	v_cmp_eq_u32_e64 s0, v2, v25
	s_and_b32 s21, vcc_lo, s0
	s_delay_alu instid0(SALU_CYCLE_1) | instskip(NEXT) | instid1(VALU_DEP_1)
	v_cndmask_b32_e64 v2, 0, 1, s21
	v_cmp_ne_u32_e32 vcc_lo, 0, v2
	s_cmp_lg_u32 vcc_lo, 0
	s_cselect_b32 s0, -1, 0
	s_delay_alu instid0(SALU_CYCLE_1) | instskip(NEXT) | instid1(SALU_CYCLE_1)
	s_and_b32 s0, s2, s0
	s_and_saveexec_b32 s22, s0
	s_cbranch_execz .LBB147_527
; %bb.524:                              ;   in Loop: Header=BB147_521 Depth=1
	s_mov_b32 s25, exec_lo
	s_bcnt1_i32_b32 s23, vcc_lo
	v_mbcnt_lo_u32_b32 v8, s25, 0
	s_mov_b32 s24, exec_lo
                                        ; implicit-def: $vgpr6_vgpr7
	s_delay_alu instid0(VALU_DEP_1)
	v_cmpx_eq_u32_e32 0, v8
; %bb.525:                              ;   in Loop: Header=BB147_521 Depth=1
	s_bcnt1_i32_b32 s0, s25
	s_delay_alu instid0(SALU_CYCLE_1) | instskip(NEXT) | instid1(SALU_CYCLE_1)
	s_mul_i32 s0, s23, s0
	v_mov_b32_e32 v2, s0
	ds_add_rtn_u64 v[6:7], v3, v[2:3] offset:5136
; %bb.526:                              ;   in Loop: Header=BB147_521 Depth=1
	s_or_b32 exec_lo, exec_lo, s24
	s_wait_dscnt 0x0
	v_readfirstlane_b32 s25, v7
	v_readfirstlane_b32 s24, v6
	s_delay_alu instid0(VALU_DEP_1)
	v_mad_nc_u64_u32 v[6:7], s23, v8, s[24:25]
.LBB147_527:                            ;   in Loop: Header=BB147_521 Depth=1
	s_or_b32 exec_lo, exec_lo, s22
	ds_bpermute_b32 v6, v3, v6
	ds_bpermute_b32 v7, v3, v7
	s_cmp_eq_u32 vcc_lo, 0
	s_mov_b32 s22, -1
	s_cselect_b32 s23, -1, 0
	s_wait_dscnt 0x0
	v_cmp_gt_u64_e64 s0, s[38:39], v[6:7]
	s_or_b32 s24, s23, s0
	s_mov_b32 s23, -1
	s_and_saveexec_b32 s0, s24
	s_cbranch_execz .LBB147_520
; %bb.528:                              ;   in Loop: Header=BB147_521 Depth=1
	v_and_b32_e32 v2, vcc_lo, v12
	v_sub_nc_u64_e32 v[8:9], s[38:39], v[6:7]
	s_mov_b32 s24, -1
	s_delay_alu instid0(VALU_DEP_2) | instskip(NEXT) | instid1(VALU_DEP_1)
	v_bcnt_u32_b32 v2, v2, 0
	v_bcnt_u32_b32 v2, 0, v2
	s_delay_alu instid0(VALU_DEP_1) | instskip(SKIP_1) | instid1(SALU_CYCLE_1)
	v_cmp_gt_u64_e32 vcc_lo, v[8:9], v[2:3]
	s_and_b32 s25, s21, vcc_lo
	s_and_saveexec_b32 s21, s25
	s_cbranch_execz .LBB147_532
; %bb.529:                              ;   in Loop: Header=BB147_521 Depth=1
	v_add_nc_u64_e32 v[8:9], v[6:7], v[2:3]
	s_mov_b32 s24, 0
	s_mov_b32 s23, exec_lo
	s_delay_alu instid0(VALU_DEP_1)
	v_cmpx_gt_u64_e64 s[38:39], v[8:9]
; %bb.530:                              ;   in Loop: Header=BB147_521 Depth=1
	v_mul_u64_e32 v[14:15], s[8:9], v[8:9]
	v_mul_u64_e32 v[8:9], s[10:11], v[8:9]
	s_mov_b32 s24, exec_lo
	s_delay_alu instid0(VALU_DEP_2) | instskip(NEXT) | instid1(VALU_DEP_2)
	v_lshl_add_u64 v[14:15], v[14:15], 2, s[12:13]
	v_lshl_add_u64 v[8:9], v[8:9], 3, s[14:15]
	global_store_b32 v[14:15], v25, off
	global_store_b64 v[8:9], v[0:1], off
; %bb.531:                              ;   in Loop: Header=BB147_521 Depth=1
	s_wait_xcnt 0x0
	s_or_b32 exec_lo, exec_lo, s23
	s_delay_alu instid0(SALU_CYCLE_1)
	s_xor_b32 s23, exec_lo, -1
	s_or_not1_b32 s24, s24, exec_lo
.LBB147_532:                            ;   in Loop: Header=BB147_521 Depth=1
	s_or_b32 exec_lo, exec_lo, s21
	s_and_saveexec_b32 s21, s24
	s_cbranch_execz .LBB147_519
; %bb.533:                              ;   in Loop: Header=BB147_521 Depth=1
	v_cmp_le_u64_e32 vcc_lo, s[6:7], v[4:5]
	s_or_b32 s23, s23, exec_lo
	s_or_not1_b32 s22, vcc_lo, exec_lo
	s_branch .LBB147_519
.LBB147_534:
	s_or_b32 s8, s8, exec_lo
	s_trap 2
	s_branch .LBB147_498
.LBB147_535:
	s_or_b32 exec_lo, exec_lo, s5
	s_mov_b32 s0, 0
	s_and_saveexec_b32 s2, s20
	s_delay_alu instid0(SALU_CYCLE_1)
	s_xor_b32 s2, exec_lo, s2
	s_cbranch_execnz .LBB147_541
.LBB147_536:
	s_or_b32 exec_lo, exec_lo, s2
	s_delay_alu instid0(SALU_CYCLE_1)
	s_and_b32 s0, s0, exec_lo
.LBB147_537:
	s_or_b32 exec_lo, exec_lo, s3
	s_delay_alu instid0(SALU_CYCLE_1) | instskip(SKIP_3) | instid1(SALU_CYCLE_1)
	s_and_b32 s5, s0, exec_lo
	s_and_not1_b32 s1, s1, exec_lo
	s_or_b32 exec_lo, exec_lo, s4
	s_and_saveexec_b32 s0, s1
	s_xor_b32 s0, exec_lo, s0
	s_cbranch_execz .LBB147_492
.LBB147_538:
	s_or_b32 s5, s5, exec_lo
	s_trap 2
	s_branch .LBB147_492
.LBB147_539:
	s_or_b32 s8, s8, exec_lo
	s_trap 2
	s_branch .LBB147_496
.LBB147_540:
	s_or_b32 s8, s8, exec_lo
	s_trap 2
	s_branch .LBB147_494
.LBB147_541:
	s_mov_b32 s0, exec_lo
	s_trap 2
	s_branch .LBB147_536
	.section	.rodata,"a",@progbits
	.p2align	6, 0x0
	.amdhsa_kernel _ZN2at6native6sbtopk10gatherTopKIimLi2ELb0EEEvNS_4cuda6detail10TensorInfoIKT_T0_EES8_S8_bS8_S8_NS5_IS6_S8_EES8_NS5_IlS8_EES8_PS6_
		.amdhsa_group_segment_fixed_size 5152
		.amdhsa_private_segment_fixed_size 0
		.amdhsa_kernarg_size 1568
		.amdhsa_user_sgpr_count 2
		.amdhsa_user_sgpr_dispatch_ptr 0
		.amdhsa_user_sgpr_queue_ptr 0
		.amdhsa_user_sgpr_kernarg_segment_ptr 1
		.amdhsa_user_sgpr_dispatch_id 0
		.amdhsa_user_sgpr_kernarg_preload_length 0
		.amdhsa_user_sgpr_kernarg_preload_offset 0
		.amdhsa_user_sgpr_private_segment_size 0
		.amdhsa_wavefront_size32 1
		.amdhsa_uses_dynamic_stack 0
		.amdhsa_enable_private_segment 0
		.amdhsa_system_sgpr_workgroup_id_x 1
		.amdhsa_system_sgpr_workgroup_id_y 1
		.amdhsa_system_sgpr_workgroup_id_z 1
		.amdhsa_system_sgpr_workgroup_info 0
		.amdhsa_system_vgpr_workitem_id 0
		.amdhsa_next_free_vgpr 46
		.amdhsa_next_free_sgpr 105
		.amdhsa_named_barrier_count 0
		.amdhsa_reserve_vcc 1
		.amdhsa_float_round_mode_32 0
		.amdhsa_float_round_mode_16_64 0
		.amdhsa_float_denorm_mode_32 3
		.amdhsa_float_denorm_mode_16_64 3
		.amdhsa_fp16_overflow 0
		.amdhsa_memory_ordered 1
		.amdhsa_forward_progress 1
		.amdhsa_inst_pref_size 193
		.amdhsa_round_robin_scheduling 0
		.amdhsa_exception_fp_ieee_invalid_op 0
		.amdhsa_exception_fp_denorm_src 0
		.amdhsa_exception_fp_ieee_div_zero 0
		.amdhsa_exception_fp_ieee_overflow 0
		.amdhsa_exception_fp_ieee_underflow 0
		.amdhsa_exception_fp_ieee_inexact 0
		.amdhsa_exception_int_div_zero 0
	.end_amdhsa_kernel
	.section	.text._ZN2at6native6sbtopk10gatherTopKIimLi2ELb0EEEvNS_4cuda6detail10TensorInfoIKT_T0_EES8_S8_bS8_S8_NS5_IS6_S8_EES8_NS5_IlS8_EES8_PS6_,"axG",@progbits,_ZN2at6native6sbtopk10gatherTopKIimLi2ELb0EEEvNS_4cuda6detail10TensorInfoIKT_T0_EES8_S8_bS8_S8_NS5_IS6_S8_EES8_NS5_IlS8_EES8_PS6_,comdat
.Lfunc_end147:
	.size	_ZN2at6native6sbtopk10gatherTopKIimLi2ELb0EEEvNS_4cuda6detail10TensorInfoIKT_T0_EES8_S8_bS8_S8_NS5_IS6_S8_EES8_NS5_IlS8_EES8_PS6_, .Lfunc_end147-_ZN2at6native6sbtopk10gatherTopKIimLi2ELb0EEEvNS_4cuda6detail10TensorInfoIKT_T0_EES8_S8_bS8_S8_NS5_IS6_S8_EES8_NS5_IlS8_EES8_PS6_
                                        ; -- End function
	.set _ZN2at6native6sbtopk10gatherTopKIimLi2ELb0EEEvNS_4cuda6detail10TensorInfoIKT_T0_EES8_S8_bS8_S8_NS5_IS6_S8_EES8_NS5_IlS8_EES8_PS6_.num_vgpr, 46
	.set _ZN2at6native6sbtopk10gatherTopKIimLi2ELb0EEEvNS_4cuda6detail10TensorInfoIKT_T0_EES8_S8_bS8_S8_NS5_IS6_S8_EES8_NS5_IlS8_EES8_PS6_.num_agpr, 0
	.set _ZN2at6native6sbtopk10gatherTopKIimLi2ELb0EEEvNS_4cuda6detail10TensorInfoIKT_T0_EES8_S8_bS8_S8_NS5_IS6_S8_EES8_NS5_IlS8_EES8_PS6_.numbered_sgpr, 105
	.set _ZN2at6native6sbtopk10gatherTopKIimLi2ELb0EEEvNS_4cuda6detail10TensorInfoIKT_T0_EES8_S8_bS8_S8_NS5_IS6_S8_EES8_NS5_IlS8_EES8_PS6_.num_named_barrier, 0
	.set _ZN2at6native6sbtopk10gatherTopKIimLi2ELb0EEEvNS_4cuda6detail10TensorInfoIKT_T0_EES8_S8_bS8_S8_NS5_IS6_S8_EES8_NS5_IlS8_EES8_PS6_.private_seg_size, 0
	.set _ZN2at6native6sbtopk10gatherTopKIimLi2ELb0EEEvNS_4cuda6detail10TensorInfoIKT_T0_EES8_S8_bS8_S8_NS5_IS6_S8_EES8_NS5_IlS8_EES8_PS6_.uses_vcc, 1
	.set _ZN2at6native6sbtopk10gatherTopKIimLi2ELb0EEEvNS_4cuda6detail10TensorInfoIKT_T0_EES8_S8_bS8_S8_NS5_IS6_S8_EES8_NS5_IlS8_EES8_PS6_.uses_flat_scratch, 0
	.set _ZN2at6native6sbtopk10gatherTopKIimLi2ELb0EEEvNS_4cuda6detail10TensorInfoIKT_T0_EES8_S8_bS8_S8_NS5_IS6_S8_EES8_NS5_IlS8_EES8_PS6_.has_dyn_sized_stack, 0
	.set _ZN2at6native6sbtopk10gatherTopKIimLi2ELb0EEEvNS_4cuda6detail10TensorInfoIKT_T0_EES8_S8_bS8_S8_NS5_IS6_S8_EES8_NS5_IlS8_EES8_PS6_.has_recursion, 0
	.set _ZN2at6native6sbtopk10gatherTopKIimLi2ELb0EEEvNS_4cuda6detail10TensorInfoIKT_T0_EES8_S8_bS8_S8_NS5_IS6_S8_EES8_NS5_IlS8_EES8_PS6_.has_indirect_call, 0
	.section	.AMDGPU.csdata,"",@progbits
; Kernel info:
; codeLenInByte = 24660
; TotalNumSgprs: 107
; NumVgprs: 46
; ScratchSize: 0
; MemoryBound: 0
; FloatMode: 240
; IeeeMode: 1
; LDSByteSize: 5152 bytes/workgroup (compile time only)
; SGPRBlocks: 0
; VGPRBlocks: 2
; NumSGPRsForWavesPerEU: 107
; NumVGPRsForWavesPerEU: 46
; NamedBarCnt: 0
; Occupancy: 16
; WaveLimiterHint : 1
; COMPUTE_PGM_RSRC2:SCRATCH_EN: 0
; COMPUTE_PGM_RSRC2:USER_SGPR: 2
; COMPUTE_PGM_RSRC2:TRAP_HANDLER: 0
; COMPUTE_PGM_RSRC2:TGID_X_EN: 1
; COMPUTE_PGM_RSRC2:TGID_Y_EN: 1
; COMPUTE_PGM_RSRC2:TGID_Z_EN: 1
; COMPUTE_PGM_RSRC2:TIDIG_COMP_CNT: 0
	.section	.text._ZN2at6native6mbtopk23computeBlockDigitCountsIimjLi3EEEvNS_4cuda6detail10TensorInfoIKT_T0_EEjPjjS8_iijT1_PSB_Ps,"axG",@progbits,_ZN2at6native6mbtopk23computeBlockDigitCountsIimjLi3EEEvNS_4cuda6detail10TensorInfoIKT_T0_EEjPjjS8_iijT1_PSB_Ps,comdat
	.protected	_ZN2at6native6mbtopk23computeBlockDigitCountsIimjLi3EEEvNS_4cuda6detail10TensorInfoIKT_T0_EEjPjjS8_iijT1_PSB_Ps ; -- Begin function _ZN2at6native6mbtopk23computeBlockDigitCountsIimjLi3EEEvNS_4cuda6detail10TensorInfoIKT_T0_EEjPjjS8_iijT1_PSB_Ps
	.globl	_ZN2at6native6mbtopk23computeBlockDigitCountsIimjLi3EEEvNS_4cuda6detail10TensorInfoIKT_T0_EEjPjjS8_iijT1_PSB_Ps
	.p2align	8
	.type	_ZN2at6native6mbtopk23computeBlockDigitCountsIimjLi3EEEvNS_4cuda6detail10TensorInfoIKT_T0_EEjPjjS8_iijT1_PSB_Ps,@function
_ZN2at6native6mbtopk23computeBlockDigitCountsIimjLi3EEEvNS_4cuda6detail10TensorInfoIKT_T0_EEjPjjS8_iijT1_PSB_Ps: ; @_ZN2at6native6mbtopk23computeBlockDigitCountsIimjLi3EEEvNS_4cuda6detail10TensorInfoIKT_T0_EEjPjjS8_iijT1_PSB_Ps
; %bb.0:
	s_load_b128 s[4:7], s[0:1], 0x1c0
	s_bfe_u32 s2, ttmp6, 0x40010
	s_and_b32 s8, ttmp7, 0xffff
	s_add_co_i32 s9, s2, 1
	s_bfe_u32 s10, ttmp6, 0x40004
	s_mul_i32 s9, s8, s9
	s_load_b64 s[2:3], s[0:1], 0x1e0
	s_add_co_i32 s10, s10, s9
	s_bfe_u32 s11, ttmp6, 0x4000c
	s_bfe_u32 s13, ttmp6, 0x40014
	s_add_co_i32 s11, s11, 1
	s_and_b32 s12, ttmp6, 15
	s_mul_i32 s11, ttmp9, s11
	s_add_co_i32 s13, s13, 1
	s_add_co_i32 s12, s12, s11
	s_getreg_b32 s14, hwreg(HW_REG_IB_STS2, 6, 4)
	s_wait_kmcnt 0x0
	s_cvt_f32_u32 s9, s6
	s_delay_alu instid0(SALU_CYCLE_3) | instskip(SKIP_1) | instid1(SALU_CYCLE_1)
	v_rcp_iflag_f32_e32 v1, s9
	s_lshr_b32 s9, ttmp7, 16
	s_mul_i32 s11, s9, s13
	s_bfe_u32 s13, ttmp6, 0x40008
	s_delay_alu instid0(SALU_CYCLE_1) | instskip(SKIP_1) | instid1(TRANS32_DEP_1)
	s_add_co_i32 s13, s13, s11
	v_nop
	v_readfirstlane_b32 s15, v1
	s_cmp_eq_u32 s14, 0
	s_cselect_b32 s9, s9, s13
	s_load_b32 s13, s[0:1], 0x1b0
	s_mul_f32 s11, s15, 0x4f7ffffe
	s_mul_i32 s3, s3, s9
	s_cselect_b32 s9, ttmp9, s12
	s_cselect_b32 s8, s8, s10
	s_cvt_u32_f32 s11, s11
	s_sub_co_i32 s10, 0, s6
	s_add_co_i32 s3, s3, s8
	s_delay_alu instid0(SALU_CYCLE_1) | instskip(SKIP_3) | instid1(SALU_CYCLE_1)
	s_mul_i32 s24, s3, s2
	s_mul_i32 s10, s10, s11
	s_add_co_i32 s24, s24, s9
	s_mul_hi_u32 s2, s11, s10
	s_add_co_i32 s11, s11, s2
	s_delay_alu instid0(SALU_CYCLE_1) | instskip(NEXT) | instid1(SALU_CYCLE_1)
	s_mul_hi_u32 s2, s24, s11
	s_mul_i32 s3, s2, s6
	s_add_co_i32 s8, s2, 1
	s_sub_co_i32 s3, s24, s3
	s_delay_alu instid0(SALU_CYCLE_1)
	s_sub_co_i32 s9, s3, s6
	s_cmp_ge_u32 s3, s6
	s_cselect_b32 s2, s8, s2
	s_cselect_b32 s3, s9, s3
	s_add_co_i32 s8, s2, 1
	s_cmp_ge_u32 s3, s6
	s_mov_b32 s3, 0
	s_cselect_b32 s2, s8, s2
	s_wait_kmcnt 0x0
	s_cmp_ge_u32 s2, s13
	s_cbranch_scc1 .LBB148_25
; %bb.1:
	s_load_b128 s[12:15], s[0:1], 0x10
	s_mov_b64 s[16:17], 0
	s_mov_b64 s[18:19], 0
	s_wait_kmcnt 0x0
	v_cmp_lt_u64_e64 s8, s[2:3], s[14:15]
	s_and_b32 vcc_lo, exec_lo, s8
	s_cbranch_vccz .LBB148_15
; %bb.2:
	v_cmp_lt_u64_e64 s8, s[18:19], s[12:13]
	s_and_b32 vcc_lo, exec_lo, s8
	s_cbranch_vccz .LBB148_16
.LBB148_3:
	v_cmp_gt_u32_e32 vcc_lo, 0x100, v0
	v_lshlrev_b32_e32 v1, 2, v0
	s_and_saveexec_b32 s8, vcc_lo
.LBB148_4:
	v_mov_b32_e32 v2, 0
	ds_store_b32 v1, v2
.LBB148_5:
	s_or_b32 exec_lo, exec_lo, s8
	s_clause 0x1
	s_load_b32 s25, s[0:1], 0x1a0
	s_load_b128 s[8:11], s[0:1], 0x1d0
	s_mul_i32 s20, s2, s6
	s_mov_b32 s23, 0
	s_sub_co_i32 s27, s24, s20
	s_wait_dscnt 0x0
	s_mul_i32 s20, s5, s27
	s_add_co_i32 s27, s27, 1
	s_lshl_b32 s26, s20, 8
	s_barrier_signal -1
	s_barrier_wait -1
	s_wait_kmcnt 0x0
	s_sub_co_i32 s22, s25, s26
	s_delay_alu instid0(SALU_CYCLE_1) | instskip(NEXT) | instid1(SALU_CYCLE_1)
	s_add_nc_u64 s[20:21], s[22:23], 0xff
	s_lshr_b64 s[20:21], s[20:21], 8
	s_cmp_lt_u32 s27, s6
	s_cselect_b32 s6, s5, s20
	s_delay_alu instid0(SALU_CYCLE_1)
	s_cmp_lt_i32 s6, 1
	s_cbranch_scc1 .LBB148_23
; %bb.6:
	s_clause 0x2
	s_load_b64 s[34:35], s[0:1], 0xe0
	s_load_b128 s[28:31], s[0:1], 0xd0
	s_load_b64 s[36:37], s[0:1], 0x0
	s_load_b32 s5, s[8:9], s2 offset:0x0 scale_offset
	s_load_b64 s[20:21], s[0:1], 0x1b8
	s_wait_xcnt 0x0
	s_mul_u64 s[0:1], s[18:19], s[14:15]
	s_mul_u64 s[8:9], s[16:17], s[12:13]
	s_sub_nc_u64 s[0:1], s[2:3], s[0:1]
	s_sub_nc_u64 s[2:3], s[18:19], s[8:9]
	v_add_nc_u32_e32 v6, s26, v0
	s_wait_kmcnt 0x0
	s_mul_u64 s[0:1], s[0:1], s[34:35]
	s_mul_u64 s[8:9], s[16:17], s[28:29]
	s_mul_u64 s[2:3], s[2:3], s[30:31]
	s_lshl_b64 s[8:9], s[8:9], 2
	s_lshl_b64 s[2:3], s[2:3], 2
	s_add_nc_u64 s[8:9], s[36:37], s[8:9]
	s_lshl_b64 s[12:13], s[0:1], 2
	s_add_nc_u64 s[2:3], s[8:9], s[2:3]
	s_and_b32 s1, s4, 0xff
	s_cmp_eq_u32 s6, 1
	s_add_nc_u64 s[2:3], s[2:3], s[12:13]
	s_cbranch_scc1 .LBB148_18
; %bb.7:
	v_dual_mov_b32 v3, 0 :: v_dual_mov_b32 v7, 1
	v_mov_b32_e32 v2, v6
	s_and_b32 s4, s6, 0x7ffffffe
	s_mov_b32 s8, 0
	s_branch .LBB148_9
.LBB148_8:                              ;   in Loop: Header=BB148_9 Depth=1
	s_or_b32 exec_lo, exec_lo, s9
	v_add_nc_u32_e32 v2, 0x200, v2
	s_add_co_i32 s8, s8, 2
	s_delay_alu instid0(SALU_CYCLE_1)
	s_cmp_eq_u32 s4, s8
	s_cbranch_scc1 .LBB148_17
.LBB148_9:                              ; =>This Inner Loop Header: Depth=1
	s_mov_b32 s9, exec_lo
	v_cmpx_gt_u32_e64 s25, v2
	s_cbranch_execz .LBB148_12
; %bb.10:                               ;   in Loop: Header=BB148_9 Depth=1
	v_mul_u64_e32 v[4:5], s[20:21], v[2:3]
	s_delay_alu instid0(VALU_DEP_1) | instskip(SKIP_4) | instid1(VALU_DEP_1)
	v_lshl_add_u64 v[4:5], v[4:5], 2, s[2:3]
	global_load_b32 v4, v[4:5], off
	s_wait_loadcnt 0x0
	s_wait_xcnt 0x0
	v_xor_b32_e32 v4, 0x80000000, v4
	v_bitop3_b32 v5, v4, s7, s5 bitop3:0x48
	s_delay_alu instid0(VALU_DEP_1)
	v_cmp_eq_u32_e64 s0, 0, v5
	s_and_b32 exec_lo, exec_lo, s0
; %bb.11:                               ;   in Loop: Header=BB148_9 Depth=1
	v_bfe_u32 v4, v4, s1, 8
	s_delay_alu instid0(VALU_DEP_1)
	v_lshlrev_b32_e32 v4, 2, v4
	ds_add_u32 v4, v7
.LBB148_12:                             ;   in Loop: Header=BB148_9 Depth=1
	s_or_b32 exec_lo, exec_lo, s9
	v_add_nc_u32_e32 v4, 0x100, v2
	s_mov_b32 s9, exec_lo
	s_delay_alu instid0(VALU_DEP_1)
	v_cmpx_gt_u32_e64 s25, v4
	s_cbranch_execz .LBB148_8
; %bb.13:                               ;   in Loop: Header=BB148_9 Depth=1
	v_mov_b32_e32 v5, v3
	s_delay_alu instid0(VALU_DEP_1) | instskip(NEXT) | instid1(VALU_DEP_1)
	v_mul_u64_e32 v[4:5], s[20:21], v[4:5]
	v_lshl_add_u64 v[4:5], v[4:5], 2, s[2:3]
	global_load_b32 v4, v[4:5], off
	s_wait_loadcnt 0x0
	v_xor_b32_e32 v4, 0x80000000, v4
	s_delay_alu instid0(VALU_DEP_1) | instskip(NEXT) | instid1(VALU_DEP_1)
	v_bitop3_b32 v5, v4, s7, s5 bitop3:0x48
	v_cmp_eq_u32_e64 s0, 0, v5
	s_and_b32 exec_lo, exec_lo, s0
	s_cbranch_execz .LBB148_8
; %bb.14:                               ;   in Loop: Header=BB148_9 Depth=1
	v_bfe_u32 v4, v4, s1, 8
	s_delay_alu instid0(VALU_DEP_1)
	v_lshlrev_b32_e32 v4, 2, v4
	ds_add_u32 v4, v7
	s_branch .LBB148_8
.LBB148_15:
	v_cvt_f32_u32_e32 v1, s14
	s_sub_co_i32 s9, 0, s14
	s_mov_b32 s19, 0
	s_delay_alu instid0(VALU_DEP_1) | instskip(SKIP_1) | instid1(TRANS32_DEP_1)
	v_rcp_iflag_f32_e32 v1, v1
	v_nop
	v_mul_f32_e32 v1, 0x4f7ffffe, v1
	s_delay_alu instid0(VALU_DEP_1) | instskip(NEXT) | instid1(VALU_DEP_1)
	v_cvt_u32_f32_e32 v1, v1
	v_readfirstlane_b32 s8, v1
	s_mul_i32 s9, s9, s8
	s_delay_alu instid0(SALU_CYCLE_1) | instskip(NEXT) | instid1(SALU_CYCLE_1)
	s_mul_hi_u32 s9, s8, s9
	s_add_co_i32 s8, s8, s9
	s_delay_alu instid0(SALU_CYCLE_1) | instskip(NEXT) | instid1(SALU_CYCLE_1)
	s_mul_hi_u32 s8, s2, s8
	s_mul_i32 s9, s8, s14
	s_add_co_i32 s10, s8, 1
	s_sub_co_i32 s9, s2, s9
	s_delay_alu instid0(SALU_CYCLE_1)
	s_sub_co_i32 s11, s9, s14
	s_cmp_ge_u32 s9, s14
	s_cselect_b32 s8, s10, s8
	s_cselect_b32 s9, s11, s9
	s_add_co_i32 s10, s8, 1
	s_cmp_ge_u32 s9, s14
	s_cselect_b32 s18, s10, s8
	s_delay_alu instid0(SALU_CYCLE_1)
	v_cmp_lt_u64_e64 s8, s[18:19], s[12:13]
	s_and_b32 vcc_lo, exec_lo, s8
	s_cbranch_vccnz .LBB148_3
.LBB148_16:
	v_cvt_f32_u32_e32 v1, s12
	s_sub_co_i32 s9, 0, s12
	s_mov_b32 s17, 0
	s_delay_alu instid0(VALU_DEP_1) | instskip(SKIP_1) | instid1(TRANS32_DEP_1)
	v_rcp_iflag_f32_e32 v1, v1
	v_nop
	v_mul_f32_e32 v1, 0x4f7ffffe, v1
	s_delay_alu instid0(VALU_DEP_1) | instskip(NEXT) | instid1(VALU_DEP_1)
	v_cvt_u32_f32_e32 v1, v1
	v_readfirstlane_b32 s8, v1
	s_mul_i32 s9, s9, s8
	s_delay_alu instid0(SALU_CYCLE_1) | instskip(NEXT) | instid1(SALU_CYCLE_1)
	s_mul_hi_u32 s9, s8, s9
	s_add_co_i32 s8, s8, s9
	s_delay_alu instid0(SALU_CYCLE_1) | instskip(NEXT) | instid1(SALU_CYCLE_1)
	s_mul_hi_u32 s8, s18, s8
	s_mul_i32 s9, s8, s12
	s_add_co_i32 s10, s8, 1
	s_sub_co_i32 s9, s18, s9
	s_delay_alu instid0(SALU_CYCLE_1)
	s_sub_co_i32 s11, s9, s12
	s_cmp_ge_u32 s9, s12
	s_cselect_b32 s8, s10, s8
	s_cselect_b32 s9, s11, s9
	s_add_co_i32 s10, s8, 1
	s_cmp_ge_u32 s9, s12
	s_cselect_b32 s16, s10, s8
	v_cmp_gt_u32_e32 vcc_lo, 0x100, v0
	v_lshlrev_b32_e32 v1, 2, v0
	s_and_saveexec_b32 s8, vcc_lo
	s_cbranch_execnz .LBB148_4
	s_branch .LBB148_5
.LBB148_17:
	s_lshl_b32 s23, s4, 8
.LBB148_18:
	s_bitcmp0_b32 s6, 0
	s_cbranch_scc1 .LBB148_23
; %bb.19:
	v_add_nc_u32_e32 v2, s23, v6
	s_mov_b32 s4, exec_lo
	s_delay_alu instid0(VALU_DEP_1)
	v_cmpx_gt_u32_e64 s25, v2
	s_cbranch_execz .LBB148_22
; %bb.20:
	v_mov_b32_e32 v3, 0
	s_delay_alu instid0(VALU_DEP_1) | instskip(NEXT) | instid1(VALU_DEP_1)
	v_mul_u64_e32 v[2:3], s[20:21], v[2:3]
	v_lshl_add_u64 v[2:3], v[2:3], 2, s[2:3]
	global_load_b32 v2, v[2:3], off
	s_wait_loadcnt 0x0
	v_xor_b32_e32 v2, 0x80000000, v2
	s_delay_alu instid0(VALU_DEP_1) | instskip(NEXT) | instid1(VALU_DEP_1)
	v_bitop3_b32 v3, v2, s7, s5 bitop3:0x48
	v_cmp_eq_u32_e64 s0, 0, v3
	s_and_b32 exec_lo, exec_lo, s0
; %bb.21:
	v_bfe_u32 v2, v2, s1, 8
	s_delay_alu instid0(VALU_DEP_1)
	v_dual_mov_b32 v3, 1 :: v_dual_lshlrev_b32 v2, 2, v2
	ds_add_u32 v2, v3
.LBB148_22:
	s_or_b32 exec_lo, exec_lo, s4
.LBB148_23:
	s_wait_dscnt 0x0
	s_barrier_signal -1
	s_barrier_wait -1
	s_and_saveexec_b32 s0, vcc_lo
	s_cbranch_execz .LBB148_25
; %bb.24:
	ds_load_b32 v1, v1
	v_lshl_or_b32 v0, s24, 8, v0
	s_wait_dscnt 0x0
	global_store_b16 v0, v1, s[10:11] scale_offset
.LBB148_25:
	s_endpgm
	.section	.rodata,"a",@progbits
	.p2align	6, 0x0
	.amdhsa_kernel _ZN2at6native6mbtopk23computeBlockDigitCountsIimjLi3EEEvNS_4cuda6detail10TensorInfoIKT_T0_EEjPjjS8_iijT1_PSB_Ps
		.amdhsa_group_segment_fixed_size 1024
		.amdhsa_private_segment_fixed_size 0
		.amdhsa_kernarg_size 736
		.amdhsa_user_sgpr_count 2
		.amdhsa_user_sgpr_dispatch_ptr 0
		.amdhsa_user_sgpr_queue_ptr 0
		.amdhsa_user_sgpr_kernarg_segment_ptr 1
		.amdhsa_user_sgpr_dispatch_id 0
		.amdhsa_user_sgpr_kernarg_preload_length 0
		.amdhsa_user_sgpr_kernarg_preload_offset 0
		.amdhsa_user_sgpr_private_segment_size 0
		.amdhsa_wavefront_size32 1
		.amdhsa_uses_dynamic_stack 0
		.amdhsa_enable_private_segment 0
		.amdhsa_system_sgpr_workgroup_id_x 1
		.amdhsa_system_sgpr_workgroup_id_y 1
		.amdhsa_system_sgpr_workgroup_id_z 1
		.amdhsa_system_sgpr_workgroup_info 0
		.amdhsa_system_vgpr_workitem_id 0
		.amdhsa_next_free_vgpr 8
		.amdhsa_next_free_sgpr 38
		.amdhsa_named_barrier_count 0
		.amdhsa_reserve_vcc 1
		.amdhsa_float_round_mode_32 0
		.amdhsa_float_round_mode_16_64 0
		.amdhsa_float_denorm_mode_32 3
		.amdhsa_float_denorm_mode_16_64 3
		.amdhsa_fp16_overflow 0
		.amdhsa_memory_ordered 1
		.amdhsa_forward_progress 1
		.amdhsa_inst_pref_size 11
		.amdhsa_round_robin_scheduling 0
		.amdhsa_exception_fp_ieee_invalid_op 0
		.amdhsa_exception_fp_denorm_src 0
		.amdhsa_exception_fp_ieee_div_zero 0
		.amdhsa_exception_fp_ieee_overflow 0
		.amdhsa_exception_fp_ieee_underflow 0
		.amdhsa_exception_fp_ieee_inexact 0
		.amdhsa_exception_int_div_zero 0
	.end_amdhsa_kernel
	.section	.text._ZN2at6native6mbtopk23computeBlockDigitCountsIimjLi3EEEvNS_4cuda6detail10TensorInfoIKT_T0_EEjPjjS8_iijT1_PSB_Ps,"axG",@progbits,_ZN2at6native6mbtopk23computeBlockDigitCountsIimjLi3EEEvNS_4cuda6detail10TensorInfoIKT_T0_EEjPjjS8_iijT1_PSB_Ps,comdat
.Lfunc_end148:
	.size	_ZN2at6native6mbtopk23computeBlockDigitCountsIimjLi3EEEvNS_4cuda6detail10TensorInfoIKT_T0_EEjPjjS8_iijT1_PSB_Ps, .Lfunc_end148-_ZN2at6native6mbtopk23computeBlockDigitCountsIimjLi3EEEvNS_4cuda6detail10TensorInfoIKT_T0_EEjPjjS8_iijT1_PSB_Ps
                                        ; -- End function
	.set _ZN2at6native6mbtopk23computeBlockDigitCountsIimjLi3EEEvNS_4cuda6detail10TensorInfoIKT_T0_EEjPjjS8_iijT1_PSB_Ps.num_vgpr, 8
	.set _ZN2at6native6mbtopk23computeBlockDigitCountsIimjLi3EEEvNS_4cuda6detail10TensorInfoIKT_T0_EEjPjjS8_iijT1_PSB_Ps.num_agpr, 0
	.set _ZN2at6native6mbtopk23computeBlockDigitCountsIimjLi3EEEvNS_4cuda6detail10TensorInfoIKT_T0_EEjPjjS8_iijT1_PSB_Ps.numbered_sgpr, 38
	.set _ZN2at6native6mbtopk23computeBlockDigitCountsIimjLi3EEEvNS_4cuda6detail10TensorInfoIKT_T0_EEjPjjS8_iijT1_PSB_Ps.num_named_barrier, 0
	.set _ZN2at6native6mbtopk23computeBlockDigitCountsIimjLi3EEEvNS_4cuda6detail10TensorInfoIKT_T0_EEjPjjS8_iijT1_PSB_Ps.private_seg_size, 0
	.set _ZN2at6native6mbtopk23computeBlockDigitCountsIimjLi3EEEvNS_4cuda6detail10TensorInfoIKT_T0_EEjPjjS8_iijT1_PSB_Ps.uses_vcc, 1
	.set _ZN2at6native6mbtopk23computeBlockDigitCountsIimjLi3EEEvNS_4cuda6detail10TensorInfoIKT_T0_EEjPjjS8_iijT1_PSB_Ps.uses_flat_scratch, 0
	.set _ZN2at6native6mbtopk23computeBlockDigitCountsIimjLi3EEEvNS_4cuda6detail10TensorInfoIKT_T0_EEjPjjS8_iijT1_PSB_Ps.has_dyn_sized_stack, 0
	.set _ZN2at6native6mbtopk23computeBlockDigitCountsIimjLi3EEEvNS_4cuda6detail10TensorInfoIKT_T0_EEjPjjS8_iijT1_PSB_Ps.has_recursion, 0
	.set _ZN2at6native6mbtopk23computeBlockDigitCountsIimjLi3EEEvNS_4cuda6detail10TensorInfoIKT_T0_EEjPjjS8_iijT1_PSB_Ps.has_indirect_call, 0
	.section	.AMDGPU.csdata,"",@progbits
; Kernel info:
; codeLenInByte = 1348
; TotalNumSgprs: 40
; NumVgprs: 8
; ScratchSize: 0
; MemoryBound: 0
; FloatMode: 240
; IeeeMode: 1
; LDSByteSize: 1024 bytes/workgroup (compile time only)
; SGPRBlocks: 0
; VGPRBlocks: 0
; NumSGPRsForWavesPerEU: 40
; NumVGPRsForWavesPerEU: 8
; NamedBarCnt: 0
; Occupancy: 16
; WaveLimiterHint : 1
; COMPUTE_PGM_RSRC2:SCRATCH_EN: 0
; COMPUTE_PGM_RSRC2:USER_SGPR: 2
; COMPUTE_PGM_RSRC2:TRAP_HANDLER: 0
; COMPUTE_PGM_RSRC2:TGID_X_EN: 1
; COMPUTE_PGM_RSRC2:TGID_Y_EN: 1
; COMPUTE_PGM_RSRC2:TGID_Z_EN: 1
; COMPUTE_PGM_RSRC2:TIDIG_COMP_CNT: 0
	.section	.text._ZN2at6native6mbtopk10gatherTopKIimLi3EEEvNS_4cuda6detail10TensorInfoIKT_T0_EES8_S8_bjS8_NS5_IS6_S8_EES8_NS5_IlS8_EES8_jjPS6_PjSD_j,"axG",@progbits,_ZN2at6native6mbtopk10gatherTopKIimLi3EEEvNS_4cuda6detail10TensorInfoIKT_T0_EES8_S8_bjS8_NS5_IS6_S8_EES8_NS5_IlS8_EES8_jjPS6_PjSD_j,comdat
	.protected	_ZN2at6native6mbtopk10gatherTopKIimLi3EEEvNS_4cuda6detail10TensorInfoIKT_T0_EES8_S8_bjS8_NS5_IS6_S8_EES8_NS5_IlS8_EES8_jjPS6_PjSD_j ; -- Begin function _ZN2at6native6mbtopk10gatherTopKIimLi3EEEvNS_4cuda6detail10TensorInfoIKT_T0_EES8_S8_bjS8_NS5_IS6_S8_EES8_NS5_IlS8_EES8_jjPS6_PjSD_j
	.globl	_ZN2at6native6mbtopk10gatherTopKIimLi3EEEvNS_4cuda6detail10TensorInfoIKT_T0_EES8_S8_bjS8_NS5_IS6_S8_EES8_NS5_IlS8_EES8_jjPS6_PjSD_j
	.p2align	8
	.type	_ZN2at6native6mbtopk10gatherTopKIimLi3EEEvNS_4cuda6detail10TensorInfoIKT_T0_EES8_S8_bjS8_NS5_IS6_S8_EES8_NS5_IlS8_EES8_jjPS6_PjSD_j,@function
_ZN2at6native6mbtopk10gatherTopKIimLi3EEEvNS_4cuda6detail10TensorInfoIKT_T0_EES8_S8_bjS8_NS5_IS6_S8_EES8_NS5_IlS8_EES8_jjPS6_PjSD_j: ; @_ZN2at6native6mbtopk10gatherTopKIimLi3EEEvNS_4cuda6detail10TensorInfoIKT_T0_EES8_S8_bjS8_NS5_IS6_S8_EES8_NS5_IlS8_EES8_jjPS6_PjSD_j
; %bb.0:
	s_bfe_u32 s2, ttmp6, 0x40010
	s_and_b32 s4, ttmp7, 0xffff
	s_add_co_i32 s5, s2, 1
	s_clause 0x1
	s_load_b32 s6, s[0:1], 0x530
	s_load_b64 s[2:3], s[0:1], 0x538
	s_bfe_u32 s8, ttmp6, 0x4000c
	s_mul_i32 s5, s4, s5
	s_bfe_u32 s7, ttmp6, 0x40004
	s_add_co_i32 s8, s8, 1
	s_bfe_u32 s9, ttmp6, 0x40014
	s_add_co_i32 s7, s7, s5
	s_and_b32 s5, ttmp6, 15
	s_mul_i32 s8, ttmp9, s8
	s_lshr_b32 s10, ttmp7, 16
	s_add_co_i32 s9, s9, 1
	s_add_co_i32 s5, s5, s8
	s_mul_i32 s8, s10, s9
	s_bfe_u32 s9, ttmp6, 0x40008
	s_getreg_b32 s11, hwreg(HW_REG_IB_STS2, 6, 4)
	s_add_co_i32 s9, s9, s8
	s_cmp_eq_u32 s11, 0
	s_cselect_b32 s8, s10, s9
	s_cselect_b32 s4, s4, s7
	s_wait_kmcnt 0x0
	s_mul_i32 s3, s3, s8
	s_cselect_b32 s5, ttmp9, s5
	s_add_co_i32 s3, s3, s4
	s_delay_alu instid0(SALU_CYCLE_1) | instskip(NEXT) | instid1(SALU_CYCLE_1)
	s_mul_i32 s2, s3, s2
	s_add_co_i32 s2, s2, s5
	s_delay_alu instid0(SALU_CYCLE_1)
	s_cmp_ge_u32 s2, s6
	s_cbranch_scc1 .LBB149_54
; %bb.1:
	s_load_b64 s[34:35], s[0:1], 0x510
	s_wait_kmcnt 0x0
	s_cvt_f32_u32 s3, s35
	s_sub_co_i32 s4, 0, s35
	s_lshl_b32 s72, s34, 8
	s_delay_alu instid0(SALU_CYCLE_1) | instskip(SKIP_1) | instid1(TRANS32_DEP_1)
	v_rcp_iflag_f32_e32 v1, s3
	v_nop
	v_readfirstlane_b32 s3, v1
	s_mul_f32 s3, s3, 0x4f7ffffe
	s_delay_alu instid0(SALU_CYCLE_3) | instskip(NEXT) | instid1(SALU_CYCLE_3)
	s_cvt_u32_f32 s3, s3
	s_mul_i32 s4, s4, s3
	s_delay_alu instid0(SALU_CYCLE_1) | instskip(NEXT) | instid1(SALU_CYCLE_1)
	s_mul_hi_u32 s4, s3, s4
	s_add_co_i32 s3, s3, s4
	s_clause 0x1
	s_load_b128 s[4:7], s[0:1], 0x1a0
	s_load_b128 s[8:11], s[0:1], 0x10
	s_mul_hi_u32 s3, s2, s3
	s_delay_alu instid0(SALU_CYCLE_1) | instskip(SKIP_2) | instid1(SALU_CYCLE_1)
	s_mul_i32 s12, s3, s35
	s_add_co_i32 s13, s3, 1
	s_sub_co_i32 s12, s2, s12
	s_sub_co_i32 s14, s12, s35
	s_cmp_ge_u32 s12, s35
	s_cselect_b32 s3, s13, s3
	s_cselect_b32 s12, s14, s12
	s_add_co_i32 s13, s3, 1
	s_cmp_ge_u32 s12, s35
	s_cselect_b32 s44, s13, s3
	s_delay_alu instid0(SALU_CYCLE_1) | instskip(NEXT) | instid1(SALU_CYCLE_1)
	s_mul_i32 s50, s44, s35
	s_sub_co_i32 s73, s2, s50
	s_delay_alu instid0(SALU_CYCLE_1) | instskip(NEXT) | instid1(SALU_CYCLE_1)
	s_add_co_i32 s2, s73, 1
	s_cmp_lt_u32 s2, s35
	s_cbranch_scc1 .LBB149_3
; %bb.2:
	s_mul_i32 s2, s73, s72
	s_mov_b32 s3, 0
	s_wait_kmcnt 0x0
	s_sub_nc_u64 s[12:13], s[4:5], s[2:3]
	s_delay_alu instid0(SALU_CYCLE_1) | instskip(NEXT) | instid1(SALU_CYCLE_1)
	s_add_nc_u64 s[12:13], s[12:13], 0xff
	s_ashr_i32 s2, s13, 31
	s_delay_alu instid0(SALU_CYCLE_1) | instskip(NEXT) | instid1(SALU_CYCLE_1)
	s_lshr_b32 s2, s2, 24
	s_add_nc_u64 s[2:3], s[12:13], s[2:3]
	s_delay_alu instid0(SALU_CYCLE_1) | instskip(NEXT) | instid1(SALU_CYCLE_1)
	s_lshr_b64 s[2:3], s[2:3], 8
	s_mov_b32 s34, s2
.LBB149_3:
	s_mov_b32 s45, 0
	s_mov_b64 s[46:47], 0
	s_wait_kmcnt 0x0
	v_cmp_lt_u64_e64 s2, s[44:45], s[10:11]
	s_mov_b64 s[48:49], 0
	s_and_b32 vcc_lo, exec_lo, s2
	s_cbranch_vccnz .LBB149_5
; %bb.4:
	v_cvt_f32_u32_e32 v1, s10
	s_sub_co_i32 s3, 0, s10
	s_mov_b32 s49, s45
	s_delay_alu instid0(VALU_DEP_1) | instskip(SKIP_1) | instid1(TRANS32_DEP_1)
	v_rcp_iflag_f32_e32 v1, v1
	v_nop
	v_mul_f32_e32 v1, 0x4f7ffffe, v1
	s_delay_alu instid0(VALU_DEP_1) | instskip(NEXT) | instid1(VALU_DEP_1)
	v_cvt_u32_f32_e32 v1, v1
	v_readfirstlane_b32 s2, v1
	s_mul_i32 s3, s3, s2
	s_delay_alu instid0(SALU_CYCLE_1) | instskip(NEXT) | instid1(SALU_CYCLE_1)
	s_mul_hi_u32 s3, s2, s3
	s_add_co_i32 s2, s2, s3
	s_delay_alu instid0(SALU_CYCLE_1) | instskip(NEXT) | instid1(SALU_CYCLE_1)
	s_mul_hi_u32 s2, s44, s2
	s_mul_i32 s3, s2, s10
	s_add_co_i32 s12, s2, 1
	s_sub_co_i32 s3, s44, s3
	s_delay_alu instid0(SALU_CYCLE_1)
	s_sub_co_i32 s13, s3, s10
	s_cmp_ge_u32 s3, s10
	s_cselect_b32 s2, s12, s2
	s_cselect_b32 s3, s13, s3
	s_add_co_i32 s12, s2, 1
	s_cmp_ge_u32 s3, s10
	s_cselect_b32 s48, s12, s2
.LBB149_5:
	s_load_b128 s[20:23], s[0:1], 0x1d0
	v_cmp_lt_u64_e64 s2, s[48:49], s[8:9]
	s_and_b32 vcc_lo, exec_lo, s2
	s_cbranch_vccnz .LBB149_7
; %bb.6:
	v_cvt_f32_u32_e32 v1, s8
	s_sub_co_i32 s3, 0, s8
	s_mov_b32 s47, 0
	s_delay_alu instid0(VALU_DEP_1) | instskip(SKIP_1) | instid1(TRANS32_DEP_1)
	v_rcp_iflag_f32_e32 v1, v1
	v_nop
	v_mul_f32_e32 v1, 0x4f7ffffe, v1
	s_delay_alu instid0(VALU_DEP_1) | instskip(NEXT) | instid1(VALU_DEP_1)
	v_cvt_u32_f32_e32 v1, v1
	v_readfirstlane_b32 s2, v1
	s_mul_i32 s3, s3, s2
	s_delay_alu instid0(SALU_CYCLE_1) | instskip(NEXT) | instid1(SALU_CYCLE_1)
	s_mul_hi_u32 s3, s2, s3
	s_add_co_i32 s2, s2, s3
	s_delay_alu instid0(SALU_CYCLE_1) | instskip(NEXT) | instid1(SALU_CYCLE_1)
	s_mul_hi_u32 s2, s48, s2
	s_mul_i32 s3, s2, s8
	s_add_co_i32 s12, s2, 1
	s_sub_co_i32 s3, s48, s3
	s_delay_alu instid0(SALU_CYCLE_1)
	s_sub_co_i32 s13, s3, s8
	s_cmp_ge_u32 s3, s8
	s_cselect_b32 s2, s12, s2
	s_cselect_b32 s3, s13, s3
	s_add_co_i32 s12, s2, 1
	s_cmp_ge_u32 s3, s8
	s_cselect_b32 s46, s12, s2
.LBB149_7:
	s_wait_kmcnt 0x0
	v_cmp_lt_u64_e64 s2, s[44:45], s[22:23]
	s_mov_b64 s[54:55], 0
	s_mov_b64 s[52:53], 0
	s_and_b32 vcc_lo, exec_lo, s2
	s_cbranch_vccnz .LBB149_9
; %bb.8:
	v_cvt_f32_u32_e32 v1, s22
	s_sub_co_i32 s3, 0, s22
	s_mov_b32 s53, 0
	s_delay_alu instid0(VALU_DEP_1) | instskip(SKIP_1) | instid1(TRANS32_DEP_1)
	v_rcp_iflag_f32_e32 v1, v1
	v_nop
	v_mul_f32_e32 v1, 0x4f7ffffe, v1
	s_delay_alu instid0(VALU_DEP_1) | instskip(NEXT) | instid1(VALU_DEP_1)
	v_cvt_u32_f32_e32 v1, v1
	v_readfirstlane_b32 s2, v1
	s_mul_i32 s3, s3, s2
	s_delay_alu instid0(SALU_CYCLE_1) | instskip(NEXT) | instid1(SALU_CYCLE_1)
	s_mul_hi_u32 s3, s2, s3
	s_add_co_i32 s2, s2, s3
	s_delay_alu instid0(SALU_CYCLE_1) | instskip(NEXT) | instid1(SALU_CYCLE_1)
	s_mul_hi_u32 s2, s44, s2
	s_mul_i32 s3, s2, s22
	s_add_co_i32 s12, s2, 1
	s_sub_co_i32 s3, s44, s3
	s_delay_alu instid0(SALU_CYCLE_1)
	s_sub_co_i32 s13, s3, s22
	s_cmp_ge_u32 s3, s22
	s_cselect_b32 s2, s12, s2
	s_cselect_b32 s3, s13, s3
	s_add_co_i32 s12, s2, 1
	s_cmp_ge_u32 s3, s22
	s_cselect_b32 s52, s12, s2
.LBB149_9:
	s_load_b128 s[24:27], s[0:1], 0x378
	v_cmp_lt_u64_e64 s2, s[52:53], s[20:21]
	s_and_b32 vcc_lo, exec_lo, s2
	s_cbranch_vccnz .LBB149_11
; %bb.10:
	v_cvt_f32_u32_e32 v1, s20
	s_sub_co_i32 s3, 0, s20
	s_mov_b32 s55, 0
	s_delay_alu instid0(VALU_DEP_1) | instskip(SKIP_1) | instid1(TRANS32_DEP_1)
	v_rcp_iflag_f32_e32 v1, v1
	v_nop
	v_mul_f32_e32 v1, 0x4f7ffffe, v1
	s_delay_alu instid0(VALU_DEP_1) | instskip(NEXT) | instid1(VALU_DEP_1)
	v_cvt_u32_f32_e32 v1, v1
	v_readfirstlane_b32 s2, v1
	s_mul_i32 s3, s3, s2
	s_delay_alu instid0(SALU_CYCLE_1) | instskip(NEXT) | instid1(SALU_CYCLE_1)
	s_mul_hi_u32 s3, s2, s3
	s_add_co_i32 s2, s2, s3
	s_delay_alu instid0(SALU_CYCLE_1) | instskip(NEXT) | instid1(SALU_CYCLE_1)
	s_mul_hi_u32 s2, s52, s2
	s_mul_i32 s3, s2, s20
	s_add_co_i32 s12, s2, 1
	s_sub_co_i32 s3, s52, s3
	s_delay_alu instid0(SALU_CYCLE_1)
	s_sub_co_i32 s13, s3, s20
	s_cmp_ge_u32 s3, s20
	s_cselect_b32 s2, s12, s2
	s_cselect_b32 s3, s13, s3
	s_add_co_i32 s12, s2, 1
	s_cmp_ge_u32 s3, s20
	s_cselect_b32 s54, s12, s2
.LBB149_11:
	s_wait_kmcnt 0x0
	v_cmp_lt_u64_e64 s2, s[44:45], s[26:27]
	s_mov_b64 s[56:57], 0
	s_mov_b64 s[58:59], 0
	s_and_b32 vcc_lo, exec_lo, s2
	s_cbranch_vccnz .LBB149_13
; %bb.12:
	v_cvt_f32_u32_e32 v1, s26
	s_sub_co_i32 s3, 0, s26
	s_mov_b32 s59, 0
	s_delay_alu instid0(VALU_DEP_1) | instskip(SKIP_1) | instid1(TRANS32_DEP_1)
	v_rcp_iflag_f32_e32 v1, v1
	v_nop
	v_mul_f32_e32 v1, 0x4f7ffffe, v1
	s_delay_alu instid0(VALU_DEP_1) | instskip(NEXT) | instid1(VALU_DEP_1)
	v_cvt_u32_f32_e32 v1, v1
	v_readfirstlane_b32 s2, v1
	s_mul_i32 s3, s3, s2
	s_delay_alu instid0(SALU_CYCLE_1) | instskip(NEXT) | instid1(SALU_CYCLE_1)
	s_mul_hi_u32 s3, s2, s3
	s_add_co_i32 s2, s2, s3
	s_delay_alu instid0(SALU_CYCLE_1) | instskip(NEXT) | instid1(SALU_CYCLE_1)
	s_mul_hi_u32 s2, s44, s2
	s_mul_i32 s3, s2, s26
	s_add_co_i32 s12, s2, 1
	s_sub_co_i32 s3, s44, s3
	s_delay_alu instid0(SALU_CYCLE_1)
	s_sub_co_i32 s13, s3, s26
	s_cmp_ge_u32 s3, s26
	s_cselect_b32 s2, s12, s2
	s_cselect_b32 s3, s13, s3
	s_add_co_i32 s12, s2, 1
	s_cmp_ge_u32 s3, s26
	s_cselect_b32 s58, s12, s2
.LBB149_13:
	s_clause 0x5
	s_load_b64 s[60:61], s[0:1], 0xe0
	s_load_b128 s[36:39], s[0:1], 0xd0
	s_load_b64 s[62:63], s[0:1], 0x2a0
	s_load_b128 s[40:43], s[0:1], 0x290
	;; [unrolled: 2-line block ×3, first 2 shown]
	v_cmp_lt_u64_e64 s2, s[58:59], s[24:25]
	s_and_b32 vcc_lo, exec_lo, s2
	s_cbranch_vccnz .LBB149_15
; %bb.14:
	v_cvt_f32_u32_e32 v1, s24
	s_sub_co_i32 s3, 0, s24
	s_mov_b32 s57, 0
	s_delay_alu instid0(VALU_DEP_1) | instskip(SKIP_1) | instid1(TRANS32_DEP_1)
	v_rcp_iflag_f32_e32 v1, v1
	v_nop
	v_mul_f32_e32 v1, 0x4f7ffffe, v1
	s_delay_alu instid0(VALU_DEP_1) | instskip(NEXT) | instid1(VALU_DEP_1)
	v_cvt_u32_f32_e32 v1, v1
	v_readfirstlane_b32 s2, v1
	s_mul_i32 s3, s3, s2
	s_delay_alu instid0(SALU_CYCLE_1) | instskip(NEXT) | instid1(SALU_CYCLE_1)
	s_mul_hi_u32 s3, s2, s3
	s_add_co_i32 s2, s2, s3
	s_delay_alu instid0(SALU_CYCLE_1) | instskip(NEXT) | instid1(SALU_CYCLE_1)
	s_mul_hi_u32 s2, s58, s2
	s_mul_i32 s3, s2, s24
	s_add_co_i32 s12, s2, 1
	s_sub_co_i32 s3, s58, s3
	s_delay_alu instid0(SALU_CYCLE_1)
	s_sub_co_i32 s13, s3, s24
	s_cmp_ge_u32 s3, s24
	s_cselect_b32 s2, s12, s2
	s_cselect_b32 s3, s13, s3
	s_add_co_i32 s12, s2, 1
	s_cmp_ge_u32 s3, s24
	s_cselect_b32 s56, s12, s2
.LBB149_15:
	s_load_b128 s[12:15], s[0:1], 0x518
	s_lshl_b64 s[2:3], s[44:45], 2
	s_mov_b32 s51, 0
	s_wait_kmcnt 0x0
	s_add_nc_u64 s[2:3], s[12:13], s[2:3]
	s_load_b32 s33, s[2:3], 0x0
	s_wait_xcnt 0x0
	v_cmp_ne_u32_e64 s2, 0, v0
	v_cmp_eq_u32_e64 s3, 0, v0
	s_and_saveexec_b32 s74, s3
	s_cbranch_execz .LBB149_31
; %bb.16:
	s_load_b64 s[66:67], s[0:1], 0x528
	s_cmp_lt_u32 s35, 4
	s_cbranch_scc1 .LBB149_28
; %bb.17:
	s_lshl_b64 s[68:69], s[50:51], 2
	s_mov_b64 s[12:13], 0
	s_mov_b32 s50, 0
.LBB149_18:                             ; =>This Inner Loop Header: Depth=1
	s_add_nc_u64 s[70:71], s[14:15], s[68:69]
	s_cmp_ge_u32 s50, s73
	s_load_b128 s[16:19], s[70:71], 0x0
	s_wait_kmcnt 0x0
	s_add_nc_u64 s[70:71], s[66:67], s[68:69]
	s_cbranch_scc0 .LBB149_25
; %bb.19:                               ;   in Loop: Header=BB149_18 Depth=1
	s_add_co_i32 s75, s50, 1
	s_delay_alu instid0(SALU_CYCLE_1)
	s_cmp_ge_u32 s75, s73
	s_cbranch_scc0 .LBB149_26
.LBB149_20:                             ;   in Loop: Header=BB149_18 Depth=1
	s_add_co_i32 s75, s75, 1
	s_delay_alu instid0(SALU_CYCLE_1)
	s_cmp_ge_u32 s75, s73
	s_cbranch_scc0 .LBB149_27
.LBB149_21:                             ;   in Loop: Header=BB149_18 Depth=1
	s_add_co_i32 s75, s75, 1
	s_delay_alu instid0(SALU_CYCLE_1)
	s_cmp_ge_u32 s75, s73
	s_cbranch_scc1 .LBB149_23
.LBB149_22:                             ;   in Loop: Header=BB149_18 Depth=1
	s_load_b32 s70, s[70:71], 0xc
	s_add_co_i32 s13, s19, s13
	s_wait_kmcnt 0x0
	s_add_co_i32 s12, s70, s12
.LBB149_23:                             ;   in Loop: Header=BB149_18 Depth=1
	s_add_co_i32 s16, s16, s51
	s_add_nc_u64 s[14:15], s[14:15], 16
	s_add_co_i32 s16, s16, s17
	s_add_co_i32 s17, s75, 4
	;; [unrolled: 1-line block ×3, first 2 shown]
	s_add_nc_u64 s[66:67], s[66:67], 16
	s_add_co_i32 s51, s16, s19
	s_add_co_i32 s16, s75, 1
	s_cmp_ge_u32 s17, s35
	s_cbranch_scc1 .LBB149_29
; %bb.24:                               ;   in Loop: Header=BB149_18 Depth=1
	s_mov_b32 s50, s16
	s_branch .LBB149_18
.LBB149_25:                             ;   in Loop: Header=BB149_18 Depth=1
	s_load_b32 s75, s[70:71], 0x0
	s_add_co_i32 s13, s16, s13
	s_wait_kmcnt 0x0
	s_add_co_i32 s12, s75, s12
	s_add_co_i32 s75, s50, 1
	s_delay_alu instid0(SALU_CYCLE_1)
	s_cmp_ge_u32 s75, s73
	s_cbranch_scc1 .LBB149_20
.LBB149_26:                             ;   in Loop: Header=BB149_18 Depth=1
	s_load_b32 s76, s[70:71], 0x4
	s_add_co_i32 s13, s17, s13
	s_wait_kmcnt 0x0
	s_add_co_i32 s12, s76, s12
	s_add_co_i32 s75, s75, 1
	s_delay_alu instid0(SALU_CYCLE_1)
	s_cmp_ge_u32 s75, s73
	s_cbranch_scc1 .LBB149_21
.LBB149_27:                             ;   in Loop: Header=BB149_18 Depth=1
	s_load_b32 s76, s[70:71], 0x8
	s_add_co_i32 s13, s18, s13
	s_wait_kmcnt 0x0
	s_add_co_i32 s12, s76, s12
	s_add_co_i32 s75, s75, 1
	s_delay_alu instid0(SALU_CYCLE_1)
	s_cmp_ge_u32 s75, s73
	s_cbranch_scc0 .LBB149_22
	s_branch .LBB149_23
.LBB149_28:
	s_lshl_b64 s[16:17], s[50:51], 2
	s_mov_b64 s[12:13], 0
	s_add_nc_u64 s[14:15], s[14:15], s[16:17]
	s_wait_kmcnt 0x0
	s_add_nc_u64 s[16:17], s[66:67], s[16:17]
	s_mov_b32 s18, s51
	s_delay_alu instid0(SALU_CYCLE_1)
	s_cmp_ge_u32 s18, s35
	s_cbranch_scc0 .LBB149_52
	s_branch .LBB149_30
.LBB149_29:
	s_add_co_i32 s18, s50, 4
	s_add_nc_u64 s[16:17], s[66:67], s[68:69]
	s_add_nc_u64 s[14:15], s[14:15], s[68:69]
	s_cmp_ge_u32 s18, s35
	s_cbranch_scc0 .LBB149_52
.LBB149_30:
	v_dual_mov_b32 v2, s12 :: v_dual_mov_b32 v3, s51
	v_dual_mov_b32 v4, s13 :: v_dual_mov_b32 v1, 0
	ds_store_b96 v1, v[2:4] offset:1056
.LBB149_31:
	s_or_b32 exec_lo, exec_lo, s74
	s_clause 0x2
	s_load_b128 s[12:15], s[0:1], 0x360
	s_load_b128 s[16:19], s[0:1], 0x1b8
	s_load_b64 s[50:51], s[0:1], 0x0
	s_cmp_eq_u32 s34, 0
	s_wait_dscnt 0x0
	s_barrier_signal -1
	s_barrier_wait -1
	s_cbranch_scc1 .LBB149_54
; %bb.32:
	s_mul_u64 s[8:9], s[46:47], s[8:9]
	s_mul_u64 s[36:37], s[46:47], s[36:37]
	s_sub_nc_u64 s[8:9], s[48:49], s[8:9]
	s_mul_u64 s[24:25], s[56:57], s[24:25]
	v_dual_mov_b32 v7, 0 :: v_dual_lshrrev_b32 v1, 3, v0
	s_mul_u64 s[20:21], s[54:55], s[20:21]
	s_mul_u64 s[8:9], s[8:9], s[38:39]
	;; [unrolled: 1-line block ×3, first 2 shown]
	s_sub_nc_u64 s[24:25], s[58:59], s[24:25]
	s_lshl_b64 s[36:37], s[36:37], 2
	s_sub_nc_u64 s[20:21], s[52:53], s[20:21]
	s_mul_u64 s[40:41], s[54:55], s[40:41]
	s_sub_nc_u64 s[10:11], s[44:45], s[10:11]
	s_mul_u64 s[24:25], s[24:25], s[30:31]
	s_wait_kmcnt 0x0
	s_add_nc_u64 s[30:31], s[50:51], s[36:37]
	s_lshl_b64 s[8:9], s[8:9], 2
	ds_load_b96 v[2:4], v7 offset:1056
	s_mul_u64 s[20:21], s[20:21], s[42:43]
	s_mul_u64 s[22:23], s[52:53], s[22:23]
	;; [unrolled: 1-line block ×3, first 2 shown]
	s_add_nc_u64 s[8:9], s[30:31], s[8:9]
	s_lshl_b64 s[30:31], s[40:41], 2
	s_sub_nc_u64 s[22:23], s[44:45], s[22:23]
	s_mul_u64 s[28:29], s[56:57], s[28:29]
	s_lshl_b64 s[10:11], s[10:11], 2
	s_add_nc_u64 s[18:19], s[18:19], s[30:31]
	s_lshl_b64 s[20:21], s[20:21], 2
	s_mul_u64 s[22:23], s[22:23], s[62:63]
	s_add_nc_u64 s[8:9], s[8:9], s[10:11]
	s_add_nc_u64 s[10:11], s[18:19], s[20:21]
	s_lshl_b64 s[20:21], s[28:29], 3
	s_lshl_b64 s[18:19], s[22:23], 2
	s_add_nc_u64 s[14:15], s[14:15], s[20:21]
	s_load_b32 s21, s[0:1], 0x1b0
	s_add_nc_u64 s[10:11], s[10:11], s[18:19]
	s_lshl_b64 s[18:19], s[24:25], 3
	v_dual_add_nc_u32 v9, -1, v0 :: v_dual_bitop2_b32 v1, 28, v1 bitop3:0x40
	s_add_nc_u64 s[18:19], s[14:15], s[18:19]
	s_load_b64 s[14:15], s[0:1], 0x508
	s_mul_u64 s[26:27], s[58:59], s[26:27]
	s_wait_dscnt 0x0
	v_dual_lshrrev_b32 v6, 3, v9 :: v_dual_add_nc_u32 v2, v2, v3
	v_lshl_add_u32 v5, v0, 2, v1
	v_and_b32_e32 v1, 0xfc, v0
	v_lshlrev_b32_e32 v10, 5, v0
	s_delay_alu instid0(VALU_DEP_4)
	v_and_b32_e32 v3, 0x1ffffffc, v6
	v_mad_u32 v6, s73, s72, v0
	v_mbcnt_lo_u32_b32 v8, -1, 0
	s_sub_nc_u64 s[26:27], s[44:45], s[26:27]
	s_xor_b32 s20, s33, 0x80000000
	s_mul_u64 s[26:27], s[26:27], s[64:65]
	s_wait_xcnt 0x0
	v_cmp_gt_u32_e64 s0, 32, v0
	s_lshl_b64 s[22:23], s[26:27], 3
	v_lshl_add_u32 v9, v9, 2, v3
	v_dual_add_nc_u32 v10, v1, v10 :: v_dual_bitop2_b32 v11, 15, v8 bitop3:0x40
	v_bfe_i32 v12, v8, 4, 1
	v_add_nc_u32_e32 v13, -1, v8
	s_wait_kmcnt 0x0
	s_bitcmp1_b32 s21, 0
	s_add_nc_u64 s[18:19], s[18:19], s[22:23]
	s_cselect_b32 s1, -1, 0
                                        ; implicit-def: $vgpr14
	s_branch .LBB149_35
.LBB149_33:                             ;   in Loop: Header=BB149_35 Depth=1
	s_wait_xcnt 0x0
	s_or_b32 exec_lo, exec_lo, s21
	v_add_nc_u32_e32 v2, v3, v2
.LBB149_34:                             ;   in Loop: Header=BB149_35 Depth=1
	v_add_nc_u32_e32 v4, v15, v4
	v_add_nc_u32_e32 v6, 0x100, v6
	s_add_co_i32 s34, s34, -1
	s_delay_alu instid0(SALU_CYCLE_1)
	s_cmp_lg_u32 s34, 0
	s_cbranch_scc0 .LBB149_54
.LBB149_35:                             ; =>This Inner Loop Header: Depth=1
	v_dual_mov_b32 v1, v7 :: v_dual_mov_b32 v0, v7
	s_mov_b32 s21, exec_lo
	v_cmpx_gt_u64_e64 s[4:5], v[6:7]
	s_cbranch_execz .LBB149_37
; %bb.36:                               ;   in Loop: Header=BB149_35 Depth=1
	v_mul_u64_e32 v[0:1], s[16:17], v[6:7]
	s_delay_alu instid0(VALU_DEP_1) | instskip(SKIP_4) | instid1(VALU_DEP_1)
	v_lshl_add_u64 v[0:1], v[0:1], 2, s[8:9]
	global_load_b32 v14, v[0:1], off
	s_wait_loadcnt 0x0
	s_wait_xcnt 0x0
	v_xor_b32_e32 v0, 0x80000000, v14
	v_cmp_lt_u32_e32 vcc_lo, s20, v0
	v_cndmask_b32_e64 v1, 0, 1, vcc_lo
	v_cmp_gt_u32_e32 vcc_lo, s20, v0
	v_cndmask_b32_e64 v0, 0, 1, vcc_lo
	v_cmp_eq_u32_e32 vcc_lo, s33, v14
	s_delay_alu instid0(VALU_DEP_2) | instskip(NEXT) | instid1(VALU_DEP_1)
	v_cndmask_b32_e64 v0, v0, v1, s1
	v_and_b32_e32 v1, 1, v0
	v_cndmask_b32_e64 v0, 0, 1, vcc_lo
.LBB149_37:                             ;   in Loop: Header=BB149_35 Depth=1
	s_or_b32 exec_lo, exec_lo, s21
	ds_store_b32 v5, v1
	s_wait_dscnt 0x0
	s_barrier_signal -1
	s_barrier_wait -1
	s_and_saveexec_b32 s21, s0
	s_cbranch_execz .LBB149_39
; %bb.38:                               ;   in Loop: Header=BB149_35 Depth=1
	ds_load_2addr_b32 v[16:17], v10 offset1:1
	ds_load_2addr_b32 v[18:19], v10 offset0:2 offset1:3
	ds_load_2addr_b32 v[20:21], v10 offset0:4 offset1:5
	ds_load_2addr_b32 v[22:23], v10 offset0:6 offset1:7
	v_cmp_ne_u32_e32 vcc_lo, 0, v11
	; wave barrier
	s_wait_dscnt 0x3
	v_add_nc_u32_e32 v3, v17, v16
	s_wait_dscnt 0x2
	s_delay_alu instid0(VALU_DEP_1) | instskip(SKIP_1) | instid1(VALU_DEP_1)
	v_add3_u32 v3, v3, v18, v19
	s_wait_dscnt 0x1
	v_add3_u32 v3, v3, v20, v21
	s_wait_dscnt 0x0
	s_delay_alu instid0(VALU_DEP_1) | instskip(NEXT) | instid1(VALU_DEP_1)
	v_add3_u32 v3, v3, v22, v23
	v_mov_b32_dpp v15, v3 row_shr:1 row_mask:0xf bank_mask:0xf
	s_delay_alu instid0(VALU_DEP_1) | instskip(SKIP_1) | instid1(VALU_DEP_2)
	v_cndmask_b32_e32 v15, 0, v15, vcc_lo
	v_cmp_lt_u32_e32 vcc_lo, 1, v11
	v_add_nc_u32_e32 v3, v15, v3
	s_delay_alu instid0(VALU_DEP_1) | instskip(NEXT) | instid1(VALU_DEP_1)
	v_mov_b32_dpp v15, v3 row_shr:2 row_mask:0xf bank_mask:0xf
	v_cndmask_b32_e32 v15, 0, v15, vcc_lo
	v_cmp_lt_u32_e32 vcc_lo, 3, v11
	s_delay_alu instid0(VALU_DEP_2) | instskip(NEXT) | instid1(VALU_DEP_1)
	v_add_nc_u32_e32 v3, v3, v15
	v_mov_b32_dpp v15, v3 row_shr:4 row_mask:0xf bank_mask:0xf
	s_delay_alu instid0(VALU_DEP_1) | instskip(SKIP_1) | instid1(VALU_DEP_2)
	v_cndmask_b32_e32 v15, 0, v15, vcc_lo
	v_cmp_lt_u32_e32 vcc_lo, 7, v11
	v_add_nc_u32_e32 v3, v3, v15
	s_delay_alu instid0(VALU_DEP_1) | instskip(NEXT) | instid1(VALU_DEP_1)
	v_mov_b32_dpp v15, v3 row_shr:8 row_mask:0xf bank_mask:0xf
	v_cndmask_b32_e32 v15, 0, v15, vcc_lo
	v_cmp_gt_i32_e32 vcc_lo, 0, v13
	s_delay_alu instid0(VALU_DEP_2) | instskip(SKIP_3) | instid1(VALU_DEP_1)
	v_dual_add_nc_u32 v3, v3, v15 :: v_dual_cndmask_b32 v17, v13, v8, vcc_lo
	ds_swizzle_b32 v15, v3 offset:swizzle(BROADCAST,32,15)
	s_wait_dscnt 0x0
	v_dual_lshlrev_b32 v17, 2, v17 :: v_dual_bitop2_b32 v15, v12, v15 bitop3:0x40
	v_add_nc_u32_e32 v3, v3, v15
	ds_bpermute_b32 v3, v17, v3
	s_wait_dscnt 0x0
	v_add_nc_u32_e32 v3, v3, v16
	s_delay_alu instid0(VALU_DEP_1)
	v_cndmask_b32_e64 v3, v3, v1, s3
	ds_store_b32 v10, v3
	; wave barrier
	ds_load_2addr_b32 v[16:17], v10 offset0:1 offset1:2
	ds_load_2addr_b32 v[18:19], v10 offset0:3 offset1:4
	;; [unrolled: 1-line block ×3, first 2 shown]
	ds_load_b32 v15, v10 offset:28
	s_wait_dscnt 0x3
	v_add_nc_u32_e32 v3, v16, v3
	s_delay_alu instid0(VALU_DEP_1) | instskip(SKIP_1) | instid1(VALU_DEP_1)
	v_add_nc_u32_e32 v16, v17, v3
	s_wait_dscnt 0x2
	v_add_nc_u32_e32 v17, v18, v16
	s_delay_alu instid0(VALU_DEP_1) | instskip(SKIP_1) | instid1(VALU_DEP_1)
	v_add_nc_u32_e32 v18, v19, v17
	;; [unrolled: 4-line block ×3, first 2 shown]
	s_wait_dscnt 0x0
	v_add_nc_u32_e32 v15, v15, v20
	ds_store_2addr_b32 v10, v3, v16 offset0:1 offset1:2
	ds_store_2addr_b32 v10, v17, v18 offset0:3 offset1:4
	;; [unrolled: 1-line block ×3, first 2 shown]
	ds_store_b32 v10, v15 offset:28
.LBB149_39:                             ;   in Loop: Header=BB149_35 Depth=1
	s_or_b32 exec_lo, exec_lo, s21
	v_mov_b32_e32 v3, 0
	s_wait_dscnt 0x0
	s_barrier_signal -1
	s_barrier_wait -1
	s_and_saveexec_b32 s21, s2
; %bb.40:                               ;   in Loop: Header=BB149_35 Depth=1
	ds_load_b32 v3, v9
; %bb.41:                               ;   in Loop: Header=BB149_35 Depth=1
	s_or_b32 exec_lo, exec_lo, s21
	ds_load_b32 v15, v7 offset:1048
	s_mov_b32 s21, exec_lo
	s_wait_dscnt 0x0
	s_barrier_signal -1
	s_barrier_wait -1
	v_cmpx_ne_u32_e32 0, v1
	s_cbranch_execz .LBB149_43
; %bb.42:                               ;   in Loop: Header=BB149_35 Depth=1
	v_add_nc_u32_e32 v16, v3, v4
	v_mov_b32_e32 v17, v7
	s_delay_alu instid0(VALU_DEP_1) | instskip(SKIP_1) | instid1(VALU_DEP_2)
	v_mul_u64_e32 v[18:19], s[12:13], v[16:17]
	v_mul_u64_e32 v[16:17], s[14:15], v[16:17]
	v_lshl_add_u64 v[18:19], v[18:19], 2, s[10:11]
	s_delay_alu instid0(VALU_DEP_2)
	v_lshl_add_u64 v[16:17], v[16:17], 3, s[18:19]
	global_store_b32 v[18:19], v14, off
	global_store_b64 v[16:17], v[6:7], off
.LBB149_43:                             ;   in Loop: Header=BB149_35 Depth=1
	s_wait_xcnt 0x0
	s_or_b32 exec_lo, exec_lo, s21
	v_mov_b32_e32 v3, v7
	s_delay_alu instid0(VALU_DEP_1)
	v_cmp_le_u64_e32 vcc_lo, s[6:7], v[2:3]
	s_cbranch_vccnz .LBB149_34
; %bb.44:                               ;   in Loop: Header=BB149_35 Depth=1
	ds_store_b32 v5, v0
	s_wait_storecnt_dscnt 0x0
	s_barrier_signal -1
	s_barrier_wait -1
	s_and_saveexec_b32 s21, s0
	s_cbranch_execz .LBB149_46
; %bb.45:                               ;   in Loop: Header=BB149_35 Depth=1
	ds_load_2addr_b32 v[16:17], v10 offset1:1
	ds_load_2addr_b32 v[18:19], v10 offset0:2 offset1:3
	ds_load_2addr_b32 v[20:21], v10 offset0:4 offset1:5
	;; [unrolled: 1-line block ×3, first 2 shown]
	v_cmp_ne_u32_e32 vcc_lo, 0, v11
	; wave barrier
	s_wait_dscnt 0x3
	v_add_nc_u32_e32 v1, v17, v16
	s_wait_dscnt 0x2
	s_delay_alu instid0(VALU_DEP_1) | instskip(SKIP_1) | instid1(VALU_DEP_1)
	v_add3_u32 v1, v1, v18, v19
	s_wait_dscnt 0x1
	v_add3_u32 v1, v1, v20, v21
	s_wait_dscnt 0x0
	s_delay_alu instid0(VALU_DEP_1) | instskip(NEXT) | instid1(VALU_DEP_1)
	v_add3_u32 v1, v1, v22, v23
	v_mov_b32_dpp v3, v1 row_shr:1 row_mask:0xf bank_mask:0xf
	s_delay_alu instid0(VALU_DEP_1) | instskip(SKIP_1) | instid1(VALU_DEP_2)
	v_cndmask_b32_e32 v3, 0, v3, vcc_lo
	v_cmp_lt_u32_e32 vcc_lo, 1, v11
	v_add_nc_u32_e32 v1, v3, v1
	s_delay_alu instid0(VALU_DEP_1) | instskip(NEXT) | instid1(VALU_DEP_1)
	v_mov_b32_dpp v3, v1 row_shr:2 row_mask:0xf bank_mask:0xf
	v_cndmask_b32_e32 v3, 0, v3, vcc_lo
	v_cmp_lt_u32_e32 vcc_lo, 3, v11
	s_delay_alu instid0(VALU_DEP_2) | instskip(NEXT) | instid1(VALU_DEP_1)
	v_add_nc_u32_e32 v1, v1, v3
	v_mov_b32_dpp v3, v1 row_shr:4 row_mask:0xf bank_mask:0xf
	s_delay_alu instid0(VALU_DEP_1) | instskip(SKIP_1) | instid1(VALU_DEP_2)
	v_cndmask_b32_e32 v3, 0, v3, vcc_lo
	v_cmp_lt_u32_e32 vcc_lo, 7, v11
	v_add_nc_u32_e32 v1, v1, v3
	s_delay_alu instid0(VALU_DEP_1) | instskip(NEXT) | instid1(VALU_DEP_1)
	v_mov_b32_dpp v3, v1 row_shr:8 row_mask:0xf bank_mask:0xf
	v_cndmask_b32_e32 v3, 0, v3, vcc_lo
	v_cmp_gt_i32_e32 vcc_lo, 0, v13
	s_delay_alu instid0(VALU_DEP_2) | instskip(SKIP_4) | instid1(VALU_DEP_1)
	v_add_nc_u32_e32 v1, v1, v3
	v_cndmask_b32_e32 v17, v13, v8, vcc_lo
	ds_swizzle_b32 v3, v1 offset:swizzle(BROADCAST,32,15)
	s_wait_dscnt 0x0
	v_dual_lshlrev_b32 v17, 2, v17 :: v_dual_bitop2_b32 v3, v12, v3 bitop3:0x40
	v_add_nc_u32_e32 v1, v1, v3
	ds_bpermute_b32 v1, v17, v1
	s_wait_dscnt 0x0
	v_add_nc_u32_e32 v1, v1, v16
	s_delay_alu instid0(VALU_DEP_1)
	v_cndmask_b32_e64 v1, v1, v0, s3
	ds_store_b32 v10, v1
	; wave barrier
	ds_load_2addr_b32 v[16:17], v10 offset0:1 offset1:2
	ds_load_2addr_b32 v[18:19], v10 offset0:3 offset1:4
	;; [unrolled: 1-line block ×3, first 2 shown]
	ds_load_b32 v3, v10 offset:28
	s_wait_dscnt 0x3
	v_add_nc_u32_e32 v1, v16, v1
	s_delay_alu instid0(VALU_DEP_1) | instskip(SKIP_1) | instid1(VALU_DEP_1)
	v_add_nc_u32_e32 v16, v17, v1
	s_wait_dscnt 0x2
	v_add_nc_u32_e32 v17, v18, v16
	s_delay_alu instid0(VALU_DEP_1) | instskip(SKIP_1) | instid1(VALU_DEP_1)
	v_add_nc_u32_e32 v18, v19, v17
	;; [unrolled: 4-line block ×3, first 2 shown]
	s_wait_dscnt 0x0
	v_add_nc_u32_e32 v3, v3, v20
	ds_store_2addr_b32 v10, v1, v16 offset0:1 offset1:2
	ds_store_2addr_b32 v10, v17, v18 offset0:3 offset1:4
	;; [unrolled: 1-line block ×3, first 2 shown]
	ds_store_b32 v10, v3 offset:28
.LBB149_46:                             ;   in Loop: Header=BB149_35 Depth=1
	s_or_b32 exec_lo, exec_lo, s21
	v_mov_b32_e32 v1, 0
	s_wait_dscnt 0x0
	s_barrier_signal -1
	s_barrier_wait -1
	s_and_saveexec_b32 s21, s2
; %bb.47:                               ;   in Loop: Header=BB149_35 Depth=1
	ds_load_b32 v1, v9
; %bb.48:                               ;   in Loop: Header=BB149_35 Depth=1
	s_or_b32 exec_lo, exec_lo, s21
	ds_load_b32 v3, v7 offset:1048
	s_mov_b32 s21, exec_lo
	s_wait_dscnt 0x0
	s_barrier_signal -1
	s_barrier_wait -1
	v_cmpx_ne_u32_e32 0, v0
	s_cbranch_execz .LBB149_33
; %bb.49:                               ;   in Loop: Header=BB149_35 Depth=1
	v_dual_mov_b32 v1, v7 :: v_dual_add_nc_u32 v0, v1, v2
	s_delay_alu instid0(VALU_DEP_1)
	v_cmp_gt_u64_e32 vcc_lo, s[6:7], v[0:1]
	s_and_b32 exec_lo, exec_lo, vcc_lo
	s_cbranch_execz .LBB149_33
; %bb.50:                               ;   in Loop: Header=BB149_35 Depth=1
	v_mul_u64_e32 v[16:17], s[12:13], v[0:1]
	v_mul_u64_e32 v[0:1], s[14:15], v[0:1]
	s_delay_alu instid0(VALU_DEP_2) | instskip(NEXT) | instid1(VALU_DEP_2)
	v_lshl_add_u64 v[16:17], v[16:17], 2, s[10:11]
	v_lshl_add_u64 v[0:1], v[0:1], 3, s[18:19]
	global_store_b32 v[16:17], v14, off
	global_store_b64 v[0:1], v[6:7], off
	s_branch .LBB149_33
.LBB149_51:                             ;   in Loop: Header=BB149_52 Depth=1
	s_add_co_i32 s18, s18, 1
	s_wait_kmcnt 0x0
	s_add_co_i32 s51, s19, s51
	s_add_nc_u64 s[14:15], s[14:15], 4
	s_cmp_lt_u32 s18, s35
	s_add_nc_u64 s[16:17], s[16:17], 4
	s_cbranch_scc0 .LBB149_30
.LBB149_52:                             ; =>This Inner Loop Header: Depth=1
	s_load_b32 s19, s[14:15], 0x0
	s_cmp_ge_u32 s18, s73
	s_cbranch_scc1 .LBB149_51
; %bb.53:                               ;   in Loop: Header=BB149_52 Depth=1
	s_load_b32 s50, s[16:17], 0x0
	s_wait_kmcnt 0x0
	s_add_co_i32 s13, s19, s13
	s_add_co_i32 s12, s50, s12
	s_branch .LBB149_51
.LBB149_54:
	s_endpgm
	.section	.rodata,"a",@progbits
	.p2align	6, 0x0
	.amdhsa_kernel _ZN2at6native6mbtopk10gatherTopKIimLi3EEEvNS_4cuda6detail10TensorInfoIKT_T0_EES8_S8_bjS8_NS5_IS6_S8_EES8_NS5_IlS8_EES8_jjPS6_PjSD_j
		.amdhsa_group_segment_fixed_size 1068
		.amdhsa_private_segment_fixed_size 0
		.amdhsa_kernarg_size 1592
		.amdhsa_user_sgpr_count 2
		.amdhsa_user_sgpr_dispatch_ptr 0
		.amdhsa_user_sgpr_queue_ptr 0
		.amdhsa_user_sgpr_kernarg_segment_ptr 1
		.amdhsa_user_sgpr_dispatch_id 0
		.amdhsa_user_sgpr_kernarg_preload_length 0
		.amdhsa_user_sgpr_kernarg_preload_offset 0
		.amdhsa_user_sgpr_private_segment_size 0
		.amdhsa_wavefront_size32 1
		.amdhsa_uses_dynamic_stack 0
		.amdhsa_enable_private_segment 0
		.amdhsa_system_sgpr_workgroup_id_x 1
		.amdhsa_system_sgpr_workgroup_id_y 1
		.amdhsa_system_sgpr_workgroup_id_z 1
		.amdhsa_system_sgpr_workgroup_info 0
		.amdhsa_system_vgpr_workitem_id 0
		.amdhsa_next_free_vgpr 24
		.amdhsa_next_free_sgpr 77
		.amdhsa_named_barrier_count 0
		.amdhsa_reserve_vcc 1
		.amdhsa_float_round_mode_32 0
		.amdhsa_float_round_mode_16_64 0
		.amdhsa_float_denorm_mode_32 3
		.amdhsa_float_denorm_mode_16_64 3
		.amdhsa_fp16_overflow 0
		.amdhsa_memory_ordered 1
		.amdhsa_forward_progress 1
		.amdhsa_inst_pref_size 27
		.amdhsa_round_robin_scheduling 0
		.amdhsa_exception_fp_ieee_invalid_op 0
		.amdhsa_exception_fp_denorm_src 0
		.amdhsa_exception_fp_ieee_div_zero 0
		.amdhsa_exception_fp_ieee_overflow 0
		.amdhsa_exception_fp_ieee_underflow 0
		.amdhsa_exception_fp_ieee_inexact 0
		.amdhsa_exception_int_div_zero 0
	.end_amdhsa_kernel
	.section	.text._ZN2at6native6mbtopk10gatherTopKIimLi3EEEvNS_4cuda6detail10TensorInfoIKT_T0_EES8_S8_bjS8_NS5_IS6_S8_EES8_NS5_IlS8_EES8_jjPS6_PjSD_j,"axG",@progbits,_ZN2at6native6mbtopk10gatherTopKIimLi3EEEvNS_4cuda6detail10TensorInfoIKT_T0_EES8_S8_bjS8_NS5_IS6_S8_EES8_NS5_IlS8_EES8_jjPS6_PjSD_j,comdat
.Lfunc_end149:
	.size	_ZN2at6native6mbtopk10gatherTopKIimLi3EEEvNS_4cuda6detail10TensorInfoIKT_T0_EES8_S8_bjS8_NS5_IS6_S8_EES8_NS5_IlS8_EES8_jjPS6_PjSD_j, .Lfunc_end149-_ZN2at6native6mbtopk10gatherTopKIimLi3EEEvNS_4cuda6detail10TensorInfoIKT_T0_EES8_S8_bjS8_NS5_IS6_S8_EES8_NS5_IlS8_EES8_jjPS6_PjSD_j
                                        ; -- End function
	.set _ZN2at6native6mbtopk10gatherTopKIimLi3EEEvNS_4cuda6detail10TensorInfoIKT_T0_EES8_S8_bjS8_NS5_IS6_S8_EES8_NS5_IlS8_EES8_jjPS6_PjSD_j.num_vgpr, 24
	.set _ZN2at6native6mbtopk10gatherTopKIimLi3EEEvNS_4cuda6detail10TensorInfoIKT_T0_EES8_S8_bjS8_NS5_IS6_S8_EES8_NS5_IlS8_EES8_jjPS6_PjSD_j.num_agpr, 0
	.set _ZN2at6native6mbtopk10gatherTopKIimLi3EEEvNS_4cuda6detail10TensorInfoIKT_T0_EES8_S8_bjS8_NS5_IS6_S8_EES8_NS5_IlS8_EES8_jjPS6_PjSD_j.numbered_sgpr, 77
	.set _ZN2at6native6mbtopk10gatherTopKIimLi3EEEvNS_4cuda6detail10TensorInfoIKT_T0_EES8_S8_bjS8_NS5_IS6_S8_EES8_NS5_IlS8_EES8_jjPS6_PjSD_j.num_named_barrier, 0
	.set _ZN2at6native6mbtopk10gatherTopKIimLi3EEEvNS_4cuda6detail10TensorInfoIKT_T0_EES8_S8_bjS8_NS5_IS6_S8_EES8_NS5_IlS8_EES8_jjPS6_PjSD_j.private_seg_size, 0
	.set _ZN2at6native6mbtopk10gatherTopKIimLi3EEEvNS_4cuda6detail10TensorInfoIKT_T0_EES8_S8_bjS8_NS5_IS6_S8_EES8_NS5_IlS8_EES8_jjPS6_PjSD_j.uses_vcc, 1
	.set _ZN2at6native6mbtopk10gatherTopKIimLi3EEEvNS_4cuda6detail10TensorInfoIKT_T0_EES8_S8_bjS8_NS5_IS6_S8_EES8_NS5_IlS8_EES8_jjPS6_PjSD_j.uses_flat_scratch, 0
	.set _ZN2at6native6mbtopk10gatherTopKIimLi3EEEvNS_4cuda6detail10TensorInfoIKT_T0_EES8_S8_bjS8_NS5_IS6_S8_EES8_NS5_IlS8_EES8_jjPS6_PjSD_j.has_dyn_sized_stack, 0
	.set _ZN2at6native6mbtopk10gatherTopKIimLi3EEEvNS_4cuda6detail10TensorInfoIKT_T0_EES8_S8_bjS8_NS5_IS6_S8_EES8_NS5_IlS8_EES8_jjPS6_PjSD_j.has_recursion, 0
	.set _ZN2at6native6mbtopk10gatherTopKIimLi3EEEvNS_4cuda6detail10TensorInfoIKT_T0_EES8_S8_bjS8_NS5_IS6_S8_EES8_NS5_IlS8_EES8_jjPS6_PjSD_j.has_indirect_call, 0
	.section	.AMDGPU.csdata,"",@progbits
; Kernel info:
; codeLenInByte = 3448
; TotalNumSgprs: 79
; NumVgprs: 24
; ScratchSize: 0
; MemoryBound: 0
; FloatMode: 240
; IeeeMode: 1
; LDSByteSize: 1068 bytes/workgroup (compile time only)
; SGPRBlocks: 0
; VGPRBlocks: 1
; NumSGPRsForWavesPerEU: 79
; NumVGPRsForWavesPerEU: 24
; NamedBarCnt: 0
; Occupancy: 16
; WaveLimiterHint : 1
; COMPUTE_PGM_RSRC2:SCRATCH_EN: 0
; COMPUTE_PGM_RSRC2:USER_SGPR: 2
; COMPUTE_PGM_RSRC2:TRAP_HANDLER: 0
; COMPUTE_PGM_RSRC2:TGID_X_EN: 1
; COMPUTE_PGM_RSRC2:TGID_Y_EN: 1
; COMPUTE_PGM_RSRC2:TGID_Z_EN: 1
; COMPUTE_PGM_RSRC2:TIDIG_COMP_CNT: 0
	.section	.text._ZN2at6native6sbtopk10gatherTopKIimLi3ELb0EEEvNS_4cuda6detail10TensorInfoIKT_T0_EES8_S8_bS8_S8_NS5_IS6_S8_EES8_NS5_IlS8_EES8_PS6_,"axG",@progbits,_ZN2at6native6sbtopk10gatherTopKIimLi3ELb0EEEvNS_4cuda6detail10TensorInfoIKT_T0_EES8_S8_bS8_S8_NS5_IS6_S8_EES8_NS5_IlS8_EES8_PS6_,comdat
	.protected	_ZN2at6native6sbtopk10gatherTopKIimLi3ELb0EEEvNS_4cuda6detail10TensorInfoIKT_T0_EES8_S8_bS8_S8_NS5_IS6_S8_EES8_NS5_IlS8_EES8_PS6_ ; -- Begin function _ZN2at6native6sbtopk10gatherTopKIimLi3ELb0EEEvNS_4cuda6detail10TensorInfoIKT_T0_EES8_S8_bS8_S8_NS5_IS6_S8_EES8_NS5_IlS8_EES8_PS6_
	.globl	_ZN2at6native6sbtopk10gatherTopKIimLi3ELb0EEEvNS_4cuda6detail10TensorInfoIKT_T0_EES8_S8_bS8_S8_NS5_IS6_S8_EES8_NS5_IlS8_EES8_PS6_
	.p2align	8
	.type	_ZN2at6native6sbtopk10gatherTopKIimLi3ELb0EEEvNS_4cuda6detail10TensorInfoIKT_T0_EES8_S8_bS8_S8_NS5_IS6_S8_EES8_NS5_IlS8_EES8_PS6_,@function
_ZN2at6native6sbtopk10gatherTopKIimLi3ELb0EEEvNS_4cuda6detail10TensorInfoIKT_T0_EES8_S8_bS8_S8_NS5_IS6_S8_EES8_NS5_IlS8_EES8_PS6_: ; @_ZN2at6native6sbtopk10gatherTopKIimLi3ELb0EEEvNS_4cuda6detail10TensorInfoIKT_T0_EES8_S8_bS8_S8_NS5_IS6_S8_EES8_NS5_IlS8_EES8_PS6_
; %bb.0:
	s_clause 0x1
	s_load_b128 s[28:31], s[0:1], 0x1b8
	s_load_b64 s[16:17], s[0:1], 0x520
	s_bfe_u32 s2, ttmp6, 0x40010
	s_and_b32 s3, ttmp7, 0xffff
	s_add_co_i32 s2, s2, 1
	s_bfe_u32 s5, ttmp6, 0x4000c
	s_mul_i32 s2, s3, s2
	s_bfe_u32 s4, ttmp6, 0x40004
	s_add_co_i32 s5, s5, 1
	s_bfe_u32 s6, ttmp6, 0x40014
	s_add_co_i32 s4, s4, s2
	s_and_b32 s2, ttmp6, 15
	s_mul_i32 s5, ttmp9, s5
	s_lshr_b32 s7, ttmp7, 16
	s_add_co_i32 s6, s6, 1
	s_add_co_i32 s2, s2, s5
	s_mul_i32 s5, s7, s6
	s_bfe_u32 s6, ttmp6, 0x40008
	s_getreg_b32 s8, hwreg(HW_REG_IB_STS2, 6, 4)
	s_add_co_i32 s6, s6, s5
	s_cmp_eq_u32 s8, 0
	s_mov_b32 s59, 0
	s_cselect_b32 s5, s7, s6
	s_cselect_b32 s3, s3, s4
	s_wait_kmcnt 0x0
	s_mul_i32 s5, s17, s5
	s_cselect_b32 s17, ttmp9, s2
	s_add_co_i32 s2, s5, s3
	s_delay_alu instid0(SALU_CYCLE_1) | instskip(NEXT) | instid1(SALU_CYCLE_1)
	s_mul_i32 s2, s2, s16
	s_add_co_i32 s58, s2, s17
	s_delay_alu instid0(SALU_CYCLE_1)
	v_cmp_le_u64_e64 s2, s[28:29], s[58:59]
	s_and_b32 vcc_lo, exec_lo, s2
	s_cbranch_vccnz .LBB150_485
; %bb.1:
	s_load_b128 s[8:11], s[0:1], 0x10
	s_mov_b64 s[6:7], 0
	s_wait_kmcnt 0x0
	v_cmp_lt_u64_e64 s2, s[58:59], s[10:11]
	s_and_b32 vcc_lo, exec_lo, s2
	s_mov_b64 s[2:3], 0
	s_cbranch_vccnz .LBB150_3
; %bb.2:
	v_cvt_f32_u32_e32 v1, s10
	s_sub_co_i32 s3, 0, s10
	s_delay_alu instid0(VALU_DEP_1) | instskip(SKIP_1) | instid1(TRANS32_DEP_1)
	v_rcp_iflag_f32_e32 v1, v1
	v_nop
	v_mul_f32_e32 v1, 0x4f7ffffe, v1
	s_delay_alu instid0(VALU_DEP_1) | instskip(NEXT) | instid1(VALU_DEP_1)
	v_cvt_u32_f32_e32 v1, v1
	v_readfirstlane_b32 s2, v1
	s_mul_i32 s3, s3, s2
	s_delay_alu instid0(SALU_CYCLE_1) | instskip(NEXT) | instid1(SALU_CYCLE_1)
	s_mul_hi_u32 s3, s2, s3
	s_add_co_i32 s2, s2, s3
	s_delay_alu instid0(SALU_CYCLE_1) | instskip(NEXT) | instid1(SALU_CYCLE_1)
	s_mul_hi_u32 s2, s58, s2
	s_mul_i32 s3, s2, s10
	s_add_co_i32 s4, s2, 1
	s_sub_co_i32 s3, s58, s3
	s_delay_alu instid0(SALU_CYCLE_1)
	s_sub_co_i32 s5, s3, s10
	s_cmp_ge_u32 s3, s10
	s_cselect_b32 s2, s4, s2
	s_cselect_b32 s3, s5, s3
	s_add_co_i32 s4, s2, 1
	s_cmp_ge_u32 s3, s10
	s_mov_b32 s3, 0
	s_cselect_b32 s2, s4, s2
.LBB150_3:
	s_load_b128 s[20:23], s[0:1], 0x1d8
	v_cmp_lt_u64_e64 s4, s[2:3], s[8:9]
	s_and_b32 vcc_lo, exec_lo, s4
	s_cbranch_vccnz .LBB150_5
; %bb.4:
	v_cvt_f32_u32_e32 v1, s8
	s_sub_co_i32 s5, 0, s8
	s_delay_alu instid0(VALU_DEP_1) | instskip(SKIP_1) | instid1(TRANS32_DEP_1)
	v_rcp_iflag_f32_e32 v1, v1
	v_nop
	v_mul_f32_e32 v1, 0x4f7ffffe, v1
	s_delay_alu instid0(VALU_DEP_1) | instskip(NEXT) | instid1(VALU_DEP_1)
	v_cvt_u32_f32_e32 v1, v1
	v_readfirstlane_b32 s4, v1
	s_mul_i32 s5, s5, s4
	s_delay_alu instid0(SALU_CYCLE_1) | instskip(NEXT) | instid1(SALU_CYCLE_1)
	s_mul_hi_u32 s5, s4, s5
	s_add_co_i32 s4, s4, s5
	s_delay_alu instid0(SALU_CYCLE_1) | instskip(NEXT) | instid1(SALU_CYCLE_1)
	s_mul_hi_u32 s4, s2, s4
	s_mul_i32 s5, s4, s8
	s_add_co_i32 s6, s4, 1
	s_sub_co_i32 s5, s2, s5
	s_delay_alu instid0(SALU_CYCLE_1)
	s_sub_co_i32 s7, s5, s8
	s_cmp_ge_u32 s5, s8
	s_cselect_b32 s4, s6, s4
	s_cselect_b32 s5, s7, s5
	s_add_co_i32 s6, s4, 1
	s_cmp_ge_u32 s5, s8
	s_mov_b32 s7, 0
	s_cselect_b32 s6, s6, s4
.LBB150_5:
	s_wait_kmcnt 0x0
	v_cmp_lt_u64_e64 s4, s[58:59], s[22:23]
	s_mov_b64 s[14:15], 0
	s_mov_b64 s[60:61], 0
	s_and_b32 vcc_lo, exec_lo, s4
	s_cbranch_vccnz .LBB150_7
; %bb.6:
	v_cvt_f32_u32_e32 v1, s22
	s_sub_co_i32 s5, 0, s22
	s_mov_b32 s61, 0
	s_delay_alu instid0(VALU_DEP_1) | instskip(SKIP_1) | instid1(TRANS32_DEP_1)
	v_rcp_iflag_f32_e32 v1, v1
	v_nop
	v_mul_f32_e32 v1, 0x4f7ffffe, v1
	s_delay_alu instid0(VALU_DEP_1) | instskip(NEXT) | instid1(VALU_DEP_1)
	v_cvt_u32_f32_e32 v1, v1
	v_readfirstlane_b32 s4, v1
	s_mul_i32 s5, s5, s4
	s_delay_alu instid0(SALU_CYCLE_1) | instskip(NEXT) | instid1(SALU_CYCLE_1)
	s_mul_hi_u32 s5, s4, s5
	s_add_co_i32 s4, s4, s5
	s_delay_alu instid0(SALU_CYCLE_1) | instskip(NEXT) | instid1(SALU_CYCLE_1)
	s_mul_hi_u32 s4, s58, s4
	s_mul_i32 s5, s4, s22
	s_add_co_i32 s12, s4, 1
	s_sub_co_i32 s5, s58, s5
	s_delay_alu instid0(SALU_CYCLE_1)
	s_sub_co_i32 s13, s5, s22
	s_cmp_ge_u32 s5, s22
	s_cselect_b32 s4, s12, s4
	s_cselect_b32 s5, s13, s5
	s_add_co_i32 s12, s4, 1
	s_cmp_ge_u32 s5, s22
	s_cselect_b32 s60, s12, s4
.LBB150_7:
	s_load_b128 s[44:47], s[0:1], 0x380
	v_cmp_lt_u64_e64 s4, s[60:61], s[20:21]
	s_and_b32 vcc_lo, exec_lo, s4
	s_cbranch_vccnz .LBB150_9
; %bb.8:
	v_cvt_f32_u32_e32 v1, s20
	s_sub_co_i32 s5, 0, s20
	s_mov_b32 s15, 0
	s_delay_alu instid0(VALU_DEP_1) | instskip(SKIP_1) | instid1(TRANS32_DEP_1)
	v_rcp_iflag_f32_e32 v1, v1
	v_nop
	v_mul_f32_e32 v1, 0x4f7ffffe, v1
	s_delay_alu instid0(VALU_DEP_1) | instskip(NEXT) | instid1(VALU_DEP_1)
	v_cvt_u32_f32_e32 v1, v1
	v_readfirstlane_b32 s4, v1
	s_mul_i32 s5, s5, s4
	s_delay_alu instid0(SALU_CYCLE_1) | instskip(NEXT) | instid1(SALU_CYCLE_1)
	s_mul_hi_u32 s5, s4, s5
	s_add_co_i32 s4, s4, s5
	s_delay_alu instid0(SALU_CYCLE_1) | instskip(NEXT) | instid1(SALU_CYCLE_1)
	s_mul_hi_u32 s4, s60, s4
	s_mul_i32 s5, s4, s20
	s_add_co_i32 s12, s4, 1
	s_sub_co_i32 s5, s60, s5
	s_delay_alu instid0(SALU_CYCLE_1)
	s_sub_co_i32 s13, s5, s20
	s_cmp_ge_u32 s5, s20
	s_cselect_b32 s4, s12, s4
	s_cselect_b32 s5, s13, s5
	s_add_co_i32 s12, s4, 1
	s_cmp_ge_u32 s5, s20
	s_cselect_b32 s14, s12, s4
.LBB150_9:
                                        ; implicit-def: $vgpr45 : SGPR spill to VGPR lane
	s_wait_kmcnt 0x0
	v_cmp_lt_u64_e64 s4, s[58:59], s[46:47]
	v_writelane_b32 v45, s14, 0
	s_mov_b64 s[22:23], 0
	s_mov_b64 s[66:67], 0
	v_writelane_b32 v45, s15, 1
	s_clause 0x1
	s_load_b64 s[18:19], s[0:1], 0xe0
	s_load_b128 s[12:15], s[0:1], 0xd0
	s_and_b32 vcc_lo, exec_lo, s4
	s_cbranch_vccnz .LBB150_11
; %bb.10:
	v_cvt_f32_u32_e32 v1, s46
	s_sub_co_i32 s5, 0, s46
	s_mov_b32 s67, 0
	s_delay_alu instid0(VALU_DEP_1) | instskip(SKIP_1) | instid1(TRANS32_DEP_1)
	v_rcp_iflag_f32_e32 v1, v1
	v_nop
	v_mul_f32_e32 v1, 0x4f7ffffe, v1
	s_delay_alu instid0(VALU_DEP_1) | instskip(NEXT) | instid1(VALU_DEP_1)
	v_cvt_u32_f32_e32 v1, v1
	v_readfirstlane_b32 s4, v1
	s_mul_i32 s5, s5, s4
	s_delay_alu instid0(SALU_CYCLE_1) | instskip(NEXT) | instid1(SALU_CYCLE_1)
	s_mul_hi_u32 s5, s4, s5
	s_add_co_i32 s4, s4, s5
	s_delay_alu instid0(SALU_CYCLE_1) | instskip(NEXT) | instid1(SALU_CYCLE_1)
	s_mul_hi_u32 s4, s58, s4
	s_mul_i32 s5, s4, s46
	s_add_co_i32 s20, s4, 1
	s_sub_co_i32 s5, s58, s5
	s_delay_alu instid0(SALU_CYCLE_1)
	s_sub_co_i32 s21, s5, s46
	s_cmp_ge_u32 s5, s46
	s_cselect_b32 s4, s20, s4
	s_cselect_b32 s5, s21, s5
	s_add_co_i32 s20, s4, 1
	s_cmp_ge_u32 s5, s46
	s_cselect_b32 s66, s20, s4
.LBB150_11:
	s_load_b128 s[24:27], s[0:1], 0x440
	v_cmp_lt_u64_e64 s4, s[66:67], s[44:45]
	s_and_b32 vcc_lo, exec_lo, s4
	s_wait_kmcnt 0x0
	v_writelane_b32 v45, s24, 2
	v_writelane_b32 v45, s25, 3
	;; [unrolled: 1-line block ×4, first 2 shown]
	s_cbranch_vccnz .LBB150_13
; %bb.12:
	v_cvt_f32_u32_e32 v1, s44
	s_sub_co_i32 s5, 0, s44
	s_mov_b32 s23, 0
	s_delay_alu instid0(VALU_DEP_1) | instskip(SKIP_1) | instid1(TRANS32_DEP_1)
	v_rcp_iflag_f32_e32 v1, v1
	v_nop
	v_mul_f32_e32 v1, 0x4f7ffffe, v1
	s_delay_alu instid0(VALU_DEP_1) | instskip(NEXT) | instid1(VALU_DEP_1)
	v_cvt_u32_f32_e32 v1, v1
	v_readfirstlane_b32 s4, v1
	s_mul_i32 s5, s5, s4
	s_delay_alu instid0(SALU_CYCLE_1) | instskip(NEXT) | instid1(SALU_CYCLE_1)
	s_mul_hi_u32 s5, s4, s5
	s_add_co_i32 s4, s4, s5
	s_delay_alu instid0(SALU_CYCLE_1) | instskip(NEXT) | instid1(SALU_CYCLE_1)
	s_mul_hi_u32 s4, s66, s4
	s_mul_i32 s5, s4, s44
	s_add_co_i32 s20, s4, 1
	s_sub_co_i32 s5, s66, s5
	s_delay_alu instid0(SALU_CYCLE_1)
	s_sub_co_i32 s21, s5, s44
	s_cmp_ge_u32 s5, s44
	s_cselect_b32 s4, s20, s4
	s_cselect_b32 s5, s21, s5
	s_add_co_i32 s20, s4, 1
	s_cmp_ge_u32 s5, s44
	s_cselect_b32 s22, s20, s4
.LBB150_13:
	s_delay_alu instid0(SALU_CYCLE_1)
	v_writelane_b32 v45, s22, 6
	v_cmp_eq_u32_e64 s5, 0, v0
	s_add_nc_u64 s[20:21], s[0:1], 0x520
	s_mov_b32 s29, 0
	v_writelane_b32 v45, s23, 7
	s_clause 0x1
	s_load_b64 s[22:23], s[0:1], 0x0
	s_load_b128 s[36:39], s[0:1], 0x1a0
	s_and_saveexec_b32 s4, s5
	s_cbranch_execz .LBB150_15
; %bb.14:
	s_wait_kmcnt 0x0
	v_dual_mov_b32 v2, 0 :: v_dual_mov_b32 v4, s36
	s_delay_alu instid0(VALU_DEP_1)
	v_dual_mov_b32 v5, s37 :: v_dual_mov_b32 v3, v2
	ds_store_b32 v2, v2 offset:5144
	ds_store_b128 v2, v[2:5] offset:5120
.LBB150_15:
	s_or_b32 exec_lo, exec_lo, s4
	s_mul_u64 s[8:9], s[6:7], s[8:9]
	s_mul_u64 s[12:13], s[6:7], s[12:13]
	s_load_b64 s[6:7], s[0:1], 0x370
	v_dual_mov_b32 v3, 0 :: v_dual_add_nc_u32 v2, 2, v0
	v_lshlrev_b32_e32 v16, 2, v0
	s_wait_dscnt 0x0
	s_barrier_signal -1
	s_delay_alu instid0(VALU_DEP_2)
	v_mov_b32_e32 v1, v3
	s_wait_kmcnt 0x0
	v_max_u64 v[6:7], s[36:37], v[2:3]
	s_barrier_wait -1
	s_load_b32 s24, s[20:21], 0xc
	v_mul_u64_e32 v[4:5], s[30:31], v[0:1]
	s_mul_u64 s[10:11], s[2:3], s[10:11]
	s_sub_nc_u64 s[2:3], s[2:3], s[8:9]
	s_sub_nc_u64 s[8:9], s[58:59], s[10:11]
	s_lshl_b64 s[10:11], s[12:13], 2
	s_mul_u64 s[12:13], s[2:3], s[14:15]
	s_mul_u64 s[8:9], s[8:9], s[18:19]
	s_add_nc_u64 s[10:11], s[22:23], s[10:11]
	s_lshl_b64 s[12:13], s[12:13], 2
	v_writelane_b32 v45, s6, 8
	v_dual_mov_b32 v9, -1 :: v_dual_mov_b32 v17, v3
	s_load_b32 s4, s[0:1], 0x1b0
	v_not_b32_e32 v8, v0
	v_writelane_b32 v45, s7, 9
	s_load_b64 s[6:7], s[0:1], 0x1c8
	s_lshl_b64 s[8:9], s[8:9], 2
	s_add_nc_u64 s[10:11], s[10:11], s[12:13]
	v_mbcnt_lo_u32_b32 v13, -1, 0
	s_add_nc_u64 s[34:35], s[10:11], s[8:9]
	v_cmp_gt_u32_e32 vcc_lo, 32, v0
	s_movk_i32 s8, 0x3e0
	v_cmp_lt_u64_e64 s33, 0x300, s[36:37]
	v_and_or_b32 v33, v0, s8, 0xc00
	v_lshlrev_b64_e64 v[10:11], v13, -1
	v_cmp_gt_u64_e64 s3, s[36:37], v[0:1]
	v_mov_b64_e32 v[26:27], s[38:39]
	s_mov_b32 s57, s29
	v_cmp_eq_u32_e64 s2, 0, v13
	v_dual_lshlrev_b32 v35, 4, v0 :: v_dual_mov_b32 v25, 0
	v_not_b32_e32 v12, v10
	v_lshl_add_u64 v[14:15], v[4:5], 2, s[34:35]
	v_add_nc_u64_e32 v[4:5], v[6:7], v[8:9]
	s_wait_kmcnt 0x0
	s_bitcmp1_b32 s4, 0
	v_writelane_b32 v45, s6, 10
	s_cselect_b32 s4, -1, 0
	s_and_b32 s56, s24, 0xffff
	s_xor_b32 s97, s4, -1
	v_dual_mov_b32 v19, v5 :: v_dual_add_nc_u32 v32, 0xc00, v16
	v_writelane_b32 v45, s7, 11
	v_cmp_gt_i32_e64 s7, 4, v13
	v_cmp_lt_u64_e64 s8, 1, v[4:5]
	v_dual_mov_b32 v22, 1 :: v_dual_bitop2_b32 v18, -2, v4 bitop3:0x40
	v_cmp_gt_u32_e64 s6, 2, v0
	s_and_b32 s96, vcc_lo, s7
	s_bfe_u32 s7, s24, 0xb0005
	s_cmp_gt_u32 s56, 31
	v_writelane_b32 v45, s8, 12
	s_cselect_b32 s98, -1, 0
	s_cmp_lt_u32 s17, s16
	v_add_nc_u64_e32 v[20:21], v[18:19], v[0:1]
	s_cselect_b32 s28, 12, 18
	s_add_co_i32 s8, s7, -1
	s_bfe_u32 s99, s56, 0x30005
	s_and_b32 s8, s8, 0xffff
	v_lshl_or_b32 v36, v13, 3, 0xc00
	s_cmp_gt_u32 s8, 6
	v_dual_mov_b32 v34, 0 :: v_dual_mov_b32 v37, 0
	s_cselect_b32 s100, -1, 0
	s_and_b32 s101, s7, 0x7f8
	v_cmp_ne_u64_e64 s7, v[4:5], v[18:19]
	s_add_nc_u64 s[72:73], s[56:57], -1
	s_cmp_lg_u32 s99, 0
	s_add_nc_u64 s[74:75], s[72:73], s[36:37]
	s_mov_b32 s76, s30
	s_mov_b32 s77, s31
	s_cselect_b32 s102, -1, 0
	s_lshl_b32 s103, s56, 2
	s_mov_b32 vcc_hi, 30
	s_and_b64 s[78:79], s[36:37], 0xffffffff00000000
	s_mov_b32 s104, 0x4f800000
	s_add_nc_u64 s[80:81], s[20:21], s[28:29]
	s_mov_b32 s68, 0
	s_mov_b32 s70, 0
	v_writelane_b32 v45, s7, 13
                                        ; implicit-def: $sgpr69
                                        ; implicit-def: $sgpr49
                                        ; implicit-def: $sgpr48
                                        ; implicit-def: $sgpr50
                                        ; implicit-def: $sgpr71
                                        ; implicit-def: $sgpr54
                                        ; implicit-def: $sgpr55
                                        ; implicit-def: $sgpr51
                                        ; implicit-def: $sgpr53
                                        ; implicit-def: $sgpr52
	s_branch .LBB150_18
.LBB150_16:                             ;   in Loop: Header=BB150_18 Depth=1
	s_or_b32 exec_lo, exec_lo, s10
	v_mov_b64_e32 v[26:27], v[4:5]
	s_and_not1_b32 s10, s52, exec_lo
	s_and_b32 s9, s9, exec_lo
	s_and_not1_b32 s53, s53, exec_lo
	s_or_b32 s52, s10, s9
	s_and_not1_b32 s51, s51, exec_lo
	s_and_not1_b32 s55, s55, exec_lo
	;; [unrolled: 1-line block ×3, first 2 shown]
	s_or_not1_b32 s8, s8, exec_lo
.LBB150_17:                             ;   in Loop: Header=BB150_18 Depth=1
	s_or_b32 exec_lo, exec_lo, s7
	s_delay_alu instid0(SALU_CYCLE_1) | instskip(NEXT) | instid1(SALU_CYCLE_1)
	s_and_b32 s7, exec_lo, s8
	s_or_b32 s68, s7, s68
	s_and_not1_b32 s7, s71, exec_lo
	s_and_b32 s8, s52, exec_lo
	s_and_not1_b32 s9, s50, exec_lo
	s_or_b32 s71, s7, s8
	s_and_b32 s7, s53, exec_lo
	s_and_not1_b32 s8, s48, exec_lo
	s_and_b32 s10, s51, exec_lo
	s_or_b32 s50, s9, s7
	s_or_b32 s48, s8, s10
	s_and_not1_b32 s7, s49, exec_lo
	s_and_b32 s8, s55, exec_lo
	s_and_not1_b32 s9, s69, exec_lo
	s_and_b32 s10, s54, exec_lo
	s_or_b32 s49, s7, s8
	s_or_b32 s69, s9, s10
	s_and_not1_b32 exec_lo, exec_lo, s68
	s_cbranch_execz .LBB150_481
.LBB150_18:                             ; =>This Loop Header: Depth=1
                                        ;     Child Loop BB150_24 Depth 2
                                        ;     Child Loop BB150_38 Depth 2
	;; [unrolled: 1-line block ×25, first 2 shown]
	ds_load_b128 v[4:7], v3 offset:5120
	s_wait_dscnt 0x0
	v_readfirstlane_b32 s83, v5
	v_readfirstlane_b32 s82, v4
	s_cmp_lg_u64 s[82:83], 0
	s_cbranch_scc1 .LBB150_51
; %bb.19:                               ;   in Loop: Header=BB150_18 Depth=1
	s_and_b32 vcc_lo, exec_lo, s33
	s_cbranch_vccz .LBB150_32
; %bb.20:                               ;   in Loop: Header=BB150_18 Depth=1
	v_cmp_gt_u64_e32 vcc_lo, 0x301, v[6:7]
	s_mov_b32 s7, 0
	s_mov_b32 s8, 0
	s_cbranch_vccz .LBB150_33
; %bb.21:                               ;   in Loop: Header=BB150_18 Depth=1
	s_and_saveexec_b32 s8, s3
	s_cbranch_execz .LBB150_105
; %bb.22:                               ;   in Loop: Header=BB150_18 Depth=1
	global_load_u16 v2, v3, s[80:81]
	global_load_b32 v6, v[14:15], off
	v_mov_b64_e32 v[4:5], v[0:1]
	s_mov_b32 s11, 0
	s_wait_loadcnt 0x1
	v_and_b32_e32 v2, 0xffff, v2
	s_branch .LBB150_24
.LBB150_23:                             ;   in Loop: Header=BB150_24 Depth=2
	s_or_b32 exec_lo, exec_lo, s10
	v_mov_b32_e32 v6, v7
	s_and_not1_b32 exec_lo, exec_lo, s11
	s_cbranch_execz .LBB150_105
.LBB150_24:                             ;   Parent Loop BB150_18 Depth=1
                                        ; =>  This Inner Loop Header: Depth=2
	s_delay_alu instid0(VALU_DEP_1) | instskip(SKIP_3) | instid1(VALU_DEP_2)
	v_add_nc_u64_e32 v[4:5], v[4:5], v[2:3]
	s_wait_dscnt 0x0
	v_dual_mov_b32 v8, 0 :: v_dual_mov_b32 v7, 0
	s_mov_b32 s10, exec_lo
	v_cmp_le_u64_e32 vcc_lo, s[36:37], v[4:5]
	s_wait_xcnt 0x0
	v_cmpx_gt_u64_e64 s[36:37], v[4:5]
	s_cbranch_execz .LBB150_26
; %bb.25:                               ;   in Loop: Header=BB150_24 Depth=2
	v_mul_u64_e32 v[10:11], s[30:31], v[4:5]
	s_delay_alu instid0(VALU_DEP_1)
	v_lshl_add_u64 v[10:11], v[10:11], 2, s[34:35]
	global_load_b32 v7, v[10:11], off
.LBB150_26:                             ;   in Loop: Header=BB150_24 Depth=2
	s_wait_xcnt 0x0
	s_or_b32 exec_lo, exec_lo, s10
	s_wait_loadcnt 0x0
	v_bitop3_b32 v9, v6, v37, 0x80000000 bitop3:0x48
	s_delay_alu instid0(VALU_DEP_1) | instskip(SKIP_2) | instid1(SALU_CYCLE_1)
	v_cmp_eq_u32_e64 s9, v9, v34
	s_cmp_lg_u32 s9, 0
	s_cselect_b32 s10, -1, 0
	s_and_b32 s10, s2, s10
	s_delay_alu instid0(SALU_CYCLE_1)
	s_and_saveexec_b32 s12, s10
	s_cbranch_execz .LBB150_30
; %bb.27:                               ;   in Loop: Header=BB150_24 Depth=2
	s_mov_b32 s15, exec_lo
	s_bcnt1_i32_b32 s13, s9
	v_mbcnt_lo_u32_b32 v8, s15, 0
	s_mov_b32 s14, exec_lo
                                        ; implicit-def: $vgpr9
	s_delay_alu instid0(VALU_DEP_1)
	v_cmpx_eq_u32_e32 0, v8
; %bb.28:                               ;   in Loop: Header=BB150_24 Depth=2
	s_bcnt1_i32_b32 s10, s15
	s_delay_alu instid0(SALU_CYCLE_1) | instskip(NEXT) | instid1(SALU_CYCLE_1)
	s_mul_i32 s10, s13, s10
	v_mov_b32_e32 v9, s10
	ds_add_rtn_u32 v9, v3, v9 offset:5144
; %bb.29:                               ;   in Loop: Header=BB150_24 Depth=2
	s_or_b32 exec_lo, exec_lo, s14
	s_wait_dscnt 0x0
	v_readfirstlane_b32 s10, v9
	s_delay_alu instid0(VALU_DEP_1)
	v_mad_u32_u24 v8, s13, v8, s10
.LBB150_30:                             ;   in Loop: Header=BB150_24 Depth=2
	s_or_b32 exec_lo, exec_lo, s12
	ds_bpermute_b32 v8, v3, v8
	s_and_b32 s10, exec_lo, vcc_lo
	s_delay_alu instid0(SALU_CYCLE_1)
	s_or_b32 s11, s10, s11
	s_and_saveexec_b32 s10, s9
	s_cbranch_execz .LBB150_23
; %bb.31:                               ;   in Loop: Header=BB150_24 Depth=2
	v_and_b32_e32 v9, s9, v12
	s_delay_alu instid0(VALU_DEP_1) | instskip(NEXT) | instid1(VALU_DEP_1)
	v_bcnt_u32_b32 v9, v9, 0
	v_lshlrev_b32_e32 v9, 2, v9
	s_wait_dscnt 0x0
	s_delay_alu instid0(VALU_DEP_1)
	v_lshl_add_u32 v8, v8, 2, v9
	ds_store_b32 v8, v6
	s_branch .LBB150_23
.LBB150_32:                             ;   in Loop: Header=BB150_18 Depth=1
	s_mov_b32 s7, -1
	s_mov_b32 s8, 0
.LBB150_33:                             ;   in Loop: Header=BB150_18 Depth=1
	s_and_b32 vcc_lo, exec_lo, s7
	s_cbranch_vccz .LBB150_49
.LBB150_34:                             ;   in Loop: Header=BB150_18 Depth=1
	s_and_saveexec_b32 s7, s3
	s_cbranch_execz .LBB150_46
; %bb.35:                               ;   in Loop: Header=BB150_18 Depth=1
	global_load_u16 v4, v3, s[80:81]
	global_load_b32 v10, v[14:15], off
	s_mov_b32 s8, exec_lo
	v_mov_b32_e32 v8, v0
	s_wait_loadcnt 0x1
	v_and_b32_e32 v2, 0xffff, v4
	v_readfirstlane_b32 s9, v4
	s_delay_alu instid0(VALU_DEP_2) | instskip(SKIP_1) | instid1(VALU_DEP_1)
	v_add_nc_u32_e32 v2, v2, v0
	s_wait_xcnt 0x0
	v_cmpx_gt_u64_e64 s[36:37], v[2:3]
	s_cbranch_execz .LBB150_45
; %bb.36:                               ;   in Loop: Header=BB150_18 Depth=1
	s_and_b32 s28, s9, 0xffff
	v_mov_b64_e32 v[6:7], v[0:1]
	v_mov_b64_e32 v[4:5], v[2:3]
	v_readlane_b32 s10, v45, 12
	s_cmp_eq_u32 s28, 1
                                        ; implicit-def: $vgpr11
                                        ; implicit-def: $vgpr8_vgpr9
	s_cselect_b32 s9, -1, 0
	s_delay_alu instid0(SALU_CYCLE_1)
	s_and_b32 s11, s10, s9
	s_mov_b32 s10, -1
	s_and_saveexec_b32 s9, s11
	s_cbranch_execz .LBB150_40
; %bb.37:                               ;   in Loop: Header=BB150_18 Depth=1
	v_add_nc_u64_e32 v[4:5], 1, v[2:3]
	v_mov_b64_e32 v[8:9], v[18:19]
	v_mov_b32_e32 v23, v16
	s_mov_b32 s10, 0
	s_delay_alu instid0(VALU_DEP_3)
	v_mov_b64_e32 v[6:7], v[4:5]
	v_mov_b64_e32 v[4:5], v[2:3]
.LBB150_38:                             ;   Parent Loop BB150_18 Depth=1
                                        ; =>  This Inner Loop Header: Depth=2
	s_delay_alu instid0(VALU_DEP_1) | instskip(NEXT) | instid1(VALU_DEP_3)
	v_mul_u64_e32 v[28:29], s[76:77], v[4:5]
	v_mul_u64_e32 v[30:31], s[30:31], v[6:7]
	v_add_nc_u64_e32 v[8:9], -2, v[8:9]
	v_add_nc_u64_e32 v[6:7], 2, v[6:7]
	v_add_nc_u64_e32 v[4:5], 2, v[4:5]
	s_delay_alu instid0(VALU_DEP_3)
	v_cmp_eq_u64_e32 vcc_lo, 0, v[8:9]
	s_or_b32 s10, vcc_lo, s10
	v_lshl_add_u64 v[28:29], v[28:29], 2, s[34:35]
	v_lshl_add_u64 v[30:31], v[30:31], 2, s[34:35]
	s_clause 0x1
	global_load_b32 v24, v[28:29], off
	global_load_b32 v11, v[30:31], off
	s_wait_loadcnt 0x1
	ds_store_2addr_b32 v23, v10, v24 offset1:1
	s_wait_loadcnt 0x0
	v_dual_mov_b32 v10, v11 :: v_dual_add_nc_u32 v23, 8, v23
	s_wait_xcnt 0x0
	s_and_not1_b32 exec_lo, exec_lo, s10
	s_cbranch_execnz .LBB150_38
; %bb.39:                               ;   in Loop: Header=BB150_18 Depth=1
	s_or_b32 exec_lo, exec_lo, s10
	v_add_nc_u64_e32 v[4:5], v[2:3], v[18:19]
	v_mov_b64_e32 v[6:7], v[20:21]
	v_readlane_b32 s10, v45, 13
	v_mov_b32_e32 v10, v11
	s_or_not1_b32 s10, s10, exec_lo
	v_add_nc_u64_e32 v[8:9], -1, v[4:5]
.LBB150_40:                             ;   in Loop: Header=BB150_18 Depth=1
	s_or_b32 exec_lo, exec_lo, s9
	s_and_saveexec_b32 s9, s10
	s_cbranch_execz .LBB150_44
; %bb.41:                               ;   in Loop: Header=BB150_18 Depth=1
	s_sub_nc_u64 s[10:11], 0, s[28:29]
	s_mov_b32 s12, 0
.LBB150_42:                             ;   Parent Loop BB150_18 Depth=1
                                        ; =>  This Inner Loop Header: Depth=2
	v_mov_b64_e32 v[8:9], v[4:5]
	s_delay_alu instid0(VALU_DEP_1) | instskip(NEXT) | instid1(VALU_DEP_1)
	v_mul_u64_e32 v[4:5], s[30:31], v[8:9]
	v_lshl_add_u64 v[4:5], v[4:5], 2, s[34:35]
	global_load_b32 v11, v[4:5], off
	s_wait_xcnt 0x0
	v_add_nc_u64_e32 v[4:5], s[28:29], v[8:9]
	v_lshlrev_b32_e32 v2, 2, v6
	v_mov_b64_e32 v[6:7], v[8:9]
	s_wait_loadcnt 0x1
	ds_store_b32 v2, v10
	v_cmp_le_u64_e32 vcc_lo, s[36:37], v[4:5]
	s_or_b32 s12, vcc_lo, s12
	s_wait_loadcnt 0x0
	v_mov_b32_e32 v10, v11
	s_and_not1_b32 exec_lo, exec_lo, s12
	s_cbranch_execnz .LBB150_42
; %bb.43:                               ;   in Loop: Header=BB150_18 Depth=1
	s_or_b32 exec_lo, exec_lo, s12
	v_add_nc_u64_e32 v[8:9], s[10:11], v[4:5]
.LBB150_44:                             ;   in Loop: Header=BB150_18 Depth=1
	s_or_b32 exec_lo, exec_lo, s9
	s_wait_loadcnt 0x0
	v_mov_b32_e32 v10, v11
.LBB150_45:                             ;   in Loop: Header=BB150_18 Depth=1
	s_or_b32 exec_lo, exec_lo, s8
	s_delay_alu instid0(VALU_DEP_2)
	v_lshlrev_b32_e32 v2, 2, v8
	s_wait_loadcnt 0x0
	ds_store_b32 v2, v10
.LBB150_46:                             ;   in Loop: Header=BB150_18 Depth=1
	s_or_b32 exec_lo, exec_lo, s7
	s_wait_dscnt 0x0
	s_barrier_signal -1
	s_barrier_wait -1
	s_and_saveexec_b32 s7, s5
; %bb.47:                               ;   in Loop: Header=BB150_18 Depth=1
	v_mov_b64_e32 v[4:5], s[36:37]
	ds_store_b64 v3, v[4:5] offset:5120
; %bb.48:                               ;   in Loop: Header=BB150_18 Depth=1
	s_or_b32 exec_lo, exec_lo, s7
	s_mov_b32 s8, -1
	s_wait_dscnt 0x0
	s_barrier_signal -1
	s_barrier_wait -1
.LBB150_49:                             ;   in Loop: Header=BB150_18 Depth=1
	s_and_b32 vcc_lo, exec_lo, s8
	s_mov_b64 s[82:83], 0
	s_cbranch_vccz .LBB150_51
; %bb.50:                               ;   in Loop: Header=BB150_18 Depth=1
	ds_load_b64 v[4:5], v3 offset:5120
	s_wait_dscnt 0x0
	v_readfirstlane_b32 s82, v4
	v_readfirstlane_b32 s83, v5
.LBB150_51:                             ;   in Loop: Header=BB150_18 Depth=1
	s_delay_alu instid0(VALU_DEP_2)
	s_cmp_lt_i32 s82, 1
	s_mov_b32 s7, -1
                                        ; implicit-def: $vgpr4_vgpr5
                                        ; implicit-def: $vgpr8_vgpr9
	s_cbranch_scc1 .LBB150_61
; %bb.52:                               ;   in Loop: Header=BB150_18 Depth=1
	s_and_b32 vcc_lo, exec_lo, s7
	s_cbranch_vccnz .LBB150_75
.LBB150_53:                             ;   in Loop: Header=BB150_18 Depth=1
	s_lshl_b32 s7, s70, 7
	s_and_saveexec_b32 s8, s2
	s_cbranch_execz .LBB150_55
.LBB150_54:                             ;   in Loop: Header=BB150_18 Depth=1
	v_lshl_add_u32 v2, s7, 3, v33
	ds_store_b128 v2, v[4:7]
	ds_store_b128 v2, v[8:11] offset:16
.LBB150_55:                             ;   in Loop: Header=BB150_18 Depth=1
	s_or_b32 exec_lo, exec_lo, s8
	s_wait_dscnt 0x0
	s_barrier_signal -1
	s_barrier_wait -1
	s_and_saveexec_b32 s8, s96
	s_cbranch_execz .LBB150_89
; %bb.56:                               ;   in Loop: Header=BB150_18 Depth=1
	v_mov_b64_e32 v[4:5], 0
	s_and_not1_b32 vcc_lo, exec_lo, s98
	s_cbranch_vccnz .LBB150_88
; %bb.57:                               ;   in Loop: Header=BB150_18 Depth=1
	v_mov_b64_e32 v[4:5], 0
	s_and_not1_b32 vcc_lo, exec_lo, s100
	s_cbranch_vccnz .LBB150_85
; %bb.58:                               ;   in Loop: Header=BB150_18 Depth=1
	v_lshl_add_u32 v2, s70, 10, v36
	s_mov_b32 s9, 0
.LBB150_59:                             ;   Parent Loop BB150_18 Depth=1
                                        ; =>  This Inner Loop Header: Depth=2
	ds_load_2addr_b64 v[6:9], v2 offset1:4
	ds_load_2addr_b64 v[28:31], v2 offset0:8 offset1:12
	s_add_co_i32 s9, s9, 8
	s_delay_alu instid0(SALU_CYCLE_1) | instskip(SKIP_2) | instid1(VALU_DEP_1)
	s_cmp_eq_u32 s101, s9
	s_wait_dscnt 0x1
	v_add_nc_u64_e32 v[4:5], v[6:7], v[4:5]
	v_add_nc_u64_e32 v[8:9], v[8:9], v[4:5]
	ds_load_2addr_b64 v[4:7], v2 offset0:16 offset1:20
	s_wait_dscnt 0x1
	v_add_nc_u64_e32 v[8:9], v[28:29], v[8:9]
	s_delay_alu instid0(VALU_DEP_1) | instskip(SKIP_4) | instid1(VALU_DEP_1)
	v_add_nc_u64_e32 v[28:29], v[30:31], v[8:9]
	ds_load_2addr_b64 v[8:11], v2 offset0:24 offset1:28
	v_add_nc_u32_e32 v2, 0x100, v2
	s_wait_dscnt 0x1
	v_add_nc_u64_e32 v[4:5], v[4:5], v[28:29]
	v_add_nc_u64_e32 v[4:5], v[6:7], v[4:5]
	s_wait_dscnt 0x0
	s_delay_alu instid0(VALU_DEP_1) | instskip(NEXT) | instid1(VALU_DEP_1)
	v_add_nc_u64_e32 v[4:5], v[8:9], v[4:5]
	v_add_nc_u64_e32 v[4:5], v[10:11], v[4:5]
	s_cbranch_scc0 .LBB150_59
; %bb.60:                               ;   in Loop: Header=BB150_18 Depth=1
	s_mov_b32 s9, s101
	s_and_not1_b32 vcc_lo, exec_lo, s102
	s_cbranch_vccz .LBB150_86
	s_branch .LBB150_88
.LBB150_61:                             ;   in Loop: Header=BB150_18 Depth=1
	global_load_u16 v2, v3, s[80:81]
	s_mov_b32 s21, s29
	s_wait_loadcnt 0x0
	v_readfirstlane_b32 s7, v2
	s_and_b32 s7, 0xffff, s7
	s_delay_alu instid0(SALU_CYCLE_1)
	s_lshl_b32 s20, s7, 2
	s_cmp_lg_u64 s[78:79], 0
	s_cbranch_scc0 .LBB150_84
; %bb.62:                               ;   in Loop: Header=BB150_18 Depth=1
	s_cvt_f32_u32 s7, s20
	s_sub_nc_u64 s[10:11], 0, s[20:21]
	s_delay_alu instid0(SALU_CYCLE_2) | instskip(NEXT) | instid1(SALU_CYCLE_3)
	s_fmamk_f32 s7, s104, 0x0, s7
	v_s_rcp_f32 s7, s7
	s_delay_alu instid0(TRANS32_DEP_1) | instskip(NEXT) | instid1(SALU_CYCLE_3)
	s_mul_f32 s7, s7, 0x5f7ffffc
	s_mul_f32 s8, s7, 0x2f800000
	s_delay_alu instid0(SALU_CYCLE_3) | instskip(NEXT) | instid1(SALU_CYCLE_3)
	s_trunc_f32 s8, s8
	s_fmamk_f32 s7, s8, 0xcf800000, s7
	s_cvt_u32_f32 s9, s8
	s_delay_alu instid0(SALU_CYCLE_2) | instskip(NEXT) | instid1(SALU_CYCLE_3)
	s_cvt_u32_f32 s8, s7
	s_mul_u64 s[12:13], s[10:11], s[8:9]
	s_delay_alu instid0(SALU_CYCLE_1)
	s_mul_hi_u32 s15, s8, s13
	s_mul_i32 s14, s8, s13
	s_mul_hi_u32 s28, s8, s12
	s_mul_i32 s16, s9, s12
	s_add_nc_u64 s[14:15], s[28:29], s[14:15]
	s_mul_hi_u32 s7, s9, s12
	s_mul_hi_u32 s17, s9, s13
	s_mul_i32 s12, s9, s13
	s_add_co_u32 s13, s14, s16
	s_add_co_ci_u32 s28, s15, s7
	s_add_co_ci_u32 s13, s17, 0
	s_delay_alu instid0(SALU_CYCLE_1) | instskip(NEXT) | instid1(SALU_CYCLE_1)
	s_add_nc_u64 s[12:13], s[28:29], s[12:13]
	s_add_co_u32 s8, s8, s12
	s_cselect_b32 s7, -1, 0
	s_delay_alu instid0(SALU_CYCLE_1) | instskip(SKIP_1) | instid1(SALU_CYCLE_1)
	s_cmp_lg_u32 s7, 0
	s_add_co_ci_u32 s9, s9, s13
	s_mul_u64 s[10:11], s[10:11], s[8:9]
	s_delay_alu instid0(SALU_CYCLE_1)
	s_mul_hi_u32 s13, s8, s11
	s_mul_i32 s12, s8, s11
	s_mul_hi_u32 s28, s8, s10
	s_mul_i32 s14, s9, s10
	s_add_nc_u64 s[12:13], s[28:29], s[12:13]
	s_mul_hi_u32 s7, s9, s10
	s_mul_hi_u32 s15, s9, s11
	s_mul_i32 s10, s9, s11
	s_add_co_u32 s11, s12, s14
	s_add_co_ci_u32 s28, s13, s7
	s_add_co_ci_u32 s11, s15, 0
	s_delay_alu instid0(SALU_CYCLE_1) | instskip(NEXT) | instid1(SALU_CYCLE_1)
	s_add_nc_u64 s[10:11], s[28:29], s[10:11]
	s_add_co_u32 s7, s8, s10
	s_cselect_b32 s8, -1, 0
	s_mul_hi_u32 s28, s36, s7
	s_cmp_lg_u32 s8, 0
	s_mul_hi_u32 s12, s37, s7
	s_add_co_ci_u32 s10, s9, s11
	s_mul_i32 s7, s37, s7
	s_mul_hi_u32 s9, s36, s10
	s_mul_i32 s8, s36, s10
	s_mul_hi_u32 s11, s37, s10
	s_add_nc_u64 s[8:9], s[28:29], s[8:9]
	s_mul_i32 s10, s37, s10
	s_add_co_u32 s7, s8, s7
	s_add_co_ci_u32 s28, s9, s12
	s_add_co_ci_u32 s11, s11, 0
	s_delay_alu instid0(SALU_CYCLE_1) | instskip(NEXT) | instid1(SALU_CYCLE_1)
	s_add_nc_u64 s[8:9], s[28:29], s[10:11]
	s_and_b64 s[10:11], s[8:9], 0xffffffff00000000
	s_delay_alu instid0(SALU_CYCLE_1) | instskip(NEXT) | instid1(SALU_CYCLE_1)
	s_or_b32 s10, s10, s8
	s_mul_u64 s[8:9], s[20:21], s[10:11]
	s_delay_alu instid0(SALU_CYCLE_1) | instskip(SKIP_1) | instid1(SALU_CYCLE_1)
	s_sub_co_u32 s7, s36, s8
	s_cselect_b32 s8, -1, 0
	s_cmp_lg_u32 s8, 0
	s_sub_co_ci_u32 s8, s37, s9
	s_sub_co_u32 s9, s7, s20
	s_cselect_b32 s10, -1, 0
	s_delay_alu instid0(SALU_CYCLE_1) | instskip(SKIP_3) | instid1(SALU_CYCLE_1)
	s_cmp_lg_u32 s10, 0
	s_sub_co_ci_u32 s10, s8, 0
	s_sub_co_u32 s11, s9, s20
	s_cselect_b32 s12, -1, 0
	s_cmp_lg_u32 s12, 0
	s_sub_co_ci_u32 s12, s10, 0
	s_cmp_ge_u32 s9, s20
	s_cselect_b32 s13, -1, 0
	s_cmp_eq_u32 s10, 0
	s_cselect_b32 s13, s13, -1
	s_delay_alu instid0(SALU_CYCLE_1)
	s_cmp_lg_u32 s13, 0
	s_cselect_b32 s10, s12, s10
	s_cselect_b32 s9, s11, s9
	s_cmp_ge_u32 s7, s20
	s_cselect_b32 s11, -1, 0
	s_cmp_eq_u32 s8, 0
	s_cselect_b32 s11, s11, -1
	s_delay_alu instid0(SALU_CYCLE_1)
	s_cmp_lg_u32 s11, 0
	s_cselect_b32 s11, s10, s8
	s_cselect_b32 s10, s9, s7
	s_cbranch_execnz .LBB150_64
.LBB150_63:                             ;   in Loop: Header=BB150_18 Depth=1
	v_cvt_f32_u32_e32 v4, s20
	s_sub_co_i32 s8, 0, s20
	s_delay_alu instid0(VALU_DEP_1) | instskip(SKIP_1) | instid1(TRANS32_DEP_1)
	v_rcp_iflag_f32_e32 v4, v4
	v_nop
	v_mul_f32_e32 v4, 0x4f7ffffe, v4
	s_delay_alu instid0(VALU_DEP_1) | instskip(NEXT) | instid1(VALU_DEP_1)
	v_cvt_u32_f32_e32 v4, v4
	v_readfirstlane_b32 s7, v4
	s_mul_i32 s8, s8, s7
	s_delay_alu instid0(SALU_CYCLE_1) | instskip(NEXT) | instid1(SALU_CYCLE_1)
	s_mul_hi_u32 s8, s7, s8
	s_add_co_i32 s7, s7, s8
	s_delay_alu instid0(SALU_CYCLE_1) | instskip(NEXT) | instid1(SALU_CYCLE_1)
	s_mul_hi_u32 s7, s36, s7
	s_mul_i32 s7, s7, s20
	s_delay_alu instid0(SALU_CYCLE_1) | instskip(NEXT) | instid1(SALU_CYCLE_1)
	s_sub_co_i32 s7, s36, s7
	s_sub_co_i32 s8, s7, s20
	s_cmp_ge_u32 s7, s20
	s_cselect_b32 s7, s8, s7
	s_delay_alu instid0(SALU_CYCLE_1) | instskip(SKIP_2) | instid1(SALU_CYCLE_1)
	s_sub_co_i32 s8, s7, s20
	s_cmp_ge_u32 s7, s20
	s_cselect_b32 s28, s8, s7
	s_mov_b64 s[10:11], s[28:29]
.LBB150_64:                             ;   in Loop: Header=BB150_18 Depth=1
	v_mov_b64_e32 v[4:5], 0
	v_mov_b64_e32 v[6:7], 0
	;; [unrolled: 1-line block ×4, first 2 shown]
	s_sub_nc_u64 s[22:23], s[36:37], s[10:11]
	s_mov_b32 s7, exec_lo
	v_cmpx_gt_u64_e64 s[22:23], v[16:17]
	s_cbranch_execz .LBB150_68
; %bb.65:                               ;   in Loop: Header=BB150_18 Depth=1
	v_mov_b64_e32 v[28:29], v[16:17]
	s_mov_b64 s[24:25], 0
	s_mov_b32 s8, 0
	s_mov_b64 s[26:27], 0
	s_mov_b64 s[84:85], 0
	;; [unrolled: 1-line block ×3, first 2 shown]
.LBB150_66:                             ;   Parent Loop BB150_18 Depth=1
                                        ; =>  This Inner Loop Header: Depth=2
	s_delay_alu instid0(VALU_DEP_1) | instskip(SKIP_2) | instid1(VALU_DEP_1)
	v_mul_u64_e32 v[4:5], s[30:31], v[28:29]
	s_lshl_b64 s[10:11], s[30:31], 2
	v_add_nc_u64_e32 v[28:29], s[20:21], v[28:29]
	v_cmp_le_u64_e32 vcc_lo, s[22:23], v[28:29]
	s_delay_alu instid0(VALU_DEP_3)
	v_lshl_add_u64 v[4:5], v[4:5], 2, s[34:35]
	global_load_b32 v6, v[4:5], off
	s_wait_xcnt 0x0
	v_add_nc_u64_e32 v[4:5], s[10:11], v[4:5]
	global_load_b32 v7, v[4:5], off
	s_wait_xcnt 0x0
	v_add_nc_u64_e32 v[4:5], s[10:11], v[4:5]
	;; [unrolled: 3-line block ×3, first 2 shown]
	global_load_b32 v4, v[4:5], off
	s_wait_loadcnt 0x3
	s_wait_xcnt 0x0
	v_xor_b32_e32 v5, 0x80000000, v6
	v_bitop3_b32 v6, v6, v37, 0x80000000 bitop3:0x48
	s_delay_alu instid0(VALU_DEP_2) | instskip(NEXT) | instid1(VALU_DEP_2)
	v_bfe_u32 v5, v5, vcc_hi, 2
	v_cmp_eq_u32_e64 s9, v6, v34
	s_wait_loadcnt 0x2
	v_xor_b32_e32 v6, 0x80000000, v7
	v_bitop3_b32 v7, v7, v37, 0x80000000 bitop3:0x48
	v_cmp_eq_u32_e64 s10, 0, v5
	v_cmp_eq_u32_e64 s11, 1, v5
	;; [unrolled: 1-line block ×4, first 2 shown]
	v_bfe_u32 v5, v6, vcc_hi, 2
	s_and_b32 s10, s9, s10
	v_cmp_eq_u32_e64 s14, v7, v34
	s_wait_loadcnt 0x1
	v_xor_b32_e32 v6, 0x80000000, v8
	v_bitop3_b32 v7, v8, v37, 0x80000000 bitop3:0x48
	v_cndmask_b32_e64 v8, 0, 1, s10
	s_and_b32 s10, s9, s11
	v_cmp_eq_u32_e64 s11, 2, v5
	v_cndmask_b32_e64 v9, 0, 1, s10
	s_and_b32 s10, s9, s12
	s_and_b32 s9, s9, s13
	v_cndmask_b32_e64 v10, 0, 1, s10
	v_cndmask_b32_e64 v11, 0, 1, s9
	v_cmp_eq_u32_e64 s9, 0, v5
	v_cmp_eq_u32_e64 s10, 1, v5
	;; [unrolled: 1-line block ×4, first 2 shown]
	v_bfe_u32 v5, v6, vcc_hi, 2
	s_and_b32 s9, s14, s9
	v_cmp_ne_u32_e64 s15, 0, v8
	v_cndmask_b32_e64 v7, 0, 1, s9
	s_and_b32 s9, s14, s10
	v_cmp_ne_u32_e64 s16, 0, v9
	v_cndmask_b32_e64 v8, 0, 1, s9
	s_and_b32 s9, s14, s11
	v_cmp_ne_u32_e64 s17, 0, v10
	v_cndmask_b32_e64 v9, 0, 1, s9
	s_and_b32 s9, s14, s12
	v_cmp_eq_u32_e64 s10, 1, v5
	v_cndmask_b32_e64 v10, 0, 1, s9
	v_cmp_eq_u32_e64 s9, 0, v5
	s_wait_loadcnt 0x0
	v_xor_b32_e32 v6, 0x80000000, v4
	v_bitop3_b32 v4, v4, v37, 0x80000000 bitop3:0x48
	v_cmp_eq_u32_e64 s11, 2, v5
	v_cmp_eq_u32_e64 s12, 3, v5
	s_and_b32 s9, s13, s9
	v_cmp_ne_u32_e64 s18, 0, v11
	v_cndmask_b32_e64 v5, 0, 1, s9
	s_and_b32 s9, s13, s10
	v_cmp_eq_u32_e64 s14, v4, v34
	v_bfe_u32 v4, v6, vcc_hi, 2
	v_cndmask_b32_e64 v6, 0, 1, s9
	s_and_b32 s9, s13, s11
	s_bcnt1_i32_b32 s19, s15
	v_cmp_ne_u32_e64 s15, 0, v7
	v_cndmask_b32_e64 v7, 0, 1, s9
	s_and_b32 s9, s13, s12
	s_bcnt1_i32_b32 s28, s16
	v_cmp_ne_u32_e64 s16, 0, v8
	v_cndmask_b32_e64 v8, 0, 1, s9
	v_cmp_eq_u32_e64 s9, 0, v4
	v_cmp_eq_u32_e64 s10, 1, v4
	s_bcnt1_i32_b32 s40, s17
	s_bcnt1_i32_b32 s41, s18
	v_cmp_ne_u32_e64 s17, 0, v9
	v_cmp_ne_u32_e64 s18, 0, v10
	v_cmp_eq_u32_e64 s11, 2, v4
	s_and_b32 s9, s14, s9
	v_cmp_eq_u32_e64 s12, 3, v4
	s_bcnt1_i32_b32 s13, s15
	v_cndmask_b32_e64 v4, 0, 1, s9
	s_and_b32 s9, s14, s10
	s_bcnt1_i32_b32 s15, s16
	s_bcnt1_i32_b32 s16, s17
	;; [unrolled: 1-line block ×3, first 2 shown]
	s_add_co_i32 s18, s13, s19
	v_cmp_ne_u32_e64 s13, 0, v5
	v_cndmask_b32_e64 v5, 0, 1, s9
	s_and_b32 s9, s14, s11
	s_add_co_i32 s19, s15, s28
	v_cmp_ne_u32_e64 s15, 0, v6
	v_cndmask_b32_e64 v6, 0, 1, s9
	s_and_b32 s9, s14, s12
	s_add_co_i32 s28, s16, s40
	v_cmp_ne_u32_e64 s16, 0, v7
	v_cndmask_b32_e64 v7, 0, 1, s9
	s_bcnt1_i32_b32 s9, s13
	s_bcnt1_i32_b32 s10, s15
	s_add_co_i32 s14, s18, s9
	v_cmp_ne_u32_e64 s9, 0, v4
	s_bcnt1_i32_b32 s11, s16
	s_add_co_i32 s15, s19, s10
	v_cmp_ne_u32_e64 s10, 0, v5
	s_add_co_i32 s40, s17, s41
	v_cmp_ne_u32_e64 s17, 0, v8
	;; [unrolled: 2-line block ×3, first 2 shown]
	s_bcnt1_i32_b32 s9, s9
	v_cmp_ne_u32_e64 s12, 0, v7
	s_bcnt1_i32_b32 s10, s10
	s_add_co_i32 s28, s14, s9
	s_bcnt1_i32_b32 s13, s17
	s_bcnt1_i32_b32 s11, s11
	s_add_nc_u64 s[86:87], s[86:87], s[28:29]
	s_add_co_i32 s28, s15, s10
	s_add_co_i32 s13, s40, s13
	s_bcnt1_i32_b32 s12, s12
	s_add_nc_u64 s[84:85], s[84:85], s[28:29]
	s_add_co_i32 s28, s16, s11
	v_mov_b64_e32 v[4:5], s[86:87]
	s_add_nc_u64 s[26:27], s[26:27], s[28:29]
	s_add_co_i32 s28, s13, s12
	v_mov_b64_e32 v[6:7], s[84:85]
	s_add_nc_u64 s[24:25], s[24:25], s[28:29]
	v_mov_b64_e32 v[8:9], s[26:27]
	v_mov_b64_e32 v[10:11], s[24:25]
	s_or_b32 s8, vcc_lo, s8
	s_delay_alu instid0(SALU_CYCLE_1)
	s_and_not1_b32 exec_lo, exec_lo, s8
	s_cbranch_execnz .LBB150_66
; %bb.67:                               ;   in Loop: Header=BB150_18 Depth=1
	s_or_b32 exec_lo, exec_lo, s8
.LBB150_68:                             ;   in Loop: Header=BB150_18 Depth=1
	s_delay_alu instid0(SALU_CYCLE_1) | instskip(SKIP_3) | instid1(VALU_DEP_2)
	s_or_b32 exec_lo, exec_lo, s7
	v_add_nc_u64_e32 v[28:29], s[22:23], v[0:1]
	v_and_b32_e32 v2, 0xffff, v2
	s_mov_b32 s7, exec_lo
	v_cmpx_gt_u64_e64 s[36:37], v[28:29]
	s_cbranch_execz .LBB150_74
; %bb.69:                               ;   in Loop: Header=BB150_18 Depth=1
	v_mul_u64_e32 v[30:31], s[30:31], v[28:29]
	s_mov_b32 s8, 0
	s_delay_alu instid0(VALU_DEP_1)
	v_lshl_add_u64 v[30:31], v[30:31], 2, s[34:35]
	global_load_b32 v24, v[30:31], off
	s_branch .LBB150_71
.LBB150_70:                             ;   in Loop: Header=BB150_71 Depth=2
	s_wait_xcnt 0x0
	s_or_b32 exec_lo, exec_lo, s10
	s_wait_loadcnt 0x0
	v_xor_b32_e32 v30, 0x80000000, v24
	v_bitop3_b32 v24, v24, v37, 0x80000000 bitop3:0x48
	s_and_b32 s11, exec_lo, vcc_lo
	s_delay_alu instid0(SALU_CYCLE_1) | instskip(NEXT) | instid1(VALU_DEP_2)
	s_or_b32 s8, s11, s8
	v_bfe_u32 v30, v30, vcc_hi, 2
	s_delay_alu instid0(VALU_DEP_2) | instskip(NEXT) | instid1(VALU_DEP_2)
	v_cmp_eq_u32_e64 s9, v24, v34
	v_cmp_eq_u32_e64 s10, 0, v30
	v_cmp_eq_u32_e32 vcc_lo, 1, v30
	s_and_b32 s10, s9, s10
	s_and_b32 s11, s9, vcc_lo
	v_cndmask_b32_e64 v24, 0, 1, s10
	v_cmp_eq_u32_e64 s10, 2, v30
	v_cmp_eq_u32_e32 vcc_lo, 3, v30
	v_cndmask_b32_e64 v31, 0, 1, s11
	s_delay_alu instid0(VALU_DEP_4)
	v_cmp_ne_u32_e64 s11, 0, v24
	s_and_b32 s10, s9, s10
	s_and_b32 s9, s9, vcc_lo
	v_cndmask_b32_e64 v24, 0, 1, s10
	v_cndmask_b32_e64 v30, 0, 1, s9
	v_cmp_ne_u32_e64 s10, 0, v31
	s_bcnt1_i32_b32 s28, s11
	v_cmp_ne_u32_e32 vcc_lo, 0, v24
	v_cmp_ne_u32_e64 s9, 0, v30
	v_add_nc_u64_e32 v[4:5], s[28:29], v[4:5]
	s_bcnt1_i32_b32 s28, s10
	v_mov_b32_e32 v24, v23
	v_add_nc_u64_e32 v[6:7], s[28:29], v[6:7]
	s_bcnt1_i32_b32 s28, vcc_lo
	s_delay_alu instid0(SALU_CYCLE_1) | instskip(SKIP_1) | instid1(SALU_CYCLE_1)
	v_add_nc_u64_e32 v[8:9], s[28:29], v[8:9]
	s_bcnt1_i32_b32 s28, s9
	v_add_nc_u64_e32 v[10:11], s[28:29], v[10:11]
	s_and_not1_b32 exec_lo, exec_lo, s8
	s_cbranch_execz .LBB150_73
.LBB150_71:                             ;   Parent Loop BB150_18 Depth=1
                                        ; =>  This Inner Loop Header: Depth=2
	v_add_nc_u64_e32 v[28:29], v[28:29], v[2:3]
	v_mov_b32_e32 v23, 0
	s_mov_b32 s10, exec_lo
	s_delay_alu instid0(VALU_DEP_2)
	v_cmp_le_u64_e32 vcc_lo, s[36:37], v[28:29]
	s_wait_xcnt 0x0
	v_cmpx_gt_u64_e64 s[36:37], v[28:29]
	s_cbranch_execz .LBB150_70
; %bb.72:                               ;   in Loop: Header=BB150_71 Depth=2
	v_mul_u64_e32 v[30:31], s[30:31], v[28:29]
	s_delay_alu instid0(VALU_DEP_1)
	v_lshl_add_u64 v[30:31], v[30:31], 2, s[34:35]
	global_load_b32 v23, v[30:31], off
	s_branch .LBB150_70
.LBB150_73:                             ;   in Loop: Header=BB150_18 Depth=1
	s_or_b32 exec_lo, exec_lo, s8
.LBB150_74:                             ;   in Loop: Header=BB150_18 Depth=1
	s_delay_alu instid0(SALU_CYCLE_1)
	s_or_b32 exec_lo, exec_lo, s7
	s_branch .LBB150_53
.LBB150_75:                             ;   in Loop: Header=BB150_18 Depth=1
	global_load_u16 v2, v3, s[80:81]
	s_mov_b32 s87, s29
	v_mov_b64_e32 v[6:7], 0
	v_mov_b64_e32 v[8:9], 0
	;; [unrolled: 1-line block ×3, first 2 shown]
	s_wait_loadcnt 0x0
	v_readfirstlane_b32 s7, v2
	v_and_b32_e32 v2, 0xffff, v2
	s_and_b32 s7, 0xffff, s7
	s_delay_alu instid0(SALU_CYCLE_1) | instskip(NEXT) | instid1(SALU_CYCLE_1)
	s_lshl_b32 s84, s7, 2
	s_cvt_f32_u32 s8, s84
	s_sub_co_i32 s9, 0, s84
	s_delay_alu instid0(SALU_CYCLE_2) | instskip(SKIP_1) | instid1(TRANS32_DEP_1)
	v_rcp_iflag_f32_e32 v4, s8
	v_nop
	v_readfirstlane_b32 s8, v4
	s_mul_f32 s8, s8, 0x4f7ffffe
	s_delay_alu instid0(SALU_CYCLE_3) | instskip(NEXT) | instid1(SALU_CYCLE_3)
	s_cvt_u32_f32 s8, s8
	s_mul_i32 s9, s9, s8
	s_delay_alu instid0(SALU_CYCLE_1) | instskip(NEXT) | instid1(SALU_CYCLE_1)
	s_mul_hi_u32 s9, s8, s9
	s_add_co_i32 s8, s8, s9
	s_delay_alu instid0(SALU_CYCLE_1) | instskip(NEXT) | instid1(SALU_CYCLE_1)
	s_mul_hi_u32 s8, s82, s8
	s_mul_i32 s9, s8, s84
	s_add_co_i32 s10, s8, 1
	s_sub_co_i32 s9, s82, s9
	s_delay_alu instid0(SALU_CYCLE_1)
	s_sub_co_i32 s11, s9, s84
	s_cmp_ge_u32 s9, s84
	s_cselect_b32 s8, s10, s8
	s_cselect_b32 s9, s11, s9
	s_add_co_i32 s10, s8, 1
	s_cmp_ge_u32 s9, s84
	s_cselect_b32 s86, s10, s8
	s_mov_b32 s8, exec_lo
	v_mul_u64_e32 v[4:5], s[86:87], v[2:3]
	s_delay_alu instid0(VALU_DEP_1) | instskip(SKIP_1) | instid1(VALU_DEP_2)
	v_lshlrev_b64_e32 v[28:29], 2, v[4:5]
	v_mov_b64_e32 v[4:5], 0
	v_cmpx_gt_u64_e64 v[28:29], v[16:17]
	s_cbranch_execz .LBB150_79
; %bb.76:                               ;   in Loop: Header=BB150_18 Depth=1
	v_mov_b64_e32 v[30:31], v[16:17]
	v_mov_b32_e32 v23, v35
	s_mov_b32 s85, s29
	s_lshl_b32 s87, s7, 4
	s_mov_b64 s[88:89], 0
	s_mov_b32 s62, 0
	s_mov_b64 s[90:91], 0
	s_mov_b64 s[92:93], 0
	;; [unrolled: 1-line block ×3, first 2 shown]
.LBB150_77:                             ;   Parent Loop BB150_18 Depth=1
                                        ; =>  This Inner Loop Header: Depth=2
	ds_load_b128 v[4:7], v23
	v_add_nc_u64_e32 v[30:31], s[84:85], v[30:31]
	v_add_nc_u32_e32 v23, s87, v23
	s_delay_alu instid0(VALU_DEP_2)
	v_cmp_ge_u64_e32 vcc_lo, v[30:31], v[28:29]
	s_wait_dscnt 0x0
	v_xor_b32_e32 v8, 0x80000000, v4
	v_bitop3_b32 v4, v4, v37, 0x80000000 bitop3:0x48
	v_xor_b32_e32 v9, 0x80000000, v5
	v_bitop3_b32 v5, v5, v37, 0x80000000 bitop3:0x48
	;; [unrolled: 2-line block ×3, first 2 shown]
	v_cmp_eq_u32_e64 s9, v4, v34
	v_bfe_u32 v4, v8, vcc_hi, 2
	v_xor_b32_e32 v11, 0x80000000, v7
	v_cmp_eq_u32_e64 s10, v5, v34
	v_bfe_u32 v5, v9, vcc_hi, 2
	v_cmp_eq_u32_e64 s11, v6, v34
	v_bfe_u32 v6, v10, vcc_hi, 2
	v_cmp_eq_u32_e64 s13, 0, v4
	v_bitop3_b32 v7, v7, v37, 0x80000000 bitop3:0x48
	v_bfe_u32 v8, v11, vcc_hi, 2
	v_cmp_eq_u32_e64 s14, 0, v5
	v_cmp_eq_u32_e64 s15, 0, v6
	s_and_b32 s13, s9, s13
	v_cmp_eq_u32_e64 s12, v7, v34
	v_cmp_eq_u32_e64 s16, 0, v8
	;; [unrolled: 1-line block ×5, first 2 shown]
	v_cndmask_b32_e64 v4, 0, 1, s13
	s_and_b32 s13, s10, s14
	v_cmp_eq_u32_e64 s18, 1, v5
	v_cmp_eq_u32_e64 s22, 2, v5
	;; [unrolled: 1-line block ×3, first 2 shown]
	v_cndmask_b32_e64 v5, 0, 1, s13
	s_and_b32 s13, s11, s15
	v_cmp_eq_u32_e64 s19, 1, v6
	v_cmp_eq_u32_e64 s23, 2, v6
	;; [unrolled: 1-line block ×3, first 2 shown]
	v_cndmask_b32_e64 v6, 0, 1, s13
	s_and_b32 s13, s12, s16
	v_cmp_eq_u32_e64 s20, 1, v8
	v_cndmask_b32_e64 v7, 0, 1, s13
	s_and_b32 s13, s9, s17
	v_cmp_eq_u32_e64 s24, 2, v8
	v_cmp_eq_u32_e64 s28, 3, v8
	v_cndmask_b32_e64 v8, 0, 1, s13
	s_and_b32 s13, s10, s18
	s_delay_alu instid0(SALU_CYCLE_1) | instskip(SKIP_1) | instid1(SALU_CYCLE_1)
	v_cndmask_b32_e64 v9, 0, 1, s13
	s_and_b32 s13, s11, s19
	v_cndmask_b32_e64 v10, 0, 1, s13
	s_and_b32 s13, s12, s20
	s_delay_alu instid0(VALU_DEP_2)
	v_cmp_ne_u32_e64 s14, 0, v9
	v_cndmask_b32_e64 v11, 0, 1, s13
	s_and_b32 s13, s9, s21
	s_and_b32 s9, s9, s25
	v_cndmask_b32_e64 v24, 0, 1, s13
	v_cndmask_b32_e64 v41, 0, 1, s9
	s_and_b32 s9, s10, s26
	s_and_b32 s13, s10, s22
	v_cndmask_b32_e64 v42, 0, 1, s9
	s_and_b32 s9, s11, s27
	v_cndmask_b32_e64 v38, 0, 1, s13
	s_and_b32 s13, s11, s23
	v_cndmask_b32_e64 v43, 0, 1, s9
	s_and_b32 s9, s12, s28
	v_cndmask_b32_e64 v39, 0, 1, s13
	s_and_b32 s13, s12, s24
	v_cndmask_b32_e64 v44, 0, 1, s9
	v_cmp_ne_u32_e64 s9, 0, v4
	v_cmp_ne_u32_e64 s10, 0, v5
	v_cndmask_b32_e64 v40, 0, 1, s13
	v_cmp_ne_u32_e64 s11, 0, v6
	v_cmp_ne_u32_e64 s13, 0, v8
	v_cmp_ne_u32_e64 s12, 0, v7
	v_cmp_ne_u32_e64 s15, 0, v10
	v_cmp_ne_u32_e64 s17, 0, v24
	v_cmp_ne_u32_e64 s18, 0, v38
	s_bcnt1_i32_b32 s9, s9
	s_bcnt1_i32_b32 s10, s10
	v_cmp_ne_u32_e64 s16, 0, v11
	v_cmp_ne_u32_e64 s19, 0, v39
	;; [unrolled: 1-line block ×4, first 2 shown]
	s_bcnt1_i32_b32 s11, s11
	s_bcnt1_i32_b32 s13, s13
	;; [unrolled: 1-line block ×3, first 2 shown]
	s_add_co_i32 s9, s10, s9
	v_cmp_ne_u32_e64 s20, 0, v40
	v_cmp_ne_u32_e64 s23, 0, v43
	s_bcnt1_i32_b32 s12, s12
	s_bcnt1_i32_b32 s15, s15
	;; [unrolled: 1-line block ×4, first 2 shown]
	s_add_co_i32 s10, s14, s13
	s_add_co_i32 s9, s9, s11
	v_cmp_ne_u32_e64 s24, 0, v44
	s_bcnt1_i32_b32 s16, s16
	s_bcnt1_i32_b32 s19, s19
	;; [unrolled: 1-line block ×4, first 2 shown]
	s_add_co_i32 s13, s18, s17
	s_add_co_i32 s10, s10, s15
	s_add_co_i32 s28, s9, s12
	s_bcnt1_i32_b32 s20, s20
	s_bcnt1_i32_b32 s23, s23
	s_add_co_i32 s14, s22, s21
	s_add_co_i32 s11, s13, s19
	s_add_nc_u64 s[94:95], s[94:95], s[28:29]
	s_add_co_i32 s28, s10, s16
	s_bcnt1_i32_b32 s24, s24
	s_add_co_i32 s13, s14, s23
	s_add_nc_u64 s[92:93], s[92:93], s[28:29]
	s_add_co_i32 s28, s11, s20
	v_mov_b64_e32 v[4:5], s[94:95]
	s_add_nc_u64 s[90:91], s[90:91], s[28:29]
	s_add_co_i32 s28, s13, s24
	v_mov_b64_e32 v[6:7], s[92:93]
	s_add_nc_u64 s[88:89], s[88:89], s[28:29]
	v_mov_b64_e32 v[8:9], s[90:91]
	v_mov_b64_e32 v[10:11], s[88:89]
	s_or_b32 s62, vcc_lo, s62
	s_delay_alu instid0(SALU_CYCLE_1)
	s_and_not1_b32 exec_lo, exec_lo, s62
	s_cbranch_execnz .LBB150_77
; %bb.78:                               ;   in Loop: Header=BB150_18 Depth=1
	s_or_b32 exec_lo, exec_lo, s62
.LBB150_79:                             ;   in Loop: Header=BB150_18 Depth=1
	s_delay_alu instid0(SALU_CYCLE_1) | instskip(SKIP_3) | instid1(VALU_DEP_1)
	s_or_b32 exec_lo, exec_lo, s8
	v_add_nc_u64_e32 v[28:29], v[28:29], v[0:1]
	s_and_b64 s[14:15], s[82:83], 0x7fffffff
	s_mov_b32 s8, exec_lo
	v_cmpx_gt_u64_e64 s[14:15], v[28:29]
	s_cbranch_execz .LBB150_83
; %bb.80:                               ;   in Loop: Header=BB150_18 Depth=1
	s_mul_i32 s7, s86, s7
	s_delay_alu instid0(SALU_CYCLE_1)
	v_lshl_add_u32 v23, s7, 4, v16
	s_mov_b32 s7, 0
.LBB150_81:                             ;   Parent Loop BB150_18 Depth=1
                                        ; =>  This Inner Loop Header: Depth=2
	ds_load_b32 v24, v23
	v_add_nc_u64_e32 v[28:29], v[28:29], v[2:3]
	v_add_nc_u32_e32 v23, s84, v23
	s_delay_alu instid0(VALU_DEP_2) | instskip(SKIP_3) | instid1(VALU_DEP_2)
	v_cmp_le_u64_e32 vcc_lo, s[14:15], v[28:29]
	s_wait_dscnt 0x0
	v_xor_b32_e32 v30, 0x80000000, v24
	v_bitop3_b32 v24, v24, v37, 0x80000000 bitop3:0x48
	v_bfe_u32 v30, v30, vcc_hi, 2
	s_delay_alu instid0(VALU_DEP_2) | instskip(NEXT) | instid1(VALU_DEP_2)
	v_cmp_eq_u32_e64 s9, v24, v34
	v_cmp_eq_u32_e64 s10, 0, v30
	;; [unrolled: 1-line block ×5, first 2 shown]
	s_and_b32 s10, s9, s10
	s_delay_alu instid0(SALU_CYCLE_1) | instskip(SKIP_1) | instid1(SALU_CYCLE_1)
	v_cndmask_b32_e64 v24, 0, 1, s10
	s_and_b32 s10, s9, s11
	v_cndmask_b32_e64 v30, 0, 1, s10
	s_and_b32 s10, s9, s12
	s_and_b32 s9, s9, s13
	v_cndmask_b32_e64 v31, 0, 1, s10
	v_cndmask_b32_e64 v38, 0, 1, s9
	v_cmp_ne_u32_e64 s9, 0, v24
	v_cmp_ne_u32_e64 s10, 0, v30
	s_delay_alu instid0(VALU_DEP_4) | instskip(NEXT) | instid1(VALU_DEP_4)
	v_cmp_ne_u32_e64 s11, 0, v31
	v_cmp_ne_u32_e64 s12, 0, v38
	s_bcnt1_i32_b32 s28, s9
	s_delay_alu instid0(SALU_CYCLE_1) | instskip(SKIP_1) | instid1(SALU_CYCLE_1)
	v_add_nc_u64_e32 v[4:5], s[28:29], v[4:5]
	s_bcnt1_i32_b32 s28, s10
	v_add_nc_u64_e32 v[6:7], s[28:29], v[6:7]
	s_bcnt1_i32_b32 s28, s11
	s_delay_alu instid0(SALU_CYCLE_1)
	v_add_nc_u64_e32 v[8:9], s[28:29], v[8:9]
	s_bcnt1_i32_b32 s28, s12
	s_or_b32 s7, vcc_lo, s7
	v_add_nc_u64_e32 v[10:11], s[28:29], v[10:11]
	s_and_not1_b32 exec_lo, exec_lo, s7
	s_cbranch_execnz .LBB150_81
; %bb.82:                               ;   in Loop: Header=BB150_18 Depth=1
	s_or_b32 exec_lo, exec_lo, s7
.LBB150_83:                             ;   in Loop: Header=BB150_18 Depth=1
	s_delay_alu instid0(SALU_CYCLE_1)
	s_or_b32 exec_lo, exec_lo, s8
	s_lshl_b32 s7, s70, 7
	s_and_saveexec_b32 s8, s2
	s_cbranch_execnz .LBB150_54
	s_branch .LBB150_55
.LBB150_84:                             ;   in Loop: Header=BB150_18 Depth=1
                                        ; implicit-def: $sgpr10_sgpr11
	s_branch .LBB150_63
.LBB150_85:                             ;   in Loop: Header=BB150_18 Depth=1
	s_mov_b32 s9, 0
	s_and_not1_b32 vcc_lo, exec_lo, s102
	s_cbranch_vccnz .LBB150_88
.LBB150_86:                             ;   in Loop: Header=BB150_18 Depth=1
	s_lshl_b32 s10, s70, 10
	s_lshl_b32 s9, s9, 5
	s_delay_alu instid0(SALU_CYCLE_1)
	v_add3_u32 v2, s10, s9, v36
	s_mov_b32 s9, s99
.LBB150_87:                             ;   Parent Loop BB150_18 Depth=1
                                        ; =>  This Inner Loop Header: Depth=2
	ds_load_b64 v[6:7], v2
	v_add_nc_u32_e32 v2, 32, v2
	s_add_co_i32 s9, s9, -1
	s_delay_alu instid0(SALU_CYCLE_1)
	s_cmp_lg_u32 s9, 0
	s_wait_dscnt 0x0
	v_add_nc_u64_e32 v[4:5], v[6:7], v[4:5]
	s_cbranch_scc1 .LBB150_87
.LBB150_88:                             ;   in Loop: Header=BB150_18 Depth=1
	v_add_lshl_u32 v2, s7, v13, 3
	ds_store_b64 v2, v[4:5] offset:3072
.LBB150_89:                             ;   in Loop: Header=BB150_18 Depth=1
	s_or_b32 exec_lo, exec_lo, s8
	s_lshl_b32 s7, s7, 3
	s_wait_dscnt 0x0
	v_mov_b32_e32 v2, s7
	s_barrier_signal -1
	s_barrier_wait -1
	v_cmp_eq_u64_e64 s9, 1, v[26:27]
	ds_load_b128 v[4:7], v2 offset:3072
	ds_load_b128 v[8:11], v2 offset:3088
	s_lshl_b32 s24, 3, vcc_hi
	s_mov_b32 s85, -1
	s_not_b32 s26, s24
	s_mov_b32 s25, 0
	s_and_not1_b32 vcc_lo, exec_lo, s97
	s_mov_b32 s82, 0
	s_mov_b32 s27, 0
                                        ; implicit-def: $sgpr83
                                        ; implicit-def: $sgpr84
                                        ; implicit-def: $vgpr2
	s_wait_dscnt 0x1
	v_readfirstlane_b32 s13, v5
	v_readfirstlane_b32 s12, v4
	;; [unrolled: 1-line block ×4, first 2 shown]
	s_wait_dscnt 0x0
	v_readfirstlane_b32 s17, v9
	v_readfirstlane_b32 s16, v8
	;; [unrolled: 1-line block ×4, first 2 shown]
                                        ; implicit-def: $vgpr4_vgpr5
                                        ; implicit-def: $vgpr10
                                        ; implicit-def: $vgpr11
                                        ; implicit-def: $vgpr7
	s_cbranch_vccnz .LBB150_284
; %bb.90:                               ;   in Loop: Header=BB150_18 Depth=1
	s_cmp_eq_u64 s[12:13], 1
	v_dual_mov_b32 v10, v34 :: v_dual_mov_b32 v11, v37
	v_mov_b32_e32 v7, v25
	s_cselect_b32 s7, -1, 0
                                        ; implicit-def: $sgpr84
                                        ; implicit-def: $sgpr83
	s_delay_alu instid0(SALU_CYCLE_1)
	s_and_b32 s87, s7, s9
	s_mov_b32 s7, -1
	s_and_saveexec_b32 s27, s87
	s_cbranch_execz .LBB150_125
; %bb.91:                               ;   in Loop: Header=BB150_18 Depth=1
	ds_load_b64 v[4:5], v3 offset:5120
	s_wait_dscnt 0x0
	s_barrier_signal -1
	s_barrier_wait -1
	v_readfirstlane_b32 s10, v4
	v_readfirstlane_b32 s11, v5
	s_and_saveexec_b32 s7, s6
; %bb.92:                               ;   in Loop: Header=BB150_18 Depth=1
	ds_store_b32 v32, v3
; %bb.93:                               ;   in Loop: Header=BB150_18 Depth=1
	s_or_b32 exec_lo, exec_lo, s7
	v_and_b32_e32 v10, s26, v34
	v_or_b32_e32 v11, s24, v37
	s_mov_b32 s83, -1
	s_mov_b32 s84, 0
	s_cmp_eq_u64 s[10:11], 0
	s_mov_b32 s7, 0
	s_mov_b32 s8, -1
	s_wait_dscnt 0x0
	s_barrier_signal -1
	s_barrier_wait -1
                                        ; implicit-def: $vgpr7
	s_cbranch_scc1 .LBB150_110
; %bb.94:                               ;   in Loop: Header=BB150_18 Depth=1
	s_add_nc_u64 s[20:21], s[10:11], s[72:73]
	s_delay_alu instid0(SALU_CYCLE_1) | instskip(NEXT) | instid1(SALU_CYCLE_1)
	s_and_b64 s[22:23], s[20:21], 0xffffffff00000000
	s_cmp_lg_u64 s[22:23], 0
	s_cbranch_scc0 .LBB150_151
; %bb.95:                               ;   in Loop: Header=BB150_18 Depth=1
	s_cvt_f32_u32 s7, s56
	s_sub_nc_u64 s[40:41], 0, s[56:57]
	s_delay_alu instid0(SALU_CYCLE_2) | instskip(NEXT) | instid1(SALU_CYCLE_3)
	s_fmamk_f32 s7, s104, 0x0, s7
	v_s_rcp_f32 s7, s7
	s_delay_alu instid0(TRANS32_DEP_1) | instskip(NEXT) | instid1(SALU_CYCLE_3)
	s_mul_f32 s7, s7, 0x5f7ffffc
	s_mul_f32 s8, s7, 0x2f800000
	s_delay_alu instid0(SALU_CYCLE_3) | instskip(NEXT) | instid1(SALU_CYCLE_3)
	s_trunc_f32 s8, s8
	s_fmamk_f32 s7, s8, 0xcf800000, s7
	s_cvt_u32_f32 s23, s8
	s_delay_alu instid0(SALU_CYCLE_2) | instskip(NEXT) | instid1(SALU_CYCLE_3)
	s_cvt_u32_f32 s22, s7
	s_mul_u64 s[42:43], s[40:41], s[22:23]
	s_delay_alu instid0(SALU_CYCLE_1)
	s_mul_hi_u32 s63, s22, s43
	s_mul_i32 s62, s22, s43
	s_mul_hi_u32 s28, s22, s42
	s_mul_i32 s8, s23, s42
	s_add_nc_u64 s[62:63], s[28:29], s[62:63]
	s_mul_hi_u32 s7, s23, s42
	s_mul_hi_u32 s64, s23, s43
	s_add_co_u32 s8, s62, s8
	s_add_co_ci_u32 s28, s63, s7
	s_mul_i32 s42, s23, s43
	s_add_co_ci_u32 s43, s64, 0
	s_delay_alu instid0(SALU_CYCLE_1) | instskip(NEXT) | instid1(SALU_CYCLE_1)
	s_add_nc_u64 s[42:43], s[28:29], s[42:43]
	s_add_co_u32 s22, s22, s42
	s_cselect_b32 s7, -1, 0
	s_delay_alu instid0(SALU_CYCLE_1) | instskip(SKIP_1) | instid1(SALU_CYCLE_1)
	s_cmp_lg_u32 s7, 0
	s_add_co_ci_u32 s23, s23, s43
	s_mul_u64 s[40:41], s[40:41], s[22:23]
	s_delay_alu instid0(SALU_CYCLE_1)
	s_mul_hi_u32 s43, s22, s41
	s_mul_i32 s42, s22, s41
	s_mul_hi_u32 s28, s22, s40
	s_mul_i32 s8, s23, s40
	s_add_nc_u64 s[42:43], s[28:29], s[42:43]
	s_mul_hi_u32 s7, s23, s40
	s_mul_hi_u32 s62, s23, s41
	s_add_co_u32 s8, s42, s8
	s_add_co_ci_u32 s28, s43, s7
	s_mul_i32 s40, s23, s41
	s_add_co_ci_u32 s41, s62, 0
	s_delay_alu instid0(SALU_CYCLE_1) | instskip(NEXT) | instid1(SALU_CYCLE_1)
	s_add_nc_u64 s[40:41], s[28:29], s[40:41]
	s_add_co_u32 s7, s22, s40
	s_cselect_b32 s8, -1, 0
	s_mul_hi_u32 s28, s20, s7
	s_cmp_lg_u32 s8, 0
	s_mul_hi_u32 s8, s21, s7
	s_add_co_ci_u32 s40, s23, s41
	s_mul_i32 s7, s21, s7
	s_mul_hi_u32 s23, s20, s40
	s_mul_i32 s22, s20, s40
	s_mul_hi_u32 s41, s21, s40
	s_add_nc_u64 s[22:23], s[28:29], s[22:23]
	s_mul_i32 s40, s21, s40
	s_add_co_u32 s7, s22, s7
	s_add_co_ci_u32 s28, s23, s8
	s_add_co_ci_u32 s41, s41, 0
	s_delay_alu instid0(SALU_CYCLE_1) | instskip(NEXT) | instid1(SALU_CYCLE_1)
	s_add_nc_u64 s[22:23], s[28:29], s[40:41]
	s_and_b64 s[40:41], s[22:23], 0xffffffff00000000
	s_delay_alu instid0(SALU_CYCLE_1) | instskip(NEXT) | instid1(SALU_CYCLE_1)
	s_or_b32 s40, s40, s22
	s_mul_u64 s[22:23], s[56:57], s[40:41]
	s_delay_alu instid0(SALU_CYCLE_1) | instskip(SKIP_1) | instid1(SALU_CYCLE_1)
	s_sub_co_u32 s7, s20, s22
	s_cselect_b32 s8, -1, 0
	s_cmp_lg_u32 s8, 0
	s_sub_co_ci_u32 s8, s21, s23
	s_sub_co_u32 s22, s7, s56
	s_cselect_b32 s23, -1, 0
	s_delay_alu instid0(SALU_CYCLE_1) | instskip(SKIP_3) | instid1(SALU_CYCLE_1)
	s_cmp_lg_u32 s23, 0
	s_sub_co_ci_u32 s23, s8, 0
	s_sub_co_u32 s28, s22, s56
	s_cselect_b32 s40, -1, 0
	s_cmp_lg_u32 s40, 0
	s_sub_co_ci_u32 s40, s23, 0
	s_cmp_ge_u32 s22, s56
	s_cselect_b32 s41, -1, 0
	s_cmp_eq_u32 s23, 0
	s_cselect_b32 s41, s41, -1
	s_delay_alu instid0(SALU_CYCLE_1)
	s_cmp_lg_u32 s41, 0
	s_cselect_b32 s23, s40, s23
	s_cselect_b32 s22, s28, s22
	s_cmp_ge_u32 s7, s56
	s_cselect_b32 s28, -1, 0
	s_cmp_eq_u32 s8, 0
	s_cselect_b32 s28, s28, -1
	s_delay_alu instid0(SALU_CYCLE_1)
	s_cmp_lg_u32 s28, 0
	s_cselect_b32 s23, s23, s8
	s_cselect_b32 s22, s22, s7
	s_cbranch_execnz .LBB150_97
.LBB150_96:                             ;   in Loop: Header=BB150_18 Depth=1
	v_cvt_f32_u32_e32 v2, s56
	s_sub_co_i32 s8, 0, s56
	s_delay_alu instid0(VALU_DEP_1) | instskip(SKIP_1) | instid1(TRANS32_DEP_1)
	v_rcp_iflag_f32_e32 v2, v2
	v_nop
	v_mul_f32_e32 v2, 0x4f7ffffe, v2
	s_delay_alu instid0(VALU_DEP_1) | instskip(NEXT) | instid1(VALU_DEP_1)
	v_cvt_u32_f32_e32 v2, v2
	v_readfirstlane_b32 s7, v2
	s_mul_i32 s8, s8, s7
	s_delay_alu instid0(SALU_CYCLE_1) | instskip(NEXT) | instid1(SALU_CYCLE_1)
	s_mul_hi_u32 s8, s7, s8
	s_add_co_i32 s7, s7, s8
	s_delay_alu instid0(SALU_CYCLE_1) | instskip(NEXT) | instid1(SALU_CYCLE_1)
	s_mul_hi_u32 s7, s20, s7
	s_mul_i32 s7, s7, s56
	s_delay_alu instid0(SALU_CYCLE_1) | instskip(NEXT) | instid1(SALU_CYCLE_1)
	s_sub_co_i32 s7, s20, s7
	s_sub_co_i32 s8, s7, s56
	s_cmp_ge_u32 s7, s56
	s_cselect_b32 s7, s8, s7
	s_delay_alu instid0(SALU_CYCLE_1) | instskip(SKIP_2) | instid1(SALU_CYCLE_1)
	s_sub_co_i32 s8, s7, s56
	s_cmp_ge_u32 s7, s56
	s_cselect_b32 s28, s8, s7
	s_mov_b64 s[22:23], s[28:29]
.LBB150_97:                             ;   in Loop: Header=BB150_18 Depth=1
	s_delay_alu instid0(SALU_CYCLE_1)
	s_sub_nc_u64 s[20:21], s[20:21], s[22:23]
	s_mov_b32 s8, 0
	s_mov_b32 s7, 0
	s_mov_b32 s22, exec_lo
                                        ; implicit-def: $vgpr7
	v_cmpx_gt_u64_e64 s[20:21], v[0:1]
	s_cbranch_execz .LBB150_109
; %bb.98:                               ;   in Loop: Header=BB150_18 Depth=1
	v_mov_b64_e32 v[4:5], v[0:1]
	v_mov_b32_e32 v2, v16
                                        ; implicit-def: $sgpr23
	s_branch .LBB150_101
.LBB150_99:                             ;   in Loop: Header=BB150_101 Depth=2
	s_or_b32 exec_lo, exec_lo, s28
	s_wait_dscnt 0x0
	s_barrier_signal -1
	s_barrier_wait -1
	ds_load_b64 v[6:7], v3 offset:3072
	s_mov_b32 s28, -1
	s_mov_b32 s62, -1
	s_wait_dscnt 0x0
	s_barrier_signal -1
	s_barrier_wait -1
	v_cmp_ne_u32_e32 vcc_lo, 0, v6
	s_cbranch_vccz .LBB150_104
.LBB150_100:                            ;   in Loop: Header=BB150_101 Depth=2
	s_and_b32 s28, exec_lo, s28
	s_delay_alu instid0(SALU_CYCLE_1) | instskip(SKIP_2) | instid1(SALU_CYCLE_1)
	s_or_b32 s7, s28, s7
	s_and_not1_b32 s23, s23, exec_lo
	s_and_b32 s28, s62, exec_lo
	s_or_b32 s23, s23, s28
	s_and_not1_b32 exec_lo, exec_lo, s7
	s_cbranch_execz .LBB150_108
.LBB150_101:                            ;   Parent Loop BB150_18 Depth=1
                                        ; =>  This Inner Loop Header: Depth=2
	s_mov_b32 s28, exec_lo
	s_delay_alu instid0(VALU_DEP_2)
	v_cmpx_gt_u64_e64 s[10:11], v[4:5]
	s_cbranch_execz .LBB150_99
; %bb.102:                              ;   in Loop: Header=BB150_101 Depth=2
	ds_load_b32 v23, v2
	s_wait_dscnt 0x0
	v_bitop3_b32 v6, v23, v11, 0x80000000 bitop3:0x48
	s_delay_alu instid0(VALU_DEP_1)
	v_cmp_eq_u32_e32 vcc_lo, v6, v10
	s_and_b32 exec_lo, exec_lo, vcc_lo
	s_cbranch_execz .LBB150_99
; %bb.103:                              ;   in Loop: Header=BB150_101 Depth=2
	ds_store_b64 v3, v[22:23] offset:3072
	s_branch .LBB150_99
.LBB150_104:                            ;   in Loop: Header=BB150_101 Depth=2
	v_add_nc_u64_e32 v[4:5], s[56:57], v[4:5]
	v_add_nc_u32_e32 v2, s103, v2
	s_mov_b32 s62, 0
	s_delay_alu instid0(VALU_DEP_2)
	v_cmp_le_u64_e32 vcc_lo, s[20:21], v[4:5]
	s_or_not1_b32 s28, vcc_lo, exec_lo
	s_branch .LBB150_100
.LBB150_105:                            ;   in Loop: Header=BB150_18 Depth=1
	s_or_b32 exec_lo, exec_lo, s8
	s_wait_dscnt 0x0
	s_barrier_signal -1
	s_barrier_wait -1
	s_and_saveexec_b32 s8, s5
	s_cbranch_execz .LBB150_107
; %bb.106:                              ;   in Loop: Header=BB150_18 Depth=1
	ds_load_b32 v4, v3 offset:5144
	s_wait_dscnt 0x0
	v_ashrrev_i32_e32 v5, 31, v4
	ds_store_b64 v3, v[4:5] offset:5120
.LBB150_107:                            ;   in Loop: Header=BB150_18 Depth=1
	s_or_b32 exec_lo, exec_lo, s8
	s_wait_dscnt 0x0
	s_barrier_signal -1
	s_mov_b32 s8, -1
	s_barrier_wait -1
	s_and_b32 vcc_lo, exec_lo, s7
	s_cbranch_vccnz .LBB150_34
	s_branch .LBB150_49
.LBB150_108:                            ;   in Loop: Header=BB150_18 Depth=1
	s_or_b32 exec_lo, exec_lo, s7
	s_delay_alu instid0(SALU_CYCLE_1)
	s_and_b32 s7, s23, exec_lo
.LBB150_109:                            ;   in Loop: Header=BB150_18 Depth=1
	s_or_b32 exec_lo, exec_lo, s22
.LBB150_110:                            ;   in Loop: Header=BB150_18 Depth=1
	s_delay_alu instid0(SALU_CYCLE_1)
	s_and_b32 vcc_lo, exec_lo, s8
	s_cbranch_vccz .LBB150_124
; %bb.111:                              ;   in Loop: Header=BB150_18 Depth=1
	s_and_b64 s[10:11], s[74:75], 0xffffffff00000000
	s_delay_alu instid0(SALU_CYCLE_1)
	s_cmp_lg_u64 s[10:11], 0
	s_cbranch_scc0 .LBB150_152
; %bb.112:                              ;   in Loop: Header=BB150_18 Depth=1
	s_cvt_f32_u32 s8, s56
	s_sub_nc_u64 s[20:21], 0, s[56:57]
	s_delay_alu instid0(SALU_CYCLE_2) | instskip(NEXT) | instid1(SALU_CYCLE_3)
	s_fmamk_f32 s8, s104, 0x0, s8
	v_s_rcp_f32 s8, s8
	s_delay_alu instid0(TRANS32_DEP_1) | instskip(NEXT) | instid1(SALU_CYCLE_3)
	s_mul_f32 s8, s8, 0x5f7ffffc
	s_mul_f32 s10, s8, 0x2f800000
	s_delay_alu instid0(SALU_CYCLE_3) | instskip(NEXT) | instid1(SALU_CYCLE_3)
	s_trunc_f32 s10, s10
	s_fmamk_f32 s8, s10, 0xcf800000, s8
	s_cvt_u32_f32 s11, s10
	s_delay_alu instid0(SALU_CYCLE_2) | instskip(NEXT) | instid1(SALU_CYCLE_3)
	s_cvt_u32_f32 s10, s8
	s_mul_u64 s[22:23], s[20:21], s[10:11]
	s_delay_alu instid0(SALU_CYCLE_1)
	s_mul_hi_u32 s41, s10, s23
	s_mul_i32 s40, s10, s23
	s_mul_hi_u32 s28, s10, s22
	s_mul_i32 s42, s11, s22
	s_add_nc_u64 s[40:41], s[28:29], s[40:41]
	s_mul_hi_u32 s8, s11, s22
	s_mul_hi_u32 s43, s11, s23
	s_mul_i32 s22, s11, s23
	s_add_co_u32 s23, s40, s42
	s_add_co_ci_u32 s28, s41, s8
	s_add_co_ci_u32 s23, s43, 0
	s_delay_alu instid0(SALU_CYCLE_1) | instskip(NEXT) | instid1(SALU_CYCLE_1)
	s_add_nc_u64 s[22:23], s[28:29], s[22:23]
	s_add_co_u32 s10, s10, s22
	s_cselect_b32 s8, -1, 0
	s_delay_alu instid0(SALU_CYCLE_1) | instskip(SKIP_1) | instid1(SALU_CYCLE_1)
	s_cmp_lg_u32 s8, 0
	s_add_co_ci_u32 s11, s11, s23
	s_mul_u64 s[20:21], s[20:21], s[10:11]
	s_delay_alu instid0(SALU_CYCLE_1)
	s_mul_hi_u32 s23, s10, s21
	s_mul_i32 s22, s10, s21
	s_mul_hi_u32 s28, s10, s20
	s_mul_i32 s40, s11, s20
	s_add_nc_u64 s[22:23], s[28:29], s[22:23]
	s_mul_hi_u32 s8, s11, s20
	s_mul_hi_u32 s41, s11, s21
	s_mul_i32 s20, s11, s21
	s_add_co_u32 s21, s22, s40
	s_add_co_ci_u32 s28, s23, s8
	s_add_co_ci_u32 s21, s41, 0
	s_delay_alu instid0(SALU_CYCLE_1) | instskip(NEXT) | instid1(SALU_CYCLE_1)
	s_add_nc_u64 s[20:21], s[28:29], s[20:21]
	s_add_co_u32 s8, s10, s20
	s_cselect_b32 s10, -1, 0
	s_mul_hi_u32 s28, s74, s8
	s_cmp_lg_u32 s10, 0
	s_mul_hi_u32 s22, s75, s8
	s_add_co_ci_u32 s20, s11, s21
	s_mul_i32 s8, s75, s8
	s_mul_hi_u32 s11, s74, s20
	s_mul_i32 s10, s74, s20
	s_mul_hi_u32 s21, s75, s20
	s_add_nc_u64 s[10:11], s[28:29], s[10:11]
	s_mul_i32 s20, s75, s20
	s_add_co_u32 s8, s10, s8
	s_add_co_ci_u32 s28, s11, s22
	s_add_co_ci_u32 s21, s21, 0
	s_delay_alu instid0(SALU_CYCLE_1) | instskip(NEXT) | instid1(SALU_CYCLE_1)
	s_add_nc_u64 s[10:11], s[28:29], s[20:21]
	s_and_b64 s[20:21], s[10:11], 0xffffffff00000000
	s_delay_alu instid0(SALU_CYCLE_1) | instskip(NEXT) | instid1(SALU_CYCLE_1)
	s_or_b32 s20, s20, s10
	s_mul_u64 s[10:11], s[56:57], s[20:21]
	s_delay_alu instid0(SALU_CYCLE_1) | instskip(SKIP_1) | instid1(SALU_CYCLE_1)
	s_sub_co_u32 s8, s74, s10
	s_cselect_b32 s10, -1, 0
	s_cmp_lg_u32 s10, 0
	s_sub_co_ci_u32 s10, s75, s11
	s_sub_co_u32 s11, s8, s56
	s_cselect_b32 s20, -1, 0
	s_delay_alu instid0(SALU_CYCLE_1) | instskip(SKIP_3) | instid1(SALU_CYCLE_1)
	s_cmp_lg_u32 s20, 0
	s_sub_co_ci_u32 s20, s10, 0
	s_sub_co_u32 s21, s11, s56
	s_cselect_b32 s22, -1, 0
	s_cmp_lg_u32 s22, 0
	s_sub_co_ci_u32 s22, s20, 0
	s_cmp_ge_u32 s11, s56
	s_cselect_b32 s23, -1, 0
	s_cmp_eq_u32 s20, 0
	s_cselect_b32 s23, s23, -1
	s_delay_alu instid0(SALU_CYCLE_1)
	s_cmp_lg_u32 s23, 0
	s_cselect_b32 s20, s22, s20
	s_cselect_b32 s21, s21, s11
	s_cmp_ge_u32 s8, s56
	s_cselect_b32 s11, -1, 0
	s_cmp_eq_u32 s10, 0
	s_cselect_b32 s11, s11, -1
	s_delay_alu instid0(SALU_CYCLE_1)
	s_cmp_lg_u32 s11, 0
	s_cselect_b32 s11, s20, s10
	s_cselect_b32 s10, s21, s8
	s_cbranch_execnz .LBB150_114
.LBB150_113:                            ;   in Loop: Header=BB150_18 Depth=1
	v_cvt_f32_u32_e32 v2, s56
	s_sub_co_i32 s10, 0, s56
	s_delay_alu instid0(VALU_DEP_1) | instskip(SKIP_1) | instid1(TRANS32_DEP_1)
	v_rcp_iflag_f32_e32 v2, v2
	v_nop
	v_mul_f32_e32 v2, 0x4f7ffffe, v2
	s_delay_alu instid0(VALU_DEP_1) | instskip(NEXT) | instid1(VALU_DEP_1)
	v_cvt_u32_f32_e32 v2, v2
	v_readfirstlane_b32 s8, v2
	s_mul_i32 s10, s10, s8
	s_delay_alu instid0(SALU_CYCLE_1) | instskip(NEXT) | instid1(SALU_CYCLE_1)
	s_mul_hi_u32 s10, s8, s10
	s_add_co_i32 s8, s8, s10
	s_delay_alu instid0(SALU_CYCLE_1) | instskip(NEXT) | instid1(SALU_CYCLE_1)
	s_mul_hi_u32 s8, s74, s8
	s_mul_i32 s8, s8, s56
	s_delay_alu instid0(SALU_CYCLE_1) | instskip(NEXT) | instid1(SALU_CYCLE_1)
	s_sub_co_i32 s8, s74, s8
	s_sub_co_i32 s10, s8, s56
	s_cmp_ge_u32 s8, s56
	s_cselect_b32 s8, s10, s8
	s_delay_alu instid0(SALU_CYCLE_1) | instskip(SKIP_2) | instid1(SALU_CYCLE_1)
	s_sub_co_i32 s10, s8, s56
	s_cmp_ge_u32 s8, s56
	s_cselect_b32 s28, s10, s8
	s_mov_b64 s[10:11], s[28:29]
.LBB150_114:                            ;   in Loop: Header=BB150_18 Depth=1
	s_delay_alu instid0(SALU_CYCLE_1)
	s_sub_nc_u64 s[10:11], s[74:75], s[10:11]
	s_mov_b32 s8, exec_lo
                                        ; implicit-def: $vgpr7
	v_cmpx_gt_u64_e64 s[10:11], v[0:1]
	s_cbranch_execz .LBB150_123
; %bb.115:                              ;   in Loop: Header=BB150_18 Depth=1
	v_mov_b64_e32 v[4:5], v[0:1]
	s_mov_b32 s20, 0
                                        ; implicit-def: $sgpr21
	s_branch .LBB150_118
.LBB150_116:                            ;   in Loop: Header=BB150_118 Depth=2
	s_or_b32 exec_lo, exec_lo, s22
	s_wait_dscnt 0x0
	s_barrier_signal -1
	s_barrier_wait -1
	ds_load_b64 v[6:7], v3 offset:3072
	s_mov_b32 s23, -1
	s_mov_b32 s22, -1
	s_wait_dscnt 0x0
	s_barrier_signal -1
	s_barrier_wait -1
	v_cmp_ne_u32_e32 vcc_lo, 0, v6
	s_cbranch_vccz .LBB150_121
.LBB150_117:                            ;   in Loop: Header=BB150_118 Depth=2
	s_and_b32 s23, exec_lo, s23
	s_delay_alu instid0(SALU_CYCLE_1) | instskip(SKIP_2) | instid1(SALU_CYCLE_1)
	s_or_b32 s20, s23, s20
	s_and_not1_b32 s21, s21, exec_lo
	s_and_b32 s22, s22, exec_lo
	s_or_b32 s21, s21, s22
	s_and_not1_b32 exec_lo, exec_lo, s20
	s_cbranch_execz .LBB150_122
.LBB150_118:                            ;   Parent Loop BB150_18 Depth=1
                                        ; =>  This Inner Loop Header: Depth=2
	s_mov_b32 s22, exec_lo
	s_delay_alu instid0(VALU_DEP_1)
	v_cmpx_gt_u64_e64 s[36:37], v[4:5]
	s_cbranch_execz .LBB150_116
; %bb.119:                              ;   in Loop: Header=BB150_118 Depth=2
	v_mul_u64_e32 v[6:7], s[30:31], v[4:5]
	s_delay_alu instid0(VALU_DEP_1) | instskip(SKIP_3) | instid1(VALU_DEP_1)
	v_lshl_add_u64 v[6:7], v[6:7], 2, s[34:35]
	global_load_b32 v23, v[6:7], off
	s_wait_loadcnt 0x0
	v_bitop3_b32 v2, v23, v11, 0x80000000 bitop3:0x48
	v_cmp_eq_u32_e32 vcc_lo, v2, v10
	s_and_b32 exec_lo, exec_lo, vcc_lo
	s_cbranch_execz .LBB150_116
; %bb.120:                              ;   in Loop: Header=BB150_118 Depth=2
	ds_store_b64 v3, v[22:23] offset:3072
	s_branch .LBB150_116
.LBB150_121:                            ;   in Loop: Header=BB150_118 Depth=2
	v_add_nc_u64_e32 v[4:5], s[56:57], v[4:5]
	s_mov_b32 s22, 0
	s_delay_alu instid0(VALU_DEP_1)
	v_cmp_le_u64_e32 vcc_lo, s[10:11], v[4:5]
	s_or_not1_b32 s23, vcc_lo, exec_lo
	s_branch .LBB150_117
.LBB150_122:                            ;   in Loop: Header=BB150_18 Depth=1
	s_or_b32 exec_lo, exec_lo, s20
	s_delay_alu instid0(SALU_CYCLE_1) | instskip(SKIP_1) | instid1(SALU_CYCLE_1)
	s_and_not1_b32 s7, s7, exec_lo
	s_and_b32 s10, s21, exec_lo
	s_or_b32 s7, s7, s10
.LBB150_123:                            ;   in Loop: Header=BB150_18 Depth=1
	s_or_b32 exec_lo, exec_lo, s8
	s_mov_b32 s83, 0
	s_mov_b32 s84, -1
.LBB150_124:                            ;   in Loop: Header=BB150_18 Depth=1
	s_or_not1_b32 s7, s7, exec_lo
.LBB150_125:                            ;   in Loop: Header=BB150_18 Depth=1
	s_or_b32 exec_lo, exec_lo, s27
	s_mov_b32 s85, 0
	s_mov_b32 s82, 0
	;; [unrolled: 1-line block ×3, first 2 shown]
                                        ; implicit-def: $vgpr4_vgpr5
                                        ; implicit-def: $vgpr2
	s_and_saveexec_b32 s86, s7
	s_cbranch_execz .LBB150_283
; %bb.126:                              ;   in Loop: Header=BB150_18 Depth=1
	v_mov_b64_e32 v[4:5], 1
	v_mov_b32_e32 v2, 1
	s_xor_b32 s10, s87, -1
	s_mov_b32 s8, 0
	s_and_saveexec_b32 s7, s10
	s_cbranch_execz .LBB150_135
; %bb.127:                              ;   in Loop: Header=BB150_18 Depth=1
	s_mov_b32 s8, exec_lo
	v_cmpx_ge_u64_e64 s[12:13], v[26:27]
	s_xor_b32 s8, exec_lo, s8
	s_cbranch_execz .LBB150_132
; %bb.128:                              ;   in Loop: Header=BB150_18 Depth=1
	ds_load_b64 v[4:5], v3 offset:5120
	v_and_b32_e32 v10, s26, v10
	v_or_b32_e32 v11, s24, v11
	s_wait_dscnt 0x0
	v_cmp_ne_u64_e32 vcc_lo, 0, v[4:5]
	s_cbranch_vccnz .LBB150_132
; %bb.129:                              ;   in Loop: Header=BB150_18 Depth=1
	s_and_saveexec_b32 s10, s5
; %bb.130:                              ;   in Loop: Header=BB150_18 Depth=1
	v_mov_b64_e32 v[4:5], s[12:13]
	ds_store_b64 v3, v[4:5] offset:5128
; %bb.131:                              ;   in Loop: Header=BB150_18 Depth=1
	s_or_b32 exec_lo, exec_lo, s10
	s_wait_dscnt 0x0
	s_barrier_signal -1
	s_barrier_wait -1
.LBB150_132:                            ;   in Loop: Header=BB150_18 Depth=1
	s_or_saveexec_b32 s8, s8
	v_mov_b64_e32 v[4:5], v[26:27]
	v_mov_b32_e32 v2, 8
	s_mov_b32 s10, 0
	s_xor_b32 exec_lo, exec_lo, s8
; %bb.133:                              ;   in Loop: Header=BB150_18 Depth=1
	v_sub_nc_u64_e64 v[4:5], v[26:27], s[12:13]
	v_mov_b32_e32 v2, 0
	s_mov_b32 s10, exec_lo
; %bb.134:                              ;   in Loop: Header=BB150_18 Depth=1
	s_or_b32 exec_lo, exec_lo, s8
	s_delay_alu instid0(SALU_CYCLE_1)
	s_and_b32 s8, s10, exec_lo
.LBB150_135:                            ;   in Loop: Header=BB150_18 Depth=1
	s_or_b32 exec_lo, exec_lo, s7
	s_mov_b32 s7, -1
                                        ; implicit-def: $sgpr82
                                        ; implicit-def: $sgpr87
	s_and_saveexec_b32 s10, s8
	s_delay_alu instid0(SALU_CYCLE_1)
	s_xor_b32 s27, exec_lo, s10
	s_cbranch_execz .LBB150_280
; %bb.136:                              ;   in Loop: Header=BB150_18 Depth=1
	v_cmp_eq_u64_e32 vcc_lo, 1, v[4:5]
	s_cmp_eq_u64 s[14:15], 1
                                        ; implicit-def: $sgpr87
                                        ; implicit-def: $sgpr82
	s_cselect_b32 s7, -1, 0
	s_delay_alu instid0(SALU_CYCLE_1)
	s_and_b32 s89, s7, vcc_lo
	s_mov_b32 s7, -1
	s_and_saveexec_b32 s88, s89
	s_cbranch_execz .LBB150_170
; %bb.137:                              ;   in Loop: Header=BB150_18 Depth=1
	ds_load_b64 v[6:7], v3 offset:5120
	s_wait_dscnt 0x0
	s_barrier_signal -1
	s_barrier_wait -1
	v_readfirstlane_b32 s10, v6
	v_readfirstlane_b32 s11, v7
	s_and_saveexec_b32 s7, s6
; %bb.138:                              ;   in Loop: Header=BB150_18 Depth=1
	ds_store_b32 v32, v3
; %bb.139:                              ;   in Loop: Header=BB150_18 Depth=1
	s_or_b32 exec_lo, exec_lo, s7
	s_lshl_b32 s7, 1, vcc_hi
	v_or_b32_e32 v11, s24, v11
	v_and_or_b32 v10, v10, s26, s7
	s_mov_b32 s82, -1
	s_mov_b32 s87, 0
	s_cmp_eq_u64 s[10:11], 0
	s_mov_b32 s7, 0
	s_mov_b32 s8, -1
	s_wait_dscnt 0x0
	s_barrier_signal -1
	s_barrier_wait -1
                                        ; implicit-def: $vgpr7
	s_cbranch_scc1 .LBB150_155
; %bb.140:                              ;   in Loop: Header=BB150_18 Depth=1
	s_add_nc_u64 s[20:21], s[10:11], s[72:73]
	s_delay_alu instid0(SALU_CYCLE_1) | instskip(NEXT) | instid1(SALU_CYCLE_1)
	s_and_b64 s[22:23], s[20:21], 0xffffffff00000000
	s_cmp_lg_u64 s[22:23], 0
	s_cbranch_scc0 .LBB150_196
; %bb.141:                              ;   in Loop: Header=BB150_18 Depth=1
	s_cvt_f32_u32 s7, s56
	s_sub_nc_u64 s[62:63], 0, s[56:57]
	s_delay_alu instid0(SALU_CYCLE_2) | instskip(NEXT) | instid1(SALU_CYCLE_3)
	s_fmamk_f32 s7, s104, 0x0, s7
	v_s_rcp_f32 s7, s7
	s_delay_alu instid0(TRANS32_DEP_1) | instskip(NEXT) | instid1(SALU_CYCLE_3)
	s_mul_f32 s7, s7, 0x5f7ffffc
	s_mul_f32 s8, s7, 0x2f800000
	s_delay_alu instid0(SALU_CYCLE_3) | instskip(NEXT) | instid1(SALU_CYCLE_3)
	s_trunc_f32 s8, s8
	s_fmamk_f32 s7, s8, 0xcf800000, s7
	s_cvt_u32_f32 s23, s8
	s_delay_alu instid0(SALU_CYCLE_2) | instskip(NEXT) | instid1(SALU_CYCLE_3)
	s_cvt_u32_f32 s22, s7
	s_mul_u64 s[64:65], s[62:63], s[22:23]
	s_delay_alu instid0(SALU_CYCLE_1)
	s_mul_hi_u32 s91, s22, s65
	s_mul_i32 s90, s22, s65
	s_mul_hi_u32 s28, s22, s64
	s_mul_i32 s8, s23, s64
	s_add_nc_u64 s[90:91], s[28:29], s[90:91]
	s_mul_hi_u32 s7, s23, s64
	s_mul_hi_u32 s40, s23, s65
	s_add_co_u32 s8, s90, s8
	s_add_co_ci_u32 s28, s91, s7
	s_mul_i32 s64, s23, s65
	s_add_co_ci_u32 s65, s40, 0
	s_delay_alu instid0(SALU_CYCLE_1) | instskip(NEXT) | instid1(SALU_CYCLE_1)
	s_add_nc_u64 s[64:65], s[28:29], s[64:65]
	s_add_co_u32 s22, s22, s64
	s_cselect_b32 s7, -1, 0
	s_delay_alu instid0(SALU_CYCLE_1) | instskip(SKIP_1) | instid1(SALU_CYCLE_1)
	s_cmp_lg_u32 s7, 0
	s_add_co_ci_u32 s23, s23, s65
	s_mul_u64 s[62:63], s[62:63], s[22:23]
	s_delay_alu instid0(SALU_CYCLE_1)
	s_mul_hi_u32 s65, s22, s63
	s_mul_i32 s64, s22, s63
	s_mul_hi_u32 s28, s22, s62
	s_mul_i32 s8, s23, s62
	s_add_nc_u64 s[64:65], s[28:29], s[64:65]
	s_mul_hi_u32 s7, s23, s62
	s_mul_hi_u32 s40, s23, s63
	s_add_co_u32 s8, s64, s8
	s_add_co_ci_u32 s28, s65, s7
	s_mul_i32 s62, s23, s63
	s_add_co_ci_u32 s63, s40, 0
	s_delay_alu instid0(SALU_CYCLE_1) | instskip(NEXT) | instid1(SALU_CYCLE_1)
	s_add_nc_u64 s[62:63], s[28:29], s[62:63]
	s_add_co_u32 s7, s22, s62
	s_cselect_b32 s8, -1, 0
	s_mul_hi_u32 s28, s20, s7
	s_cmp_lg_u32 s8, 0
	s_mul_hi_u32 s8, s21, s7
	s_add_co_ci_u32 s40, s23, s63
	s_mul_i32 s7, s21, s7
	s_mul_hi_u32 s23, s20, s40
	s_mul_i32 s22, s20, s40
	s_mul_hi_u32 s41, s21, s40
	s_add_nc_u64 s[22:23], s[28:29], s[22:23]
	s_mul_i32 s62, s21, s40
	s_add_co_u32 s7, s22, s7
	s_add_co_ci_u32 s28, s23, s8
	s_add_co_ci_u32 s63, s41, 0
	s_delay_alu instid0(SALU_CYCLE_1) | instskip(NEXT) | instid1(SALU_CYCLE_1)
	s_add_nc_u64 s[22:23], s[28:29], s[62:63]
	s_and_b64 s[62:63], s[22:23], 0xffffffff00000000
	s_delay_alu instid0(SALU_CYCLE_1) | instskip(NEXT) | instid1(SALU_CYCLE_1)
	s_or_b32 s62, s62, s22
	s_mul_u64 s[22:23], s[56:57], s[62:63]
	s_delay_alu instid0(SALU_CYCLE_1) | instskip(SKIP_1) | instid1(SALU_CYCLE_1)
	s_sub_co_u32 s7, s20, s22
	s_cselect_b32 s8, -1, 0
	s_cmp_lg_u32 s8, 0
	s_sub_co_ci_u32 s8, s21, s23
	s_sub_co_u32 s22, s7, s56
	s_cselect_b32 s23, -1, 0
	s_delay_alu instid0(SALU_CYCLE_1) | instskip(SKIP_3) | instid1(SALU_CYCLE_1)
	s_cmp_lg_u32 s23, 0
	s_sub_co_ci_u32 s23, s8, 0
	s_sub_co_u32 s28, s22, s56
	s_cselect_b32 s40, -1, 0
	s_cmp_lg_u32 s40, 0
	s_sub_co_ci_u32 s40, s23, 0
	s_cmp_ge_u32 s22, s56
	s_cselect_b32 s41, -1, 0
	s_cmp_eq_u32 s23, 0
	s_cselect_b32 s41, s41, -1
	s_delay_alu instid0(SALU_CYCLE_1)
	s_cmp_lg_u32 s41, 0
	s_cselect_b32 s23, s40, s23
	s_cselect_b32 s22, s28, s22
	s_cmp_ge_u32 s7, s56
	s_cselect_b32 s28, -1, 0
	s_cmp_eq_u32 s8, 0
	s_cselect_b32 s28, s28, -1
	s_delay_alu instid0(SALU_CYCLE_1)
	s_cmp_lg_u32 s28, 0
	s_cselect_b32 s23, s23, s8
	s_cselect_b32 s22, s22, s7
	s_cbranch_execnz .LBB150_143
.LBB150_142:                            ;   in Loop: Header=BB150_18 Depth=1
	v_cvt_f32_u32_e32 v6, s56
	s_sub_co_i32 s8, 0, s56
	s_delay_alu instid0(VALU_DEP_1) | instskip(SKIP_1) | instid1(TRANS32_DEP_1)
	v_rcp_iflag_f32_e32 v6, v6
	v_nop
	v_mul_f32_e32 v6, 0x4f7ffffe, v6
	s_delay_alu instid0(VALU_DEP_1) | instskip(NEXT) | instid1(VALU_DEP_1)
	v_cvt_u32_f32_e32 v6, v6
	v_readfirstlane_b32 s7, v6
	s_mul_i32 s8, s8, s7
	s_delay_alu instid0(SALU_CYCLE_1) | instskip(NEXT) | instid1(SALU_CYCLE_1)
	s_mul_hi_u32 s8, s7, s8
	s_add_co_i32 s7, s7, s8
	s_delay_alu instid0(SALU_CYCLE_1) | instskip(NEXT) | instid1(SALU_CYCLE_1)
	s_mul_hi_u32 s7, s20, s7
	s_mul_i32 s7, s7, s56
	s_delay_alu instid0(SALU_CYCLE_1) | instskip(NEXT) | instid1(SALU_CYCLE_1)
	s_sub_co_i32 s7, s20, s7
	s_sub_co_i32 s8, s7, s56
	s_cmp_ge_u32 s7, s56
	s_cselect_b32 s7, s8, s7
	s_delay_alu instid0(SALU_CYCLE_1) | instskip(SKIP_2) | instid1(SALU_CYCLE_1)
	s_sub_co_i32 s8, s7, s56
	s_cmp_ge_u32 s7, s56
	s_cselect_b32 s28, s8, s7
	s_mov_b64 s[22:23], s[28:29]
.LBB150_143:                            ;   in Loop: Header=BB150_18 Depth=1
	s_delay_alu instid0(SALU_CYCLE_1)
	s_sub_nc_u64 s[20:21], s[20:21], s[22:23]
	s_mov_b32 s8, 0
	s_mov_b32 s7, 0
	s_mov_b32 s22, exec_lo
                                        ; implicit-def: $vgpr7
	v_cmpx_gt_u64_e64 s[20:21], v[0:1]
	s_cbranch_execz .LBB150_154
; %bb.144:                              ;   in Loop: Header=BB150_18 Depth=1
	v_mov_b64_e32 v[8:9], v[0:1]
	v_mov_b32_e32 v24, v16
                                        ; implicit-def: $sgpr23
	s_branch .LBB150_147
.LBB150_145:                            ;   in Loop: Header=BB150_147 Depth=2
	s_or_b32 exec_lo, exec_lo, s28
	s_wait_dscnt 0x0
	s_barrier_signal -1
	s_barrier_wait -1
	ds_load_b64 v[6:7], v3 offset:3072
	s_mov_b32 s28, -1
	s_mov_b32 s62, -1
	s_wait_dscnt 0x0
	s_barrier_signal -1
	s_barrier_wait -1
	v_cmp_ne_u32_e32 vcc_lo, 0, v6
	s_cbranch_vccz .LBB150_150
.LBB150_146:                            ;   in Loop: Header=BB150_147 Depth=2
	s_and_b32 s28, exec_lo, s28
	s_delay_alu instid0(SALU_CYCLE_1) | instskip(SKIP_2) | instid1(SALU_CYCLE_1)
	s_or_b32 s7, s28, s7
	s_and_not1_b32 s23, s23, exec_lo
	s_and_b32 s28, s62, exec_lo
	s_or_b32 s23, s23, s28
	s_and_not1_b32 exec_lo, exec_lo, s7
	s_cbranch_execz .LBB150_153
.LBB150_147:                            ;   Parent Loop BB150_18 Depth=1
                                        ; =>  This Inner Loop Header: Depth=2
	s_mov_b32 s28, exec_lo
	s_delay_alu instid0(VALU_DEP_2)
	v_cmpx_gt_u64_e64 s[10:11], v[8:9]
	s_cbranch_execz .LBB150_145
; %bb.148:                              ;   in Loop: Header=BB150_147 Depth=2
	ds_load_b32 v23, v24
	s_wait_dscnt 0x0
	v_bitop3_b32 v6, v23, v11, 0x80000000 bitop3:0x48
	s_delay_alu instid0(VALU_DEP_1)
	v_cmp_eq_u32_e32 vcc_lo, v6, v10
	s_and_b32 exec_lo, exec_lo, vcc_lo
	s_cbranch_execz .LBB150_145
; %bb.149:                              ;   in Loop: Header=BB150_147 Depth=2
	ds_store_b64 v3, v[22:23] offset:3072
	s_branch .LBB150_145
.LBB150_150:                            ;   in Loop: Header=BB150_147 Depth=2
	v_add_nc_u64_e32 v[8:9], s[56:57], v[8:9]
	v_add_nc_u32_e32 v24, s103, v24
	s_mov_b32 s62, 0
	s_delay_alu instid0(VALU_DEP_2)
	v_cmp_le_u64_e32 vcc_lo, s[20:21], v[8:9]
	s_or_not1_b32 s28, vcc_lo, exec_lo
	s_branch .LBB150_146
.LBB150_151:                            ;   in Loop: Header=BB150_18 Depth=1
                                        ; implicit-def: $sgpr22_sgpr23
	s_branch .LBB150_96
.LBB150_152:                            ;   in Loop: Header=BB150_18 Depth=1
                                        ; implicit-def: $sgpr10_sgpr11
	s_branch .LBB150_113
.LBB150_153:                            ;   in Loop: Header=BB150_18 Depth=1
	s_or_b32 exec_lo, exec_lo, s7
	s_delay_alu instid0(SALU_CYCLE_1)
	s_and_b32 s7, s23, exec_lo
.LBB150_154:                            ;   in Loop: Header=BB150_18 Depth=1
	s_or_b32 exec_lo, exec_lo, s22
.LBB150_155:                            ;   in Loop: Header=BB150_18 Depth=1
	s_delay_alu instid0(SALU_CYCLE_1)
	s_and_b32 vcc_lo, exec_lo, s8
	s_cbranch_vccz .LBB150_169
; %bb.156:                              ;   in Loop: Header=BB150_18 Depth=1
	s_and_b64 s[10:11], s[74:75], 0xffffffff00000000
	s_delay_alu instid0(SALU_CYCLE_1)
	s_cmp_lg_u64 s[10:11], 0
	s_cbranch_scc0 .LBB150_197
; %bb.157:                              ;   in Loop: Header=BB150_18 Depth=1
	s_cvt_f32_u32 s8, s56
	s_sub_nc_u64 s[20:21], 0, s[56:57]
	s_delay_alu instid0(SALU_CYCLE_2) | instskip(NEXT) | instid1(SALU_CYCLE_3)
	s_fmamk_f32 s8, s104, 0x0, s8
	v_s_rcp_f32 s8, s8
	s_delay_alu instid0(TRANS32_DEP_1) | instskip(NEXT) | instid1(SALU_CYCLE_3)
	s_mul_f32 s8, s8, 0x5f7ffffc
	s_mul_f32 s10, s8, 0x2f800000
	s_delay_alu instid0(SALU_CYCLE_3) | instskip(NEXT) | instid1(SALU_CYCLE_3)
	s_trunc_f32 s10, s10
	s_fmamk_f32 s8, s10, 0xcf800000, s8
	s_cvt_u32_f32 s11, s10
	s_delay_alu instid0(SALU_CYCLE_2) | instskip(NEXT) | instid1(SALU_CYCLE_3)
	s_cvt_u32_f32 s10, s8
	s_mul_u64 s[22:23], s[20:21], s[10:11]
	s_delay_alu instid0(SALU_CYCLE_1)
	s_mul_hi_u32 s63, s10, s23
	s_mul_i32 s62, s10, s23
	s_mul_hi_u32 s28, s10, s22
	s_mul_i32 s40, s11, s22
	s_add_nc_u64 s[62:63], s[28:29], s[62:63]
	s_mul_hi_u32 s8, s11, s22
	s_mul_hi_u32 s41, s11, s23
	s_mul_i32 s22, s11, s23
	s_add_co_u32 s23, s62, s40
	s_add_co_ci_u32 s28, s63, s8
	s_add_co_ci_u32 s23, s41, 0
	s_delay_alu instid0(SALU_CYCLE_1) | instskip(NEXT) | instid1(SALU_CYCLE_1)
	s_add_nc_u64 s[22:23], s[28:29], s[22:23]
	s_add_co_u32 s10, s10, s22
	s_cselect_b32 s8, -1, 0
	s_delay_alu instid0(SALU_CYCLE_1) | instskip(SKIP_1) | instid1(SALU_CYCLE_1)
	s_cmp_lg_u32 s8, 0
	s_add_co_ci_u32 s11, s11, s23
	s_mul_u64 s[20:21], s[20:21], s[10:11]
	s_delay_alu instid0(SALU_CYCLE_1)
	s_mul_hi_u32 s23, s10, s21
	s_mul_i32 s22, s10, s21
	s_mul_hi_u32 s28, s10, s20
	s_mul_i32 s40, s11, s20
	s_add_nc_u64 s[22:23], s[28:29], s[22:23]
	s_mul_hi_u32 s8, s11, s20
	s_mul_hi_u32 s41, s11, s21
	s_mul_i32 s20, s11, s21
	s_add_co_u32 s21, s22, s40
	s_add_co_ci_u32 s28, s23, s8
	s_add_co_ci_u32 s21, s41, 0
	s_delay_alu instid0(SALU_CYCLE_1) | instskip(NEXT) | instid1(SALU_CYCLE_1)
	s_add_nc_u64 s[20:21], s[28:29], s[20:21]
	s_add_co_u32 s8, s10, s20
	s_cselect_b32 s10, -1, 0
	s_mul_hi_u32 s28, s74, s8
	s_cmp_lg_u32 s10, 0
	s_mul_hi_u32 s22, s75, s8
	s_add_co_ci_u32 s20, s11, s21
	s_mul_i32 s8, s75, s8
	s_mul_hi_u32 s11, s74, s20
	s_mul_i32 s10, s74, s20
	s_mul_hi_u32 s21, s75, s20
	s_add_nc_u64 s[10:11], s[28:29], s[10:11]
	s_mul_i32 s20, s75, s20
	s_add_co_u32 s8, s10, s8
	s_add_co_ci_u32 s28, s11, s22
	s_add_co_ci_u32 s21, s21, 0
	s_delay_alu instid0(SALU_CYCLE_1) | instskip(NEXT) | instid1(SALU_CYCLE_1)
	s_add_nc_u64 s[10:11], s[28:29], s[20:21]
	s_and_b64 s[20:21], s[10:11], 0xffffffff00000000
	s_delay_alu instid0(SALU_CYCLE_1) | instskip(NEXT) | instid1(SALU_CYCLE_1)
	s_or_b32 s20, s20, s10
	s_mul_u64 s[10:11], s[56:57], s[20:21]
	s_delay_alu instid0(SALU_CYCLE_1) | instskip(SKIP_1) | instid1(SALU_CYCLE_1)
	s_sub_co_u32 s8, s74, s10
	s_cselect_b32 s10, -1, 0
	s_cmp_lg_u32 s10, 0
	s_sub_co_ci_u32 s10, s75, s11
	s_sub_co_u32 s11, s8, s56
	s_cselect_b32 s20, -1, 0
	s_delay_alu instid0(SALU_CYCLE_1) | instskip(SKIP_3) | instid1(SALU_CYCLE_1)
	s_cmp_lg_u32 s20, 0
	s_sub_co_ci_u32 s20, s10, 0
	s_sub_co_u32 s21, s11, s56
	s_cselect_b32 s22, -1, 0
	s_cmp_lg_u32 s22, 0
	s_sub_co_ci_u32 s22, s20, 0
	s_cmp_ge_u32 s11, s56
	s_cselect_b32 s23, -1, 0
	s_cmp_eq_u32 s20, 0
	s_cselect_b32 s23, s23, -1
	s_delay_alu instid0(SALU_CYCLE_1)
	s_cmp_lg_u32 s23, 0
	s_cselect_b32 s20, s22, s20
	s_cselect_b32 s21, s21, s11
	s_cmp_ge_u32 s8, s56
	s_cselect_b32 s11, -1, 0
	s_cmp_eq_u32 s10, 0
	s_cselect_b32 s11, s11, -1
	s_delay_alu instid0(SALU_CYCLE_1)
	s_cmp_lg_u32 s11, 0
	s_cselect_b32 s11, s20, s10
	s_cselect_b32 s10, s21, s8
	s_cbranch_execnz .LBB150_159
.LBB150_158:                            ;   in Loop: Header=BB150_18 Depth=1
	v_cvt_f32_u32_e32 v6, s56
	s_sub_co_i32 s10, 0, s56
	s_delay_alu instid0(VALU_DEP_1) | instskip(SKIP_1) | instid1(TRANS32_DEP_1)
	v_rcp_iflag_f32_e32 v6, v6
	v_nop
	v_mul_f32_e32 v6, 0x4f7ffffe, v6
	s_delay_alu instid0(VALU_DEP_1) | instskip(NEXT) | instid1(VALU_DEP_1)
	v_cvt_u32_f32_e32 v6, v6
	v_readfirstlane_b32 s8, v6
	s_mul_i32 s10, s10, s8
	s_delay_alu instid0(SALU_CYCLE_1) | instskip(NEXT) | instid1(SALU_CYCLE_1)
	s_mul_hi_u32 s10, s8, s10
	s_add_co_i32 s8, s8, s10
	s_delay_alu instid0(SALU_CYCLE_1) | instskip(NEXT) | instid1(SALU_CYCLE_1)
	s_mul_hi_u32 s8, s74, s8
	s_mul_i32 s8, s8, s56
	s_delay_alu instid0(SALU_CYCLE_1) | instskip(NEXT) | instid1(SALU_CYCLE_1)
	s_sub_co_i32 s8, s74, s8
	s_sub_co_i32 s10, s8, s56
	s_cmp_ge_u32 s8, s56
	s_cselect_b32 s8, s10, s8
	s_delay_alu instid0(SALU_CYCLE_1) | instskip(SKIP_2) | instid1(SALU_CYCLE_1)
	s_sub_co_i32 s10, s8, s56
	s_cmp_ge_u32 s8, s56
	s_cselect_b32 s28, s10, s8
	s_mov_b64 s[10:11], s[28:29]
.LBB150_159:                            ;   in Loop: Header=BB150_18 Depth=1
	s_delay_alu instid0(SALU_CYCLE_1)
	s_sub_nc_u64 s[10:11], s[74:75], s[10:11]
	s_mov_b32 s8, exec_lo
                                        ; implicit-def: $vgpr7
	v_cmpx_gt_u64_e64 s[10:11], v[0:1]
	s_cbranch_execz .LBB150_168
; %bb.160:                              ;   in Loop: Header=BB150_18 Depth=1
	v_mov_b64_e32 v[8:9], v[0:1]
	s_mov_b32 s20, 0
                                        ; implicit-def: $sgpr21
	s_branch .LBB150_163
.LBB150_161:                            ;   in Loop: Header=BB150_163 Depth=2
	s_or_b32 exec_lo, exec_lo, s22
	s_wait_dscnt 0x0
	s_barrier_signal -1
	s_barrier_wait -1
	ds_load_b64 v[6:7], v3 offset:3072
	s_mov_b32 s23, -1
	s_mov_b32 s22, -1
	s_wait_dscnt 0x0
	s_barrier_signal -1
	s_barrier_wait -1
	v_cmp_eq_u32_e32 vcc_lo, 0, v6
	s_cbranch_vccnz .LBB150_166
.LBB150_162:                            ;   in Loop: Header=BB150_163 Depth=2
	s_and_b32 s23, exec_lo, s23
	s_delay_alu instid0(SALU_CYCLE_1) | instskip(SKIP_2) | instid1(SALU_CYCLE_1)
	s_or_b32 s20, s23, s20
	s_and_not1_b32 s21, s21, exec_lo
	s_and_b32 s22, s22, exec_lo
	s_or_b32 s21, s21, s22
	s_and_not1_b32 exec_lo, exec_lo, s20
	s_cbranch_execz .LBB150_167
.LBB150_163:                            ;   Parent Loop BB150_18 Depth=1
                                        ; =>  This Inner Loop Header: Depth=2
	s_mov_b32 s22, exec_lo
	s_delay_alu instid0(VALU_DEP_1)
	v_cmpx_gt_u64_e64 s[36:37], v[8:9]
	s_cbranch_execz .LBB150_161
; %bb.164:                              ;   in Loop: Header=BB150_163 Depth=2
	v_mul_u64_e32 v[6:7], s[30:31], v[8:9]
	s_delay_alu instid0(VALU_DEP_1) | instskip(SKIP_3) | instid1(VALU_DEP_1)
	v_lshl_add_u64 v[6:7], v[6:7], 2, s[34:35]
	global_load_b32 v23, v[6:7], off
	s_wait_loadcnt 0x0
	v_bitop3_b32 v6, v23, v11, 0x80000000 bitop3:0x48
	v_cmp_eq_u32_e32 vcc_lo, v6, v10
	s_and_b32 exec_lo, exec_lo, vcc_lo
	s_cbranch_execz .LBB150_161
; %bb.165:                              ;   in Loop: Header=BB150_163 Depth=2
	ds_store_b64 v3, v[22:23] offset:3072
	s_branch .LBB150_161
.LBB150_166:                            ;   in Loop: Header=BB150_163 Depth=2
	v_add_nc_u64_e32 v[8:9], s[56:57], v[8:9]
	s_mov_b32 s22, 0
	s_delay_alu instid0(VALU_DEP_1)
	v_cmp_le_u64_e32 vcc_lo, s[10:11], v[8:9]
	s_or_not1_b32 s23, vcc_lo, exec_lo
	s_branch .LBB150_162
.LBB150_167:                            ;   in Loop: Header=BB150_18 Depth=1
	s_or_b32 exec_lo, exec_lo, s20
	s_delay_alu instid0(SALU_CYCLE_1) | instskip(SKIP_1) | instid1(SALU_CYCLE_1)
	s_and_not1_b32 s7, s7, exec_lo
	s_and_b32 s10, s21, exec_lo
	s_or_b32 s7, s7, s10
.LBB150_168:                            ;   in Loop: Header=BB150_18 Depth=1
	s_or_b32 exec_lo, exec_lo, s8
	s_mov_b32 s82, 0
	s_mov_b32 s87, -1
.LBB150_169:                            ;   in Loop: Header=BB150_18 Depth=1
	s_or_not1_b32 s7, s7, exec_lo
.LBB150_170:                            ;   in Loop: Header=BB150_18 Depth=1
	s_or_b32 exec_lo, exec_lo, s88
	s_mov_b32 s8, 0
	s_and_saveexec_b32 s88, s7
	s_cbranch_execz .LBB150_279
; %bb.171:                              ;   in Loop: Header=BB150_18 Depth=1
	v_mov_b64_e32 v[8:9], 1
	v_mov_b32_e32 v2, 1
	s_xor_b32 s10, s89, -1
	s_delay_alu instid0(SALU_CYCLE_1)
	s_and_saveexec_b32 s7, s10
	s_cbranch_execz .LBB150_180
; %bb.172:                              ;   in Loop: Header=BB150_18 Depth=1
	s_mov_b32 s8, exec_lo
	v_cmpx_ge_u64_e64 s[14:15], v[4:5]
	s_xor_b32 s8, exec_lo, s8
	s_cbranch_execz .LBB150_177
; %bb.173:                              ;   in Loop: Header=BB150_18 Depth=1
	ds_load_b64 v[8:9], v3 offset:5120
	s_lshl_b32 s10, 1, vcc_hi
	v_or_b32_e32 v11, s24, v11
	v_and_or_b32 v10, v10, s26, s10
	s_wait_dscnt 0x0
	v_cmp_ne_u64_e32 vcc_lo, 0, v[8:9]
	s_cbranch_vccnz .LBB150_177
; %bb.174:                              ;   in Loop: Header=BB150_18 Depth=1
	s_and_saveexec_b32 s10, s5
; %bb.175:                              ;   in Loop: Header=BB150_18 Depth=1
	v_mov_b64_e32 v[8:9], s[14:15]
	ds_store_b64 v3, v[8:9] offset:5128
; %bb.176:                              ;   in Loop: Header=BB150_18 Depth=1
	s_or_b32 exec_lo, exec_lo, s10
	s_wait_dscnt 0x0
	s_barrier_signal -1
	s_barrier_wait -1
.LBB150_177:                            ;   in Loop: Header=BB150_18 Depth=1
	s_or_saveexec_b32 s8, s8
	v_mov_b32_e32 v2, 8
	s_mov_b32 s10, 0
	s_xor_b32 exec_lo, exec_lo, s8
; %bb.178:                              ;   in Loop: Header=BB150_18 Depth=1
	v_sub_nc_u64_e64 v[4:5], v[4:5], s[14:15]
	v_mov_b32_e32 v2, 0
	s_mov_b32 s10, exec_lo
; %bb.179:                              ;   in Loop: Header=BB150_18 Depth=1
	s_or_b32 exec_lo, exec_lo, s8
	s_delay_alu instid0(VALU_DEP_2)
	v_mov_b64_e32 v[8:9], v[4:5]
	s_and_b32 s8, s10, exec_lo
.LBB150_180:                            ;   in Loop: Header=BB150_18 Depth=1
	s_or_b32 exec_lo, exec_lo, s7
	s_mov_b32 s7, -1
                                        ; implicit-def: $sgpr90
                                        ; implicit-def: $sgpr91
	s_and_saveexec_b32 s89, s8
	s_cbranch_execz .LBB150_278
; %bb.181:                              ;   in Loop: Header=BB150_18 Depth=1
	s_delay_alu instid0(VALU_DEP_1) | instskip(SKIP_2) | instid1(SALU_CYCLE_1)
	v_cmp_eq_u64_e32 vcc_lo, 1, v[8:9]
	s_cmp_eq_u64 s[16:17], 1
                                        ; implicit-def: $sgpr91
                                        ; implicit-def: $sgpr90
	s_cselect_b32 s7, -1, 0
	s_and_b32 s93, s7, vcc_lo
	s_mov_b32 s7, -1
	s_and_saveexec_b32 s92, s93
	s_cbranch_execz .LBB150_215
; %bb.182:                              ;   in Loop: Header=BB150_18 Depth=1
	ds_load_b64 v[4:5], v3 offset:5120
	s_wait_dscnt 0x0
	s_barrier_signal -1
	s_barrier_wait -1
	v_readfirstlane_b32 s10, v4
	v_readfirstlane_b32 s11, v5
	s_and_saveexec_b32 s7, s6
; %bb.183:                              ;   in Loop: Header=BB150_18 Depth=1
	ds_store_b32 v32, v3
; %bb.184:                              ;   in Loop: Header=BB150_18 Depth=1
	s_or_b32 exec_lo, exec_lo, s7
	s_lshl_b32 s7, 2, vcc_hi
	v_or_b32_e32 v11, s24, v11
	v_and_or_b32 v10, v10, s26, s7
	s_mov_b32 s90, -1
	s_mov_b32 s91, 0
	s_cmp_eq_u64 s[10:11], 0
	s_mov_b32 s7, 0
	s_mov_b32 s8, -1
	s_wait_dscnt 0x0
	s_barrier_signal -1
	s_barrier_wait -1
                                        ; implicit-def: $vgpr7
	s_cbranch_scc1 .LBB150_200
; %bb.185:                              ;   in Loop: Header=BB150_18 Depth=1
	s_add_nc_u64 s[20:21], s[10:11], s[72:73]
	s_delay_alu instid0(SALU_CYCLE_1) | instskip(NEXT) | instid1(SALU_CYCLE_1)
	s_and_b64 s[22:23], s[20:21], 0xffffffff00000000
	s_cmp_lg_u64 s[22:23], 0
	s_cbranch_scc0 .LBB150_232
; %bb.186:                              ;   in Loop: Header=BB150_18 Depth=1
	s_cvt_f32_u32 s7, s56
	s_sub_nc_u64 s[62:63], 0, s[56:57]
	s_delay_alu instid0(SALU_CYCLE_2) | instskip(NEXT) | instid1(SALU_CYCLE_3)
	s_fmamk_f32 s7, s104, 0x0, s7
	v_s_rcp_f32 s7, s7
	s_delay_alu instid0(TRANS32_DEP_1) | instskip(NEXT) | instid1(SALU_CYCLE_3)
	s_mul_f32 s7, s7, 0x5f7ffffc
	s_mul_f32 s8, s7, 0x2f800000
	s_delay_alu instid0(SALU_CYCLE_3) | instskip(NEXT) | instid1(SALU_CYCLE_3)
	s_trunc_f32 s8, s8
	s_fmamk_f32 s7, s8, 0xcf800000, s7
	s_cvt_u32_f32 s23, s8
	s_delay_alu instid0(SALU_CYCLE_2) | instskip(NEXT) | instid1(SALU_CYCLE_3)
	s_cvt_u32_f32 s22, s7
	s_mul_u64 s[64:65], s[62:63], s[22:23]
	s_delay_alu instid0(SALU_CYCLE_1)
	s_mul_hi_u32 s95, s22, s65
	s_mul_i32 s94, s22, s65
	s_mul_hi_u32 s28, s22, s64
	s_mul_i32 s8, s23, s64
	s_add_nc_u64 s[94:95], s[28:29], s[94:95]
	s_mul_hi_u32 s7, s23, s64
	s_mul_hi_u32 s40, s23, s65
	s_add_co_u32 s8, s94, s8
	s_add_co_ci_u32 s28, s95, s7
	s_mul_i32 s64, s23, s65
	s_add_co_ci_u32 s65, s40, 0
	s_delay_alu instid0(SALU_CYCLE_1) | instskip(NEXT) | instid1(SALU_CYCLE_1)
	s_add_nc_u64 s[64:65], s[28:29], s[64:65]
	s_add_co_u32 s22, s22, s64
	s_cselect_b32 s7, -1, 0
	s_delay_alu instid0(SALU_CYCLE_1) | instskip(SKIP_1) | instid1(SALU_CYCLE_1)
	s_cmp_lg_u32 s7, 0
	s_add_co_ci_u32 s23, s23, s65
	s_mul_u64 s[62:63], s[62:63], s[22:23]
	s_delay_alu instid0(SALU_CYCLE_1)
	s_mul_hi_u32 s65, s22, s63
	s_mul_i32 s64, s22, s63
	s_mul_hi_u32 s28, s22, s62
	s_mul_i32 s8, s23, s62
	s_add_nc_u64 s[64:65], s[28:29], s[64:65]
	s_mul_hi_u32 s7, s23, s62
	s_mul_hi_u32 s40, s23, s63
	s_add_co_u32 s8, s64, s8
	s_add_co_ci_u32 s28, s65, s7
	s_mul_i32 s62, s23, s63
	s_add_co_ci_u32 s63, s40, 0
	s_delay_alu instid0(SALU_CYCLE_1) | instskip(NEXT) | instid1(SALU_CYCLE_1)
	s_add_nc_u64 s[62:63], s[28:29], s[62:63]
	s_add_co_u32 s7, s22, s62
	s_cselect_b32 s8, -1, 0
	s_mul_hi_u32 s28, s20, s7
	s_cmp_lg_u32 s8, 0
	s_mul_hi_u32 s8, s21, s7
	s_add_co_ci_u32 s40, s23, s63
	s_mul_i32 s7, s21, s7
	s_mul_hi_u32 s23, s20, s40
	s_mul_i32 s22, s20, s40
	s_mul_hi_u32 s41, s21, s40
	s_add_nc_u64 s[22:23], s[28:29], s[22:23]
	s_mul_i32 s62, s21, s40
	s_add_co_u32 s7, s22, s7
	s_add_co_ci_u32 s28, s23, s8
	s_add_co_ci_u32 s63, s41, 0
	s_delay_alu instid0(SALU_CYCLE_1) | instskip(NEXT) | instid1(SALU_CYCLE_1)
	s_add_nc_u64 s[22:23], s[28:29], s[62:63]
	s_and_b64 s[62:63], s[22:23], 0xffffffff00000000
	s_delay_alu instid0(SALU_CYCLE_1) | instskip(NEXT) | instid1(SALU_CYCLE_1)
	s_or_b32 s62, s62, s22
	s_mul_u64 s[22:23], s[56:57], s[62:63]
	s_delay_alu instid0(SALU_CYCLE_1) | instskip(SKIP_1) | instid1(SALU_CYCLE_1)
	s_sub_co_u32 s7, s20, s22
	s_cselect_b32 s8, -1, 0
	s_cmp_lg_u32 s8, 0
	s_sub_co_ci_u32 s8, s21, s23
	s_sub_co_u32 s22, s7, s56
	s_cselect_b32 s23, -1, 0
	s_delay_alu instid0(SALU_CYCLE_1) | instskip(SKIP_3) | instid1(SALU_CYCLE_1)
	s_cmp_lg_u32 s23, 0
	s_sub_co_ci_u32 s23, s8, 0
	s_sub_co_u32 s28, s22, s56
	s_cselect_b32 s40, -1, 0
	s_cmp_lg_u32 s40, 0
	s_sub_co_ci_u32 s40, s23, 0
	s_cmp_ge_u32 s22, s56
	s_cselect_b32 s41, -1, 0
	s_cmp_eq_u32 s23, 0
	s_cselect_b32 s41, s41, -1
	s_delay_alu instid0(SALU_CYCLE_1)
	s_cmp_lg_u32 s41, 0
	s_cselect_b32 s23, s40, s23
	s_cselect_b32 s22, s28, s22
	s_cmp_ge_u32 s7, s56
	s_cselect_b32 s28, -1, 0
	s_cmp_eq_u32 s8, 0
	s_cselect_b32 s28, s28, -1
	s_delay_alu instid0(SALU_CYCLE_1)
	s_cmp_lg_u32 s28, 0
	s_cselect_b32 s23, s23, s8
	s_cselect_b32 s22, s22, s7
	s_cbranch_execnz .LBB150_188
.LBB150_187:                            ;   in Loop: Header=BB150_18 Depth=1
	v_cvt_f32_u32_e32 v4, s56
	s_sub_co_i32 s8, 0, s56
	s_delay_alu instid0(VALU_DEP_1) | instskip(SKIP_1) | instid1(TRANS32_DEP_1)
	v_rcp_iflag_f32_e32 v4, v4
	v_nop
	v_mul_f32_e32 v4, 0x4f7ffffe, v4
	s_delay_alu instid0(VALU_DEP_1) | instskip(NEXT) | instid1(VALU_DEP_1)
	v_cvt_u32_f32_e32 v4, v4
	v_readfirstlane_b32 s7, v4
	s_mul_i32 s8, s8, s7
	s_delay_alu instid0(SALU_CYCLE_1) | instskip(NEXT) | instid1(SALU_CYCLE_1)
	s_mul_hi_u32 s8, s7, s8
	s_add_co_i32 s7, s7, s8
	s_delay_alu instid0(SALU_CYCLE_1) | instskip(NEXT) | instid1(SALU_CYCLE_1)
	s_mul_hi_u32 s7, s20, s7
	s_mul_i32 s7, s7, s56
	s_delay_alu instid0(SALU_CYCLE_1) | instskip(NEXT) | instid1(SALU_CYCLE_1)
	s_sub_co_i32 s7, s20, s7
	s_sub_co_i32 s8, s7, s56
	s_cmp_ge_u32 s7, s56
	s_cselect_b32 s7, s8, s7
	s_delay_alu instid0(SALU_CYCLE_1) | instskip(SKIP_2) | instid1(SALU_CYCLE_1)
	s_sub_co_i32 s8, s7, s56
	s_cmp_ge_u32 s7, s56
	s_cselect_b32 s28, s8, s7
	s_mov_b64 s[22:23], s[28:29]
.LBB150_188:                            ;   in Loop: Header=BB150_18 Depth=1
	s_delay_alu instid0(SALU_CYCLE_1)
	s_sub_nc_u64 s[20:21], s[20:21], s[22:23]
	s_mov_b32 s8, 0
	s_mov_b32 s7, 0
	s_mov_b32 s22, exec_lo
                                        ; implicit-def: $vgpr7
	v_cmpx_gt_u64_e64 s[20:21], v[0:1]
	s_cbranch_execz .LBB150_199
; %bb.189:                              ;   in Loop: Header=BB150_18 Depth=1
	v_mov_b64_e32 v[4:5], v[0:1]
	v_mov_b32_e32 v24, v16
                                        ; implicit-def: $sgpr23
	s_branch .LBB150_192
.LBB150_190:                            ;   in Loop: Header=BB150_192 Depth=2
	s_or_b32 exec_lo, exec_lo, s28
	s_wait_dscnt 0x0
	s_barrier_signal -1
	s_barrier_wait -1
	ds_load_b64 v[6:7], v3 offset:3072
	s_mov_b32 s28, -1
	s_mov_b32 s62, -1
	s_wait_dscnt 0x0
	s_barrier_signal -1
	s_barrier_wait -1
	v_cmp_ne_u32_e32 vcc_lo, 0, v6
	s_cbranch_vccz .LBB150_195
.LBB150_191:                            ;   in Loop: Header=BB150_192 Depth=2
	s_and_b32 s28, exec_lo, s28
	s_delay_alu instid0(SALU_CYCLE_1) | instskip(SKIP_2) | instid1(SALU_CYCLE_1)
	s_or_b32 s7, s28, s7
	s_and_not1_b32 s23, s23, exec_lo
	s_and_b32 s28, s62, exec_lo
	s_or_b32 s23, s23, s28
	s_and_not1_b32 exec_lo, exec_lo, s7
	s_cbranch_execz .LBB150_198
.LBB150_192:                            ;   Parent Loop BB150_18 Depth=1
                                        ; =>  This Inner Loop Header: Depth=2
	s_mov_b32 s28, exec_lo
	s_delay_alu instid0(VALU_DEP_2)
	v_cmpx_gt_u64_e64 s[10:11], v[4:5]
	s_cbranch_execz .LBB150_190
; %bb.193:                              ;   in Loop: Header=BB150_192 Depth=2
	ds_load_b32 v23, v24
	s_wait_dscnt 0x0
	v_bitop3_b32 v6, v23, v11, 0x80000000 bitop3:0x48
	s_delay_alu instid0(VALU_DEP_1)
	v_cmp_eq_u32_e32 vcc_lo, v6, v10
	s_and_b32 exec_lo, exec_lo, vcc_lo
	s_cbranch_execz .LBB150_190
; %bb.194:                              ;   in Loop: Header=BB150_192 Depth=2
	ds_store_b64 v3, v[22:23] offset:3072
	s_branch .LBB150_190
.LBB150_195:                            ;   in Loop: Header=BB150_192 Depth=2
	v_add_nc_u64_e32 v[4:5], s[56:57], v[4:5]
	v_add_nc_u32_e32 v24, s103, v24
	s_mov_b32 s62, 0
	s_delay_alu instid0(VALU_DEP_2)
	v_cmp_le_u64_e32 vcc_lo, s[20:21], v[4:5]
	s_or_not1_b32 s28, vcc_lo, exec_lo
	s_branch .LBB150_191
.LBB150_196:                            ;   in Loop: Header=BB150_18 Depth=1
                                        ; implicit-def: $sgpr22_sgpr23
	s_branch .LBB150_142
.LBB150_197:                            ;   in Loop: Header=BB150_18 Depth=1
                                        ; implicit-def: $sgpr10_sgpr11
	s_branch .LBB150_158
.LBB150_198:                            ;   in Loop: Header=BB150_18 Depth=1
	s_or_b32 exec_lo, exec_lo, s7
	s_delay_alu instid0(SALU_CYCLE_1)
	s_and_b32 s7, s23, exec_lo
.LBB150_199:                            ;   in Loop: Header=BB150_18 Depth=1
	s_or_b32 exec_lo, exec_lo, s22
.LBB150_200:                            ;   in Loop: Header=BB150_18 Depth=1
	s_delay_alu instid0(SALU_CYCLE_1)
	s_and_b32 vcc_lo, exec_lo, s8
	s_cbranch_vccz .LBB150_214
; %bb.201:                              ;   in Loop: Header=BB150_18 Depth=1
	s_and_b64 s[10:11], s[74:75], 0xffffffff00000000
	s_delay_alu instid0(SALU_CYCLE_1)
	s_cmp_lg_u64 s[10:11], 0
	s_cbranch_scc0 .LBB150_233
; %bb.202:                              ;   in Loop: Header=BB150_18 Depth=1
	s_cvt_f32_u32 s8, s56
	s_sub_nc_u64 s[20:21], 0, s[56:57]
	s_delay_alu instid0(SALU_CYCLE_2) | instskip(NEXT) | instid1(SALU_CYCLE_3)
	s_fmamk_f32 s8, s104, 0x0, s8
	v_s_rcp_f32 s8, s8
	s_delay_alu instid0(TRANS32_DEP_1) | instskip(NEXT) | instid1(SALU_CYCLE_3)
	s_mul_f32 s8, s8, 0x5f7ffffc
	s_mul_f32 s10, s8, 0x2f800000
	s_delay_alu instid0(SALU_CYCLE_3) | instskip(NEXT) | instid1(SALU_CYCLE_3)
	s_trunc_f32 s10, s10
	s_fmamk_f32 s8, s10, 0xcf800000, s8
	s_cvt_u32_f32 s11, s10
	s_delay_alu instid0(SALU_CYCLE_2) | instskip(NEXT) | instid1(SALU_CYCLE_3)
	s_cvt_u32_f32 s10, s8
	s_mul_u64 s[22:23], s[20:21], s[10:11]
	s_delay_alu instid0(SALU_CYCLE_1)
	s_mul_hi_u32 s63, s10, s23
	s_mul_i32 s62, s10, s23
	s_mul_hi_u32 s28, s10, s22
	s_mul_i32 s40, s11, s22
	s_add_nc_u64 s[62:63], s[28:29], s[62:63]
	s_mul_hi_u32 s8, s11, s22
	s_mul_hi_u32 s41, s11, s23
	s_mul_i32 s22, s11, s23
	s_add_co_u32 s23, s62, s40
	s_add_co_ci_u32 s28, s63, s8
	s_add_co_ci_u32 s23, s41, 0
	s_delay_alu instid0(SALU_CYCLE_1) | instskip(NEXT) | instid1(SALU_CYCLE_1)
	s_add_nc_u64 s[22:23], s[28:29], s[22:23]
	s_add_co_u32 s10, s10, s22
	s_cselect_b32 s8, -1, 0
	s_delay_alu instid0(SALU_CYCLE_1) | instskip(SKIP_1) | instid1(SALU_CYCLE_1)
	s_cmp_lg_u32 s8, 0
	s_add_co_ci_u32 s11, s11, s23
	s_mul_u64 s[20:21], s[20:21], s[10:11]
	s_delay_alu instid0(SALU_CYCLE_1)
	s_mul_hi_u32 s23, s10, s21
	s_mul_i32 s22, s10, s21
	s_mul_hi_u32 s28, s10, s20
	s_mul_i32 s40, s11, s20
	s_add_nc_u64 s[22:23], s[28:29], s[22:23]
	s_mul_hi_u32 s8, s11, s20
	s_mul_hi_u32 s41, s11, s21
	s_mul_i32 s20, s11, s21
	s_add_co_u32 s21, s22, s40
	s_add_co_ci_u32 s28, s23, s8
	s_add_co_ci_u32 s21, s41, 0
	s_delay_alu instid0(SALU_CYCLE_1) | instskip(NEXT) | instid1(SALU_CYCLE_1)
	s_add_nc_u64 s[20:21], s[28:29], s[20:21]
	s_add_co_u32 s8, s10, s20
	s_cselect_b32 s10, -1, 0
	s_mul_hi_u32 s28, s74, s8
	s_cmp_lg_u32 s10, 0
	s_mul_hi_u32 s22, s75, s8
	s_add_co_ci_u32 s20, s11, s21
	s_mul_i32 s8, s75, s8
	s_mul_hi_u32 s11, s74, s20
	s_mul_i32 s10, s74, s20
	s_mul_hi_u32 s21, s75, s20
	s_add_nc_u64 s[10:11], s[28:29], s[10:11]
	s_mul_i32 s20, s75, s20
	s_add_co_u32 s8, s10, s8
	s_add_co_ci_u32 s28, s11, s22
	s_add_co_ci_u32 s21, s21, 0
	s_delay_alu instid0(SALU_CYCLE_1) | instskip(NEXT) | instid1(SALU_CYCLE_1)
	s_add_nc_u64 s[10:11], s[28:29], s[20:21]
	s_and_b64 s[20:21], s[10:11], 0xffffffff00000000
	s_delay_alu instid0(SALU_CYCLE_1) | instskip(NEXT) | instid1(SALU_CYCLE_1)
	s_or_b32 s20, s20, s10
	s_mul_u64 s[10:11], s[56:57], s[20:21]
	s_delay_alu instid0(SALU_CYCLE_1) | instskip(SKIP_1) | instid1(SALU_CYCLE_1)
	s_sub_co_u32 s8, s74, s10
	s_cselect_b32 s10, -1, 0
	s_cmp_lg_u32 s10, 0
	s_sub_co_ci_u32 s10, s75, s11
	s_sub_co_u32 s11, s8, s56
	s_cselect_b32 s20, -1, 0
	s_delay_alu instid0(SALU_CYCLE_1) | instskip(SKIP_3) | instid1(SALU_CYCLE_1)
	s_cmp_lg_u32 s20, 0
	s_sub_co_ci_u32 s20, s10, 0
	s_sub_co_u32 s21, s11, s56
	s_cselect_b32 s22, -1, 0
	s_cmp_lg_u32 s22, 0
	s_sub_co_ci_u32 s22, s20, 0
	s_cmp_ge_u32 s11, s56
	s_cselect_b32 s23, -1, 0
	s_cmp_eq_u32 s20, 0
	s_cselect_b32 s23, s23, -1
	s_delay_alu instid0(SALU_CYCLE_1)
	s_cmp_lg_u32 s23, 0
	s_cselect_b32 s20, s22, s20
	s_cselect_b32 s21, s21, s11
	s_cmp_ge_u32 s8, s56
	s_cselect_b32 s11, -1, 0
	s_cmp_eq_u32 s10, 0
	s_cselect_b32 s11, s11, -1
	s_delay_alu instid0(SALU_CYCLE_1)
	s_cmp_lg_u32 s11, 0
	s_cselect_b32 s11, s20, s10
	s_cselect_b32 s10, s21, s8
	s_cbranch_execnz .LBB150_204
.LBB150_203:                            ;   in Loop: Header=BB150_18 Depth=1
	v_cvt_f32_u32_e32 v4, s56
	s_sub_co_i32 s10, 0, s56
	s_delay_alu instid0(VALU_DEP_1) | instskip(SKIP_1) | instid1(TRANS32_DEP_1)
	v_rcp_iflag_f32_e32 v4, v4
	v_nop
	v_mul_f32_e32 v4, 0x4f7ffffe, v4
	s_delay_alu instid0(VALU_DEP_1) | instskip(NEXT) | instid1(VALU_DEP_1)
	v_cvt_u32_f32_e32 v4, v4
	v_readfirstlane_b32 s8, v4
	s_mul_i32 s10, s10, s8
	s_delay_alu instid0(SALU_CYCLE_1) | instskip(NEXT) | instid1(SALU_CYCLE_1)
	s_mul_hi_u32 s10, s8, s10
	s_add_co_i32 s8, s8, s10
	s_delay_alu instid0(SALU_CYCLE_1) | instskip(NEXT) | instid1(SALU_CYCLE_1)
	s_mul_hi_u32 s8, s74, s8
	s_mul_i32 s8, s8, s56
	s_delay_alu instid0(SALU_CYCLE_1) | instskip(NEXT) | instid1(SALU_CYCLE_1)
	s_sub_co_i32 s8, s74, s8
	s_sub_co_i32 s10, s8, s56
	s_cmp_ge_u32 s8, s56
	s_cselect_b32 s8, s10, s8
	s_delay_alu instid0(SALU_CYCLE_1) | instskip(SKIP_2) | instid1(SALU_CYCLE_1)
	s_sub_co_i32 s10, s8, s56
	s_cmp_ge_u32 s8, s56
	s_cselect_b32 s28, s10, s8
	s_mov_b64 s[10:11], s[28:29]
.LBB150_204:                            ;   in Loop: Header=BB150_18 Depth=1
	s_delay_alu instid0(SALU_CYCLE_1)
	s_sub_nc_u64 s[10:11], s[74:75], s[10:11]
	s_mov_b32 s8, exec_lo
                                        ; implicit-def: $vgpr7
	v_cmpx_gt_u64_e64 s[10:11], v[0:1]
	s_cbranch_execz .LBB150_213
; %bb.205:                              ;   in Loop: Header=BB150_18 Depth=1
	v_mov_b64_e32 v[4:5], v[0:1]
	s_mov_b32 s20, 0
                                        ; implicit-def: $sgpr21
	s_branch .LBB150_208
.LBB150_206:                            ;   in Loop: Header=BB150_208 Depth=2
	s_or_b32 exec_lo, exec_lo, s22
	s_wait_dscnt 0x0
	s_barrier_signal -1
	s_barrier_wait -1
	ds_load_b64 v[6:7], v3 offset:3072
	s_mov_b32 s23, -1
	s_mov_b32 s22, -1
	s_wait_dscnt 0x0
	s_barrier_signal -1
	s_barrier_wait -1
	v_cmp_eq_u32_e32 vcc_lo, 0, v6
	s_cbranch_vccnz .LBB150_211
.LBB150_207:                            ;   in Loop: Header=BB150_208 Depth=2
	s_and_b32 s23, exec_lo, s23
	s_delay_alu instid0(SALU_CYCLE_1) | instskip(SKIP_2) | instid1(SALU_CYCLE_1)
	s_or_b32 s20, s23, s20
	s_and_not1_b32 s21, s21, exec_lo
	s_and_b32 s22, s22, exec_lo
	s_or_b32 s21, s21, s22
	s_and_not1_b32 exec_lo, exec_lo, s20
	s_cbranch_execz .LBB150_212
.LBB150_208:                            ;   Parent Loop BB150_18 Depth=1
                                        ; =>  This Inner Loop Header: Depth=2
	s_mov_b32 s22, exec_lo
	s_delay_alu instid0(VALU_DEP_1)
	v_cmpx_gt_u64_e64 s[36:37], v[4:5]
	s_cbranch_execz .LBB150_206
; %bb.209:                              ;   in Loop: Header=BB150_208 Depth=2
	v_mul_u64_e32 v[6:7], s[30:31], v[4:5]
	s_delay_alu instid0(VALU_DEP_1) | instskip(SKIP_3) | instid1(VALU_DEP_1)
	v_lshl_add_u64 v[6:7], v[6:7], 2, s[34:35]
	global_load_b32 v23, v[6:7], off
	s_wait_loadcnt 0x0
	v_bitop3_b32 v6, v23, v11, 0x80000000 bitop3:0x48
	v_cmp_eq_u32_e32 vcc_lo, v6, v10
	s_and_b32 exec_lo, exec_lo, vcc_lo
	s_cbranch_execz .LBB150_206
; %bb.210:                              ;   in Loop: Header=BB150_208 Depth=2
	ds_store_b64 v3, v[22:23] offset:3072
	s_branch .LBB150_206
.LBB150_211:                            ;   in Loop: Header=BB150_208 Depth=2
	v_add_nc_u64_e32 v[4:5], s[56:57], v[4:5]
	s_mov_b32 s22, 0
	s_delay_alu instid0(VALU_DEP_1)
	v_cmp_le_u64_e32 vcc_lo, s[10:11], v[4:5]
	s_or_not1_b32 s23, vcc_lo, exec_lo
	s_branch .LBB150_207
.LBB150_212:                            ;   in Loop: Header=BB150_18 Depth=1
	s_or_b32 exec_lo, exec_lo, s20
	s_delay_alu instid0(SALU_CYCLE_1) | instskip(SKIP_1) | instid1(SALU_CYCLE_1)
	s_and_not1_b32 s7, s7, exec_lo
	s_and_b32 s10, s21, exec_lo
	s_or_b32 s7, s7, s10
.LBB150_213:                            ;   in Loop: Header=BB150_18 Depth=1
	s_or_b32 exec_lo, exec_lo, s8
	s_mov_b32 s90, 0
	s_mov_b32 s91, -1
.LBB150_214:                            ;   in Loop: Header=BB150_18 Depth=1
	s_or_not1_b32 s7, s7, exec_lo
.LBB150_215:                            ;   in Loop: Header=BB150_18 Depth=1
	s_or_b32 exec_lo, exec_lo, s92
	s_mov_b32 s8, 0
	s_and_saveexec_b32 s92, s7
	s_cbranch_execz .LBB150_277
; %bb.216:                              ;   in Loop: Header=BB150_18 Depth=1
	v_mov_b64_e32 v[4:5], 1
	v_mov_b32_e32 v2, 1
	s_xor_b32 s8, s93, -1
	s_mov_b32 s11, 0
	s_and_saveexec_b32 s7, s8
	s_cbranch_execz .LBB150_225
; %bb.217:                              ;   in Loop: Header=BB150_18 Depth=1
	s_mov_b32 s8, exec_lo
	v_cmpx_ge_u64_e64 s[16:17], v[8:9]
	s_xor_b32 s8, exec_lo, s8
	s_cbranch_execz .LBB150_222
; %bb.218:                              ;   in Loop: Header=BB150_18 Depth=1
	ds_load_b64 v[4:5], v3 offset:5120
	s_lshl_b32 s10, 2, vcc_hi
	v_or_b32_e32 v11, s24, v11
	v_and_or_b32 v10, v10, s26, s10
	s_wait_dscnt 0x0
	v_cmp_ne_u64_e32 vcc_lo, 0, v[4:5]
	s_cbranch_vccnz .LBB150_222
; %bb.219:                              ;   in Loop: Header=BB150_18 Depth=1
	s_and_saveexec_b32 s10, s5
; %bb.220:                              ;   in Loop: Header=BB150_18 Depth=1
	v_mov_b64_e32 v[4:5], s[16:17]
	ds_store_b64 v3, v[4:5] offset:5128
; %bb.221:                              ;   in Loop: Header=BB150_18 Depth=1
	s_or_b32 exec_lo, exec_lo, s10
	s_wait_dscnt 0x0
	s_barrier_signal -1
	s_barrier_wait -1
.LBB150_222:                            ;   in Loop: Header=BB150_18 Depth=1
	s_or_saveexec_b32 s8, s8
	v_mov_b32_e32 v2, 8
	s_mov_b32 s10, 0
	s_xor_b32 exec_lo, exec_lo, s8
; %bb.223:                              ;   in Loop: Header=BB150_18 Depth=1
	v_sub_nc_u64_e64 v[8:9], v[8:9], s[16:17]
	v_mov_b32_e32 v2, 0
	s_mov_b32 s10, exec_lo
; %bb.224:                              ;   in Loop: Header=BB150_18 Depth=1
	s_or_b32 exec_lo, exec_lo, s8
	s_delay_alu instid0(VALU_DEP_2)
	v_mov_b64_e32 v[4:5], v[8:9]
	s_and_b32 s11, s10, exec_lo
.LBB150_225:                            ;   in Loop: Header=BB150_18 Depth=1
	s_or_b32 exec_lo, exec_lo, s7
	s_mov_b32 s10, -1
                                        ; implicit-def: $sgpr7
                                        ; implicit-def: $sgpr8
	s_and_saveexec_b32 s93, s11
	s_cbranch_execz .LBB150_276
; %bb.226:                              ;   in Loop: Header=BB150_18 Depth=1
	s_delay_alu instid0(VALU_DEP_1) | instskip(SKIP_3) | instid1(SALU_CYCLE_1)
	v_cmp_eq_u64_e32 vcc_lo, 1, v[4:5]
	s_cmp_eq_u64 s[18:19], 1
	s_mov_b32 s11, -1
	s_cselect_b32 s7, -1, 0
                                        ; implicit-def: $sgpr8
	s_and_b32 s94, s7, vcc_lo
                                        ; implicit-def: $sgpr7
	s_delay_alu instid0(SALU_CYCLE_1)
	s_and_saveexec_b32 s95, s94
	s_cbranch_execz .LBB150_264
; %bb.227:                              ;   in Loop: Header=BB150_18 Depth=1
	ds_load_b64 v[6:7], v3 offset:5120
	s_wait_dscnt 0x0
	s_barrier_signal -1
	s_barrier_wait -1
	v_readfirstlane_b32 s10, v6
	v_readfirstlane_b32 s11, v7
	s_and_saveexec_b32 s7, s6
; %bb.228:                              ;   in Loop: Header=BB150_18 Depth=1
	ds_store_b32 v32, v3
; %bb.229:                              ;   in Loop: Header=BB150_18 Depth=1
	s_or_b32 exec_lo, exec_lo, s7
	v_or_b32_e32 v10, s24, v10
	v_or_b32_e32 v11, s24, v11
	s_mov_b32 s8, -1
	s_mov_b32 s7, 0
	s_cmp_eq_u64 s[10:11], 0
	s_mov_b32 s22, 0
	s_mov_b32 s23, -1
	s_wait_dscnt 0x0
	s_barrier_signal -1
	s_barrier_wait -1
                                        ; implicit-def: $vgpr7
	s_cbranch_scc1 .LBB150_247
; %bb.230:                              ;   in Loop: Header=BB150_18 Depth=1
	s_add_nc_u64 s[20:21], s[10:11], s[72:73]
	s_delay_alu instid0(SALU_CYCLE_1) | instskip(NEXT) | instid1(SALU_CYCLE_1)
	s_and_b64 s[22:23], s[20:21], 0xffffffff00000000
	s_cmp_lg_u64 s[22:23], 0
	s_cbranch_scc0 .LBB150_234
; %bb.231:                              ;   in Loop: Header=BB150_18 Depth=1
	s_cvt_f32_u32 s22, s56
	s_sub_nc_u64 s[62:63], 0, s[56:57]
	s_delay_alu instid0(SALU_CYCLE_2) | instskip(NEXT) | instid1(SALU_CYCLE_3)
	s_fmamk_f32 s22, s104, 0x0, s22
	v_s_rcp_f32 s22, s22
	s_delay_alu instid0(TRANS32_DEP_1) | instskip(NEXT) | instid1(SALU_CYCLE_3)
	s_mul_f32 s22, s22, 0x5f7ffffc
	s_mul_f32 s23, s22, 0x2f800000
	s_delay_alu instid0(SALU_CYCLE_3) | instskip(NEXT) | instid1(SALU_CYCLE_3)
	s_trunc_f32 s23, s23
	s_fmamk_f32 s22, s23, 0xcf800000, s22
	s_cvt_u32_f32 s23, s23
	s_delay_alu instid0(SALU_CYCLE_2) | instskip(NEXT) | instid1(SALU_CYCLE_3)
	s_cvt_u32_f32 s22, s22
	s_mul_u64 s[64:65], s[62:63], s[22:23]
	s_delay_alu instid0(SALU_CYCLE_1)
	s_mul_hi_u32 s41, s22, s65
	s_mul_i32 s40, s22, s65
	s_mul_hi_u32 s28, s22, s64
	s_mul_hi_u32 s43, s23, s64
	s_mul_i32 s64, s23, s64
	s_add_nc_u64 s[40:41], s[28:29], s[40:41]
	s_mul_hi_u32 vcc_lo, s23, s65
	s_add_co_u32 s28, s40, s64
	s_add_co_ci_u32 s28, s41, s43
	s_mul_i32 s42, s23, s65
	s_add_co_ci_u32 s43, vcc_lo, 0
	s_delay_alu instid0(SALU_CYCLE_1) | instskip(NEXT) | instid1(SALU_CYCLE_1)
	s_add_nc_u64 s[40:41], s[28:29], s[42:43]
	s_add_co_u32 s22, s22, s40
	s_cselect_b32 s28, -1, 0
	s_delay_alu instid0(SALU_CYCLE_1) | instskip(SKIP_1) | instid1(SALU_CYCLE_1)
	s_cmp_lg_u32 s28, 0
	s_add_co_ci_u32 s23, s23, s41
	s_mul_u64 s[40:41], s[62:63], s[22:23]
	s_delay_alu instid0(SALU_CYCLE_1)
	s_mul_hi_u32 s43, s22, s41
	s_mul_i32 s42, s22, s41
	s_mul_hi_u32 s28, s22, s40
	s_mul_i32 s63, s23, s40
	s_add_nc_u64 s[42:43], s[28:29], s[42:43]
	s_mul_hi_u32 s62, s23, s40
	s_mul_hi_u32 s64, s23, s41
	s_add_co_u32 s28, s42, s63
	s_add_co_ci_u32 s28, s43, s62
	s_mul_i32 s40, s23, s41
	s_add_co_ci_u32 s41, s64, 0
	s_delay_alu instid0(SALU_CYCLE_1) | instskip(NEXT) | instid1(SALU_CYCLE_1)
	s_add_nc_u64 s[40:41], s[28:29], s[40:41]
	s_add_co_u32 s22, s22, s40
	s_cselect_b32 s40, -1, 0
	s_mul_hi_u32 s28, s20, s22
	s_cmp_lg_u32 s40, 0
	s_mul_hi_u32 s42, s21, s22
	s_add_co_ci_u32 s40, s23, s41
	s_mul_i32 s41, s21, s22
	s_mul_hi_u32 s23, s20, s40
	s_mul_i32 s22, s20, s40
	s_mul_hi_u32 s43, s21, s40
	s_add_nc_u64 s[22:23], s[28:29], s[22:23]
	s_mul_i32 s40, s21, s40
	s_add_co_u32 s22, s22, s41
	s_add_co_ci_u32 s28, s23, s42
	s_add_co_ci_u32 s41, s43, 0
	s_delay_alu instid0(SALU_CYCLE_1) | instskip(NEXT) | instid1(SALU_CYCLE_1)
	s_add_nc_u64 s[22:23], s[28:29], s[40:41]
	s_and_b64 s[40:41], s[22:23], 0xffffffff00000000
	s_delay_alu instid0(SALU_CYCLE_1) | instskip(NEXT) | instid1(SALU_CYCLE_1)
	s_or_b32 s40, s40, s22
	s_mul_u64 s[22:23], s[56:57], s[40:41]
	s_delay_alu instid0(SALU_CYCLE_1) | instskip(SKIP_1) | instid1(SALU_CYCLE_1)
	s_sub_co_u32 s22, s20, s22
	s_cselect_b32 s28, -1, 0
	s_cmp_lg_u32 s28, 0
	s_sub_co_ci_u32 s23, s21, s23
	s_sub_co_u32 s28, s22, s56
	s_cselect_b32 s40, -1, 0
	s_delay_alu instid0(SALU_CYCLE_1) | instskip(SKIP_3) | instid1(SALU_CYCLE_1)
	s_cmp_lg_u32 s40, 0
	s_sub_co_ci_u32 s40, s23, 0
	s_sub_co_u32 s41, s28, s56
	s_cselect_b32 s42, -1, 0
	s_cmp_lg_u32 s42, 0
	s_sub_co_ci_u32 s42, s40, 0
	s_cmp_ge_u32 s28, s56
	s_cselect_b32 s43, -1, 0
	s_cmp_eq_u32 s40, 0
	s_cselect_b32 s43, s43, -1
	s_delay_alu instid0(SALU_CYCLE_1)
	s_cmp_lg_u32 s43, 0
	s_cselect_b32 s40, s42, s40
	s_cselect_b32 s28, s41, s28
	s_cmp_ge_u32 s22, s56
	s_cselect_b32 s41, -1, 0
	s_cmp_eq_u32 s23, 0
	s_cselect_b32 s41, s41, -1
	s_delay_alu instid0(SALU_CYCLE_1)
	s_cmp_lg_u32 s41, 0
	s_cselect_b32 s23, s40, s23
	s_cselect_b32 s22, s28, s22
	s_mov_b32 s28, 0
	s_branch .LBB150_235
.LBB150_232:                            ;   in Loop: Header=BB150_18 Depth=1
                                        ; implicit-def: $sgpr22_sgpr23
	s_branch .LBB150_187
.LBB150_233:                            ;   in Loop: Header=BB150_18 Depth=1
                                        ; implicit-def: $sgpr10_sgpr11
	s_branch .LBB150_203
.LBB150_234:                            ;   in Loop: Header=BB150_18 Depth=1
	s_mov_b32 s28, -1
                                        ; implicit-def: $sgpr22_sgpr23
.LBB150_235:                            ;   in Loop: Header=BB150_18 Depth=1
	s_delay_alu instid0(SALU_CYCLE_1)
	s_and_not1_b32 vcc_lo, exec_lo, s28
	s_cbranch_vccnz .LBB150_237
; %bb.236:                              ;   in Loop: Header=BB150_18 Depth=1
	v_cvt_f32_u32_e32 v6, s56
	s_sub_co_i32 s23, 0, s56
	s_delay_alu instid0(VALU_DEP_1) | instskip(SKIP_1) | instid1(TRANS32_DEP_1)
	v_rcp_iflag_f32_e32 v6, v6
	v_nop
	v_mul_f32_e32 v6, 0x4f7ffffe, v6
	s_delay_alu instid0(VALU_DEP_1) | instskip(NEXT) | instid1(VALU_DEP_1)
	v_cvt_u32_f32_e32 v6, v6
	v_readfirstlane_b32 s22, v6
	s_mul_i32 s23, s23, s22
	s_delay_alu instid0(SALU_CYCLE_1) | instskip(NEXT) | instid1(SALU_CYCLE_1)
	s_mul_hi_u32 s23, s22, s23
	s_add_co_i32 s22, s22, s23
	s_delay_alu instid0(SALU_CYCLE_1) | instskip(NEXT) | instid1(SALU_CYCLE_1)
	s_mul_hi_u32 s22, s20, s22
	s_mul_i32 s22, s22, s56
	s_delay_alu instid0(SALU_CYCLE_1) | instskip(NEXT) | instid1(SALU_CYCLE_1)
	s_sub_co_i32 s22, s20, s22
	s_sub_co_i32 s23, s22, s56
	s_cmp_ge_u32 s22, s56
	s_cselect_b32 s22, s23, s22
	s_delay_alu instid0(SALU_CYCLE_1) | instskip(SKIP_2) | instid1(SALU_CYCLE_1)
	s_sub_co_i32 s23, s22, s56
	s_cmp_ge_u32 s22, s56
	s_cselect_b32 s28, s23, s22
	s_mov_b64 s[22:23], s[28:29]
.LBB150_237:                            ;   in Loop: Header=BB150_18 Depth=1
	s_delay_alu instid0(SALU_CYCLE_1)
	s_sub_nc_u64 s[20:21], s[20:21], s[22:23]
	s_mov_b32 s23, 0
	s_mov_b32 s22, 0
	s_mov_b32 s28, exec_lo
                                        ; implicit-def: $vgpr7
	v_cmpx_gt_u64_e64 s[20:21], v[0:1]
	s_cbranch_execz .LBB150_246
; %bb.238:                              ;   in Loop: Header=BB150_18 Depth=1
	v_mov_b64_e32 v[8:9], v[0:1]
	v_mov_b32_e32 v24, v16
                                        ; implicit-def: $sgpr62
	s_branch .LBB150_241
.LBB150_239:                            ;   in Loop: Header=BB150_241 Depth=2
	s_or_b32 exec_lo, exec_lo, s63
	s_wait_dscnt 0x0
	s_barrier_signal -1
	s_barrier_wait -1
	ds_load_b64 v[6:7], v3 offset:3072
	s_mov_b32 s63, -1
	s_mov_b32 s64, -1
	s_wait_dscnt 0x0
	s_barrier_signal -1
	s_barrier_wait -1
	v_cmp_ne_u32_e32 vcc_lo, 0, v6
	s_cbranch_vccz .LBB150_244
.LBB150_240:                            ;   in Loop: Header=BB150_241 Depth=2
	s_and_b32 s40, exec_lo, s63
	s_delay_alu instid0(SALU_CYCLE_1) | instskip(SKIP_2) | instid1(SALU_CYCLE_1)
	s_or_b32 s22, s40, s22
	s_and_not1_b32 s40, s62, exec_lo
	s_and_b32 s41, s64, exec_lo
	s_or_b32 s62, s40, s41
	s_and_not1_b32 exec_lo, exec_lo, s22
	s_cbranch_execz .LBB150_245
.LBB150_241:                            ;   Parent Loop BB150_18 Depth=1
                                        ; =>  This Inner Loop Header: Depth=2
	s_mov_b32 s63, exec_lo
	s_delay_alu instid0(VALU_DEP_2)
	v_cmpx_gt_u64_e64 s[10:11], v[8:9]
	s_cbranch_execz .LBB150_239
; %bb.242:                              ;   in Loop: Header=BB150_241 Depth=2
	ds_load_b32 v23, v24
	s_wait_dscnt 0x0
	v_bitop3_b32 v6, v23, v11, 0x80000000 bitop3:0x48
	s_delay_alu instid0(VALU_DEP_1)
	v_cmp_eq_u32_e32 vcc_lo, v6, v10
	s_and_b32 exec_lo, exec_lo, vcc_lo
	s_cbranch_execz .LBB150_239
; %bb.243:                              ;   in Loop: Header=BB150_241 Depth=2
	ds_store_b64 v3, v[22:23] offset:3072
	s_branch .LBB150_239
.LBB150_244:                            ;   in Loop: Header=BB150_241 Depth=2
	v_add_nc_u64_e32 v[8:9], s[56:57], v[8:9]
	v_add_nc_u32_e32 v24, s103, v24
	s_mov_b32 s64, 0
	s_delay_alu instid0(VALU_DEP_2)
	v_cmp_le_u64_e32 vcc_lo, s[20:21], v[8:9]
	s_or_not1_b32 s63, vcc_lo, exec_lo
	s_branch .LBB150_240
.LBB150_245:                            ;   in Loop: Header=BB150_18 Depth=1
	s_or_b32 exec_lo, exec_lo, s22
	s_delay_alu instid0(SALU_CYCLE_1)
	s_and_b32 s22, s62, exec_lo
.LBB150_246:                            ;   in Loop: Header=BB150_18 Depth=1
	s_or_b32 exec_lo, exec_lo, s28
.LBB150_247:                            ;   in Loop: Header=BB150_18 Depth=1
	s_delay_alu instid0(SALU_CYCLE_1)
	s_and_b32 vcc_lo, exec_lo, s23
	s_cbranch_vccz .LBB150_263
; %bb.248:                              ;   in Loop: Header=BB150_18 Depth=1
	s_and_b64 s[10:11], s[74:75], 0xffffffff00000000
	s_delay_alu instid0(SALU_CYCLE_1)
	s_cmp_lg_u64 s[10:11], 0
	s_cbranch_scc0 .LBB150_250
; %bb.249:                              ;   in Loop: Header=BB150_18 Depth=1
	s_cvt_f32_u32 s7, s56
	s_sub_nc_u64 s[20:21], 0, s[56:57]
	s_delay_alu instid0(SALU_CYCLE_2) | instskip(NEXT) | instid1(SALU_CYCLE_3)
	s_fmamk_f32 s7, s104, 0x0, s7
	v_s_rcp_f32 s7, s7
	s_delay_alu instid0(TRANS32_DEP_1) | instskip(NEXT) | instid1(SALU_CYCLE_3)
	s_mul_f32 s7, s7, 0x5f7ffffc
	s_mul_f32 s8, s7, 0x2f800000
	s_delay_alu instid0(SALU_CYCLE_3) | instskip(NEXT) | instid1(SALU_CYCLE_3)
	s_trunc_f32 s8, s8
	s_fmamk_f32 s7, s8, 0xcf800000, s7
	s_cvt_u32_f32 s11, s8
	s_delay_alu instid0(SALU_CYCLE_2) | instskip(NEXT) | instid1(SALU_CYCLE_3)
	s_cvt_u32_f32 s10, s7
	s_mul_u64 s[40:41], s[20:21], s[10:11]
	s_delay_alu instid0(SALU_CYCLE_1)
	s_mul_hi_u32 s43, s10, s41
	s_mul_i32 s42, s10, s41
	s_mul_hi_u32 s28, s10, s40
	s_mul_i32 s8, s11, s40
	s_add_nc_u64 s[42:43], s[28:29], s[42:43]
	s_mul_hi_u32 s7, s11, s40
	s_mul_hi_u32 s23, s11, s41
	s_add_co_u32 s8, s42, s8
	s_add_co_ci_u32 s28, s43, s7
	s_mul_i32 s40, s11, s41
	s_add_co_ci_u32 s41, s23, 0
	s_delay_alu instid0(SALU_CYCLE_1) | instskip(NEXT) | instid1(SALU_CYCLE_1)
	s_add_nc_u64 s[40:41], s[28:29], s[40:41]
	s_add_co_u32 s10, s10, s40
	s_cselect_b32 s7, -1, 0
	s_delay_alu instid0(SALU_CYCLE_1) | instskip(SKIP_1) | instid1(SALU_CYCLE_1)
	s_cmp_lg_u32 s7, 0
	s_add_co_ci_u32 s11, s11, s41
	s_mul_u64 s[20:21], s[20:21], s[10:11]
	s_delay_alu instid0(SALU_CYCLE_1)
	s_mul_hi_u32 s41, s10, s21
	s_mul_i32 s40, s10, s21
	s_mul_hi_u32 s28, s10, s20
	s_mul_i32 s8, s11, s20
	s_add_nc_u64 s[40:41], s[28:29], s[40:41]
	s_mul_hi_u32 s7, s11, s20
	s_mul_hi_u32 s23, s11, s21
	s_add_co_u32 s8, s40, s8
	s_add_co_ci_u32 s28, s41, s7
	s_mul_i32 s20, s11, s21
	s_add_co_ci_u32 s21, s23, 0
	s_delay_alu instid0(SALU_CYCLE_1) | instskip(NEXT) | instid1(SALU_CYCLE_1)
	s_add_nc_u64 s[20:21], s[28:29], s[20:21]
	s_add_co_u32 s7, s10, s20
	s_cselect_b32 s8, -1, 0
	s_mul_hi_u32 s28, s74, s7
	s_cmp_lg_u32 s8, 0
	s_mul_hi_u32 s8, s75, s7
	s_add_co_ci_u32 s20, s11, s21
	s_mul_i32 s7, s75, s7
	s_mul_hi_u32 s11, s74, s20
	s_mul_i32 s10, s74, s20
	s_mul_hi_u32 s21, s75, s20
	s_add_nc_u64 s[10:11], s[28:29], s[10:11]
	s_mul_i32 s20, s75, s20
	s_add_co_u32 s7, s10, s7
	s_add_co_ci_u32 s28, s11, s8
	s_add_co_ci_u32 s21, s21, 0
	s_delay_alu instid0(SALU_CYCLE_1) | instskip(NEXT) | instid1(SALU_CYCLE_1)
	s_add_nc_u64 s[10:11], s[28:29], s[20:21]
	s_and_b64 s[20:21], s[10:11], 0xffffffff00000000
	s_delay_alu instid0(SALU_CYCLE_1) | instskip(NEXT) | instid1(SALU_CYCLE_1)
	s_or_b32 s20, s20, s10
	s_mul_u64 s[10:11], s[56:57], s[20:21]
	s_delay_alu instid0(SALU_CYCLE_1) | instskip(SKIP_1) | instid1(SALU_CYCLE_1)
	s_sub_co_u32 s7, s74, s10
	s_cselect_b32 s8, -1, 0
	s_cmp_lg_u32 s8, 0
	s_sub_co_ci_u32 s8, s75, s11
	s_sub_co_u32 s10, s7, s56
	s_cselect_b32 s11, -1, 0
	s_delay_alu instid0(SALU_CYCLE_1) | instskip(SKIP_3) | instid1(SALU_CYCLE_1)
	s_cmp_lg_u32 s11, 0
	s_sub_co_ci_u32 s11, s8, 0
	s_sub_co_u32 s20, s10, s56
	s_cselect_b32 s21, -1, 0
	s_cmp_lg_u32 s21, 0
	s_sub_co_ci_u32 s21, s11, 0
	s_cmp_ge_u32 s10, s56
	s_cselect_b32 s23, -1, 0
	s_cmp_eq_u32 s11, 0
	s_cselect_b32 s23, s23, -1
	s_delay_alu instid0(SALU_CYCLE_1)
	s_cmp_lg_u32 s23, 0
	s_cselect_b32 s11, s21, s11
	s_cselect_b32 s10, s20, s10
	s_cmp_ge_u32 s7, s56
	s_cselect_b32 s20, -1, 0
	s_cmp_eq_u32 s8, 0
	s_cselect_b32 s20, s20, -1
	s_delay_alu instid0(SALU_CYCLE_1)
	s_cmp_lg_u32 s20, 0
	s_cselect_b32 s11, s11, s8
	s_cselect_b32 s10, s10, s7
	s_mov_b32 s7, 0
	s_branch .LBB150_251
.LBB150_250:                            ;   in Loop: Header=BB150_18 Depth=1
	s_mov_b32 s7, -1
                                        ; implicit-def: $sgpr10_sgpr11
.LBB150_251:                            ;   in Loop: Header=BB150_18 Depth=1
	s_delay_alu instid0(SALU_CYCLE_1)
	s_and_not1_b32 vcc_lo, exec_lo, s7
	s_cbranch_vccnz .LBB150_253
; %bb.252:                              ;   in Loop: Header=BB150_18 Depth=1
	v_cvt_f32_u32_e32 v6, s56
	s_sub_co_i32 s8, 0, s56
	s_delay_alu instid0(VALU_DEP_1) | instskip(SKIP_1) | instid1(TRANS32_DEP_1)
	v_rcp_iflag_f32_e32 v6, v6
	v_nop
	v_mul_f32_e32 v6, 0x4f7ffffe, v6
	s_delay_alu instid0(VALU_DEP_1) | instskip(NEXT) | instid1(VALU_DEP_1)
	v_cvt_u32_f32_e32 v6, v6
	v_readfirstlane_b32 s7, v6
	s_mul_i32 s8, s8, s7
	s_delay_alu instid0(SALU_CYCLE_1) | instskip(NEXT) | instid1(SALU_CYCLE_1)
	s_mul_hi_u32 s8, s7, s8
	s_add_co_i32 s7, s7, s8
	s_delay_alu instid0(SALU_CYCLE_1) | instskip(NEXT) | instid1(SALU_CYCLE_1)
	s_mul_hi_u32 s7, s74, s7
	s_mul_i32 s7, s7, s56
	s_delay_alu instid0(SALU_CYCLE_1) | instskip(NEXT) | instid1(SALU_CYCLE_1)
	s_sub_co_i32 s7, s74, s7
	s_sub_co_i32 s8, s7, s56
	s_cmp_ge_u32 s7, s56
	s_cselect_b32 s7, s8, s7
	s_delay_alu instid0(SALU_CYCLE_1) | instskip(SKIP_2) | instid1(SALU_CYCLE_1)
	s_sub_co_i32 s8, s7, s56
	s_cmp_ge_u32 s7, s56
	s_cselect_b32 s28, s8, s7
	s_mov_b64 s[10:11], s[28:29]
.LBB150_253:                            ;   in Loop: Header=BB150_18 Depth=1
	s_delay_alu instid0(SALU_CYCLE_1)
	s_sub_nc_u64 s[10:11], s[74:75], s[10:11]
	s_mov_b32 s7, exec_lo
                                        ; implicit-def: $vgpr7
	v_cmpx_gt_u64_e64 s[10:11], v[0:1]
	s_cbranch_execz .LBB150_262
; %bb.254:                              ;   in Loop: Header=BB150_18 Depth=1
	v_mov_b64_e32 v[8:9], v[0:1]
	s_mov_b32 s8, 0
                                        ; implicit-def: $sgpr20
	s_branch .LBB150_257
.LBB150_255:                            ;   in Loop: Header=BB150_257 Depth=2
	s_or_b32 exec_lo, exec_lo, s21
	s_wait_dscnt 0x0
	s_barrier_signal -1
	s_barrier_wait -1
	ds_load_b64 v[6:7], v3 offset:3072
	s_mov_b32 s23, -1
	s_mov_b32 s21, -1
	s_wait_dscnt 0x0
	s_barrier_signal -1
	s_barrier_wait -1
	v_cmp_eq_u32_e32 vcc_lo, 0, v6
	s_cbranch_vccnz .LBB150_260
.LBB150_256:                            ;   in Loop: Header=BB150_257 Depth=2
	s_and_b32 s23, exec_lo, s23
	s_delay_alu instid0(SALU_CYCLE_1) | instskip(SKIP_2) | instid1(SALU_CYCLE_1)
	s_or_b32 s8, s23, s8
	s_and_not1_b32 s20, s20, exec_lo
	s_and_b32 s21, s21, exec_lo
	s_or_b32 s20, s20, s21
	s_and_not1_b32 exec_lo, exec_lo, s8
	s_cbranch_execz .LBB150_261
.LBB150_257:                            ;   Parent Loop BB150_18 Depth=1
                                        ; =>  This Inner Loop Header: Depth=2
	s_mov_b32 s21, exec_lo
	s_delay_alu instid0(VALU_DEP_1)
	v_cmpx_gt_u64_e64 s[36:37], v[8:9]
	s_cbranch_execz .LBB150_255
; %bb.258:                              ;   in Loop: Header=BB150_257 Depth=2
	v_mul_u64_e32 v[6:7], s[30:31], v[8:9]
	s_delay_alu instid0(VALU_DEP_1) | instskip(SKIP_3) | instid1(VALU_DEP_1)
	v_lshl_add_u64 v[6:7], v[6:7], 2, s[34:35]
	global_load_b32 v23, v[6:7], off
	s_wait_loadcnt 0x0
	v_bitop3_b32 v6, v23, v11, 0x80000000 bitop3:0x48
	v_cmp_eq_u32_e32 vcc_lo, v6, v10
	s_and_b32 exec_lo, exec_lo, vcc_lo
	s_cbranch_execz .LBB150_255
; %bb.259:                              ;   in Loop: Header=BB150_257 Depth=2
	ds_store_b64 v3, v[22:23] offset:3072
	s_branch .LBB150_255
.LBB150_260:                            ;   in Loop: Header=BB150_257 Depth=2
	v_add_nc_u64_e32 v[8:9], s[56:57], v[8:9]
	s_mov_b32 s21, 0
	s_delay_alu instid0(VALU_DEP_1)
	v_cmp_le_u64_e32 vcc_lo, s[10:11], v[8:9]
	s_or_not1_b32 s23, vcc_lo, exec_lo
	s_branch .LBB150_256
.LBB150_261:                            ;   in Loop: Header=BB150_18 Depth=1
	s_or_b32 exec_lo, exec_lo, s8
	s_delay_alu instid0(SALU_CYCLE_1) | instskip(SKIP_1) | instid1(SALU_CYCLE_1)
	s_and_not1_b32 s8, s22, exec_lo
	s_and_b32 s10, s20, exec_lo
	s_or_b32 s22, s8, s10
.LBB150_262:                            ;   in Loop: Header=BB150_18 Depth=1
	s_or_b32 exec_lo, exec_lo, s7
	s_mov_b32 s8, 0
	s_mov_b32 s7, -1
.LBB150_263:                            ;   in Loop: Header=BB150_18 Depth=1
	s_or_not1_b32 s11, s22, exec_lo
.LBB150_264:                            ;   in Loop: Header=BB150_18 Depth=1
	s_or_b32 exec_lo, exec_lo, s95
	s_mov_b32 s20, 0
	s_and_saveexec_b32 s10, s11
	s_cbranch_execz .LBB150_275
; %bb.265:                              ;   in Loop: Header=BB150_18 Depth=1
	v_mov_b64_e32 v[8:9], 1
	v_mov_b32_e32 v2, 1
	s_xor_b32 s20, s94, -1
	s_delay_alu instid0(SALU_CYCLE_1)
	s_and_saveexec_b32 s11, s20
	s_cbranch_execz .LBB150_274
; %bb.266:                              ;   in Loop: Header=BB150_18 Depth=1
	s_mov_b32 s20, exec_lo
	v_cmpx_ge_u64_e64 s[18:19], v[4:5]
	s_xor_b32 s20, exec_lo, s20
	s_cbranch_execz .LBB150_271
; %bb.267:                              ;   in Loop: Header=BB150_18 Depth=1
	ds_load_b64 v[8:9], v3 offset:5120
	v_or_b32_e32 v10, s24, v10
	v_or_b32_e32 v11, s24, v11
	s_wait_dscnt 0x0
	v_cmp_ne_u64_e32 vcc_lo, 0, v[8:9]
	s_cbranch_vccnz .LBB150_271
; %bb.268:                              ;   in Loop: Header=BB150_18 Depth=1
	s_and_saveexec_b32 s21, s5
; %bb.269:                              ;   in Loop: Header=BB150_18 Depth=1
	v_mov_b64_e32 v[8:9], s[18:19]
	ds_store_b64 v3, v[8:9] offset:5128
; %bb.270:                              ;   in Loop: Header=BB150_18 Depth=1
	s_or_b32 exec_lo, exec_lo, s21
	s_wait_dscnt 0x0
	s_barrier_signal -1
	s_barrier_wait -1
.LBB150_271:                            ;   in Loop: Header=BB150_18 Depth=1
	s_and_not1_saveexec_b32 s20, s20
; %bb.272:                              ;   in Loop: Header=BB150_18 Depth=1
	v_sub_nc_u64_e64 v[4:5], v[4:5], s[18:19]
; %bb.273:                              ;   in Loop: Header=BB150_18 Depth=1
	s_or_b32 exec_lo, exec_lo, s20
	s_delay_alu instid0(VALU_DEP_1)
	v_mov_b64_e32 v[8:9], v[4:5]
	v_mov_b32_e32 v2, 8
.LBB150_274:                            ;   in Loop: Header=BB150_18 Depth=1
	s_or_b32 exec_lo, exec_lo, s11
	s_delay_alu instid0(VALU_DEP_2)
	v_mov_b64_e32 v[4:5], v[8:9]
	s_mov_b32 s20, exec_lo
.LBB150_275:                            ;   in Loop: Header=BB150_18 Depth=1
	s_or_b32 exec_lo, exec_lo, s10
	s_delay_alu instid0(SALU_CYCLE_1)
	s_or_not1_b32 s10, s20, exec_lo
.LBB150_276:                            ;   in Loop: Header=BB150_18 Depth=1
	s_or_b32 exec_lo, exec_lo, s93
	s_delay_alu instid0(VALU_DEP_1)
	v_mov_b64_e32 v[8:9], v[4:5]
	s_and_not1_b32 s11, s91, exec_lo
	s_and_b32 s7, s7, exec_lo
	s_and_not1_b32 s20, s90, exec_lo
	s_and_b32 s8, s8, exec_lo
	s_or_b32 s91, s11, s7
	s_or_b32 s90, s20, s8
	s_and_b32 s8, s10, exec_lo
.LBB150_277:                            ;   in Loop: Header=BB150_18 Depth=1
	s_or_b32 exec_lo, exec_lo, s92
	s_delay_alu instid0(SALU_CYCLE_1)
	s_or_not1_b32 s7, s8, exec_lo
.LBB150_278:                            ;   in Loop: Header=BB150_18 Depth=1
	s_or_b32 exec_lo, exec_lo, s89
	v_mov_b64_e32 v[4:5], v[8:9]
	s_and_not1_b32 s8, s87, exec_lo
	s_and_b32 s10, s91, exec_lo
	s_and_not1_b32 s11, s82, exec_lo
	s_and_b32 s20, s90, exec_lo
	s_or_b32 s87, s8, s10
	s_or_b32 s82, s11, s20
	s_and_b32 s8, s7, exec_lo
.LBB150_279:                            ;   in Loop: Header=BB150_18 Depth=1
	s_or_b32 exec_lo, exec_lo, s88
	s_delay_alu instid0(SALU_CYCLE_1)
	s_or_not1_b32 s7, s8, exec_lo
.LBB150_280:                            ;   in Loop: Header=BB150_18 Depth=1
	s_or_b32 exec_lo, exec_lo, s27
	s_mov_b32 s8, 0
	s_mov_b32 s11, 0
	s_and_saveexec_b32 s10, s7
	s_delay_alu instid0(SALU_CYCLE_1)
	s_xor_b32 s7, exec_lo, s10
; %bb.281:                              ;   in Loop: Header=BB150_18 Depth=1
	v_cmp_ne_u32_e32 vcc_lo, 8, v2
	v_cmp_eq_u32_e64 s10, 8, v2
	s_and_b32 s11, vcc_lo, exec_lo
	s_and_b32 s8, s10, exec_lo
; %bb.282:                              ;   in Loop: Header=BB150_18 Depth=1
	s_or_b32 exec_lo, exec_lo, s7
	s_delay_alu instid0(SALU_CYCLE_1)
	s_and_not1_b32 s7, s84, exec_lo
	s_and_b32 s10, s87, exec_lo
	s_and_not1_b32 s20, s83, exec_lo
	s_and_b32 s21, s82, exec_lo
	s_or_b32 s84, s7, s10
	s_or_b32 s83, s20, s21
	s_and_b32 s27, s11, exec_lo
	s_and_b32 s82, s8, exec_lo
.LBB150_283:                            ;   in Loop: Header=BB150_18 Depth=1
	s_or_b32 exec_lo, exec_lo, s86
.LBB150_284:                            ;   in Loop: Header=BB150_18 Depth=1
	s_delay_alu instid0(SALU_CYCLE_1)
	s_and_b32 vcc_lo, exec_lo, s85
	s_cbranch_vccz .LBB150_300
; %bb.285:                              ;   in Loop: Header=BB150_18 Depth=1
	s_cmp_eq_u64 s[18:19], 1
                                        ; implicit-def: $sgpr85
                                        ; implicit-def: $sgpr25
	s_cselect_b32 s7, -1, 0
	s_delay_alu instid0(SALU_CYCLE_1)
	s_and_b32 s9, s7, s9
	s_mov_b32 s7, -1
	s_and_saveexec_b32 s83, s9
	s_cbranch_execz .LBB150_318
; %bb.286:                              ;   in Loop: Header=BB150_18 Depth=1
	ds_load_b64 v[4:5], v3 offset:5120
	s_wait_dscnt 0x0
	s_barrier_signal -1
	s_barrier_wait -1
	v_readfirstlane_b32 s10, v4
	v_readfirstlane_b32 s11, v5
	s_and_saveexec_b32 s7, s6
; %bb.287:                              ;   in Loop: Header=BB150_18 Depth=1
	ds_store_b32 v32, v3
; %bb.288:                              ;   in Loop: Header=BB150_18 Depth=1
	s_or_b32 exec_lo, exec_lo, s7
	v_or_b32_e32 v34, s24, v34
	v_or_b32_e32 v37, s24, v37
	s_mov_b32 s25, -1
	s_mov_b32 s85, 0
	s_cmp_eq_u64 s[10:11], 0
	s_mov_b32 s7, 0
	s_mov_b32 s8, -1
	s_wait_dscnt 0x0
	s_barrier_signal -1
	s_barrier_wait -1
                                        ; implicit-def: $vgpr25
	s_cbranch_scc1 .LBB150_303
; %bb.289:                              ;   in Loop: Header=BB150_18 Depth=1
	s_add_nc_u64 s[20:21], s[10:11], s[72:73]
	s_delay_alu instid0(SALU_CYCLE_1) | instskip(NEXT) | instid1(SALU_CYCLE_1)
	s_and_b64 s[22:23], s[20:21], 0xffffffff00000000
	s_cmp_lg_u64 s[22:23], 0
	s_cbranch_scc0 .LBB150_344
; %bb.290:                              ;   in Loop: Header=BB150_18 Depth=1
	s_cvt_f32_u32 s7, s56
	s_sub_nc_u64 s[62:63], 0, s[56:57]
	s_delay_alu instid0(SALU_CYCLE_2) | instskip(NEXT) | instid1(SALU_CYCLE_3)
	s_fmamk_f32 s7, s104, 0x0, s7
	v_s_rcp_f32 s7, s7
	s_delay_alu instid0(TRANS32_DEP_1) | instskip(NEXT) | instid1(SALU_CYCLE_3)
	s_mul_f32 s7, s7, 0x5f7ffffc
	s_mul_f32 s8, s7, 0x2f800000
	s_delay_alu instid0(SALU_CYCLE_3) | instskip(NEXT) | instid1(SALU_CYCLE_3)
	s_trunc_f32 s8, s8
	s_fmamk_f32 s7, s8, 0xcf800000, s7
	s_cvt_u32_f32 s23, s8
	s_delay_alu instid0(SALU_CYCLE_2) | instskip(NEXT) | instid1(SALU_CYCLE_3)
	s_cvt_u32_f32 s22, s7
	s_mul_u64 s[64:65], s[62:63], s[22:23]
	s_delay_alu instid0(SALU_CYCLE_1)
	s_mul_hi_u32 s87, s22, s65
	s_mul_i32 s86, s22, s65
	s_mul_hi_u32 s28, s22, s64
	s_mul_i32 s8, s23, s64
	s_add_nc_u64 s[86:87], s[28:29], s[86:87]
	s_mul_hi_u32 s7, s23, s64
	s_mul_hi_u32 s40, s23, s65
	s_add_co_u32 s8, s86, s8
	s_add_co_ci_u32 s28, s87, s7
	s_mul_i32 s64, s23, s65
	s_add_co_ci_u32 s65, s40, 0
	s_delay_alu instid0(SALU_CYCLE_1) | instskip(NEXT) | instid1(SALU_CYCLE_1)
	s_add_nc_u64 s[64:65], s[28:29], s[64:65]
	s_add_co_u32 s22, s22, s64
	s_cselect_b32 s7, -1, 0
	s_delay_alu instid0(SALU_CYCLE_1) | instskip(SKIP_1) | instid1(SALU_CYCLE_1)
	s_cmp_lg_u32 s7, 0
	s_add_co_ci_u32 s23, s23, s65
	s_mul_u64 s[62:63], s[62:63], s[22:23]
	s_delay_alu instid0(SALU_CYCLE_1)
	s_mul_hi_u32 s65, s22, s63
	s_mul_i32 s64, s22, s63
	s_mul_hi_u32 s28, s22, s62
	s_mul_i32 s8, s23, s62
	s_add_nc_u64 s[64:65], s[28:29], s[64:65]
	s_mul_hi_u32 s7, s23, s62
	s_mul_hi_u32 s40, s23, s63
	s_add_co_u32 s8, s64, s8
	s_add_co_ci_u32 s28, s65, s7
	s_mul_i32 s62, s23, s63
	s_add_co_ci_u32 s63, s40, 0
	s_delay_alu instid0(SALU_CYCLE_1) | instskip(NEXT) | instid1(SALU_CYCLE_1)
	s_add_nc_u64 s[62:63], s[28:29], s[62:63]
	s_add_co_u32 s7, s22, s62
	s_cselect_b32 s8, -1, 0
	s_mul_hi_u32 s28, s20, s7
	s_cmp_lg_u32 s8, 0
	s_mul_hi_u32 s8, s21, s7
	s_add_co_ci_u32 s40, s23, s63
	s_mul_i32 s7, s21, s7
	s_mul_hi_u32 s23, s20, s40
	s_mul_i32 s22, s20, s40
	s_mul_hi_u32 s41, s21, s40
	s_add_nc_u64 s[22:23], s[28:29], s[22:23]
	s_mul_i32 s62, s21, s40
	s_add_co_u32 s7, s22, s7
	s_add_co_ci_u32 s28, s23, s8
	s_add_co_ci_u32 s63, s41, 0
	s_delay_alu instid0(SALU_CYCLE_1) | instskip(NEXT) | instid1(SALU_CYCLE_1)
	s_add_nc_u64 s[22:23], s[28:29], s[62:63]
	s_and_b64 s[62:63], s[22:23], 0xffffffff00000000
	s_delay_alu instid0(SALU_CYCLE_1) | instskip(NEXT) | instid1(SALU_CYCLE_1)
	s_or_b32 s62, s62, s22
	s_mul_u64 s[22:23], s[56:57], s[62:63]
	s_delay_alu instid0(SALU_CYCLE_1) | instskip(SKIP_1) | instid1(SALU_CYCLE_1)
	s_sub_co_u32 s7, s20, s22
	s_cselect_b32 s8, -1, 0
	s_cmp_lg_u32 s8, 0
	s_sub_co_ci_u32 s8, s21, s23
	s_sub_co_u32 s22, s7, s56
	s_cselect_b32 s23, -1, 0
	s_delay_alu instid0(SALU_CYCLE_1) | instskip(SKIP_3) | instid1(SALU_CYCLE_1)
	s_cmp_lg_u32 s23, 0
	s_sub_co_ci_u32 s23, s8, 0
	s_sub_co_u32 s28, s22, s56
	s_cselect_b32 s40, -1, 0
	s_cmp_lg_u32 s40, 0
	s_sub_co_ci_u32 s40, s23, 0
	s_cmp_ge_u32 s22, s56
	s_cselect_b32 s41, -1, 0
	s_cmp_eq_u32 s23, 0
	s_cselect_b32 s41, s41, -1
	s_delay_alu instid0(SALU_CYCLE_1)
	s_cmp_lg_u32 s41, 0
	s_cselect_b32 s23, s40, s23
	s_cselect_b32 s22, s28, s22
	s_cmp_ge_u32 s7, s56
	s_cselect_b32 s28, -1, 0
	s_cmp_eq_u32 s8, 0
	s_cselect_b32 s28, s28, -1
	s_delay_alu instid0(SALU_CYCLE_1)
	s_cmp_lg_u32 s28, 0
	s_cselect_b32 s23, s23, s8
	s_cselect_b32 s22, s22, s7
	s_cbranch_execnz .LBB150_292
.LBB150_291:                            ;   in Loop: Header=BB150_18 Depth=1
	v_cvt_f32_u32_e32 v2, s56
	s_sub_co_i32 s8, 0, s56
	s_delay_alu instid0(VALU_DEP_1) | instskip(SKIP_1) | instid1(TRANS32_DEP_1)
	v_rcp_iflag_f32_e32 v2, v2
	v_nop
	v_mul_f32_e32 v2, 0x4f7ffffe, v2
	s_delay_alu instid0(VALU_DEP_1) | instskip(NEXT) | instid1(VALU_DEP_1)
	v_cvt_u32_f32_e32 v2, v2
	v_readfirstlane_b32 s7, v2
	s_mul_i32 s8, s8, s7
	s_delay_alu instid0(SALU_CYCLE_1) | instskip(NEXT) | instid1(SALU_CYCLE_1)
	s_mul_hi_u32 s8, s7, s8
	s_add_co_i32 s7, s7, s8
	s_delay_alu instid0(SALU_CYCLE_1) | instskip(NEXT) | instid1(SALU_CYCLE_1)
	s_mul_hi_u32 s7, s20, s7
	s_mul_i32 s7, s7, s56
	s_delay_alu instid0(SALU_CYCLE_1) | instskip(NEXT) | instid1(SALU_CYCLE_1)
	s_sub_co_i32 s7, s20, s7
	s_sub_co_i32 s8, s7, s56
	s_cmp_ge_u32 s7, s56
	s_cselect_b32 s7, s8, s7
	s_delay_alu instid0(SALU_CYCLE_1) | instskip(SKIP_2) | instid1(SALU_CYCLE_1)
	s_sub_co_i32 s8, s7, s56
	s_cmp_ge_u32 s7, s56
	s_cselect_b32 s28, s8, s7
	s_mov_b64 s[22:23], s[28:29]
.LBB150_292:                            ;   in Loop: Header=BB150_18 Depth=1
	s_delay_alu instid0(SALU_CYCLE_1)
	s_sub_nc_u64 s[20:21], s[20:21], s[22:23]
	s_mov_b32 s8, 0
	s_mov_b32 s7, 0
	s_mov_b32 s22, exec_lo
                                        ; implicit-def: $vgpr25
	v_cmpx_gt_u64_e64 s[20:21], v[0:1]
	s_cbranch_execz .LBB150_302
; %bb.293:                              ;   in Loop: Header=BB150_18 Depth=1
	v_mov_b64_e32 v[4:5], v[0:1]
	v_mov_b32_e32 v2, v16
                                        ; implicit-def: $sgpr23
	s_branch .LBB150_296
.LBB150_294:                            ;   in Loop: Header=BB150_296 Depth=2
	s_or_b32 exec_lo, exec_lo, s28
	s_wait_dscnt 0x0
	s_barrier_signal -1
	s_barrier_wait -1
	ds_load_b64 v[24:25], v3 offset:3072
	s_mov_b32 s28, -1
	s_mov_b32 s62, -1
	s_wait_dscnt 0x0
	s_barrier_signal -1
	s_barrier_wait -1
	v_cmp_ne_u32_e32 vcc_lo, 0, v24
	s_cbranch_vccz .LBB150_299
.LBB150_295:                            ;   in Loop: Header=BB150_296 Depth=2
	s_and_b32 s28, exec_lo, s28
	s_delay_alu instid0(SALU_CYCLE_1) | instskip(SKIP_2) | instid1(SALU_CYCLE_1)
	s_or_b32 s7, s28, s7
	s_and_not1_b32 s23, s23, exec_lo
	s_and_b32 s28, s62, exec_lo
	s_or_b32 s23, s23, s28
	s_and_not1_b32 exec_lo, exec_lo, s7
	s_cbranch_execz .LBB150_301
.LBB150_296:                            ;   Parent Loop BB150_18 Depth=1
                                        ; =>  This Inner Loop Header: Depth=2
	s_mov_b32 s28, exec_lo
	s_delay_alu instid0(VALU_DEP_2)
	v_cmpx_gt_u64_e64 s[10:11], v[4:5]
	s_cbranch_execz .LBB150_294
; %bb.297:                              ;   in Loop: Header=BB150_296 Depth=2
	ds_load_b32 v23, v2
	s_wait_dscnt 0x0
	v_bitop3_b32 v6, v23, v37, 0x80000000 bitop3:0x48
	s_delay_alu instid0(VALU_DEP_1)
	v_cmp_eq_u32_e32 vcc_lo, v6, v34
	s_and_b32 exec_lo, exec_lo, vcc_lo
	s_cbranch_execz .LBB150_294
; %bb.298:                              ;   in Loop: Header=BB150_296 Depth=2
	ds_store_b64 v3, v[22:23] offset:3072
	s_branch .LBB150_294
.LBB150_299:                            ;   in Loop: Header=BB150_296 Depth=2
	v_add_nc_u64_e32 v[4:5], s[56:57], v[4:5]
	v_add_nc_u32_e32 v2, s103, v2
	s_mov_b32 s62, 0
	s_delay_alu instid0(VALU_DEP_2)
	v_cmp_le_u64_e32 vcc_lo, s[20:21], v[4:5]
	s_or_not1_b32 s28, vcc_lo, exec_lo
	s_branch .LBB150_295
.LBB150_300:                            ;   in Loop: Header=BB150_18 Depth=1
	v_dual_mov_b32 v34, v10 :: v_dual_mov_b32 v37, v11
	v_mov_b32_e32 v25, v7
	s_mov_b32 s85, 0
	s_and_saveexec_b32 s7, s82
	s_cbranch_execnz .LBB150_477
	s_branch .LBB150_478
.LBB150_301:                            ;   in Loop: Header=BB150_18 Depth=1
	s_or_b32 exec_lo, exec_lo, s7
	s_delay_alu instid0(SALU_CYCLE_1)
	s_and_b32 s7, s23, exec_lo
.LBB150_302:                            ;   in Loop: Header=BB150_18 Depth=1
	s_or_b32 exec_lo, exec_lo, s22
.LBB150_303:                            ;   in Loop: Header=BB150_18 Depth=1
	s_delay_alu instid0(SALU_CYCLE_1)
	s_and_b32 vcc_lo, exec_lo, s8
	s_cbranch_vccz .LBB150_317
; %bb.304:                              ;   in Loop: Header=BB150_18 Depth=1
	s_and_b64 s[10:11], s[74:75], 0xffffffff00000000
	s_delay_alu instid0(SALU_CYCLE_1)
	s_cmp_lg_u64 s[10:11], 0
	s_cbranch_scc0 .LBB150_345
; %bb.305:                              ;   in Loop: Header=BB150_18 Depth=1
	s_cvt_f32_u32 s8, s56
	s_sub_nc_u64 s[20:21], 0, s[56:57]
	s_delay_alu instid0(SALU_CYCLE_2) | instskip(NEXT) | instid1(SALU_CYCLE_3)
	s_fmamk_f32 s8, s104, 0x0, s8
	v_s_rcp_f32 s8, s8
	s_delay_alu instid0(TRANS32_DEP_1) | instskip(NEXT) | instid1(SALU_CYCLE_3)
	s_mul_f32 s8, s8, 0x5f7ffffc
	s_mul_f32 s10, s8, 0x2f800000
	s_delay_alu instid0(SALU_CYCLE_3) | instskip(NEXT) | instid1(SALU_CYCLE_3)
	s_trunc_f32 s10, s10
	s_fmamk_f32 s8, s10, 0xcf800000, s8
	s_cvt_u32_f32 s11, s10
	s_delay_alu instid0(SALU_CYCLE_2) | instskip(NEXT) | instid1(SALU_CYCLE_3)
	s_cvt_u32_f32 s10, s8
	s_mul_u64 s[22:23], s[20:21], s[10:11]
	s_delay_alu instid0(SALU_CYCLE_1)
	s_mul_hi_u32 s63, s10, s23
	s_mul_i32 s62, s10, s23
	s_mul_hi_u32 s28, s10, s22
	s_mul_i32 s25, s11, s22
	s_add_nc_u64 s[62:63], s[28:29], s[62:63]
	s_mul_hi_u32 s8, s11, s22
	s_mul_hi_u32 s40, s11, s23
	s_mul_i32 s22, s11, s23
	s_add_co_u32 s23, s62, s25
	s_add_co_ci_u32 s28, s63, s8
	s_add_co_ci_u32 s23, s40, 0
	s_delay_alu instid0(SALU_CYCLE_1) | instskip(NEXT) | instid1(SALU_CYCLE_1)
	s_add_nc_u64 s[22:23], s[28:29], s[22:23]
	s_add_co_u32 s10, s10, s22
	s_cselect_b32 s8, -1, 0
	s_delay_alu instid0(SALU_CYCLE_1) | instskip(SKIP_1) | instid1(SALU_CYCLE_1)
	s_cmp_lg_u32 s8, 0
	s_add_co_ci_u32 s11, s11, s23
	s_mul_u64 s[20:21], s[20:21], s[10:11]
	s_delay_alu instid0(SALU_CYCLE_1)
	s_mul_hi_u32 s23, s10, s21
	s_mul_i32 s22, s10, s21
	s_mul_hi_u32 s28, s10, s20
	s_mul_i32 s25, s11, s20
	s_add_nc_u64 s[22:23], s[28:29], s[22:23]
	s_mul_hi_u32 s8, s11, s20
	s_mul_hi_u32 s40, s11, s21
	s_mul_i32 s20, s11, s21
	s_add_co_u32 s21, s22, s25
	s_add_co_ci_u32 s28, s23, s8
	s_add_co_ci_u32 s21, s40, 0
	s_delay_alu instid0(SALU_CYCLE_1) | instskip(NEXT) | instid1(SALU_CYCLE_1)
	s_add_nc_u64 s[20:21], s[28:29], s[20:21]
	s_add_co_u32 s8, s10, s20
	s_cselect_b32 s10, -1, 0
	s_mul_hi_u32 s28, s74, s8
	s_cmp_lg_u32 s10, 0
	s_mul_hi_u32 s22, s75, s8
	s_add_co_ci_u32 s20, s11, s21
	s_mul_i32 s8, s75, s8
	s_mul_hi_u32 s11, s74, s20
	s_mul_i32 s10, s74, s20
	s_mul_hi_u32 s21, s75, s20
	s_add_nc_u64 s[10:11], s[28:29], s[10:11]
	s_mul_i32 s20, s75, s20
	s_add_co_u32 s8, s10, s8
	s_add_co_ci_u32 s28, s11, s22
	s_add_co_ci_u32 s21, s21, 0
	s_delay_alu instid0(SALU_CYCLE_1) | instskip(NEXT) | instid1(SALU_CYCLE_1)
	s_add_nc_u64 s[10:11], s[28:29], s[20:21]
	s_and_b64 s[20:21], s[10:11], 0xffffffff00000000
	s_delay_alu instid0(SALU_CYCLE_1) | instskip(NEXT) | instid1(SALU_CYCLE_1)
	s_or_b32 s20, s20, s10
	s_mul_u64 s[10:11], s[56:57], s[20:21]
	s_delay_alu instid0(SALU_CYCLE_1) | instskip(SKIP_1) | instid1(SALU_CYCLE_1)
	s_sub_co_u32 s8, s74, s10
	s_cselect_b32 s10, -1, 0
	s_cmp_lg_u32 s10, 0
	s_sub_co_ci_u32 s10, s75, s11
	s_sub_co_u32 s11, s8, s56
	s_cselect_b32 s20, -1, 0
	s_delay_alu instid0(SALU_CYCLE_1) | instskip(SKIP_3) | instid1(SALU_CYCLE_1)
	s_cmp_lg_u32 s20, 0
	s_sub_co_ci_u32 s20, s10, 0
	s_sub_co_u32 s21, s11, s56
	s_cselect_b32 s22, -1, 0
	s_cmp_lg_u32 s22, 0
	s_sub_co_ci_u32 s22, s20, 0
	s_cmp_ge_u32 s11, s56
	s_cselect_b32 s23, -1, 0
	s_cmp_eq_u32 s20, 0
	s_cselect_b32 s23, s23, -1
	s_delay_alu instid0(SALU_CYCLE_1)
	s_cmp_lg_u32 s23, 0
	s_cselect_b32 s20, s22, s20
	s_cselect_b32 s21, s21, s11
	s_cmp_ge_u32 s8, s56
	s_cselect_b32 s11, -1, 0
	s_cmp_eq_u32 s10, 0
	s_cselect_b32 s11, s11, -1
	s_delay_alu instid0(SALU_CYCLE_1)
	s_cmp_lg_u32 s11, 0
	s_cselect_b32 s11, s20, s10
	s_cselect_b32 s10, s21, s8
	s_cbranch_execnz .LBB150_307
.LBB150_306:                            ;   in Loop: Header=BB150_18 Depth=1
	v_cvt_f32_u32_e32 v2, s56
	s_sub_co_i32 s10, 0, s56
	s_delay_alu instid0(VALU_DEP_1) | instskip(SKIP_1) | instid1(TRANS32_DEP_1)
	v_rcp_iflag_f32_e32 v2, v2
	v_nop
	v_mul_f32_e32 v2, 0x4f7ffffe, v2
	s_delay_alu instid0(VALU_DEP_1) | instskip(NEXT) | instid1(VALU_DEP_1)
	v_cvt_u32_f32_e32 v2, v2
	v_readfirstlane_b32 s8, v2
	s_mul_i32 s10, s10, s8
	s_delay_alu instid0(SALU_CYCLE_1) | instskip(NEXT) | instid1(SALU_CYCLE_1)
	s_mul_hi_u32 s10, s8, s10
	s_add_co_i32 s8, s8, s10
	s_delay_alu instid0(SALU_CYCLE_1) | instskip(NEXT) | instid1(SALU_CYCLE_1)
	s_mul_hi_u32 s8, s74, s8
	s_mul_i32 s8, s8, s56
	s_delay_alu instid0(SALU_CYCLE_1) | instskip(NEXT) | instid1(SALU_CYCLE_1)
	s_sub_co_i32 s8, s74, s8
	s_sub_co_i32 s10, s8, s56
	s_cmp_ge_u32 s8, s56
	s_cselect_b32 s8, s10, s8
	s_delay_alu instid0(SALU_CYCLE_1) | instskip(SKIP_2) | instid1(SALU_CYCLE_1)
	s_sub_co_i32 s10, s8, s56
	s_cmp_ge_u32 s8, s56
	s_cselect_b32 s28, s10, s8
	s_mov_b64 s[10:11], s[28:29]
.LBB150_307:                            ;   in Loop: Header=BB150_18 Depth=1
	s_delay_alu instid0(SALU_CYCLE_1)
	s_sub_nc_u64 s[10:11], s[74:75], s[10:11]
	s_mov_b32 s8, exec_lo
                                        ; implicit-def: $vgpr25
	v_cmpx_gt_u64_e64 s[10:11], v[0:1]
	s_cbranch_execz .LBB150_316
; %bb.308:                              ;   in Loop: Header=BB150_18 Depth=1
	v_mov_b64_e32 v[4:5], v[0:1]
	s_mov_b32 s20, 0
                                        ; implicit-def: $sgpr21
	s_branch .LBB150_311
.LBB150_309:                            ;   in Loop: Header=BB150_311 Depth=2
	s_or_b32 exec_lo, exec_lo, s22
	s_wait_dscnt 0x0
	s_barrier_signal -1
	s_barrier_wait -1
	ds_load_b64 v[24:25], v3 offset:3072
	s_mov_b32 s23, -1
	s_mov_b32 s22, -1
	s_wait_dscnt 0x0
	s_barrier_signal -1
	s_barrier_wait -1
	v_cmp_ne_u32_e32 vcc_lo, 0, v24
	s_cbranch_vccz .LBB150_314
.LBB150_310:                            ;   in Loop: Header=BB150_311 Depth=2
	s_and_b32 s23, exec_lo, s23
	s_delay_alu instid0(SALU_CYCLE_1) | instskip(SKIP_2) | instid1(SALU_CYCLE_1)
	s_or_b32 s20, s23, s20
	s_and_not1_b32 s21, s21, exec_lo
	s_and_b32 s22, s22, exec_lo
	s_or_b32 s21, s21, s22
	s_and_not1_b32 exec_lo, exec_lo, s20
	s_cbranch_execz .LBB150_315
.LBB150_311:                            ;   Parent Loop BB150_18 Depth=1
                                        ; =>  This Inner Loop Header: Depth=2
	s_mov_b32 s22, exec_lo
	s_delay_alu instid0(VALU_DEP_1)
	v_cmpx_gt_u64_e64 s[36:37], v[4:5]
	s_cbranch_execz .LBB150_309
; %bb.312:                              ;   in Loop: Header=BB150_311 Depth=2
	v_mul_u64_e32 v[6:7], s[30:31], v[4:5]
	s_delay_alu instid0(VALU_DEP_1) | instskip(SKIP_3) | instid1(VALU_DEP_1)
	v_lshl_add_u64 v[6:7], v[6:7], 2, s[34:35]
	global_load_b32 v23, v[6:7], off
	s_wait_loadcnt 0x0
	v_bitop3_b32 v2, v23, v37, 0x80000000 bitop3:0x48
	v_cmp_eq_u32_e32 vcc_lo, v2, v34
	s_and_b32 exec_lo, exec_lo, vcc_lo
	s_cbranch_execz .LBB150_309
; %bb.313:                              ;   in Loop: Header=BB150_311 Depth=2
	ds_store_b64 v3, v[22:23] offset:3072
	s_branch .LBB150_309
.LBB150_314:                            ;   in Loop: Header=BB150_311 Depth=2
	v_add_nc_u64_e32 v[4:5], s[56:57], v[4:5]
	s_mov_b32 s22, 0
	s_delay_alu instid0(VALU_DEP_1)
	v_cmp_le_u64_e32 vcc_lo, s[10:11], v[4:5]
	s_or_not1_b32 s23, vcc_lo, exec_lo
	s_branch .LBB150_310
.LBB150_315:                            ;   in Loop: Header=BB150_18 Depth=1
	s_or_b32 exec_lo, exec_lo, s20
	s_delay_alu instid0(SALU_CYCLE_1) | instskip(SKIP_1) | instid1(SALU_CYCLE_1)
	s_and_not1_b32 s7, s7, exec_lo
	s_and_b32 s10, s21, exec_lo
	s_or_b32 s7, s7, s10
.LBB150_316:                            ;   in Loop: Header=BB150_18 Depth=1
	s_or_b32 exec_lo, exec_lo, s8
	s_mov_b32 s25, 0
	s_mov_b32 s85, -1
.LBB150_317:                            ;   in Loop: Header=BB150_18 Depth=1
	s_or_not1_b32 s7, s7, exec_lo
.LBB150_318:                            ;   in Loop: Header=BB150_18 Depth=1
	s_or_b32 exec_lo, exec_lo, s83
                                        ; implicit-def: $vgpr4_vgpr5
                                        ; implicit-def: $vgpr2
	s_and_saveexec_b32 s22, s7
	s_cbranch_execz .LBB150_476
; %bb.319:                              ;   in Loop: Header=BB150_18 Depth=1
	v_mov_b64_e32 v[4:5], 1
	v_mov_b32_e32 v2, 1
	s_xor_b32 s9, s9, -1
	s_mov_b32 s8, 0
	s_and_saveexec_b32 s7, s9
	s_cbranch_execz .LBB150_328
; %bb.320:                              ;   in Loop: Header=BB150_18 Depth=1
	s_mov_b32 s8, exec_lo
	v_cmpx_ge_u64_e64 s[18:19], v[26:27]
	s_xor_b32 s8, exec_lo, s8
	s_cbranch_execz .LBB150_325
; %bb.321:                              ;   in Loop: Header=BB150_18 Depth=1
	ds_load_b64 v[4:5], v3 offset:5120
	v_or_b32_e32 v34, s24, v34
	v_or_b32_e32 v37, s24, v37
	s_wait_dscnt 0x0
	v_cmp_ne_u64_e32 vcc_lo, 0, v[4:5]
	s_cbranch_vccnz .LBB150_325
; %bb.322:                              ;   in Loop: Header=BB150_18 Depth=1
	s_and_saveexec_b32 s9, s5
; %bb.323:                              ;   in Loop: Header=BB150_18 Depth=1
	v_mov_b64_e32 v[4:5], s[18:19]
	ds_store_b64 v3, v[4:5] offset:5128
; %bb.324:                              ;   in Loop: Header=BB150_18 Depth=1
	s_or_b32 exec_lo, exec_lo, s9
	s_wait_dscnt 0x0
	s_barrier_signal -1
	s_barrier_wait -1
.LBB150_325:                            ;   in Loop: Header=BB150_18 Depth=1
	s_or_saveexec_b32 s8, s8
	v_mov_b32_e32 v2, 5
	s_mov_b32 s9, 0
	s_xor_b32 exec_lo, exec_lo, s8
; %bb.326:                              ;   in Loop: Header=BB150_18 Depth=1
	v_sub_nc_u64_e64 v[26:27], v[26:27], s[18:19]
	v_mov_b32_e32 v2, 0
	s_mov_b32 s9, exec_lo
; %bb.327:                              ;   in Loop: Header=BB150_18 Depth=1
	s_or_b32 exec_lo, exec_lo, s8
	s_delay_alu instid0(VALU_DEP_2)
	v_mov_b64_e32 v[4:5], v[26:27]
	s_and_b32 s8, s9, exec_lo
.LBB150_328:                            ;   in Loop: Header=BB150_18 Depth=1
	s_or_b32 exec_lo, exec_lo, s7
	s_mov_b32 s7, -1
                                        ; implicit-def: $sgpr23
                                        ; implicit-def: $sgpr83
	s_and_saveexec_b32 s9, s8
	s_delay_alu instid0(SALU_CYCLE_1)
	s_xor_b32 s9, exec_lo, s9
	s_cbranch_execz .LBB150_473
; %bb.329:                              ;   in Loop: Header=BB150_18 Depth=1
	v_cmp_eq_u64_e32 vcc_lo, 1, v[4:5]
	s_cmp_eq_u64 s[16:17], 1
                                        ; implicit-def: $sgpr83
                                        ; implicit-def: $sgpr23
	s_cselect_b32 s7, -1, 0
	s_delay_alu instid0(SALU_CYCLE_1)
	s_and_b32 s84, s7, vcc_lo
	s_mov_b32 s7, -1
	s_and_saveexec_b32 s86, s84
	s_cbranch_execz .LBB150_363
; %bb.330:                              ;   in Loop: Header=BB150_18 Depth=1
	ds_load_b64 v[6:7], v3 offset:5120
	s_wait_dscnt 0x0
	s_barrier_signal -1
	s_barrier_wait -1
	v_readfirstlane_b32 s10, v6
	v_readfirstlane_b32 s11, v7
	s_and_saveexec_b32 s7, s6
; %bb.331:                              ;   in Loop: Header=BB150_18 Depth=1
	ds_store_b32 v32, v3
; %bb.332:                              ;   in Loop: Header=BB150_18 Depth=1
	s_or_b32 exec_lo, exec_lo, s7
	s_lshl_b32 s7, 2, vcc_hi
	v_or_b32_e32 v37, s24, v37
	v_and_or_b32 v34, v34, s26, s7
	s_mov_b32 s23, -1
	s_mov_b32 s83, 0
	s_cmp_eq_u64 s[10:11], 0
	s_mov_b32 s7, 0
	s_mov_b32 s8, -1
	s_wait_dscnt 0x0
	s_barrier_signal -1
	s_barrier_wait -1
                                        ; implicit-def: $vgpr25
	s_cbranch_scc1 .LBB150_348
; %bb.333:                              ;   in Loop: Header=BB150_18 Depth=1
	s_add_nc_u64 s[18:19], s[10:11], s[72:73]
	s_delay_alu instid0(SALU_CYCLE_1) | instskip(NEXT) | instid1(SALU_CYCLE_1)
	s_and_b64 s[20:21], s[18:19], 0xffffffff00000000
	s_cmp_lg_u64 s[20:21], 0
	s_cbranch_scc0 .LBB150_389
; %bb.334:                              ;   in Loop: Header=BB150_18 Depth=1
	s_cvt_f32_u32 s7, s56
	s_sub_nc_u64 s[62:63], 0, s[56:57]
	s_delay_alu instid0(SALU_CYCLE_2) | instskip(NEXT) | instid1(SALU_CYCLE_3)
	s_fmamk_f32 s7, s104, 0x0, s7
	v_s_rcp_f32 s7, s7
	s_delay_alu instid0(TRANS32_DEP_1) | instskip(NEXT) | instid1(SALU_CYCLE_3)
	s_mul_f32 s7, s7, 0x5f7ffffc
	s_mul_f32 s8, s7, 0x2f800000
	s_delay_alu instid0(SALU_CYCLE_3) | instskip(NEXT) | instid1(SALU_CYCLE_3)
	s_trunc_f32 s8, s8
	s_fmamk_f32 s7, s8, 0xcf800000, s7
	s_cvt_u32_f32 s21, s8
	s_delay_alu instid0(SALU_CYCLE_2) | instskip(NEXT) | instid1(SALU_CYCLE_3)
	s_cvt_u32_f32 s20, s7
	s_mul_u64 s[64:65], s[62:63], s[20:21]
	s_delay_alu instid0(SALU_CYCLE_1)
	s_mul_hi_u32 s89, s20, s65
	s_mul_i32 s88, s20, s65
	s_mul_hi_u32 s28, s20, s64
	s_mul_i32 s8, s21, s64
	s_add_nc_u64 s[88:89], s[28:29], s[88:89]
	s_mul_hi_u32 s7, s21, s64
	s_mul_hi_u32 s40, s21, s65
	s_add_co_u32 s8, s88, s8
	s_add_co_ci_u32 s28, s89, s7
	s_mul_i32 s64, s21, s65
	s_add_co_ci_u32 s65, s40, 0
	s_delay_alu instid0(SALU_CYCLE_1) | instskip(NEXT) | instid1(SALU_CYCLE_1)
	s_add_nc_u64 s[64:65], s[28:29], s[64:65]
	s_add_co_u32 s20, s20, s64
	s_cselect_b32 s7, -1, 0
	s_delay_alu instid0(SALU_CYCLE_1) | instskip(SKIP_1) | instid1(SALU_CYCLE_1)
	s_cmp_lg_u32 s7, 0
	s_add_co_ci_u32 s21, s21, s65
	s_mul_u64 s[62:63], s[62:63], s[20:21]
	s_delay_alu instid0(SALU_CYCLE_1)
	s_mul_hi_u32 s65, s20, s63
	s_mul_i32 s64, s20, s63
	s_mul_hi_u32 s28, s20, s62
	s_mul_i32 s8, s21, s62
	s_add_nc_u64 s[64:65], s[28:29], s[64:65]
	s_mul_hi_u32 s7, s21, s62
	s_mul_hi_u32 s40, s21, s63
	s_add_co_u32 s8, s64, s8
	s_add_co_ci_u32 s28, s65, s7
	s_mul_i32 s62, s21, s63
	s_add_co_ci_u32 s63, s40, 0
	s_delay_alu instid0(SALU_CYCLE_1) | instskip(NEXT) | instid1(SALU_CYCLE_1)
	s_add_nc_u64 s[62:63], s[28:29], s[62:63]
	s_add_co_u32 s7, s20, s62
	s_cselect_b32 s8, -1, 0
	s_mul_hi_u32 s28, s18, s7
	s_cmp_lg_u32 s8, 0
	s_mul_hi_u32 s8, s19, s7
	s_add_co_ci_u32 s40, s21, s63
	s_mul_i32 s7, s19, s7
	s_mul_hi_u32 s21, s18, s40
	s_mul_i32 s20, s18, s40
	s_mul_hi_u32 s41, s19, s40
	s_add_nc_u64 s[20:21], s[28:29], s[20:21]
	s_mul_i32 s62, s19, s40
	s_add_co_u32 s7, s20, s7
	s_add_co_ci_u32 s28, s21, s8
	s_add_co_ci_u32 s63, s41, 0
	s_delay_alu instid0(SALU_CYCLE_1) | instskip(NEXT) | instid1(SALU_CYCLE_1)
	s_add_nc_u64 s[20:21], s[28:29], s[62:63]
	s_and_b64 s[62:63], s[20:21], 0xffffffff00000000
	s_delay_alu instid0(SALU_CYCLE_1) | instskip(NEXT) | instid1(SALU_CYCLE_1)
	s_or_b32 s62, s62, s20
	s_mul_u64 s[20:21], s[56:57], s[62:63]
	s_delay_alu instid0(SALU_CYCLE_1) | instskip(SKIP_1) | instid1(SALU_CYCLE_1)
	s_sub_co_u32 s7, s18, s20
	s_cselect_b32 s8, -1, 0
	s_cmp_lg_u32 s8, 0
	s_sub_co_ci_u32 s8, s19, s21
	s_sub_co_u32 s20, s7, s56
	s_cselect_b32 s21, -1, 0
	s_delay_alu instid0(SALU_CYCLE_1) | instskip(SKIP_3) | instid1(SALU_CYCLE_1)
	s_cmp_lg_u32 s21, 0
	s_sub_co_ci_u32 s21, s8, 0
	s_sub_co_u32 s28, s20, s56
	s_cselect_b32 s40, -1, 0
	s_cmp_lg_u32 s40, 0
	s_sub_co_ci_u32 s40, s21, 0
	s_cmp_ge_u32 s20, s56
	s_cselect_b32 s41, -1, 0
	s_cmp_eq_u32 s21, 0
	s_cselect_b32 s41, s41, -1
	s_delay_alu instid0(SALU_CYCLE_1)
	s_cmp_lg_u32 s41, 0
	s_cselect_b32 s21, s40, s21
	s_cselect_b32 s20, s28, s20
	s_cmp_ge_u32 s7, s56
	s_cselect_b32 s28, -1, 0
	s_cmp_eq_u32 s8, 0
	s_cselect_b32 s28, s28, -1
	s_delay_alu instid0(SALU_CYCLE_1)
	s_cmp_lg_u32 s28, 0
	s_cselect_b32 s21, s21, s8
	s_cselect_b32 s20, s20, s7
	s_cbranch_execnz .LBB150_336
.LBB150_335:                            ;   in Loop: Header=BB150_18 Depth=1
	v_cvt_f32_u32_e32 v6, s56
	s_sub_co_i32 s8, 0, s56
	s_delay_alu instid0(VALU_DEP_1) | instskip(SKIP_1) | instid1(TRANS32_DEP_1)
	v_rcp_iflag_f32_e32 v6, v6
	v_nop
	v_mul_f32_e32 v6, 0x4f7ffffe, v6
	s_delay_alu instid0(VALU_DEP_1) | instskip(NEXT) | instid1(VALU_DEP_1)
	v_cvt_u32_f32_e32 v6, v6
	v_readfirstlane_b32 s7, v6
	s_mul_i32 s8, s8, s7
	s_delay_alu instid0(SALU_CYCLE_1) | instskip(NEXT) | instid1(SALU_CYCLE_1)
	s_mul_hi_u32 s8, s7, s8
	s_add_co_i32 s7, s7, s8
	s_delay_alu instid0(SALU_CYCLE_1) | instskip(NEXT) | instid1(SALU_CYCLE_1)
	s_mul_hi_u32 s7, s18, s7
	s_mul_i32 s7, s7, s56
	s_delay_alu instid0(SALU_CYCLE_1) | instskip(NEXT) | instid1(SALU_CYCLE_1)
	s_sub_co_i32 s7, s18, s7
	s_sub_co_i32 s8, s7, s56
	s_cmp_ge_u32 s7, s56
	s_cselect_b32 s7, s8, s7
	s_delay_alu instid0(SALU_CYCLE_1) | instskip(SKIP_2) | instid1(SALU_CYCLE_1)
	s_sub_co_i32 s8, s7, s56
	s_cmp_ge_u32 s7, s56
	s_cselect_b32 s28, s8, s7
	s_mov_b64 s[20:21], s[28:29]
.LBB150_336:                            ;   in Loop: Header=BB150_18 Depth=1
	s_delay_alu instid0(SALU_CYCLE_1)
	s_sub_nc_u64 s[18:19], s[18:19], s[20:21]
	s_mov_b32 s8, 0
	s_mov_b32 s7, 0
	s_mov_b32 s20, exec_lo
                                        ; implicit-def: $vgpr25
	v_cmpx_gt_u64_e64 s[18:19], v[0:1]
	s_cbranch_execz .LBB150_347
; %bb.337:                              ;   in Loop: Header=BB150_18 Depth=1
	v_mov_b64_e32 v[6:7], v[0:1]
	v_mov_b32_e32 v8, v16
                                        ; implicit-def: $sgpr21
	s_branch .LBB150_340
.LBB150_338:                            ;   in Loop: Header=BB150_340 Depth=2
	s_or_b32 exec_lo, exec_lo, s28
	s_wait_dscnt 0x0
	s_barrier_signal -1
	s_barrier_wait -1
	ds_load_b64 v[24:25], v3 offset:3072
	s_mov_b32 s28, -1
	s_mov_b32 s62, -1
	s_wait_dscnt 0x0
	s_barrier_signal -1
	s_barrier_wait -1
	v_cmp_ne_u32_e32 vcc_lo, 0, v24
	s_cbranch_vccz .LBB150_343
.LBB150_339:                            ;   in Loop: Header=BB150_340 Depth=2
	s_and_b32 s28, exec_lo, s28
	s_delay_alu instid0(SALU_CYCLE_1) | instskip(SKIP_2) | instid1(SALU_CYCLE_1)
	s_or_b32 s7, s28, s7
	s_and_not1_b32 s21, s21, exec_lo
	s_and_b32 s28, s62, exec_lo
	s_or_b32 s21, s21, s28
	s_and_not1_b32 exec_lo, exec_lo, s7
	s_cbranch_execz .LBB150_346
.LBB150_340:                            ;   Parent Loop BB150_18 Depth=1
                                        ; =>  This Inner Loop Header: Depth=2
	s_mov_b32 s28, exec_lo
	s_delay_alu instid0(VALU_DEP_2)
	v_cmpx_gt_u64_e64 s[10:11], v[6:7]
	s_cbranch_execz .LBB150_338
; %bb.341:                              ;   in Loop: Header=BB150_340 Depth=2
	ds_load_b32 v23, v8
	s_wait_dscnt 0x0
	v_bitop3_b32 v9, v23, v37, 0x80000000 bitop3:0x48
	s_delay_alu instid0(VALU_DEP_1)
	v_cmp_eq_u32_e32 vcc_lo, v9, v34
	s_and_b32 exec_lo, exec_lo, vcc_lo
	s_cbranch_execz .LBB150_338
; %bb.342:                              ;   in Loop: Header=BB150_340 Depth=2
	ds_store_b64 v3, v[22:23] offset:3072
	s_branch .LBB150_338
.LBB150_343:                            ;   in Loop: Header=BB150_340 Depth=2
	v_add_nc_u64_e32 v[6:7], s[56:57], v[6:7]
	v_add_nc_u32_e32 v8, s103, v8
	s_mov_b32 s62, 0
	s_delay_alu instid0(VALU_DEP_2)
	v_cmp_le_u64_e32 vcc_lo, s[18:19], v[6:7]
	s_or_not1_b32 s28, vcc_lo, exec_lo
	s_branch .LBB150_339
.LBB150_344:                            ;   in Loop: Header=BB150_18 Depth=1
                                        ; implicit-def: $sgpr22_sgpr23
	s_branch .LBB150_291
.LBB150_345:                            ;   in Loop: Header=BB150_18 Depth=1
                                        ; implicit-def: $sgpr10_sgpr11
	s_branch .LBB150_306
.LBB150_346:                            ;   in Loop: Header=BB150_18 Depth=1
	s_or_b32 exec_lo, exec_lo, s7
	s_delay_alu instid0(SALU_CYCLE_1)
	s_and_b32 s7, s21, exec_lo
.LBB150_347:                            ;   in Loop: Header=BB150_18 Depth=1
	s_or_b32 exec_lo, exec_lo, s20
.LBB150_348:                            ;   in Loop: Header=BB150_18 Depth=1
	s_delay_alu instid0(SALU_CYCLE_1)
	s_and_b32 vcc_lo, exec_lo, s8
	s_cbranch_vccz .LBB150_362
; %bb.349:                              ;   in Loop: Header=BB150_18 Depth=1
	s_and_b64 s[10:11], s[74:75], 0xffffffff00000000
	s_delay_alu instid0(SALU_CYCLE_1)
	s_cmp_lg_u64 s[10:11], 0
	s_cbranch_scc0 .LBB150_390
; %bb.350:                              ;   in Loop: Header=BB150_18 Depth=1
	s_cvt_f32_u32 s8, s56
	s_sub_nc_u64 s[18:19], 0, s[56:57]
	s_delay_alu instid0(SALU_CYCLE_2) | instskip(NEXT) | instid1(SALU_CYCLE_3)
	s_fmamk_f32 s8, s104, 0x0, s8
	v_s_rcp_f32 s8, s8
	s_delay_alu instid0(TRANS32_DEP_1) | instskip(NEXT) | instid1(SALU_CYCLE_3)
	s_mul_f32 s8, s8, 0x5f7ffffc
	s_mul_f32 s10, s8, 0x2f800000
	s_delay_alu instid0(SALU_CYCLE_3) | instskip(NEXT) | instid1(SALU_CYCLE_3)
	s_trunc_f32 s10, s10
	s_fmamk_f32 s8, s10, 0xcf800000, s8
	s_cvt_u32_f32 s11, s10
	s_delay_alu instid0(SALU_CYCLE_2) | instskip(NEXT) | instid1(SALU_CYCLE_3)
	s_cvt_u32_f32 s10, s8
	s_mul_u64 s[20:21], s[18:19], s[10:11]
	s_delay_alu instid0(SALU_CYCLE_1)
	s_mul_hi_u32 s63, s10, s21
	s_mul_i32 s62, s10, s21
	s_mul_hi_u32 s28, s10, s20
	s_mul_i32 s23, s11, s20
	s_add_nc_u64 s[62:63], s[28:29], s[62:63]
	s_mul_hi_u32 s8, s11, s20
	s_mul_hi_u32 s40, s11, s21
	s_mul_i32 s20, s11, s21
	s_add_co_u32 s21, s62, s23
	s_add_co_ci_u32 s28, s63, s8
	s_add_co_ci_u32 s21, s40, 0
	s_delay_alu instid0(SALU_CYCLE_1) | instskip(NEXT) | instid1(SALU_CYCLE_1)
	s_add_nc_u64 s[20:21], s[28:29], s[20:21]
	s_add_co_u32 s10, s10, s20
	s_cselect_b32 s8, -1, 0
	s_delay_alu instid0(SALU_CYCLE_1) | instskip(SKIP_1) | instid1(SALU_CYCLE_1)
	s_cmp_lg_u32 s8, 0
	s_add_co_ci_u32 s11, s11, s21
	s_mul_u64 s[18:19], s[18:19], s[10:11]
	s_delay_alu instid0(SALU_CYCLE_1)
	s_mul_hi_u32 s21, s10, s19
	s_mul_i32 s20, s10, s19
	s_mul_hi_u32 s28, s10, s18
	s_mul_i32 s23, s11, s18
	s_add_nc_u64 s[20:21], s[28:29], s[20:21]
	s_mul_hi_u32 s8, s11, s18
	s_mul_hi_u32 s40, s11, s19
	s_mul_i32 s18, s11, s19
	s_add_co_u32 s19, s20, s23
	s_add_co_ci_u32 s28, s21, s8
	s_add_co_ci_u32 s19, s40, 0
	s_delay_alu instid0(SALU_CYCLE_1) | instskip(NEXT) | instid1(SALU_CYCLE_1)
	s_add_nc_u64 s[18:19], s[28:29], s[18:19]
	s_add_co_u32 s8, s10, s18
	s_cselect_b32 s10, -1, 0
	s_mul_hi_u32 s28, s74, s8
	s_cmp_lg_u32 s10, 0
	s_mul_hi_u32 s20, s75, s8
	s_add_co_ci_u32 s18, s11, s19
	s_mul_i32 s8, s75, s8
	s_mul_hi_u32 s11, s74, s18
	s_mul_i32 s10, s74, s18
	s_mul_hi_u32 s19, s75, s18
	s_add_nc_u64 s[10:11], s[28:29], s[10:11]
	s_mul_i32 s18, s75, s18
	s_add_co_u32 s8, s10, s8
	s_add_co_ci_u32 s28, s11, s20
	s_add_co_ci_u32 s19, s19, 0
	s_delay_alu instid0(SALU_CYCLE_1) | instskip(NEXT) | instid1(SALU_CYCLE_1)
	s_add_nc_u64 s[10:11], s[28:29], s[18:19]
	s_and_b64 s[18:19], s[10:11], 0xffffffff00000000
	s_delay_alu instid0(SALU_CYCLE_1) | instskip(NEXT) | instid1(SALU_CYCLE_1)
	s_or_b32 s18, s18, s10
	s_mul_u64 s[10:11], s[56:57], s[18:19]
	s_delay_alu instid0(SALU_CYCLE_1) | instskip(SKIP_1) | instid1(SALU_CYCLE_1)
	s_sub_co_u32 s8, s74, s10
	s_cselect_b32 s10, -1, 0
	s_cmp_lg_u32 s10, 0
	s_sub_co_ci_u32 s10, s75, s11
	s_sub_co_u32 s11, s8, s56
	s_cselect_b32 s18, -1, 0
	s_delay_alu instid0(SALU_CYCLE_1) | instskip(SKIP_3) | instid1(SALU_CYCLE_1)
	s_cmp_lg_u32 s18, 0
	s_sub_co_ci_u32 s18, s10, 0
	s_sub_co_u32 s19, s11, s56
	s_cselect_b32 s20, -1, 0
	s_cmp_lg_u32 s20, 0
	s_sub_co_ci_u32 s20, s18, 0
	s_cmp_ge_u32 s11, s56
	s_cselect_b32 s21, -1, 0
	s_cmp_eq_u32 s18, 0
	s_cselect_b32 s21, s21, -1
	s_delay_alu instid0(SALU_CYCLE_1)
	s_cmp_lg_u32 s21, 0
	s_cselect_b32 s18, s20, s18
	s_cselect_b32 s19, s19, s11
	s_cmp_ge_u32 s8, s56
	s_cselect_b32 s11, -1, 0
	s_cmp_eq_u32 s10, 0
	s_cselect_b32 s11, s11, -1
	s_delay_alu instid0(SALU_CYCLE_1)
	s_cmp_lg_u32 s11, 0
	s_cselect_b32 s11, s18, s10
	s_cselect_b32 s10, s19, s8
	s_cbranch_execnz .LBB150_352
.LBB150_351:                            ;   in Loop: Header=BB150_18 Depth=1
	v_cvt_f32_u32_e32 v6, s56
	s_sub_co_i32 s10, 0, s56
	s_delay_alu instid0(VALU_DEP_1) | instskip(SKIP_1) | instid1(TRANS32_DEP_1)
	v_rcp_iflag_f32_e32 v6, v6
	v_nop
	v_mul_f32_e32 v6, 0x4f7ffffe, v6
	s_delay_alu instid0(VALU_DEP_1) | instskip(NEXT) | instid1(VALU_DEP_1)
	v_cvt_u32_f32_e32 v6, v6
	v_readfirstlane_b32 s8, v6
	s_mul_i32 s10, s10, s8
	s_delay_alu instid0(SALU_CYCLE_1) | instskip(NEXT) | instid1(SALU_CYCLE_1)
	s_mul_hi_u32 s10, s8, s10
	s_add_co_i32 s8, s8, s10
	s_delay_alu instid0(SALU_CYCLE_1) | instskip(NEXT) | instid1(SALU_CYCLE_1)
	s_mul_hi_u32 s8, s74, s8
	s_mul_i32 s8, s8, s56
	s_delay_alu instid0(SALU_CYCLE_1) | instskip(NEXT) | instid1(SALU_CYCLE_1)
	s_sub_co_i32 s8, s74, s8
	s_sub_co_i32 s10, s8, s56
	s_cmp_ge_u32 s8, s56
	s_cselect_b32 s8, s10, s8
	s_delay_alu instid0(SALU_CYCLE_1) | instskip(SKIP_2) | instid1(SALU_CYCLE_1)
	s_sub_co_i32 s10, s8, s56
	s_cmp_ge_u32 s8, s56
	s_cselect_b32 s28, s10, s8
	s_mov_b64 s[10:11], s[28:29]
.LBB150_352:                            ;   in Loop: Header=BB150_18 Depth=1
	s_delay_alu instid0(SALU_CYCLE_1)
	s_sub_nc_u64 s[10:11], s[74:75], s[10:11]
	s_mov_b32 s8, exec_lo
                                        ; implicit-def: $vgpr25
	v_cmpx_gt_u64_e64 s[10:11], v[0:1]
	s_cbranch_execz .LBB150_361
; %bb.353:                              ;   in Loop: Header=BB150_18 Depth=1
	v_mov_b64_e32 v[6:7], v[0:1]
	s_mov_b32 s18, 0
                                        ; implicit-def: $sgpr19
	s_branch .LBB150_356
.LBB150_354:                            ;   in Loop: Header=BB150_356 Depth=2
	s_or_b32 exec_lo, exec_lo, s20
	s_wait_dscnt 0x0
	s_barrier_signal -1
	s_barrier_wait -1
	ds_load_b64 v[24:25], v3 offset:3072
	s_mov_b32 s21, -1
	s_mov_b32 s20, -1
	s_wait_dscnt 0x0
	s_barrier_signal -1
	s_barrier_wait -1
	v_cmp_eq_u32_e32 vcc_lo, 0, v24
	s_cbranch_vccnz .LBB150_359
.LBB150_355:                            ;   in Loop: Header=BB150_356 Depth=2
	s_and_b32 s21, exec_lo, s21
	s_delay_alu instid0(SALU_CYCLE_1) | instskip(SKIP_2) | instid1(SALU_CYCLE_1)
	s_or_b32 s18, s21, s18
	s_and_not1_b32 s19, s19, exec_lo
	s_and_b32 s20, s20, exec_lo
	s_or_b32 s19, s19, s20
	s_and_not1_b32 exec_lo, exec_lo, s18
	s_cbranch_execz .LBB150_360
.LBB150_356:                            ;   Parent Loop BB150_18 Depth=1
                                        ; =>  This Inner Loop Header: Depth=2
	s_mov_b32 s20, exec_lo
	s_delay_alu instid0(VALU_DEP_1)
	v_cmpx_gt_u64_e64 s[36:37], v[6:7]
	s_cbranch_execz .LBB150_354
; %bb.357:                              ;   in Loop: Header=BB150_356 Depth=2
	v_mul_u64_e32 v[8:9], s[30:31], v[6:7]
	s_delay_alu instid0(VALU_DEP_1) | instskip(SKIP_3) | instid1(VALU_DEP_1)
	v_lshl_add_u64 v[8:9], v[8:9], 2, s[34:35]
	global_load_b32 v23, v[8:9], off
	s_wait_loadcnt 0x0
	v_bitop3_b32 v8, v23, v37, 0x80000000 bitop3:0x48
	v_cmp_eq_u32_e32 vcc_lo, v8, v34
	s_and_b32 exec_lo, exec_lo, vcc_lo
	s_cbranch_execz .LBB150_354
; %bb.358:                              ;   in Loop: Header=BB150_356 Depth=2
	ds_store_b64 v3, v[22:23] offset:3072
	s_branch .LBB150_354
.LBB150_359:                            ;   in Loop: Header=BB150_356 Depth=2
	v_add_nc_u64_e32 v[6:7], s[56:57], v[6:7]
	s_mov_b32 s20, 0
	s_delay_alu instid0(VALU_DEP_1)
	v_cmp_le_u64_e32 vcc_lo, s[10:11], v[6:7]
	s_or_not1_b32 s21, vcc_lo, exec_lo
	s_branch .LBB150_355
.LBB150_360:                            ;   in Loop: Header=BB150_18 Depth=1
	s_or_b32 exec_lo, exec_lo, s18
	s_delay_alu instid0(SALU_CYCLE_1) | instskip(SKIP_1) | instid1(SALU_CYCLE_1)
	s_and_not1_b32 s7, s7, exec_lo
	s_and_b32 s10, s19, exec_lo
	s_or_b32 s7, s7, s10
.LBB150_361:                            ;   in Loop: Header=BB150_18 Depth=1
	s_or_b32 exec_lo, exec_lo, s8
	s_mov_b32 s23, 0
	s_mov_b32 s83, -1
.LBB150_362:                            ;   in Loop: Header=BB150_18 Depth=1
	s_or_not1_b32 s7, s7, exec_lo
.LBB150_363:                            ;   in Loop: Header=BB150_18 Depth=1
	s_or_b32 exec_lo, exec_lo, s86
	s_mov_b32 s8, 0
	s_and_saveexec_b32 s20, s7
	s_cbranch_execz .LBB150_472
; %bb.364:                              ;   in Loop: Header=BB150_18 Depth=1
	v_mov_b64_e32 v[6:7], 1
	v_mov_b32_e32 v2, 1
	s_xor_b32 s10, s84, -1
	s_delay_alu instid0(SALU_CYCLE_1)
	s_and_saveexec_b32 s7, s10
	s_cbranch_execz .LBB150_373
; %bb.365:                              ;   in Loop: Header=BB150_18 Depth=1
	s_mov_b32 s8, exec_lo
	v_cmpx_ge_u64_e64 s[16:17], v[4:5]
	s_xor_b32 s8, exec_lo, s8
	s_cbranch_execz .LBB150_370
; %bb.366:                              ;   in Loop: Header=BB150_18 Depth=1
	ds_load_b64 v[6:7], v3 offset:5120
	s_lshl_b32 s10, 2, vcc_hi
	v_or_b32_e32 v37, s24, v37
	v_and_or_b32 v34, v34, s26, s10
	s_wait_dscnt 0x0
	v_cmp_ne_u64_e32 vcc_lo, 0, v[6:7]
	s_cbranch_vccnz .LBB150_370
; %bb.367:                              ;   in Loop: Header=BB150_18 Depth=1
	s_and_saveexec_b32 s10, s5
; %bb.368:                              ;   in Loop: Header=BB150_18 Depth=1
	v_mov_b64_e32 v[6:7], s[16:17]
	ds_store_b64 v3, v[6:7] offset:5128
; %bb.369:                              ;   in Loop: Header=BB150_18 Depth=1
	s_or_b32 exec_lo, exec_lo, s10
	s_wait_dscnt 0x0
	s_barrier_signal -1
	s_barrier_wait -1
.LBB150_370:                            ;   in Loop: Header=BB150_18 Depth=1
	s_or_saveexec_b32 s8, s8
	v_mov_b32_e32 v2, 5
	s_mov_b32 s10, 0
	s_xor_b32 exec_lo, exec_lo, s8
; %bb.371:                              ;   in Loop: Header=BB150_18 Depth=1
	v_sub_nc_u64_e64 v[4:5], v[4:5], s[16:17]
	v_mov_b32_e32 v2, 0
	s_mov_b32 s10, exec_lo
; %bb.372:                              ;   in Loop: Header=BB150_18 Depth=1
	s_or_b32 exec_lo, exec_lo, s8
	s_delay_alu instid0(VALU_DEP_2)
	v_mov_b64_e32 v[6:7], v[4:5]
	s_and_b32 s8, s10, exec_lo
.LBB150_373:                            ;   in Loop: Header=BB150_18 Depth=1
	s_or_b32 exec_lo, exec_lo, s7
	s_mov_b32 s7, -1
                                        ; implicit-def: $sgpr84
                                        ; implicit-def: $sgpr86
	s_and_saveexec_b32 s21, s8
	s_cbranch_execz .LBB150_471
; %bb.374:                              ;   in Loop: Header=BB150_18 Depth=1
	s_delay_alu instid0(VALU_DEP_1) | instskip(SKIP_2) | instid1(SALU_CYCLE_1)
	v_cmp_eq_u64_e32 vcc_lo, 1, v[6:7]
	s_cmp_eq_u64 s[14:15], 1
                                        ; implicit-def: $sgpr86
                                        ; implicit-def: $sgpr84
	s_cselect_b32 s7, -1, 0
	s_and_b32 s87, s7, vcc_lo
	s_mov_b32 s7, -1
	s_and_saveexec_b32 s88, s87
	s_cbranch_execz .LBB150_408
; %bb.375:                              ;   in Loop: Header=BB150_18 Depth=1
	ds_load_b64 v[4:5], v3 offset:5120
	s_wait_dscnt 0x0
	s_barrier_signal -1
	s_barrier_wait -1
	v_readfirstlane_b32 s10, v4
	v_readfirstlane_b32 s11, v5
	s_and_saveexec_b32 s7, s6
; %bb.376:                              ;   in Loop: Header=BB150_18 Depth=1
	ds_store_b32 v32, v3
; %bb.377:                              ;   in Loop: Header=BB150_18 Depth=1
	s_or_b32 exec_lo, exec_lo, s7
	s_lshl_b32 s7, 1, vcc_hi
	v_or_b32_e32 v37, s24, v37
	v_and_or_b32 v34, v34, s26, s7
	s_mov_b32 s84, -1
	s_mov_b32 s86, 0
	s_cmp_eq_u64 s[10:11], 0
	s_mov_b32 s7, 0
	s_mov_b32 s8, -1
	s_wait_dscnt 0x0
	s_barrier_signal -1
	s_barrier_wait -1
                                        ; implicit-def: $vgpr25
	s_cbranch_scc1 .LBB150_393
; %bb.378:                              ;   in Loop: Header=BB150_18 Depth=1
	s_add_nc_u64 s[16:17], s[10:11], s[72:73]
	s_delay_alu instid0(SALU_CYCLE_1) | instskip(NEXT) | instid1(SALU_CYCLE_1)
	s_and_b64 s[18:19], s[16:17], 0xffffffff00000000
	s_cmp_lg_u64 s[18:19], 0
	s_cbranch_scc0 .LBB150_425
; %bb.379:                              ;   in Loop: Header=BB150_18 Depth=1
	s_cvt_f32_u32 s7, s56
	s_sub_nc_u64 s[62:63], 0, s[56:57]
	s_delay_alu instid0(SALU_CYCLE_2) | instskip(NEXT) | instid1(SALU_CYCLE_3)
	s_fmamk_f32 s7, s104, 0x0, s7
	v_s_rcp_f32 s7, s7
	s_delay_alu instid0(TRANS32_DEP_1) | instskip(NEXT) | instid1(SALU_CYCLE_3)
	s_mul_f32 s7, s7, 0x5f7ffffc
	s_mul_f32 s8, s7, 0x2f800000
	s_delay_alu instid0(SALU_CYCLE_3) | instskip(NEXT) | instid1(SALU_CYCLE_3)
	s_trunc_f32 s8, s8
	s_fmamk_f32 s7, s8, 0xcf800000, s7
	s_cvt_u32_f32 s19, s8
	s_delay_alu instid0(SALU_CYCLE_2) | instskip(NEXT) | instid1(SALU_CYCLE_3)
	s_cvt_u32_f32 s18, s7
	s_mul_u64 s[64:65], s[62:63], s[18:19]
	s_delay_alu instid0(SALU_CYCLE_1)
	s_mul_hi_u32 s91, s18, s65
	s_mul_i32 s90, s18, s65
	s_mul_hi_u32 s28, s18, s64
	s_mul_i32 s8, s19, s64
	s_add_nc_u64 s[90:91], s[28:29], s[90:91]
	s_mul_hi_u32 s7, s19, s64
	s_mul_hi_u32 s40, s19, s65
	s_add_co_u32 s8, s90, s8
	s_add_co_ci_u32 s28, s91, s7
	s_mul_i32 s64, s19, s65
	s_add_co_ci_u32 s65, s40, 0
	s_delay_alu instid0(SALU_CYCLE_1) | instskip(NEXT) | instid1(SALU_CYCLE_1)
	s_add_nc_u64 s[64:65], s[28:29], s[64:65]
	s_add_co_u32 s18, s18, s64
	s_cselect_b32 s7, -1, 0
	s_delay_alu instid0(SALU_CYCLE_1) | instskip(SKIP_1) | instid1(SALU_CYCLE_1)
	s_cmp_lg_u32 s7, 0
	s_add_co_ci_u32 s19, s19, s65
	s_mul_u64 s[62:63], s[62:63], s[18:19]
	s_delay_alu instid0(SALU_CYCLE_1)
	s_mul_hi_u32 s65, s18, s63
	s_mul_i32 s64, s18, s63
	s_mul_hi_u32 s28, s18, s62
	s_mul_i32 s8, s19, s62
	s_add_nc_u64 s[64:65], s[28:29], s[64:65]
	s_mul_hi_u32 s7, s19, s62
	s_mul_hi_u32 s40, s19, s63
	s_add_co_u32 s8, s64, s8
	s_add_co_ci_u32 s28, s65, s7
	s_mul_i32 s62, s19, s63
	s_add_co_ci_u32 s63, s40, 0
	s_delay_alu instid0(SALU_CYCLE_1) | instskip(NEXT) | instid1(SALU_CYCLE_1)
	s_add_nc_u64 s[62:63], s[28:29], s[62:63]
	s_add_co_u32 s7, s18, s62
	s_cselect_b32 s8, -1, 0
	s_mul_hi_u32 s28, s16, s7
	s_cmp_lg_u32 s8, 0
	s_mul_hi_u32 s8, s17, s7
	s_add_co_ci_u32 s40, s19, s63
	s_mul_i32 s7, s17, s7
	s_mul_hi_u32 s19, s16, s40
	s_mul_i32 s18, s16, s40
	s_mul_hi_u32 s41, s17, s40
	s_add_nc_u64 s[18:19], s[28:29], s[18:19]
	s_mul_i32 s62, s17, s40
	s_add_co_u32 s7, s18, s7
	s_add_co_ci_u32 s28, s19, s8
	s_add_co_ci_u32 s63, s41, 0
	s_delay_alu instid0(SALU_CYCLE_1) | instskip(NEXT) | instid1(SALU_CYCLE_1)
	s_add_nc_u64 s[18:19], s[28:29], s[62:63]
	s_and_b64 s[62:63], s[18:19], 0xffffffff00000000
	s_delay_alu instid0(SALU_CYCLE_1) | instskip(NEXT) | instid1(SALU_CYCLE_1)
	s_or_b32 s62, s62, s18
	s_mul_u64 s[18:19], s[56:57], s[62:63]
	s_delay_alu instid0(SALU_CYCLE_1) | instskip(SKIP_1) | instid1(SALU_CYCLE_1)
	s_sub_co_u32 s7, s16, s18
	s_cselect_b32 s8, -1, 0
	s_cmp_lg_u32 s8, 0
	s_sub_co_ci_u32 s8, s17, s19
	s_sub_co_u32 s18, s7, s56
	s_cselect_b32 s19, -1, 0
	s_delay_alu instid0(SALU_CYCLE_1) | instskip(SKIP_3) | instid1(SALU_CYCLE_1)
	s_cmp_lg_u32 s19, 0
	s_sub_co_ci_u32 s19, s8, 0
	s_sub_co_u32 s28, s18, s56
	s_cselect_b32 s40, -1, 0
	s_cmp_lg_u32 s40, 0
	s_sub_co_ci_u32 s40, s19, 0
	s_cmp_ge_u32 s18, s56
	s_cselect_b32 s41, -1, 0
	s_cmp_eq_u32 s19, 0
	s_cselect_b32 s41, s41, -1
	s_delay_alu instid0(SALU_CYCLE_1)
	s_cmp_lg_u32 s41, 0
	s_cselect_b32 s19, s40, s19
	s_cselect_b32 s18, s28, s18
	s_cmp_ge_u32 s7, s56
	s_cselect_b32 s28, -1, 0
	s_cmp_eq_u32 s8, 0
	s_cselect_b32 s28, s28, -1
	s_delay_alu instid0(SALU_CYCLE_1)
	s_cmp_lg_u32 s28, 0
	s_cselect_b32 s19, s19, s8
	s_cselect_b32 s18, s18, s7
	s_cbranch_execnz .LBB150_381
.LBB150_380:                            ;   in Loop: Header=BB150_18 Depth=1
	v_cvt_f32_u32_e32 v4, s56
	s_sub_co_i32 s8, 0, s56
	s_delay_alu instid0(VALU_DEP_1) | instskip(SKIP_1) | instid1(TRANS32_DEP_1)
	v_rcp_iflag_f32_e32 v4, v4
	v_nop
	v_mul_f32_e32 v4, 0x4f7ffffe, v4
	s_delay_alu instid0(VALU_DEP_1) | instskip(NEXT) | instid1(VALU_DEP_1)
	v_cvt_u32_f32_e32 v4, v4
	v_readfirstlane_b32 s7, v4
	s_mul_i32 s8, s8, s7
	s_delay_alu instid0(SALU_CYCLE_1) | instskip(NEXT) | instid1(SALU_CYCLE_1)
	s_mul_hi_u32 s8, s7, s8
	s_add_co_i32 s7, s7, s8
	s_delay_alu instid0(SALU_CYCLE_1) | instskip(NEXT) | instid1(SALU_CYCLE_1)
	s_mul_hi_u32 s7, s16, s7
	s_mul_i32 s7, s7, s56
	s_delay_alu instid0(SALU_CYCLE_1) | instskip(NEXT) | instid1(SALU_CYCLE_1)
	s_sub_co_i32 s7, s16, s7
	s_sub_co_i32 s8, s7, s56
	s_cmp_ge_u32 s7, s56
	s_cselect_b32 s7, s8, s7
	s_delay_alu instid0(SALU_CYCLE_1) | instskip(SKIP_2) | instid1(SALU_CYCLE_1)
	s_sub_co_i32 s8, s7, s56
	s_cmp_ge_u32 s7, s56
	s_cselect_b32 s28, s8, s7
	s_mov_b64 s[18:19], s[28:29]
.LBB150_381:                            ;   in Loop: Header=BB150_18 Depth=1
	s_delay_alu instid0(SALU_CYCLE_1)
	s_sub_nc_u64 s[16:17], s[16:17], s[18:19]
	s_mov_b32 s8, 0
	s_mov_b32 s7, 0
	s_mov_b32 s18, exec_lo
                                        ; implicit-def: $vgpr25
	v_cmpx_gt_u64_e64 s[16:17], v[0:1]
	s_cbranch_execz .LBB150_392
; %bb.382:                              ;   in Loop: Header=BB150_18 Depth=1
	v_mov_b64_e32 v[4:5], v[0:1]
	v_mov_b32_e32 v8, v16
                                        ; implicit-def: $sgpr19
	s_branch .LBB150_385
.LBB150_383:                            ;   in Loop: Header=BB150_385 Depth=2
	s_or_b32 exec_lo, exec_lo, s28
	s_wait_dscnt 0x0
	s_barrier_signal -1
	s_barrier_wait -1
	ds_load_b64 v[24:25], v3 offset:3072
	s_mov_b32 s28, -1
	s_mov_b32 s62, -1
	s_wait_dscnt 0x0
	s_barrier_signal -1
	s_barrier_wait -1
	v_cmp_ne_u32_e32 vcc_lo, 0, v24
	s_cbranch_vccz .LBB150_388
.LBB150_384:                            ;   in Loop: Header=BB150_385 Depth=2
	s_and_b32 s28, exec_lo, s28
	s_delay_alu instid0(SALU_CYCLE_1) | instskip(SKIP_2) | instid1(SALU_CYCLE_1)
	s_or_b32 s7, s28, s7
	s_and_not1_b32 s19, s19, exec_lo
	s_and_b32 s28, s62, exec_lo
	s_or_b32 s19, s19, s28
	s_and_not1_b32 exec_lo, exec_lo, s7
	s_cbranch_execz .LBB150_391
.LBB150_385:                            ;   Parent Loop BB150_18 Depth=1
                                        ; =>  This Inner Loop Header: Depth=2
	s_mov_b32 s28, exec_lo
	s_delay_alu instid0(VALU_DEP_2)
	v_cmpx_gt_u64_e64 s[10:11], v[4:5]
	s_cbranch_execz .LBB150_383
; %bb.386:                              ;   in Loop: Header=BB150_385 Depth=2
	ds_load_b32 v23, v8
	s_wait_dscnt 0x0
	v_bitop3_b32 v9, v23, v37, 0x80000000 bitop3:0x48
	s_delay_alu instid0(VALU_DEP_1)
	v_cmp_eq_u32_e32 vcc_lo, v9, v34
	s_and_b32 exec_lo, exec_lo, vcc_lo
	s_cbranch_execz .LBB150_383
; %bb.387:                              ;   in Loop: Header=BB150_385 Depth=2
	ds_store_b64 v3, v[22:23] offset:3072
	s_branch .LBB150_383
.LBB150_388:                            ;   in Loop: Header=BB150_385 Depth=2
	v_add_nc_u64_e32 v[4:5], s[56:57], v[4:5]
	v_add_nc_u32_e32 v8, s103, v8
	s_mov_b32 s62, 0
	s_delay_alu instid0(VALU_DEP_2)
	v_cmp_le_u64_e32 vcc_lo, s[16:17], v[4:5]
	s_or_not1_b32 s28, vcc_lo, exec_lo
	s_branch .LBB150_384
.LBB150_389:                            ;   in Loop: Header=BB150_18 Depth=1
                                        ; implicit-def: $sgpr20_sgpr21
	s_branch .LBB150_335
.LBB150_390:                            ;   in Loop: Header=BB150_18 Depth=1
                                        ; implicit-def: $sgpr10_sgpr11
	s_branch .LBB150_351
.LBB150_391:                            ;   in Loop: Header=BB150_18 Depth=1
	s_or_b32 exec_lo, exec_lo, s7
	s_delay_alu instid0(SALU_CYCLE_1)
	s_and_b32 s7, s19, exec_lo
.LBB150_392:                            ;   in Loop: Header=BB150_18 Depth=1
	s_or_b32 exec_lo, exec_lo, s18
.LBB150_393:                            ;   in Loop: Header=BB150_18 Depth=1
	s_delay_alu instid0(SALU_CYCLE_1)
	s_and_b32 vcc_lo, exec_lo, s8
	s_cbranch_vccz .LBB150_407
; %bb.394:                              ;   in Loop: Header=BB150_18 Depth=1
	s_and_b64 s[10:11], s[74:75], 0xffffffff00000000
	s_delay_alu instid0(SALU_CYCLE_1)
	s_cmp_lg_u64 s[10:11], 0
	s_cbranch_scc0 .LBB150_426
; %bb.395:                              ;   in Loop: Header=BB150_18 Depth=1
	s_cvt_f32_u32 s8, s56
	s_sub_nc_u64 s[16:17], 0, s[56:57]
	s_delay_alu instid0(SALU_CYCLE_2) | instskip(NEXT) | instid1(SALU_CYCLE_3)
	s_fmamk_f32 s8, s104, 0x0, s8
	v_s_rcp_f32 s8, s8
	s_delay_alu instid0(TRANS32_DEP_1) | instskip(NEXT) | instid1(SALU_CYCLE_3)
	s_mul_f32 s8, s8, 0x5f7ffffc
	s_mul_f32 s10, s8, 0x2f800000
	s_delay_alu instid0(SALU_CYCLE_3) | instskip(NEXT) | instid1(SALU_CYCLE_3)
	s_trunc_f32 s10, s10
	s_fmamk_f32 s8, s10, 0xcf800000, s8
	s_cvt_u32_f32 s11, s10
	s_delay_alu instid0(SALU_CYCLE_2) | instskip(NEXT) | instid1(SALU_CYCLE_3)
	s_cvt_u32_f32 s10, s8
	s_mul_u64 s[18:19], s[16:17], s[10:11]
	s_delay_alu instid0(SALU_CYCLE_1)
	s_mul_hi_u32 s63, s10, s19
	s_mul_i32 s62, s10, s19
	s_mul_hi_u32 s28, s10, s18
	s_mul_i32 s40, s11, s18
	s_add_nc_u64 s[62:63], s[28:29], s[62:63]
	s_mul_hi_u32 s8, s11, s18
	s_mul_hi_u32 s41, s11, s19
	s_mul_i32 s18, s11, s19
	s_add_co_u32 s19, s62, s40
	s_add_co_ci_u32 s28, s63, s8
	s_add_co_ci_u32 s19, s41, 0
	s_delay_alu instid0(SALU_CYCLE_1) | instskip(NEXT) | instid1(SALU_CYCLE_1)
	s_add_nc_u64 s[18:19], s[28:29], s[18:19]
	s_add_co_u32 s10, s10, s18
	s_cselect_b32 s8, -1, 0
	s_delay_alu instid0(SALU_CYCLE_1) | instskip(SKIP_1) | instid1(SALU_CYCLE_1)
	s_cmp_lg_u32 s8, 0
	s_add_co_ci_u32 s11, s11, s19
	s_mul_u64 s[16:17], s[16:17], s[10:11]
	s_delay_alu instid0(SALU_CYCLE_1)
	s_mul_hi_u32 s19, s10, s17
	s_mul_i32 s18, s10, s17
	s_mul_hi_u32 s28, s10, s16
	s_mul_i32 s40, s11, s16
	s_add_nc_u64 s[18:19], s[28:29], s[18:19]
	s_mul_hi_u32 s8, s11, s16
	s_mul_hi_u32 s41, s11, s17
	s_mul_i32 s16, s11, s17
	s_add_co_u32 s17, s18, s40
	s_add_co_ci_u32 s28, s19, s8
	s_add_co_ci_u32 s17, s41, 0
	s_delay_alu instid0(SALU_CYCLE_1) | instskip(NEXT) | instid1(SALU_CYCLE_1)
	s_add_nc_u64 s[16:17], s[28:29], s[16:17]
	s_add_co_u32 s8, s10, s16
	s_cselect_b32 s10, -1, 0
	s_mul_hi_u32 s28, s74, s8
	s_cmp_lg_u32 s10, 0
	s_mul_hi_u32 s18, s75, s8
	s_add_co_ci_u32 s16, s11, s17
	s_mul_i32 s8, s75, s8
	s_mul_hi_u32 s11, s74, s16
	s_mul_i32 s10, s74, s16
	s_mul_hi_u32 s17, s75, s16
	s_add_nc_u64 s[10:11], s[28:29], s[10:11]
	s_mul_i32 s16, s75, s16
	s_add_co_u32 s8, s10, s8
	s_add_co_ci_u32 s28, s11, s18
	s_add_co_ci_u32 s17, s17, 0
	s_delay_alu instid0(SALU_CYCLE_1) | instskip(NEXT) | instid1(SALU_CYCLE_1)
	s_add_nc_u64 s[10:11], s[28:29], s[16:17]
	s_and_b64 s[16:17], s[10:11], 0xffffffff00000000
	s_delay_alu instid0(SALU_CYCLE_1) | instskip(NEXT) | instid1(SALU_CYCLE_1)
	s_or_b32 s16, s16, s10
	s_mul_u64 s[10:11], s[56:57], s[16:17]
	s_delay_alu instid0(SALU_CYCLE_1) | instskip(SKIP_1) | instid1(SALU_CYCLE_1)
	s_sub_co_u32 s8, s74, s10
	s_cselect_b32 s10, -1, 0
	s_cmp_lg_u32 s10, 0
	s_sub_co_ci_u32 s10, s75, s11
	s_sub_co_u32 s11, s8, s56
	s_cselect_b32 s16, -1, 0
	s_delay_alu instid0(SALU_CYCLE_1) | instskip(SKIP_3) | instid1(SALU_CYCLE_1)
	s_cmp_lg_u32 s16, 0
	s_sub_co_ci_u32 s16, s10, 0
	s_sub_co_u32 s17, s11, s56
	s_cselect_b32 s18, -1, 0
	s_cmp_lg_u32 s18, 0
	s_sub_co_ci_u32 s18, s16, 0
	s_cmp_ge_u32 s11, s56
	s_cselect_b32 s19, -1, 0
	s_cmp_eq_u32 s16, 0
	s_cselect_b32 s19, s19, -1
	s_delay_alu instid0(SALU_CYCLE_1)
	s_cmp_lg_u32 s19, 0
	s_cselect_b32 s16, s18, s16
	s_cselect_b32 s17, s17, s11
	s_cmp_ge_u32 s8, s56
	s_cselect_b32 s11, -1, 0
	s_cmp_eq_u32 s10, 0
	s_cselect_b32 s11, s11, -1
	s_delay_alu instid0(SALU_CYCLE_1)
	s_cmp_lg_u32 s11, 0
	s_cselect_b32 s11, s16, s10
	s_cselect_b32 s10, s17, s8
	s_cbranch_execnz .LBB150_397
.LBB150_396:                            ;   in Loop: Header=BB150_18 Depth=1
	v_cvt_f32_u32_e32 v4, s56
	s_sub_co_i32 s10, 0, s56
	s_delay_alu instid0(VALU_DEP_1) | instskip(SKIP_1) | instid1(TRANS32_DEP_1)
	v_rcp_iflag_f32_e32 v4, v4
	v_nop
	v_mul_f32_e32 v4, 0x4f7ffffe, v4
	s_delay_alu instid0(VALU_DEP_1) | instskip(NEXT) | instid1(VALU_DEP_1)
	v_cvt_u32_f32_e32 v4, v4
	v_readfirstlane_b32 s8, v4
	s_mul_i32 s10, s10, s8
	s_delay_alu instid0(SALU_CYCLE_1) | instskip(NEXT) | instid1(SALU_CYCLE_1)
	s_mul_hi_u32 s10, s8, s10
	s_add_co_i32 s8, s8, s10
	s_delay_alu instid0(SALU_CYCLE_1) | instskip(NEXT) | instid1(SALU_CYCLE_1)
	s_mul_hi_u32 s8, s74, s8
	s_mul_i32 s8, s8, s56
	s_delay_alu instid0(SALU_CYCLE_1) | instskip(NEXT) | instid1(SALU_CYCLE_1)
	s_sub_co_i32 s8, s74, s8
	s_sub_co_i32 s10, s8, s56
	s_cmp_ge_u32 s8, s56
	s_cselect_b32 s8, s10, s8
	s_delay_alu instid0(SALU_CYCLE_1) | instskip(SKIP_2) | instid1(SALU_CYCLE_1)
	s_sub_co_i32 s10, s8, s56
	s_cmp_ge_u32 s8, s56
	s_cselect_b32 s28, s10, s8
	s_mov_b64 s[10:11], s[28:29]
.LBB150_397:                            ;   in Loop: Header=BB150_18 Depth=1
	s_delay_alu instid0(SALU_CYCLE_1)
	s_sub_nc_u64 s[10:11], s[74:75], s[10:11]
	s_mov_b32 s8, exec_lo
                                        ; implicit-def: $vgpr25
	v_cmpx_gt_u64_e64 s[10:11], v[0:1]
	s_cbranch_execz .LBB150_406
; %bb.398:                              ;   in Loop: Header=BB150_18 Depth=1
	v_mov_b64_e32 v[4:5], v[0:1]
	s_mov_b32 s16, 0
                                        ; implicit-def: $sgpr17
	s_branch .LBB150_401
.LBB150_399:                            ;   in Loop: Header=BB150_401 Depth=2
	s_or_b32 exec_lo, exec_lo, s18
	s_wait_dscnt 0x0
	s_barrier_signal -1
	s_barrier_wait -1
	ds_load_b64 v[24:25], v3 offset:3072
	s_mov_b32 s19, -1
	s_mov_b32 s18, -1
	s_wait_dscnt 0x0
	s_barrier_signal -1
	s_barrier_wait -1
	v_cmp_eq_u32_e32 vcc_lo, 0, v24
	s_cbranch_vccnz .LBB150_404
.LBB150_400:                            ;   in Loop: Header=BB150_401 Depth=2
	s_and_b32 s19, exec_lo, s19
	s_delay_alu instid0(SALU_CYCLE_1) | instskip(SKIP_2) | instid1(SALU_CYCLE_1)
	s_or_b32 s16, s19, s16
	s_and_not1_b32 s17, s17, exec_lo
	s_and_b32 s18, s18, exec_lo
	s_or_b32 s17, s17, s18
	s_and_not1_b32 exec_lo, exec_lo, s16
	s_cbranch_execz .LBB150_405
.LBB150_401:                            ;   Parent Loop BB150_18 Depth=1
                                        ; =>  This Inner Loop Header: Depth=2
	s_mov_b32 s18, exec_lo
	s_delay_alu instid0(VALU_DEP_1)
	v_cmpx_gt_u64_e64 s[36:37], v[4:5]
	s_cbranch_execz .LBB150_399
; %bb.402:                              ;   in Loop: Header=BB150_401 Depth=2
	v_mul_u64_e32 v[8:9], s[30:31], v[4:5]
	s_delay_alu instid0(VALU_DEP_1) | instskip(SKIP_3) | instid1(VALU_DEP_1)
	v_lshl_add_u64 v[8:9], v[8:9], 2, s[34:35]
	global_load_b32 v23, v[8:9], off
	s_wait_loadcnt 0x0
	v_bitop3_b32 v8, v23, v37, 0x80000000 bitop3:0x48
	v_cmp_eq_u32_e32 vcc_lo, v8, v34
	s_and_b32 exec_lo, exec_lo, vcc_lo
	s_cbranch_execz .LBB150_399
; %bb.403:                              ;   in Loop: Header=BB150_401 Depth=2
	ds_store_b64 v3, v[22:23] offset:3072
	s_branch .LBB150_399
.LBB150_404:                            ;   in Loop: Header=BB150_401 Depth=2
	v_add_nc_u64_e32 v[4:5], s[56:57], v[4:5]
	s_mov_b32 s18, 0
	s_delay_alu instid0(VALU_DEP_1)
	v_cmp_le_u64_e32 vcc_lo, s[10:11], v[4:5]
	s_or_not1_b32 s19, vcc_lo, exec_lo
	s_branch .LBB150_400
.LBB150_405:                            ;   in Loop: Header=BB150_18 Depth=1
	s_or_b32 exec_lo, exec_lo, s16
	s_delay_alu instid0(SALU_CYCLE_1) | instskip(SKIP_1) | instid1(SALU_CYCLE_1)
	s_and_not1_b32 s7, s7, exec_lo
	s_and_b32 s10, s17, exec_lo
	s_or_b32 s7, s7, s10
.LBB150_406:                            ;   in Loop: Header=BB150_18 Depth=1
	s_or_b32 exec_lo, exec_lo, s8
	s_mov_b32 s84, 0
	s_mov_b32 s86, -1
.LBB150_407:                            ;   in Loop: Header=BB150_18 Depth=1
	s_or_not1_b32 s7, s7, exec_lo
.LBB150_408:                            ;   in Loop: Header=BB150_18 Depth=1
	s_or_b32 exec_lo, exec_lo, s88
	s_mov_b32 s8, 0
	s_and_saveexec_b32 s18, s7
	s_cbranch_execz .LBB150_470
; %bb.409:                              ;   in Loop: Header=BB150_18 Depth=1
	v_mov_b64_e32 v[4:5], 1
	v_mov_b32_e32 v2, 1
	s_xor_b32 s8, s87, -1
	s_mov_b32 s10, 0
	s_and_saveexec_b32 s7, s8
	s_cbranch_execz .LBB150_418
; %bb.410:                              ;   in Loop: Header=BB150_18 Depth=1
	s_mov_b32 s8, exec_lo
	v_cmpx_ge_u64_e64 s[14:15], v[6:7]
	s_xor_b32 s8, exec_lo, s8
	s_cbranch_execz .LBB150_415
; %bb.411:                              ;   in Loop: Header=BB150_18 Depth=1
	ds_load_b64 v[4:5], v3 offset:5120
	s_lshl_b32 s10, 1, vcc_hi
	v_or_b32_e32 v37, s24, v37
	v_and_or_b32 v34, v34, s26, s10
	s_wait_dscnt 0x0
	v_cmp_ne_u64_e32 vcc_lo, 0, v[4:5]
	s_cbranch_vccnz .LBB150_415
; %bb.412:                              ;   in Loop: Header=BB150_18 Depth=1
	s_and_saveexec_b32 s10, s5
; %bb.413:                              ;   in Loop: Header=BB150_18 Depth=1
	v_mov_b64_e32 v[4:5], s[14:15]
	ds_store_b64 v3, v[4:5] offset:5128
; %bb.414:                              ;   in Loop: Header=BB150_18 Depth=1
	s_or_b32 exec_lo, exec_lo, s10
	s_wait_dscnt 0x0
	s_barrier_signal -1
	s_barrier_wait -1
.LBB150_415:                            ;   in Loop: Header=BB150_18 Depth=1
	s_or_saveexec_b32 s8, s8
	v_mov_b32_e32 v2, 5
	s_mov_b32 s10, 0
	s_xor_b32 exec_lo, exec_lo, s8
; %bb.416:                              ;   in Loop: Header=BB150_18 Depth=1
	v_sub_nc_u64_e64 v[6:7], v[6:7], s[14:15]
	v_mov_b32_e32 v2, 0
	s_mov_b32 s10, exec_lo
; %bb.417:                              ;   in Loop: Header=BB150_18 Depth=1
	s_or_b32 exec_lo, exec_lo, s8
	s_delay_alu instid0(VALU_DEP_2)
	v_mov_b64_e32 v[4:5], v[6:7]
	s_and_b32 s10, s10, exec_lo
.LBB150_418:                            ;   in Loop: Header=BB150_18 Depth=1
	s_or_b32 exec_lo, exec_lo, s7
	s_mov_b32 s7, -1
                                        ; implicit-def: $sgpr8
                                        ; implicit-def: $sgpr89
	s_and_saveexec_b32 s19, s10
	s_cbranch_execz .LBB150_469
; %bb.419:                              ;   in Loop: Header=BB150_18 Depth=1
	s_delay_alu instid0(VALU_DEP_1) | instskip(SKIP_3) | instid1(SALU_CYCLE_1)
	v_cmp_eq_u64_e32 vcc_lo, 1, v[4:5]
	s_cmp_eq_u64 s[12:13], 1
	s_mov_b32 s10, -1
	s_cselect_b32 s7, -1, 0
                                        ; implicit-def: $sgpr8
                                        ; implicit-def: $sgpr89
	s_and_b32 s87, s7, vcc_lo
	s_delay_alu instid0(SALU_CYCLE_1)
	s_and_saveexec_b32 s88, s87
	s_cbranch_execz .LBB150_457
; %bb.420:                              ;   in Loop: Header=BB150_18 Depth=1
	ds_load_b64 v[6:7], v3 offset:5120
	s_wait_dscnt 0x0
	s_barrier_signal -1
	s_barrier_wait -1
	v_readfirstlane_b32 s10, v6
	v_readfirstlane_b32 s11, v7
	s_and_saveexec_b32 s7, s6
; %bb.421:                              ;   in Loop: Header=BB150_18 Depth=1
	ds_store_b32 v32, v3
; %bb.422:                              ;   in Loop: Header=BB150_18 Depth=1
	s_or_b32 exec_lo, exec_lo, s7
	v_and_b32_e32 v34, s26, v34
	v_or_b32_e32 v37, s24, v37
	s_mov_b32 s89, -1
	s_mov_b32 s8, 0
	s_cmp_eq_u64 s[10:11], 0
	s_mov_b32 s7, 0
	s_mov_b32 s16, -1
	s_wait_dscnt 0x0
	s_barrier_signal -1
	s_barrier_wait -1
                                        ; implicit-def: $vgpr25
	s_cbranch_scc1 .LBB150_440
; %bb.423:                              ;   in Loop: Header=BB150_18 Depth=1
	s_add_nc_u64 s[14:15], s[10:11], s[72:73]
	s_delay_alu instid0(SALU_CYCLE_1) | instskip(NEXT) | instid1(SALU_CYCLE_1)
	s_and_b64 s[16:17], s[14:15], 0xffffffff00000000
	s_cmp_lg_u64 s[16:17], 0
	s_cbranch_scc0 .LBB150_427
; %bb.424:                              ;   in Loop: Header=BB150_18 Depth=1
	s_cvt_f32_u32 s7, s56
	s_sub_nc_u64 s[62:63], 0, s[56:57]
	s_delay_alu instid0(SALU_CYCLE_2) | instskip(NEXT) | instid1(SALU_CYCLE_3)
	s_fmamk_f32 s7, s104, 0x0, s7
	v_s_rcp_f32 s7, s7
	s_delay_alu instid0(TRANS32_DEP_1) | instskip(NEXT) | instid1(SALU_CYCLE_3)
	s_mul_f32 s7, s7, 0x5f7ffffc
	s_mul_f32 s16, s7, 0x2f800000
	s_delay_alu instid0(SALU_CYCLE_3) | instskip(NEXT) | instid1(SALU_CYCLE_3)
	s_trunc_f32 s16, s16
	s_fmamk_f32 s7, s16, 0xcf800000, s7
	s_cvt_u32_f32 s17, s16
	s_delay_alu instid0(SALU_CYCLE_2) | instskip(NEXT) | instid1(SALU_CYCLE_3)
	s_cvt_u32_f32 s16, s7
	s_mul_u64 s[64:65], s[62:63], s[16:17]
	s_delay_alu instid0(SALU_CYCLE_1)
	s_mul_hi_u32 s91, s16, s65
	s_mul_i32 s90, s16, s65
	s_mul_hi_u32 s28, s16, s64
	s_mul_i32 s40, s17, s64
	s_add_nc_u64 s[90:91], s[28:29], s[90:91]
	s_mul_hi_u32 s7, s17, s64
	s_mul_hi_u32 s41, s17, s65
	s_add_co_u32 s28, s90, s40
	s_add_co_ci_u32 s28, s91, s7
	s_mul_i32 s64, s17, s65
	s_add_co_ci_u32 s65, s41, 0
	s_delay_alu instid0(SALU_CYCLE_1) | instskip(NEXT) | instid1(SALU_CYCLE_1)
	s_add_nc_u64 s[64:65], s[28:29], s[64:65]
	s_add_co_u32 s16, s16, s64
	s_cselect_b32 s7, -1, 0
	s_delay_alu instid0(SALU_CYCLE_1) | instskip(SKIP_1) | instid1(SALU_CYCLE_1)
	s_cmp_lg_u32 s7, 0
	s_add_co_ci_u32 s17, s17, s65
	s_mul_u64 s[62:63], s[62:63], s[16:17]
	s_delay_alu instid0(SALU_CYCLE_1)
	s_mul_hi_u32 s65, s16, s63
	s_mul_i32 s64, s16, s63
	s_mul_hi_u32 s28, s16, s62
	s_mul_i32 s40, s17, s62
	s_add_nc_u64 s[64:65], s[28:29], s[64:65]
	s_mul_hi_u32 s7, s17, s62
	s_mul_hi_u32 s41, s17, s63
	s_add_co_u32 s28, s64, s40
	s_add_co_ci_u32 s28, s65, s7
	s_mul_i32 s62, s17, s63
	s_add_co_ci_u32 s63, s41, 0
	s_delay_alu instid0(SALU_CYCLE_1) | instskip(NEXT) | instid1(SALU_CYCLE_1)
	s_add_nc_u64 s[62:63], s[28:29], s[62:63]
	s_add_co_u32 s7, s16, s62
	s_cselect_b32 s16, -1, 0
	s_mul_hi_u32 s28, s14, s7
	s_cmp_lg_u32 s16, 0
	s_mul_hi_u32 s40, s15, s7
	s_add_co_ci_u32 s41, s17, s63
	s_mul_i32 s7, s15, s7
	s_mul_hi_u32 s17, s14, s41
	s_mul_i32 s16, s14, s41
	s_mul_hi_u32 s42, s15, s41
	s_add_nc_u64 s[16:17], s[28:29], s[16:17]
	s_mul_i32 s62, s15, s41
	s_add_co_u32 s7, s16, s7
	s_add_co_ci_u32 s28, s17, s40
	s_add_co_ci_u32 s63, s42, 0
	s_delay_alu instid0(SALU_CYCLE_1) | instskip(NEXT) | instid1(SALU_CYCLE_1)
	s_add_nc_u64 s[16:17], s[28:29], s[62:63]
	s_and_b64 s[62:63], s[16:17], 0xffffffff00000000
	s_delay_alu instid0(SALU_CYCLE_1) | instskip(NEXT) | instid1(SALU_CYCLE_1)
	s_or_b32 s62, s62, s16
	s_mul_u64 s[16:17], s[56:57], s[62:63]
	s_delay_alu instid0(SALU_CYCLE_1) | instskip(SKIP_1) | instid1(SALU_CYCLE_1)
	s_sub_co_u32 s7, s14, s16
	s_cselect_b32 s16, -1, 0
	s_cmp_lg_u32 s16, 0
	s_sub_co_ci_u32 s16, s15, s17
	s_sub_co_u32 s17, s7, s56
	s_cselect_b32 s28, -1, 0
	s_delay_alu instid0(SALU_CYCLE_1) | instskip(SKIP_3) | instid1(SALU_CYCLE_1)
	s_cmp_lg_u32 s28, 0
	s_sub_co_ci_u32 s28, s16, 0
	s_sub_co_u32 s40, s17, s56
	s_cselect_b32 s41, -1, 0
	s_cmp_lg_u32 s41, 0
	s_sub_co_ci_u32 s41, s28, 0
	s_cmp_ge_u32 s17, s56
	s_cselect_b32 s42, -1, 0
	s_cmp_eq_u32 s28, 0
	s_cselect_b32 s42, s42, -1
	s_delay_alu instid0(SALU_CYCLE_1)
	s_cmp_lg_u32 s42, 0
	s_cselect_b32 s28, s41, s28
	s_cselect_b32 s40, s40, s17
	s_cmp_ge_u32 s7, s56
	s_cselect_b32 s17, -1, 0
	s_cmp_eq_u32 s16, 0
	s_cselect_b32 s17, s17, -1
	s_delay_alu instid0(SALU_CYCLE_1)
	s_cmp_lg_u32 s17, 0
	s_cselect_b32 s17, s28, s16
	s_cselect_b32 s16, s40, s7
	s_mov_b32 s7, 0
	s_branch .LBB150_428
.LBB150_425:                            ;   in Loop: Header=BB150_18 Depth=1
                                        ; implicit-def: $sgpr18_sgpr19
	s_branch .LBB150_380
.LBB150_426:                            ;   in Loop: Header=BB150_18 Depth=1
                                        ; implicit-def: $sgpr10_sgpr11
	s_branch .LBB150_396
.LBB150_427:                            ;   in Loop: Header=BB150_18 Depth=1
	s_mov_b32 s7, -1
                                        ; implicit-def: $sgpr16_sgpr17
.LBB150_428:                            ;   in Loop: Header=BB150_18 Depth=1
	s_delay_alu instid0(SALU_CYCLE_1)
	s_and_not1_b32 vcc_lo, exec_lo, s7
	s_cbranch_vccnz .LBB150_430
; %bb.429:                              ;   in Loop: Header=BB150_18 Depth=1
	v_cvt_f32_u32_e32 v6, s56
	s_sub_co_i32 s16, 0, s56
	s_delay_alu instid0(VALU_DEP_1) | instskip(SKIP_1) | instid1(TRANS32_DEP_1)
	v_rcp_iflag_f32_e32 v6, v6
	v_nop
	v_mul_f32_e32 v6, 0x4f7ffffe, v6
	s_delay_alu instid0(VALU_DEP_1) | instskip(NEXT) | instid1(VALU_DEP_1)
	v_cvt_u32_f32_e32 v6, v6
	v_readfirstlane_b32 s7, v6
	s_mul_i32 s16, s16, s7
	s_delay_alu instid0(SALU_CYCLE_1) | instskip(NEXT) | instid1(SALU_CYCLE_1)
	s_mul_hi_u32 s16, s7, s16
	s_add_co_i32 s7, s7, s16
	s_delay_alu instid0(SALU_CYCLE_1) | instskip(NEXT) | instid1(SALU_CYCLE_1)
	s_mul_hi_u32 s7, s14, s7
	s_mul_i32 s7, s7, s56
	s_delay_alu instid0(SALU_CYCLE_1) | instskip(NEXT) | instid1(SALU_CYCLE_1)
	s_sub_co_i32 s7, s14, s7
	s_sub_co_i32 s16, s7, s56
	s_cmp_ge_u32 s7, s56
	s_cselect_b32 s7, s16, s7
	s_delay_alu instid0(SALU_CYCLE_1) | instskip(SKIP_2) | instid1(SALU_CYCLE_1)
	s_sub_co_i32 s16, s7, s56
	s_cmp_ge_u32 s7, s56
	s_cselect_b32 s28, s16, s7
	s_mov_b64 s[16:17], s[28:29]
.LBB150_430:                            ;   in Loop: Header=BB150_18 Depth=1
	s_delay_alu instid0(SALU_CYCLE_1)
	s_sub_nc_u64 s[14:15], s[14:15], s[16:17]
	s_mov_b32 s16, 0
	s_mov_b32 s7, 0
	s_mov_b32 s17, exec_lo
                                        ; implicit-def: $vgpr25
	v_cmpx_gt_u64_e64 s[14:15], v[0:1]
	s_cbranch_execz .LBB150_439
; %bb.431:                              ;   in Loop: Header=BB150_18 Depth=1
	v_mov_b64_e32 v[6:7], v[0:1]
	v_mov_b32_e32 v8, v16
                                        ; implicit-def: $sgpr28
	s_branch .LBB150_434
.LBB150_432:                            ;   in Loop: Header=BB150_434 Depth=2
	s_or_b32 exec_lo, exec_lo, s62
	s_wait_dscnt 0x0
	s_barrier_signal -1
	s_barrier_wait -1
	ds_load_b64 v[24:25], v3 offset:3072
	s_mov_b32 s62, -1
	s_mov_b32 s63, -1
	s_wait_dscnt 0x0
	s_barrier_signal -1
	s_barrier_wait -1
	v_cmp_ne_u32_e32 vcc_lo, 0, v24
	s_cbranch_vccz .LBB150_437
.LBB150_433:                            ;   in Loop: Header=BB150_434 Depth=2
	s_and_b32 s40, exec_lo, s62
	s_delay_alu instid0(SALU_CYCLE_1) | instskip(SKIP_2) | instid1(SALU_CYCLE_1)
	s_or_b32 s7, s40, s7
	s_and_not1_b32 s28, s28, exec_lo
	s_and_b32 s40, s63, exec_lo
	s_or_b32 s28, s28, s40
	s_and_not1_b32 exec_lo, exec_lo, s7
	s_cbranch_execz .LBB150_438
.LBB150_434:                            ;   Parent Loop BB150_18 Depth=1
                                        ; =>  This Inner Loop Header: Depth=2
	s_mov_b32 s62, exec_lo
	s_delay_alu instid0(VALU_DEP_2)
	v_cmpx_gt_u64_e64 s[10:11], v[6:7]
	s_cbranch_execz .LBB150_432
; %bb.435:                              ;   in Loop: Header=BB150_434 Depth=2
	ds_load_b32 v23, v8
	s_wait_dscnt 0x0
	v_bitop3_b32 v9, v23, v37, 0x80000000 bitop3:0x48
	s_delay_alu instid0(VALU_DEP_1)
	v_cmp_eq_u32_e32 vcc_lo, v9, v34
	s_and_b32 exec_lo, exec_lo, vcc_lo
	s_cbranch_execz .LBB150_432
; %bb.436:                              ;   in Loop: Header=BB150_434 Depth=2
	ds_store_b64 v3, v[22:23] offset:3072
	s_branch .LBB150_432
.LBB150_437:                            ;   in Loop: Header=BB150_434 Depth=2
	v_add_nc_u64_e32 v[6:7], s[56:57], v[6:7]
	v_add_nc_u32_e32 v8, s103, v8
	s_mov_b32 s63, 0
	s_delay_alu instid0(VALU_DEP_2)
	v_cmp_le_u64_e32 vcc_lo, s[14:15], v[6:7]
	s_or_not1_b32 s62, vcc_lo, exec_lo
	s_branch .LBB150_433
.LBB150_438:                            ;   in Loop: Header=BB150_18 Depth=1
	s_or_b32 exec_lo, exec_lo, s7
	s_delay_alu instid0(SALU_CYCLE_1)
	s_and_b32 s7, s28, exec_lo
.LBB150_439:                            ;   in Loop: Header=BB150_18 Depth=1
	s_or_b32 exec_lo, exec_lo, s17
.LBB150_440:                            ;   in Loop: Header=BB150_18 Depth=1
	s_delay_alu instid0(SALU_CYCLE_1)
	s_and_b32 vcc_lo, exec_lo, s16
	s_cbranch_vccz .LBB150_456
; %bb.441:                              ;   in Loop: Header=BB150_18 Depth=1
	s_and_b64 s[10:11], s[74:75], 0xffffffff00000000
	s_delay_alu instid0(SALU_CYCLE_1)
	s_cmp_lg_u64 s[10:11], 0
	s_cbranch_scc0 .LBB150_443
; %bb.442:                              ;   in Loop: Header=BB150_18 Depth=1
	s_cvt_f32_u32 s8, s56
	s_sub_nc_u64 s[14:15], 0, s[56:57]
	s_delay_alu instid0(SALU_CYCLE_2) | instskip(NEXT) | instid1(SALU_CYCLE_3)
	s_fmamk_f32 s8, s104, 0x0, s8
	v_s_rcp_f32 s8, s8
	s_delay_alu instid0(TRANS32_DEP_1) | instskip(NEXT) | instid1(SALU_CYCLE_3)
	s_mul_f32 s8, s8, 0x5f7ffffc
	s_mul_f32 s10, s8, 0x2f800000
	s_delay_alu instid0(SALU_CYCLE_3) | instskip(NEXT) | instid1(SALU_CYCLE_3)
	s_trunc_f32 s10, s10
	s_fmamk_f32 s8, s10, 0xcf800000, s8
	s_cvt_u32_f32 s11, s10
	s_delay_alu instid0(SALU_CYCLE_2) | instskip(NEXT) | instid1(SALU_CYCLE_3)
	s_cvt_u32_f32 s10, s8
	s_mul_u64 s[16:17], s[14:15], s[10:11]
	s_delay_alu instid0(SALU_CYCLE_1)
	s_mul_hi_u32 s63, s10, s17
	s_mul_i32 s62, s10, s17
	s_mul_hi_u32 s28, s10, s16
	s_mul_i32 s40, s11, s16
	s_add_nc_u64 s[62:63], s[28:29], s[62:63]
	s_mul_hi_u32 s8, s11, s16
	s_mul_hi_u32 s41, s11, s17
	s_mul_i32 s16, s11, s17
	s_add_co_u32 s17, s62, s40
	s_add_co_ci_u32 s28, s63, s8
	s_add_co_ci_u32 s17, s41, 0
	s_delay_alu instid0(SALU_CYCLE_1) | instskip(NEXT) | instid1(SALU_CYCLE_1)
	s_add_nc_u64 s[16:17], s[28:29], s[16:17]
	s_add_co_u32 s10, s10, s16
	s_cselect_b32 s8, -1, 0
	s_delay_alu instid0(SALU_CYCLE_1) | instskip(SKIP_1) | instid1(SALU_CYCLE_1)
	s_cmp_lg_u32 s8, 0
	s_add_co_ci_u32 s11, s11, s17
	s_mul_u64 s[14:15], s[14:15], s[10:11]
	s_delay_alu instid0(SALU_CYCLE_1)
	s_mul_hi_u32 s17, s10, s15
	s_mul_i32 s16, s10, s15
	s_mul_hi_u32 s28, s10, s14
	s_mul_i32 s40, s11, s14
	s_add_nc_u64 s[16:17], s[28:29], s[16:17]
	s_mul_hi_u32 s8, s11, s14
	s_mul_hi_u32 s41, s11, s15
	s_mul_i32 s14, s11, s15
	s_add_co_u32 s15, s16, s40
	s_add_co_ci_u32 s28, s17, s8
	s_add_co_ci_u32 s15, s41, 0
	s_delay_alu instid0(SALU_CYCLE_1) | instskip(NEXT) | instid1(SALU_CYCLE_1)
	s_add_nc_u64 s[14:15], s[28:29], s[14:15]
	s_add_co_u32 s8, s10, s14
	s_cselect_b32 s10, -1, 0
	s_mul_hi_u32 s28, s74, s8
	s_cmp_lg_u32 s10, 0
	s_mul_hi_u32 s16, s75, s8
	s_add_co_ci_u32 s14, s11, s15
	s_mul_i32 s8, s75, s8
	s_mul_hi_u32 s11, s74, s14
	s_mul_i32 s10, s74, s14
	s_mul_hi_u32 s15, s75, s14
	s_add_nc_u64 s[10:11], s[28:29], s[10:11]
	s_mul_i32 s14, s75, s14
	s_add_co_u32 s8, s10, s8
	s_add_co_ci_u32 s28, s11, s16
	s_add_co_ci_u32 s15, s15, 0
	s_delay_alu instid0(SALU_CYCLE_1) | instskip(NEXT) | instid1(SALU_CYCLE_1)
	s_add_nc_u64 s[10:11], s[28:29], s[14:15]
	s_and_b64 s[14:15], s[10:11], 0xffffffff00000000
	s_delay_alu instid0(SALU_CYCLE_1) | instskip(NEXT) | instid1(SALU_CYCLE_1)
	s_or_b32 s14, s14, s10
	s_mul_u64 s[10:11], s[56:57], s[14:15]
	s_delay_alu instid0(SALU_CYCLE_1) | instskip(SKIP_1) | instid1(SALU_CYCLE_1)
	s_sub_co_u32 s8, s74, s10
	s_cselect_b32 s10, -1, 0
	s_cmp_lg_u32 s10, 0
	s_sub_co_ci_u32 s10, s75, s11
	s_sub_co_u32 s11, s8, s56
	s_cselect_b32 s14, -1, 0
	s_delay_alu instid0(SALU_CYCLE_1) | instskip(SKIP_3) | instid1(SALU_CYCLE_1)
	s_cmp_lg_u32 s14, 0
	s_sub_co_ci_u32 s14, s10, 0
	s_sub_co_u32 s15, s11, s56
	s_cselect_b32 s16, -1, 0
	s_cmp_lg_u32 s16, 0
	s_sub_co_ci_u32 s16, s14, 0
	s_cmp_ge_u32 s11, s56
	s_cselect_b32 s17, -1, 0
	s_cmp_eq_u32 s14, 0
	s_cselect_b32 s17, s17, -1
	s_delay_alu instid0(SALU_CYCLE_1)
	s_cmp_lg_u32 s17, 0
	s_cselect_b32 s14, s16, s14
	s_cselect_b32 s15, s15, s11
	s_cmp_ge_u32 s8, s56
	s_cselect_b32 s11, -1, 0
	s_cmp_eq_u32 s10, 0
	s_cselect_b32 s11, s11, -1
	s_delay_alu instid0(SALU_CYCLE_1)
	s_cmp_lg_u32 s11, 0
	s_cselect_b32 s11, s14, s10
	s_cselect_b32 s10, s15, s8
	s_mov_b32 s8, 0
	s_branch .LBB150_444
.LBB150_443:                            ;   in Loop: Header=BB150_18 Depth=1
	s_mov_b32 s8, -1
                                        ; implicit-def: $sgpr10_sgpr11
.LBB150_444:                            ;   in Loop: Header=BB150_18 Depth=1
	s_delay_alu instid0(SALU_CYCLE_1)
	s_and_not1_b32 vcc_lo, exec_lo, s8
	s_cbranch_vccnz .LBB150_446
; %bb.445:                              ;   in Loop: Header=BB150_18 Depth=1
	v_cvt_f32_u32_e32 v6, s56
	s_sub_co_i32 s10, 0, s56
	s_delay_alu instid0(VALU_DEP_1) | instskip(SKIP_1) | instid1(TRANS32_DEP_1)
	v_rcp_iflag_f32_e32 v6, v6
	v_nop
	v_mul_f32_e32 v6, 0x4f7ffffe, v6
	s_delay_alu instid0(VALU_DEP_1) | instskip(NEXT) | instid1(VALU_DEP_1)
	v_cvt_u32_f32_e32 v6, v6
	v_readfirstlane_b32 s8, v6
	s_mul_i32 s10, s10, s8
	s_delay_alu instid0(SALU_CYCLE_1) | instskip(NEXT) | instid1(SALU_CYCLE_1)
	s_mul_hi_u32 s10, s8, s10
	s_add_co_i32 s8, s8, s10
	s_delay_alu instid0(SALU_CYCLE_1) | instskip(NEXT) | instid1(SALU_CYCLE_1)
	s_mul_hi_u32 s8, s74, s8
	s_mul_i32 s8, s8, s56
	s_delay_alu instid0(SALU_CYCLE_1) | instskip(NEXT) | instid1(SALU_CYCLE_1)
	s_sub_co_i32 s8, s74, s8
	s_sub_co_i32 s10, s8, s56
	s_cmp_ge_u32 s8, s56
	s_cselect_b32 s8, s10, s8
	s_delay_alu instid0(SALU_CYCLE_1) | instskip(SKIP_2) | instid1(SALU_CYCLE_1)
	s_sub_co_i32 s10, s8, s56
	s_cmp_ge_u32 s8, s56
	s_cselect_b32 s28, s10, s8
	s_mov_b64 s[10:11], s[28:29]
.LBB150_446:                            ;   in Loop: Header=BB150_18 Depth=1
	s_delay_alu instid0(SALU_CYCLE_1)
	s_sub_nc_u64 s[10:11], s[74:75], s[10:11]
	s_mov_b32 s8, exec_lo
                                        ; implicit-def: $vgpr25
	v_cmpx_gt_u64_e64 s[10:11], v[0:1]
	s_cbranch_execz .LBB150_455
; %bb.447:                              ;   in Loop: Header=BB150_18 Depth=1
	v_mov_b64_e32 v[6:7], v[0:1]
	s_mov_b32 s14, 0
                                        ; implicit-def: $sgpr15
	s_branch .LBB150_450
.LBB150_448:                            ;   in Loop: Header=BB150_450 Depth=2
	s_or_b32 exec_lo, exec_lo, s16
	s_wait_dscnt 0x0
	s_barrier_signal -1
	s_barrier_wait -1
	ds_load_b64 v[24:25], v3 offset:3072
	s_mov_b32 s17, -1
	s_mov_b32 s16, -1
	s_wait_dscnt 0x0
	s_barrier_signal -1
	s_barrier_wait -1
	v_cmp_eq_u32_e32 vcc_lo, 0, v24
	s_cbranch_vccnz .LBB150_453
.LBB150_449:                            ;   in Loop: Header=BB150_450 Depth=2
	s_and_b32 s17, exec_lo, s17
	s_delay_alu instid0(SALU_CYCLE_1) | instskip(SKIP_2) | instid1(SALU_CYCLE_1)
	s_or_b32 s14, s17, s14
	s_and_not1_b32 s15, s15, exec_lo
	s_and_b32 s16, s16, exec_lo
	s_or_b32 s15, s15, s16
	s_and_not1_b32 exec_lo, exec_lo, s14
	s_cbranch_execz .LBB150_454
.LBB150_450:                            ;   Parent Loop BB150_18 Depth=1
                                        ; =>  This Inner Loop Header: Depth=2
	s_mov_b32 s16, exec_lo
	s_delay_alu instid0(VALU_DEP_1)
	v_cmpx_gt_u64_e64 s[36:37], v[6:7]
	s_cbranch_execz .LBB150_448
; %bb.451:                              ;   in Loop: Header=BB150_450 Depth=2
	v_mul_u64_e32 v[8:9], s[30:31], v[6:7]
	s_delay_alu instid0(VALU_DEP_1) | instskip(SKIP_3) | instid1(VALU_DEP_1)
	v_lshl_add_u64 v[8:9], v[8:9], 2, s[34:35]
	global_load_b32 v23, v[8:9], off
	s_wait_loadcnt 0x0
	v_bitop3_b32 v8, v23, v37, 0x80000000 bitop3:0x48
	v_cmp_eq_u32_e32 vcc_lo, v8, v34
	s_and_b32 exec_lo, exec_lo, vcc_lo
	s_cbranch_execz .LBB150_448
; %bb.452:                              ;   in Loop: Header=BB150_450 Depth=2
	ds_store_b64 v3, v[22:23] offset:3072
	s_branch .LBB150_448
.LBB150_453:                            ;   in Loop: Header=BB150_450 Depth=2
	v_add_nc_u64_e32 v[6:7], s[56:57], v[6:7]
	s_mov_b32 s16, 0
	s_delay_alu instid0(VALU_DEP_1)
	v_cmp_le_u64_e32 vcc_lo, s[10:11], v[6:7]
	s_or_not1_b32 s17, vcc_lo, exec_lo
	s_branch .LBB150_449
.LBB150_454:                            ;   in Loop: Header=BB150_18 Depth=1
	s_or_b32 exec_lo, exec_lo, s14
	s_delay_alu instid0(SALU_CYCLE_1) | instskip(SKIP_1) | instid1(SALU_CYCLE_1)
	s_and_not1_b32 s7, s7, exec_lo
	s_and_b32 s10, s15, exec_lo
	s_or_b32 s7, s7, s10
.LBB150_455:                            ;   in Loop: Header=BB150_18 Depth=1
	s_or_b32 exec_lo, exec_lo, s8
	s_mov_b32 s89, 0
	s_mov_b32 s8, -1
.LBB150_456:                            ;   in Loop: Header=BB150_18 Depth=1
	s_or_not1_b32 s10, s7, exec_lo
.LBB150_457:                            ;   in Loop: Header=BB150_18 Depth=1
	s_or_b32 exec_lo, exec_lo, s88
	s_mov_b32 s11, 0
	s_and_saveexec_b32 s7, s10
	s_cbranch_execz .LBB150_468
; %bb.458:                              ;   in Loop: Header=BB150_18 Depth=1
	v_mov_b64_e32 v[6:7], 1
	v_mov_b32_e32 v2, 1
	s_xor_b32 s11, s87, -1
	s_delay_alu instid0(SALU_CYCLE_1)
	s_and_saveexec_b32 s10, s11
	s_cbranch_execz .LBB150_467
; %bb.459:                              ;   in Loop: Header=BB150_18 Depth=1
	s_mov_b32 s11, exec_lo
	v_cmpx_ge_u64_e64 s[12:13], v[4:5]
	s_xor_b32 s11, exec_lo, s11
	s_cbranch_execz .LBB150_464
; %bb.460:                              ;   in Loop: Header=BB150_18 Depth=1
	ds_load_b64 v[6:7], v3 offset:5120
	v_and_b32_e32 v34, s26, v34
	v_or_b32_e32 v37, s24, v37
	s_wait_dscnt 0x0
	v_cmp_ne_u64_e32 vcc_lo, 0, v[6:7]
	s_cbranch_vccnz .LBB150_464
; %bb.461:                              ;   in Loop: Header=BB150_18 Depth=1
	s_and_saveexec_b32 s14, s5
; %bb.462:                              ;   in Loop: Header=BB150_18 Depth=1
	v_mov_b64_e32 v[6:7], s[12:13]
	ds_store_b64 v3, v[6:7] offset:5128
; %bb.463:                              ;   in Loop: Header=BB150_18 Depth=1
	s_or_b32 exec_lo, exec_lo, s14
	s_wait_dscnt 0x0
	s_barrier_signal -1
	s_barrier_wait -1
.LBB150_464:                            ;   in Loop: Header=BB150_18 Depth=1
	s_and_not1_saveexec_b32 s11, s11
; %bb.465:                              ;   in Loop: Header=BB150_18 Depth=1
	v_sub_nc_u64_e64 v[4:5], v[4:5], s[12:13]
; %bb.466:                              ;   in Loop: Header=BB150_18 Depth=1
	s_or_b32 exec_lo, exec_lo, s11
	s_delay_alu instid0(VALU_DEP_1)
	v_mov_b64_e32 v[6:7], v[4:5]
	v_mov_b32_e32 v2, 5
.LBB150_467:                            ;   in Loop: Header=BB150_18 Depth=1
	s_or_b32 exec_lo, exec_lo, s10
	s_delay_alu instid0(VALU_DEP_2)
	v_mov_b64_e32 v[4:5], v[6:7]
	s_mov_b32 s11, exec_lo
.LBB150_468:                            ;   in Loop: Header=BB150_18 Depth=1
	s_or_b32 exec_lo, exec_lo, s7
	s_delay_alu instid0(SALU_CYCLE_1)
	s_or_not1_b32 s7, s11, exec_lo
.LBB150_469:                            ;   in Loop: Header=BB150_18 Depth=1
	s_or_b32 exec_lo, exec_lo, s19
	s_delay_alu instid0(VALU_DEP_1)
	v_mov_b64_e32 v[6:7], v[4:5]
	s_and_not1_b32 s10, s86, exec_lo
	s_and_b32 s8, s8, exec_lo
	s_and_not1_b32 s11, s84, exec_lo
	s_and_b32 s12, s89, exec_lo
	s_or_b32 s86, s10, s8
	s_or_b32 s84, s11, s12
	s_and_b32 s8, s7, exec_lo
.LBB150_470:                            ;   in Loop: Header=BB150_18 Depth=1
	s_or_b32 exec_lo, exec_lo, s18
	s_delay_alu instid0(SALU_CYCLE_1)
	s_or_not1_b32 s7, s8, exec_lo
.LBB150_471:                            ;   in Loop: Header=BB150_18 Depth=1
	s_or_b32 exec_lo, exec_lo, s21
	v_mov_b64_e32 v[4:5], v[6:7]
	s_and_not1_b32 s8, s83, exec_lo
	s_and_b32 s10, s86, exec_lo
	s_and_not1_b32 s11, s23, exec_lo
	s_and_b32 s12, s84, exec_lo
	s_or_b32 s83, s8, s10
	s_or_b32 s23, s11, s12
	s_and_b32 s8, s7, exec_lo
.LBB150_472:                            ;   in Loop: Header=BB150_18 Depth=1
	s_or_b32 exec_lo, exec_lo, s20
	s_delay_alu instid0(SALU_CYCLE_1)
	s_or_not1_b32 s7, s8, exec_lo
.LBB150_473:                            ;   in Loop: Header=BB150_18 Depth=1
	s_or_b32 exec_lo, exec_lo, s9
	s_mov_b32 s8, s82
	s_mov_b32 s9, s27
	s_and_saveexec_b32 s10, s7
; %bb.474:                              ;   in Loop: Header=BB150_18 Depth=1
	v_cmp_ne_u32_e32 vcc_lo, 5, v2
	v_cmp_eq_u32_e64 s9, 5, v2
	s_and_not1_b32 s7, s27, exec_lo
	s_and_not1_b32 s8, s82, exec_lo
	s_and_b32 s11, vcc_lo, exec_lo
	s_and_b32 s12, s9, exec_lo
	s_or_b32 s9, s7, s11
	s_or_b32 s8, s8, s12
; %bb.475:                              ;   in Loop: Header=BB150_18 Depth=1
	s_or_b32 exec_lo, exec_lo, s10
	s_delay_alu instid0(SALU_CYCLE_1)
	s_and_not1_b32 s7, s85, exec_lo
	s_and_b32 s10, s83, exec_lo
	s_and_not1_b32 s11, s25, exec_lo
	s_and_b32 s12, s23, exec_lo
	s_or_b32 s85, s7, s10
	s_and_not1_b32 s7, s27, exec_lo
	s_and_b32 s9, s9, exec_lo
	s_and_not1_b32 s10, s82, exec_lo
	s_and_b32 s8, s8, exec_lo
	s_or_b32 s25, s11, s12
	s_or_b32 s27, s7, s9
	;; [unrolled: 1-line block ×3, first 2 shown]
.LBB150_476:                            ;   in Loop: Header=BB150_18 Depth=1
	s_or_b32 exec_lo, exec_lo, s22
	s_mov_b32 s83, 0
	s_mov_b32 s84, 0
	s_and_saveexec_b32 s7, s82
.LBB150_477:                            ;   in Loop: Header=BB150_18 Depth=1
	v_mov_b32_e32 v2, 0
	s_or_b32 s27, s27, exec_lo
.LBB150_478:                            ;   in Loop: Header=BB150_18 Depth=1
	s_or_b32 exec_lo, exec_lo, s7
	v_mov_b64_e32 v[26:27], v[4:5]
	s_and_not1_b32 s7, s53, exec_lo
	s_and_b32 s9, s85, exec_lo
	s_and_not1_b32 s10, s51, exec_lo
	s_and_b32 s11, s25, exec_lo
	s_or_b32 s53, s7, s9
	s_or_b32 s51, s10, s11
	s_and_not1_b32 s7, s55, exec_lo
	s_and_b32 s9, s84, exec_lo
	s_and_not1_b32 s10, s54, exec_lo
	s_and_b32 s11, s83, exec_lo
	s_mov_b32 s8, -1
	s_and_not1_b32 s52, s52, exec_lo
	s_or_b32 s55, s7, s9
	s_or_b32 s54, s10, s11
	s_and_saveexec_b32 s7, s27
	s_delay_alu instid0(SALU_CYCLE_1)
	s_xor_b32 s7, exec_lo, s7
	s_cbranch_execz .LBB150_17
; %bb.479:                              ;   in Loop: Header=BB150_18 Depth=1
	s_mov_b32 s9, -1
	s_mov_b32 s10, exec_lo
	v_cmpx_eq_u32_e32 0, v2
	s_cbranch_execz .LBB150_16
; %bb.480:                              ;   in Loop: Header=BB150_18 Depth=1
	s_xor_b32 s70, s70, 1
	s_add_co_i32 s11, vcc_hi, -2
	s_cmp_eq_u32 vcc_hi, 0
	s_mov_b32 vcc_hi, s11
	s_cselect_b32 s8, -1, 0
	s_xor_b32 s9, exec_lo, -1
	s_or_not1_b32 s8, s8, exec_lo
	s_branch .LBB150_16
.LBB150_481:
	s_or_b32 exec_lo, exec_lo, s68
	s_xor_b32 s7, s50, -1
	s_xor_b32 s9, s48, -1
	;; [unrolled: 1-line block ×5, first 2 shown]
	s_mov_b32 s8, 0
	s_and_saveexec_b32 s12, s11
	s_delay_alu instid0(SALU_CYCLE_1)
	s_xor_b32 s16, exec_lo, s12
	s_cbranch_execnz .LBB150_486
; %bb.482:
	s_and_not1_saveexec_b32 s0, s16
	s_cbranch_execnz .LBB150_505
.LBB150_483:
	s_or_b32 exec_lo, exec_lo, s0
	s_and_saveexec_b32 s0, s8
.LBB150_484:
	; divergent unreachable
.LBB150_485:
	s_endpgm
.LBB150_486:
	s_and_saveexec_b32 s11, s10
	s_delay_alu instid0(SALU_CYCLE_1)
	s_xor_b32 s17, exec_lo, s11
	s_cbranch_execz .LBB150_503
; %bb.487:
	s_and_saveexec_b32 s10, s9
	s_delay_alu instid0(SALU_CYCLE_1)
	s_xor_b32 s18, exec_lo, s10
	s_cbranch_execz .LBB150_501
; %bb.488:
	;; [unrolled: 5-line block ×3, first 2 shown]
	s_and_saveexec_b32 s7, s6
	s_delay_alu instid0(SALU_CYCLE_1)
	s_xor_b32 s6, exec_lo, s7
; %bb.490:
	v_xor_b32_e32 v25, 0x80000000, v34
; %bb.491:
	s_or_b32 exec_lo, exec_lo, s6
	s_and_saveexec_b32 s6, s5
; %bb.492:
	v_mov_b64_e32 v[2:3], 0
	v_mov_b32_e32 v4, 0
	ds_store_b64 v4, v[2:3] offset:5136
; %bb.493:
	s_or_b32 exec_lo, exec_lo, s6
	v_mov_b32_e32 v13, 0
	s_wait_dscnt 0x0
	s_barrier_signal -1
	s_barrier_wait -1
	s_and_saveexec_b32 s5, s3
	s_cbranch_execz .LBB150_495
; %bb.494:
	global_load_b32 v13, v[14:15], off
.LBB150_495:
	s_wait_xcnt 0x0
	s_or_b32 exec_lo, exec_lo, s5
	s_clause 0x3
	s_load_b128 s[24:27], s[0:1], 0x1d8
	s_load_b128 s[40:43], s[0:1], 0x298
	s_load_b64 s[12:13], s[0:1], 0x450
	s_load_b64 s[14:15], s[0:1], 0x2a8
	v_readlane_b32 s6, v45, 0
	v_readlane_b32 s7, v45, 1
	s_mul_u64 s[22:23], s[66:67], s[46:47]
	s_add_nc_u64 s[10:11], s[36:37], 31
	s_mov_b64 s[20:21], 0xffffffffffffffe0
	s_mov_b32 s5, 0
	s_and_b64 s[10:11], s[10:11], s[20:21]
	s_delay_alu instid0(SALU_CYCLE_1)
	v_cmp_gt_u64_e32 vcc_lo, s[10:11], v[0:1]
	s_wait_kmcnt 0x0
	s_mul_u64 s[26:27], s[60:61], s[26:27]
	s_mov_b64 s[50:51], s[42:43]
	s_mov_b64 s[48:49], s[40:41]
	v_readlane_b32 s42, v45, 6
	v_readlane_b32 s43, v45, 7
	s_mul_u64 s[24:25], s[6:7], s[24:25]
	s_mul_u64 s[28:29], s[6:7], s[48:49]
	s_clause 0x1
	s_load_b64 s[6:7], s[0:1], 0x510
	s_load_b64 s[8:9], s[0:1], 0x368
	s_wait_xcnt 0x0
	s_sub_nc_u64 s[0:1], s[58:59], s[22:23]
	s_sub_nc_u64 s[22:23], s[58:59], s[26:27]
	v_readlane_b32 s26, v45, 10
	v_readlane_b32 s27, v45, 11
	s_sub_nc_u64 s[20:21], s[60:61], s[24:25]
	s_mul_u64 s[40:41], s[42:43], s[44:45]
	s_mul_u64 s[20:21], s[20:21], s[50:51]
	v_readlane_b32 s44, v45, 2
	s_mul_u64 s[0:1], s[0:1], s[12:13]
	s_mul_u64 s[12:13], s[22:23], s[14:15]
	s_lshl_b64 s[14:15], s[28:29], 2
	v_readlane_b32 s45, v45, 3
	s_add_nc_u64 s[14:15], s[26:27], s[14:15]
	s_lshl_b64 s[20:21], s[20:21], 2
	v_readlane_b32 s46, v45, 4
	v_readlane_b32 s47, v45, 5
	s_add_nc_u64 s[14:15], s[14:15], s[20:21]
	v_readlane_b32 s20, v45, 8
	v_readlane_b32 s21, v45, 9
	s_sub_nc_u64 s[24:25], s[66:67], s[40:41]
	s_mul_u64 s[22:23], s[42:43], s[44:45]
	s_mul_u64 s[24:25], s[24:25], s[46:47]
	s_lshl_b64 s[22:23], s[22:23], 3
	s_lshl_b64 s[12:13], s[12:13], 2
	s_add_nc_u64 s[20:21], s[20:21], s[22:23]
	s_lshl_b64 s[22:23], s[24:25], 3
	s_lshl_b64 s[0:1], s[0:1], 3
	s_add_nc_u64 s[20:21], s[20:21], s[22:23]
	s_add_nc_u64 s[12:13], s[14:15], s[12:13]
	;; [unrolled: 1-line block ×3, first 2 shown]
	s_mov_b32 s0, -1
	s_mov_b32 s1, 0
	s_and_saveexec_b32 s20, vcc_lo
	s_cbranch_execnz .LBB150_506
; %bb.496:
	s_or_b32 exec_lo, exec_lo, s20
	s_and_saveexec_b32 s4, s0
	s_cbranch_execnz .LBB150_521
.LBB150_497:
	s_or_b32 exec_lo, exec_lo, s4
	s_and_saveexec_b32 s0, s1
	s_delay_alu instid0(SALU_CYCLE_1)
	s_xor_b32 s0, exec_lo, s0
	s_cbranch_execnz .LBB150_544
.LBB150_498:
	s_or_b32 exec_lo, exec_lo, s0
	s_wait_kmcnt 0x0
	s_and_b32 s8, s5, exec_lo
.LBB150_499:
	s_and_not1_saveexec_b32 s0, s19
	s_cbranch_execnz .LBB150_546
.LBB150_500:
	s_or_b32 exec_lo, exec_lo, s0
	s_delay_alu instid0(SALU_CYCLE_1)
	s_and_b32 s8, s8, exec_lo
.LBB150_501:
	s_and_not1_saveexec_b32 s0, s18
	s_cbranch_execnz .LBB150_545
.LBB150_502:
	s_or_b32 exec_lo, exec_lo, s0
	s_delay_alu instid0(SALU_CYCLE_1)
	s_and_b32 s8, s8, exec_lo
.LBB150_503:
	s_and_not1_saveexec_b32 s0, s17
	s_cbranch_execnz .LBB150_540
.LBB150_504:
	s_or_b32 exec_lo, exec_lo, s0
	s_delay_alu instid0(SALU_CYCLE_1)
	s_and_b32 s8, s8, exec_lo
	s_and_not1_saveexec_b32 s0, s16
	s_cbranch_execz .LBB150_483
.LBB150_505:
	s_or_b32 s8, s8, exec_lo
	s_trap 2
	s_or_b32 exec_lo, exec_lo, s0
	s_and_saveexec_b32 s0, s8
	s_cbranch_execnz .LBB150_484
	s_branch .LBB150_485
.LBB150_506:
	v_mov_b64_e32 v[8:9], v[0:1]
	v_xor_b32_e32 v16, 0x80000000, v25
	v_mov_b32_e32 v3, 0
	s_mov_b32 s21, 0
                                        ; implicit-def: $sgpr22
                                        ; implicit-def: $vgpr6_vgpr7
	s_branch .LBB150_508
.LBB150_507:                            ;   in Loop: Header=BB150_508 Depth=1
	s_or_b32 exec_lo, exec_lo, s24
	s_xor_b32 s0, s23, -1
	s_and_b32 s1, exec_lo, s1
	v_mov_b64_e32 v[8:9], v[4:5]
	v_mov_b32_e32 v13, v17
	s_or_b32 s21, s1, s21
	s_and_not1_b32 s1, s22, exec_lo
	s_and_b32 s0, s0, exec_lo
	s_delay_alu instid0(SALU_CYCLE_1)
	s_or_b32 s22, s1, s0
	s_and_not1_b32 exec_lo, exec_lo, s21
	s_cbranch_execz .LBB150_520
.LBB150_508:                            ; =>This Inner Loop Header: Depth=1
	s_delay_alu instid0(VALU_DEP_3) | instskip(SKIP_2) | instid1(VALU_DEP_2)
	v_add_nc_u64_e32 v[4:5], s[56:57], v[8:9]
	v_mov_b32_e32 v17, 0
	s_mov_b32 s1, exec_lo
	v_cmpx_gt_u64_e64 s[36:37], v[4:5]
	s_cbranch_execz .LBB150_510
; %bb.509:                              ;   in Loop: Header=BB150_508 Depth=1
	v_mul_u64_e32 v[10:11], s[30:31], v[4:5]
	s_delay_alu instid0(VALU_DEP_1)
	v_lshl_add_u64 v[10:11], v[10:11], 2, s[34:35]
	global_load_b32 v17, v[10:11], off
.LBB150_510:                            ;   in Loop: Header=BB150_508 Depth=1
	s_wait_xcnt 0x0
	s_or_b32 exec_lo, exec_lo, s1
	s_wait_loadcnt 0x0
	v_xor_b32_e32 v2, 0x80000000, v13
	s_delay_alu instid0(VALU_DEP_1) | instskip(NEXT) | instid1(VALU_DEP_1)
	v_cmp_gt_u32_e64 s0, v2, v16
	v_cndmask_b32_e64 v10, 0, 1, s0
	v_cmp_lt_u32_e64 s0, v2, v16
	s_delay_alu instid0(VALU_DEP_1) | instskip(SKIP_1) | instid1(VALU_DEP_2)
	v_cndmask_b32_e64 v2, 0, 1, s0
	v_cmp_gt_u64_e64 s0, s[36:37], v[8:9]
	v_cndmask_b32_e64 v2, v2, v10, s4
	s_delay_alu instid0(VALU_DEP_1) | instskip(NEXT) | instid1(VALU_DEP_1)
	v_and_b32_e32 v2, 1, v2
	v_cmp_eq_u32_e64 s1, 1, v2
	s_and_b32 s23, s0, s1
	s_delay_alu instid0(SALU_CYCLE_1) | instskip(NEXT) | instid1(VALU_DEP_1)
	v_cndmask_b32_e64 v2, 0, 1, s23
	v_cmp_ne_u32_e64 s0, 0, v2
	s_cmp_lg_u32 s0, 0
	s_cselect_b32 s1, -1, 0
	s_delay_alu instid0(SALU_CYCLE_1) | instskip(NEXT) | instid1(SALU_CYCLE_1)
	s_and_b32 s1, s2, s1
	s_and_saveexec_b32 s24, s1
	s_cbranch_execz .LBB150_514
; %bb.511:                              ;   in Loop: Header=BB150_508 Depth=1
	s_mov_b32 s27, exec_lo
	s_bcnt1_i32_b32 s25, s0
	v_mbcnt_lo_u32_b32 v10, s27, 0
	s_mov_b32 s26, exec_lo
                                        ; implicit-def: $vgpr6_vgpr7
	s_delay_alu instid0(VALU_DEP_1)
	v_cmpx_eq_u32_e32 0, v10
	s_cbranch_execz .LBB150_513
; %bb.512:                              ;   in Loop: Header=BB150_508 Depth=1
	s_bcnt1_i32_b32 s1, s27
	s_delay_alu instid0(SALU_CYCLE_1) | instskip(NEXT) | instid1(SALU_CYCLE_1)
	s_mul_i32 s1, s25, s1
	v_mov_b32_e32 v2, s1
	s_wait_dscnt 0x0
	ds_add_rtn_u64 v[6:7], v3, v[2:3] offset:5136
.LBB150_513:                            ;   in Loop: Header=BB150_508 Depth=1
	s_or_b32 exec_lo, exec_lo, s26
	s_wait_dscnt 0x0
	v_readfirstlane_b32 s27, v7
	v_readfirstlane_b32 s26, v6
	s_delay_alu instid0(VALU_DEP_1)
	v_mad_nc_u64_u32 v[6:7], s25, v10, s[26:27]
.LBB150_514:                            ;   in Loop: Header=BB150_508 Depth=1
	s_or_b32 exec_lo, exec_lo, s24
	s_wait_dscnt 0x1
	ds_bpermute_b32 v6, v3, v6
	s_wait_dscnt 0x1
	ds_bpermute_b32 v7, v3, v7
	s_mov_b32 s1, -1
	s_mov_b32 s25, -1
	s_and_saveexec_b32 s24, s23
	s_cbranch_execz .LBB150_518
; %bb.515:                              ;   in Loop: Header=BB150_508 Depth=1
	v_and_b32_e32 v2, s0, v12
	s_mov_b32 s23, 0
	s_mov_b32 s25, exec_lo
	s_delay_alu instid0(VALU_DEP_1) | instskip(SKIP_1) | instid1(VALU_DEP_1)
	v_bcnt_u32_b32 v2, v2, 0
	s_wait_dscnt 0x0
	v_add_nc_u64_e32 v[10:11], v[6:7], v[2:3]
	s_delay_alu instid0(VALU_DEP_1)
	v_cmpx_gt_u64_e64 s[38:39], v[10:11]
	s_cbranch_execz .LBB150_517
; %bb.516:                              ;   in Loop: Header=BB150_508 Depth=1
	s_wait_kmcnt 0x0
	v_mul_u64_e32 v[18:19], s[8:9], v[10:11]
	v_mul_u64_e32 v[10:11], s[6:7], v[10:11]
	s_mov_b32 s23, exec_lo
	s_delay_alu instid0(VALU_DEP_2) | instskip(NEXT) | instid1(VALU_DEP_2)
	v_lshl_add_u64 v[18:19], v[18:19], 2, s[12:13]
	v_lshl_add_u64 v[10:11], v[10:11], 3, s[14:15]
	global_store_b32 v[18:19], v13, off
	global_store_b64 v[10:11], v[8:9], off
.LBB150_517:                            ;   in Loop: Header=BB150_508 Depth=1
	s_wait_xcnt 0x0
	s_or_b32 exec_lo, exec_lo, s25
	s_delay_alu instid0(SALU_CYCLE_1)
	s_or_not1_b32 s25, s23, exec_lo
.LBB150_518:                            ;   in Loop: Header=BB150_508 Depth=1
	s_or_b32 exec_lo, exec_lo, s24
	s_mov_b32 s23, -1
	s_and_saveexec_b32 s24, s25
	s_cbranch_execz .LBB150_507
; %bb.519:                              ;   in Loop: Header=BB150_508 Depth=1
	v_cmp_le_u64_e64 s0, s[10:11], v[4:5]
	s_xor_b32 s23, exec_lo, -1
	s_or_not1_b32 s1, s0, exec_lo
	s_branch .LBB150_507
.LBB150_520:
	s_or_b32 exec_lo, exec_lo, s21
	s_delay_alu instid0(SALU_CYCLE_1)
	s_mov_b32 s1, exec_lo
	s_or_not1_b32 s0, s22, exec_lo
	s_or_b32 exec_lo, exec_lo, s20
	s_and_saveexec_b32 s4, s0
	s_cbranch_execz .LBB150_497
.LBB150_521:
	v_mov_b32_e32 v2, 0
	s_wait_storecnt 0x0
	s_wait_loadcnt_dscnt 0x0
	s_barrier_signal -1
	s_barrier_wait -1
	s_and_saveexec_b32 s0, s3
	s_cbranch_execz .LBB150_523
; %bb.522:
	global_load_b32 v2, v[14:15], off
.LBB150_523:
	s_wait_xcnt 0x0
	s_or_b32 exec_lo, exec_lo, s0
	s_mov_b32 s0, 0
	s_and_saveexec_b32 s3, vcc_lo
	s_cbranch_execz .LBB150_543
; %bb.524:
	v_mov_b32_e32 v3, 0
	s_mov_b32 s5, 0
                                        ; implicit-def: $sgpr20
                                        ; implicit-def: $vgpr6_vgpr7
	s_branch .LBB150_527
.LBB150_525:                            ;   in Loop: Header=BB150_527 Depth=1
	s_or_b32 exec_lo, exec_lo, s21
	s_delay_alu instid0(SALU_CYCLE_1)
	s_or_not1_b32 s23, s23, exec_lo
	s_or_not1_b32 s22, s22, exec_lo
.LBB150_526:                            ;   in Loop: Header=BB150_527 Depth=1
	s_or_b32 exec_lo, exec_lo, s0
	s_xor_b32 s0, s23, -1
	s_and_b32 s21, exec_lo, s22
	v_mov_b64_e32 v[0:1], v[4:5]
	s_or_b32 s5, s21, s5
	v_mov_b32_e32 v2, v10
	s_and_not1_b32 s20, s20, exec_lo
	s_and_b32 s0, s0, exec_lo
	s_delay_alu instid0(SALU_CYCLE_1)
	s_or_b32 s20, s20, s0
	s_and_not1_b32 exec_lo, exec_lo, s5
	s_cbranch_execz .LBB150_541
.LBB150_527:                            ; =>This Inner Loop Header: Depth=1
	v_add_nc_u64_e32 v[4:5], s[56:57], v[0:1]
	v_mov_b32_e32 v10, 0
	s_mov_b32 s0, exec_lo
	s_delay_alu instid0(VALU_DEP_2)
	v_cmpx_gt_u64_e64 s[36:37], v[4:5]
	s_cbranch_execz .LBB150_529
; %bb.528:                              ;   in Loop: Header=BB150_527 Depth=1
	v_mul_u64_e32 v[8:9], s[30:31], v[4:5]
	s_delay_alu instid0(VALU_DEP_1)
	v_lshl_add_u64 v[8:9], v[8:9], 2, s[34:35]
	global_load_b32 v10, v[8:9], off
.LBB150_529:                            ;   in Loop: Header=BB150_527 Depth=1
	s_wait_xcnt 0x0
	s_or_b32 exec_lo, exec_lo, s0
	v_cmp_gt_u64_e32 vcc_lo, s[36:37], v[0:1]
	s_wait_loadcnt 0x0
	v_cmp_eq_u32_e64 s0, v2, v25
	s_and_b32 s21, vcc_lo, s0
	s_delay_alu instid0(SALU_CYCLE_1) | instskip(NEXT) | instid1(VALU_DEP_1)
	v_cndmask_b32_e64 v2, 0, 1, s21
	v_cmp_ne_u32_e32 vcc_lo, 0, v2
	s_cmp_lg_u32 vcc_lo, 0
	s_cselect_b32 s0, -1, 0
	s_delay_alu instid0(SALU_CYCLE_1) | instskip(NEXT) | instid1(SALU_CYCLE_1)
	s_and_b32 s0, s2, s0
	s_and_saveexec_b32 s22, s0
	s_cbranch_execz .LBB150_533
; %bb.530:                              ;   in Loop: Header=BB150_527 Depth=1
	s_mov_b32 s25, exec_lo
	s_bcnt1_i32_b32 s23, vcc_lo
	v_mbcnt_lo_u32_b32 v8, s25, 0
	s_mov_b32 s24, exec_lo
                                        ; implicit-def: $vgpr6_vgpr7
	s_delay_alu instid0(VALU_DEP_1)
	v_cmpx_eq_u32_e32 0, v8
; %bb.531:                              ;   in Loop: Header=BB150_527 Depth=1
	s_bcnt1_i32_b32 s0, s25
	s_delay_alu instid0(SALU_CYCLE_1) | instskip(NEXT) | instid1(SALU_CYCLE_1)
	s_mul_i32 s0, s23, s0
	v_mov_b32_e32 v2, s0
	ds_add_rtn_u64 v[6:7], v3, v[2:3] offset:5136
; %bb.532:                              ;   in Loop: Header=BB150_527 Depth=1
	s_or_b32 exec_lo, exec_lo, s24
	s_wait_dscnt 0x0
	v_readfirstlane_b32 s25, v7
	v_readfirstlane_b32 s24, v6
	s_delay_alu instid0(VALU_DEP_1)
	v_mad_nc_u64_u32 v[6:7], s23, v8, s[24:25]
.LBB150_533:                            ;   in Loop: Header=BB150_527 Depth=1
	s_or_b32 exec_lo, exec_lo, s22
	ds_bpermute_b32 v6, v3, v6
	ds_bpermute_b32 v7, v3, v7
	s_cmp_eq_u32 vcc_lo, 0
	s_mov_b32 s22, -1
	s_cselect_b32 s23, -1, 0
	s_wait_dscnt 0x0
	v_cmp_gt_u64_e64 s0, s[38:39], v[6:7]
	s_or_b32 s24, s23, s0
	s_mov_b32 s23, -1
	s_and_saveexec_b32 s0, s24
	s_cbranch_execz .LBB150_526
; %bb.534:                              ;   in Loop: Header=BB150_527 Depth=1
	v_and_b32_e32 v2, vcc_lo, v12
	v_sub_nc_u64_e32 v[8:9], s[38:39], v[6:7]
	s_mov_b32 s24, -1
	s_delay_alu instid0(VALU_DEP_2) | instskip(NEXT) | instid1(VALU_DEP_1)
	v_bcnt_u32_b32 v2, v2, 0
	v_bcnt_u32_b32 v2, 0, v2
	s_delay_alu instid0(VALU_DEP_1) | instskip(SKIP_1) | instid1(SALU_CYCLE_1)
	v_cmp_gt_u64_e32 vcc_lo, v[8:9], v[2:3]
	s_and_b32 s25, s21, vcc_lo
	s_and_saveexec_b32 s21, s25
	s_cbranch_execz .LBB150_538
; %bb.535:                              ;   in Loop: Header=BB150_527 Depth=1
	v_add_nc_u64_e32 v[8:9], v[6:7], v[2:3]
	s_mov_b32 s24, 0
	s_mov_b32 s23, exec_lo
	s_delay_alu instid0(VALU_DEP_1)
	v_cmpx_gt_u64_e64 s[38:39], v[8:9]
	s_cbranch_execz .LBB150_537
; %bb.536:                              ;   in Loop: Header=BB150_527 Depth=1
	s_wait_kmcnt 0x0
	v_mul_u64_e32 v[14:15], s[8:9], v[8:9]
	v_mul_u64_e32 v[8:9], s[6:7], v[8:9]
	s_mov_b32 s24, exec_lo
	s_delay_alu instid0(VALU_DEP_2) | instskip(NEXT) | instid1(VALU_DEP_2)
	v_lshl_add_u64 v[14:15], v[14:15], 2, s[12:13]
	v_lshl_add_u64 v[8:9], v[8:9], 3, s[14:15]
	global_store_b32 v[14:15], v25, off
	global_store_b64 v[8:9], v[0:1], off
.LBB150_537:                            ;   in Loop: Header=BB150_527 Depth=1
	s_wait_xcnt 0x0
	s_or_b32 exec_lo, exec_lo, s23
	s_delay_alu instid0(SALU_CYCLE_1)
	s_xor_b32 s23, exec_lo, -1
	s_or_not1_b32 s24, s24, exec_lo
.LBB150_538:                            ;   in Loop: Header=BB150_527 Depth=1
	s_or_b32 exec_lo, exec_lo, s21
	s_and_saveexec_b32 s21, s24
	s_cbranch_execz .LBB150_525
; %bb.539:                              ;   in Loop: Header=BB150_527 Depth=1
	v_cmp_le_u64_e32 vcc_lo, s[10:11], v[4:5]
	s_or_b32 s23, s23, exec_lo
	s_or_not1_b32 s22, vcc_lo, exec_lo
	s_branch .LBB150_525
.LBB150_540:
	s_or_b32 s8, s8, exec_lo
	s_trap 2
	s_branch .LBB150_504
.LBB150_541:
	s_or_b32 exec_lo, exec_lo, s5
	s_mov_b32 s0, 0
	s_and_saveexec_b32 s2, s20
	s_delay_alu instid0(SALU_CYCLE_1)
	s_xor_b32 s2, exec_lo, s2
	s_cbranch_execnz .LBB150_547
.LBB150_542:
	s_or_b32 exec_lo, exec_lo, s2
	s_delay_alu instid0(SALU_CYCLE_1)
	s_and_b32 s0, s0, exec_lo
.LBB150_543:
	s_or_b32 exec_lo, exec_lo, s3
	s_delay_alu instid0(SALU_CYCLE_1) | instskip(SKIP_3) | instid1(SALU_CYCLE_1)
	s_and_b32 s5, s0, exec_lo
	s_and_not1_b32 s1, s1, exec_lo
	s_or_b32 exec_lo, exec_lo, s4
	s_and_saveexec_b32 s0, s1
	s_xor_b32 s0, exec_lo, s0
	s_cbranch_execz .LBB150_498
.LBB150_544:
	s_or_b32 s5, s5, exec_lo
	s_trap 2
	s_branch .LBB150_498
.LBB150_545:
	s_or_b32 s8, s8, exec_lo
	s_trap 2
	s_branch .LBB150_502
.LBB150_546:
	s_or_b32 s8, s8, exec_lo
	s_trap 2
	s_branch .LBB150_500
.LBB150_547:
	s_mov_b32 s0, exec_lo
	s_trap 2
	s_branch .LBB150_542
	.section	.rodata,"a",@progbits
	.p2align	6, 0x0
	.amdhsa_kernel _ZN2at6native6sbtopk10gatherTopKIimLi3ELb0EEEvNS_4cuda6detail10TensorInfoIKT_T0_EES8_S8_bS8_S8_NS5_IS6_S8_EES8_NS5_IlS8_EES8_PS6_
		.amdhsa_group_segment_fixed_size 5152
		.amdhsa_private_segment_fixed_size 0
		.amdhsa_kernarg_size 1568
		.amdhsa_user_sgpr_count 2
		.amdhsa_user_sgpr_dispatch_ptr 0
		.amdhsa_user_sgpr_queue_ptr 0
		.amdhsa_user_sgpr_kernarg_segment_ptr 1
		.amdhsa_user_sgpr_dispatch_id 0
		.amdhsa_user_sgpr_kernarg_preload_length 0
		.amdhsa_user_sgpr_kernarg_preload_offset 0
		.amdhsa_user_sgpr_private_segment_size 0
		.amdhsa_wavefront_size32 1
		.amdhsa_uses_dynamic_stack 0
		.amdhsa_enable_private_segment 0
		.amdhsa_system_sgpr_workgroup_id_x 1
		.amdhsa_system_sgpr_workgroup_id_y 1
		.amdhsa_system_sgpr_workgroup_id_z 1
		.amdhsa_system_sgpr_workgroup_info 0
		.amdhsa_system_vgpr_workitem_id 0
		.amdhsa_next_free_vgpr 46
		.amdhsa_next_free_sgpr 105
		.amdhsa_named_barrier_count 0
		.amdhsa_reserve_vcc 1
		.amdhsa_float_round_mode_32 0
		.amdhsa_float_round_mode_16_64 0
		.amdhsa_float_denorm_mode_32 3
		.amdhsa_float_denorm_mode_16_64 3
		.amdhsa_fp16_overflow 0
		.amdhsa_memory_ordered 1
		.amdhsa_forward_progress 1
		.amdhsa_inst_pref_size 196
		.amdhsa_round_robin_scheduling 0
		.amdhsa_exception_fp_ieee_invalid_op 0
		.amdhsa_exception_fp_denorm_src 0
		.amdhsa_exception_fp_ieee_div_zero 0
		.amdhsa_exception_fp_ieee_overflow 0
		.amdhsa_exception_fp_ieee_underflow 0
		.amdhsa_exception_fp_ieee_inexact 0
		.amdhsa_exception_int_div_zero 0
	.end_amdhsa_kernel
	.section	.text._ZN2at6native6sbtopk10gatherTopKIimLi3ELb0EEEvNS_4cuda6detail10TensorInfoIKT_T0_EES8_S8_bS8_S8_NS5_IS6_S8_EES8_NS5_IlS8_EES8_PS6_,"axG",@progbits,_ZN2at6native6sbtopk10gatherTopKIimLi3ELb0EEEvNS_4cuda6detail10TensorInfoIKT_T0_EES8_S8_bS8_S8_NS5_IS6_S8_EES8_NS5_IlS8_EES8_PS6_,comdat
.Lfunc_end150:
	.size	_ZN2at6native6sbtopk10gatherTopKIimLi3ELb0EEEvNS_4cuda6detail10TensorInfoIKT_T0_EES8_S8_bS8_S8_NS5_IS6_S8_EES8_NS5_IlS8_EES8_PS6_, .Lfunc_end150-_ZN2at6native6sbtopk10gatherTopKIimLi3ELb0EEEvNS_4cuda6detail10TensorInfoIKT_T0_EES8_S8_bS8_S8_NS5_IS6_S8_EES8_NS5_IlS8_EES8_PS6_
                                        ; -- End function
	.set _ZN2at6native6sbtopk10gatherTopKIimLi3ELb0EEEvNS_4cuda6detail10TensorInfoIKT_T0_EES8_S8_bS8_S8_NS5_IS6_S8_EES8_NS5_IlS8_EES8_PS6_.num_vgpr, 46
	.set _ZN2at6native6sbtopk10gatherTopKIimLi3ELb0EEEvNS_4cuda6detail10TensorInfoIKT_T0_EES8_S8_bS8_S8_NS5_IS6_S8_EES8_NS5_IlS8_EES8_PS6_.num_agpr, 0
	.set _ZN2at6native6sbtopk10gatherTopKIimLi3ELb0EEEvNS_4cuda6detail10TensorInfoIKT_T0_EES8_S8_bS8_S8_NS5_IS6_S8_EES8_NS5_IlS8_EES8_PS6_.numbered_sgpr, 105
	.set _ZN2at6native6sbtopk10gatherTopKIimLi3ELb0EEEvNS_4cuda6detail10TensorInfoIKT_T0_EES8_S8_bS8_S8_NS5_IS6_S8_EES8_NS5_IlS8_EES8_PS6_.num_named_barrier, 0
	.set _ZN2at6native6sbtopk10gatherTopKIimLi3ELb0EEEvNS_4cuda6detail10TensorInfoIKT_T0_EES8_S8_bS8_S8_NS5_IS6_S8_EES8_NS5_IlS8_EES8_PS6_.private_seg_size, 0
	.set _ZN2at6native6sbtopk10gatherTopKIimLi3ELb0EEEvNS_4cuda6detail10TensorInfoIKT_T0_EES8_S8_bS8_S8_NS5_IS6_S8_EES8_NS5_IlS8_EES8_PS6_.uses_vcc, 1
	.set _ZN2at6native6sbtopk10gatherTopKIimLi3ELb0EEEvNS_4cuda6detail10TensorInfoIKT_T0_EES8_S8_bS8_S8_NS5_IS6_S8_EES8_NS5_IlS8_EES8_PS6_.uses_flat_scratch, 0
	.set _ZN2at6native6sbtopk10gatherTopKIimLi3ELb0EEEvNS_4cuda6detail10TensorInfoIKT_T0_EES8_S8_bS8_S8_NS5_IS6_S8_EES8_NS5_IlS8_EES8_PS6_.has_dyn_sized_stack, 0
	.set _ZN2at6native6sbtopk10gatherTopKIimLi3ELb0EEEvNS_4cuda6detail10TensorInfoIKT_T0_EES8_S8_bS8_S8_NS5_IS6_S8_EES8_NS5_IlS8_EES8_PS6_.has_recursion, 0
	.set _ZN2at6native6sbtopk10gatherTopKIimLi3ELb0EEEvNS_4cuda6detail10TensorInfoIKT_T0_EES8_S8_bS8_S8_NS5_IS6_S8_EES8_NS5_IlS8_EES8_PS6_.has_indirect_call, 0
	.section	.AMDGPU.csdata,"",@progbits
; Kernel info:
; codeLenInByte = 25068
; TotalNumSgprs: 107
; NumVgprs: 46
; ScratchSize: 0
; MemoryBound: 0
; FloatMode: 240
; IeeeMode: 1
; LDSByteSize: 5152 bytes/workgroup (compile time only)
; SGPRBlocks: 0
; VGPRBlocks: 2
; NumSGPRsForWavesPerEU: 107
; NumVGPRsForWavesPerEU: 46
; NamedBarCnt: 0
; Occupancy: 16
; WaveLimiterHint : 1
; COMPUTE_PGM_RSRC2:SCRATCH_EN: 0
; COMPUTE_PGM_RSRC2:USER_SGPR: 2
; COMPUTE_PGM_RSRC2:TRAP_HANDLER: 0
; COMPUTE_PGM_RSRC2:TGID_X_EN: 1
; COMPUTE_PGM_RSRC2:TGID_Y_EN: 1
; COMPUTE_PGM_RSRC2:TGID_Z_EN: 1
; COMPUTE_PGM_RSRC2:TIDIG_COMP_CNT: 0
	.section	.text._ZN2at6native6mbtopk23computeBlockDigitCountsIimjLin1EEEvNS_4cuda6detail10TensorInfoIKT_T0_EEjPjjS8_iijT1_PSB_Ps,"axG",@progbits,_ZN2at6native6mbtopk23computeBlockDigitCountsIimjLin1EEEvNS_4cuda6detail10TensorInfoIKT_T0_EEjPjjS8_iijT1_PSB_Ps,comdat
	.protected	_ZN2at6native6mbtopk23computeBlockDigitCountsIimjLin1EEEvNS_4cuda6detail10TensorInfoIKT_T0_EEjPjjS8_iijT1_PSB_Ps ; -- Begin function _ZN2at6native6mbtopk23computeBlockDigitCountsIimjLin1EEEvNS_4cuda6detail10TensorInfoIKT_T0_EEjPjjS8_iijT1_PSB_Ps
	.globl	_ZN2at6native6mbtopk23computeBlockDigitCountsIimjLin1EEEvNS_4cuda6detail10TensorInfoIKT_T0_EEjPjjS8_iijT1_PSB_Ps
	.p2align	8
	.type	_ZN2at6native6mbtopk23computeBlockDigitCountsIimjLin1EEEvNS_4cuda6detail10TensorInfoIKT_T0_EEjPjjS8_iijT1_PSB_Ps,@function
_ZN2at6native6mbtopk23computeBlockDigitCountsIimjLin1EEEvNS_4cuda6detail10TensorInfoIKT_T0_EEjPjjS8_iijT1_PSB_Ps: ; @_ZN2at6native6mbtopk23computeBlockDigitCountsIimjLin1EEEvNS_4cuda6detail10TensorInfoIKT_T0_EEjPjjS8_iijT1_PSB_Ps
; %bb.0:
	s_load_b128 s[4:7], s[0:1], 0x1c0
	s_bfe_u32 s2, ttmp6, 0x40010
	s_and_b32 s8, ttmp7, 0xffff
	s_add_co_i32 s9, s2, 1
	s_bfe_u32 s10, ttmp6, 0x40004
	s_mul_i32 s9, s8, s9
	s_load_b64 s[2:3], s[0:1], 0x1e0
	s_add_co_i32 s10, s10, s9
	s_bfe_u32 s11, ttmp6, 0x4000c
	s_bfe_u32 s13, ttmp6, 0x40014
	s_add_co_i32 s11, s11, 1
	s_and_b32 s12, ttmp6, 15
	s_mul_i32 s11, ttmp9, s11
	s_add_co_i32 s13, s13, 1
	s_add_co_i32 s12, s12, s11
	s_getreg_b32 s14, hwreg(HW_REG_IB_STS2, 6, 4)
	s_wait_kmcnt 0x0
	s_cvt_f32_u32 s9, s6
	s_delay_alu instid0(SALU_CYCLE_3) | instskip(SKIP_1) | instid1(SALU_CYCLE_1)
	v_rcp_iflag_f32_e32 v1, s9
	s_lshr_b32 s9, ttmp7, 16
	s_mul_i32 s11, s9, s13
	s_bfe_u32 s13, ttmp6, 0x40008
	s_delay_alu instid0(SALU_CYCLE_1) | instskip(SKIP_1) | instid1(TRANS32_DEP_1)
	s_add_co_i32 s13, s13, s11
	v_nop
	v_readfirstlane_b32 s15, v1
	s_cmp_eq_u32 s14, 0
	s_cselect_b32 s9, s9, s13
	s_load_b32 s13, s[0:1], 0x1b0
	s_mul_f32 s11, s15, 0x4f7ffffe
	s_mul_i32 s3, s3, s9
	s_cselect_b32 s9, ttmp9, s12
	s_cselect_b32 s8, s8, s10
	s_cvt_u32_f32 s11, s11
	s_sub_co_i32 s10, 0, s6
	s_add_co_i32 s3, s3, s8
	s_delay_alu instid0(SALU_CYCLE_1) | instskip(SKIP_3) | instid1(SALU_CYCLE_1)
	s_mul_i32 s24, s3, s2
	s_mul_i32 s10, s10, s11
	s_add_co_i32 s24, s24, s9
	s_mul_hi_u32 s2, s11, s10
	s_add_co_i32 s11, s11, s2
	s_delay_alu instid0(SALU_CYCLE_1) | instskip(NEXT) | instid1(SALU_CYCLE_1)
	s_mul_hi_u32 s2, s24, s11
	s_mul_i32 s3, s2, s6
	s_add_co_i32 s8, s2, 1
	s_sub_co_i32 s3, s24, s3
	s_delay_alu instid0(SALU_CYCLE_1)
	s_sub_co_i32 s9, s3, s6
	s_cmp_ge_u32 s3, s6
	s_cselect_b32 s2, s8, s2
	s_cselect_b32 s3, s9, s3
	s_add_co_i32 s8, s2, 1
	s_cmp_ge_u32 s3, s6
	s_cselect_b32 s12, s8, s2
	s_wait_kmcnt 0x0
	s_cmp_ge_u32 s12, s13
	s_mov_b32 s13, 0
	s_cbranch_scc1 .LBB151_28
; %bb.1:
	s_clause 0x1
	s_load_b32 s14, s[0:1], 0x198
	s_load_b128 s[8:11], s[0:1], 0x1d0
	s_mov_b64 s[2:3], 0
	s_wait_kmcnt 0x0
	s_cmp_lt_i32 s14, 2
	s_cbranch_scc1 .LBB151_7
; %bb.2:
	s_add_co_i32 s16, s14, -1
	s_mov_b32 s17, 0
	s_add_co_i32 s25, s14, 1
	s_lshl_b64 s[2:3], s[16:17], 3
	s_mov_b64 s[20:21], s[12:13]
	s_add_nc_u64 s[14:15], s[0:1], s[2:3]
	s_mov_b64 s[2:3], 0
	s_add_nc_u64 s[18:19], s[14:15], 8
.LBB151_3:                              ; =>This Inner Loop Header: Depth=1
	s_load_b64 s[22:23], s[18:19], 0x0
	s_mov_b64 s[14:15], 0
	s_wait_kmcnt 0x0
	v_cmp_lt_u64_e64 s13, s[20:21], s[22:23]
	s_and_b32 vcc_lo, exec_lo, s13
	s_cbranch_vccnz .LBB151_5
; %bb.4:                                ;   in Loop: Header=BB151_3 Depth=1
	v_cvt_f32_u32_e32 v1, s22
	s_sub_co_i32 s14, 0, s22
	s_delay_alu instid0(VALU_DEP_1) | instskip(SKIP_1) | instid1(TRANS32_DEP_1)
	v_rcp_iflag_f32_e32 v1, v1
	v_nop
	v_mul_f32_e32 v1, 0x4f7ffffe, v1
	s_delay_alu instid0(VALU_DEP_1) | instskip(NEXT) | instid1(VALU_DEP_1)
	v_cvt_u32_f32_e32 v1, v1
	v_readfirstlane_b32 s13, v1
	s_mul_i32 s14, s14, s13
	s_delay_alu instid0(SALU_CYCLE_1) | instskip(NEXT) | instid1(SALU_CYCLE_1)
	s_mul_hi_u32 s14, s13, s14
	s_add_co_i32 s13, s13, s14
	s_delay_alu instid0(SALU_CYCLE_1) | instskip(NEXT) | instid1(SALU_CYCLE_1)
	s_mul_hi_u32 s13, s20, s13
	s_mul_i32 s14, s13, s22
	s_add_co_i32 s15, s13, 1
	s_sub_co_i32 s14, s20, s14
	s_delay_alu instid0(SALU_CYCLE_1)
	s_sub_co_i32 s16, s14, s22
	s_cmp_ge_u32 s14, s22
	s_cselect_b32 s13, s15, s13
	s_cselect_b32 s14, s16, s14
	s_add_co_i32 s15, s13, 1
	s_cmp_ge_u32 s14, s22
	s_cselect_b32 s16, s15, s13
	s_delay_alu instid0(SALU_CYCLE_1)
	s_mov_b64 s[14:15], s[16:17]
.LBB151_5:                              ;   in Loop: Header=BB151_3 Depth=1
	s_load_b64 s[26:27], s[18:19], 0xc8
	s_mul_u64 s[22:23], s[14:15], s[22:23]
	s_add_co_i32 s25, s25, -1
	s_sub_nc_u64 s[20:21], s[20:21], s[22:23]
	s_cmp_gt_u32 s25, 2
	s_wait_xcnt 0x0
	s_add_nc_u64 s[18:19], s[18:19], -8
	s_wait_kmcnt 0x0
	s_mul_u64 s[20:21], s[26:27], s[20:21]
	s_delay_alu instid0(SALU_CYCLE_1)
	s_add_nc_u64 s[2:3], s[20:21], s[2:3]
	s_cbranch_scc0 .LBB151_8
; %bb.6:                                ;   in Loop: Header=BB151_3 Depth=1
	s_mov_b64 s[20:21], s[14:15]
	s_branch .LBB151_3
.LBB151_7:
	s_mov_b64 s[14:15], s[12:13]
.LBB151_8:
	s_load_b32 s16, s[8:9], s12 offset:0x0 scale_offset
	v_cmp_gt_u32_e32 vcc_lo, 0x100, v0
	v_lshlrev_b32_e32 v1, 2, v0
	s_wait_xcnt 0x0
	s_and_saveexec_b32 s8, vcc_lo
; %bb.9:
	v_mov_b32_e32 v2, 0
	ds_store_b32 v1, v2
; %bb.10:
	s_or_b32 exec_lo, exec_lo, s8
	s_load_b32 s17, s[0:1], 0x1a0
	s_mul_i32 s8, s12, s6
	s_mov_b32 s13, 0
	s_sub_co_i32 s19, s24, s8
	s_wait_dscnt 0x0
	s_mul_i32 s8, s5, s19
	s_add_co_i32 s19, s19, 1
	s_lshl_b32 s18, s8, 8
	s_barrier_signal -1
	s_barrier_wait -1
	s_wait_kmcnt 0x0
	s_sub_co_i32 s12, s17, s18
	s_delay_alu instid0(SALU_CYCLE_1) | instskip(NEXT) | instid1(SALU_CYCLE_1)
	s_add_nc_u64 s[8:9], s[12:13], 0xff
	s_lshr_b64 s[8:9], s[8:9], 8
	s_cmp_lt_u32 s19, s6
	s_cselect_b32 s5, s5, s8
	s_delay_alu instid0(SALU_CYCLE_1)
	s_cmp_lt_i32 s5, 1
	s_cbranch_scc1 .LBB151_26
; %bb.11:
	s_clause 0x2
	s_load_b64 s[20:21], s[0:1], 0xd0
	s_load_b64 s[8:9], s[0:1], 0x1b8
	;; [unrolled: 1-line block ×3, first 2 shown]
	v_add_nc_u32_e32 v6, s18, v0
	s_lshl_b64 s[2:3], s[2:3], 2
	s_wait_kmcnt 0x0
	s_mul_u64 s[0:1], s[20:21], s[14:15]
	s_delay_alu instid0(SALU_CYCLE_1) | instskip(NEXT) | instid1(SALU_CYCLE_1)
	s_lshl_b64 s[0:1], s[0:1], 2
	s_add_nc_u64 s[14:15], s[22:23], s[0:1]
	s_and_b32 s1, s4, 0xff
	s_cmp_eq_u32 s5, 1
	s_add_nc_u64 s[2:3], s[14:15], s[2:3]
	s_cbranch_scc1 .LBB151_21
; %bb.12:
	v_dual_mov_b32 v3, 0 :: v_dual_mov_b32 v7, 1
	v_mov_b32_e32 v2, v6
	s_and_b32 s4, s5, 0x7ffffffe
	s_mov_b32 s6, 0
	s_branch .LBB151_14
.LBB151_13:                             ;   in Loop: Header=BB151_14 Depth=1
	s_or_b32 exec_lo, exec_lo, s12
	v_add_nc_u32_e32 v2, 0x200, v2
	s_add_co_i32 s6, s6, 2
	s_delay_alu instid0(SALU_CYCLE_1)
	s_cmp_eq_u32 s4, s6
	s_cbranch_scc1 .LBB151_20
.LBB151_14:                             ; =>This Inner Loop Header: Depth=1
	s_mov_b32 s12, exec_lo
	v_cmpx_gt_u32_e64 s17, v2
	s_cbranch_execz .LBB151_17
; %bb.15:                               ;   in Loop: Header=BB151_14 Depth=1
	v_mul_u64_e32 v[4:5], s[8:9], v[2:3]
	s_delay_alu instid0(VALU_DEP_1) | instskip(SKIP_4) | instid1(VALU_DEP_1)
	v_lshl_add_u64 v[4:5], v[4:5], 2, s[2:3]
	global_load_b32 v4, v[4:5], off
	s_wait_loadcnt 0x0
	s_wait_xcnt 0x0
	v_xor_b32_e32 v4, 0x80000000, v4
	v_bitop3_b32 v5, v4, s7, s16 bitop3:0x48
	s_delay_alu instid0(VALU_DEP_1)
	v_cmp_eq_u32_e64 s0, 0, v5
	s_and_b32 exec_lo, exec_lo, s0
; %bb.16:                               ;   in Loop: Header=BB151_14 Depth=1
	v_bfe_u32 v4, v4, s1, 8
	s_delay_alu instid0(VALU_DEP_1)
	v_lshlrev_b32_e32 v4, 2, v4
	ds_add_u32 v4, v7
.LBB151_17:                             ;   in Loop: Header=BB151_14 Depth=1
	s_or_b32 exec_lo, exec_lo, s12
	v_add_nc_u32_e32 v4, 0x100, v2
	s_mov_b32 s12, exec_lo
	s_delay_alu instid0(VALU_DEP_1)
	v_cmpx_gt_u32_e64 s17, v4
	s_cbranch_execz .LBB151_13
; %bb.18:                               ;   in Loop: Header=BB151_14 Depth=1
	v_mov_b32_e32 v5, v3
	s_delay_alu instid0(VALU_DEP_1) | instskip(NEXT) | instid1(VALU_DEP_1)
	v_mul_u64_e32 v[4:5], s[8:9], v[4:5]
	v_lshl_add_u64 v[4:5], v[4:5], 2, s[2:3]
	global_load_b32 v4, v[4:5], off
	s_wait_loadcnt 0x0
	v_xor_b32_e32 v4, 0x80000000, v4
	s_delay_alu instid0(VALU_DEP_1) | instskip(NEXT) | instid1(VALU_DEP_1)
	v_bitop3_b32 v5, v4, s7, s16 bitop3:0x48
	v_cmp_eq_u32_e64 s0, 0, v5
	s_and_b32 exec_lo, exec_lo, s0
	s_cbranch_execz .LBB151_13
; %bb.19:                               ;   in Loop: Header=BB151_14 Depth=1
	v_bfe_u32 v4, v4, s1, 8
	s_delay_alu instid0(VALU_DEP_1)
	v_lshlrev_b32_e32 v4, 2, v4
	ds_add_u32 v4, v7
	s_branch .LBB151_13
.LBB151_20:
	s_lshl_b32 s13, s4, 8
.LBB151_21:
	s_bitcmp0_b32 s5, 0
	s_cbranch_scc1 .LBB151_26
; %bb.22:
	v_add_nc_u32_e32 v2, s13, v6
	s_mov_b32 s4, exec_lo
	s_delay_alu instid0(VALU_DEP_1)
	v_cmpx_gt_u32_e64 s17, v2
	s_cbranch_execz .LBB151_25
; %bb.23:
	v_mov_b32_e32 v3, 0
	s_delay_alu instid0(VALU_DEP_1) | instskip(NEXT) | instid1(VALU_DEP_1)
	v_mul_u64_e32 v[2:3], s[8:9], v[2:3]
	v_lshl_add_u64 v[2:3], v[2:3], 2, s[2:3]
	global_load_b32 v2, v[2:3], off
	s_wait_loadcnt 0x0
	v_xor_b32_e32 v2, 0x80000000, v2
	s_delay_alu instid0(VALU_DEP_1) | instskip(NEXT) | instid1(VALU_DEP_1)
	v_bitop3_b32 v3, v2, s7, s16 bitop3:0x48
	v_cmp_eq_u32_e64 s0, 0, v3
	s_and_b32 exec_lo, exec_lo, s0
; %bb.24:
	v_bfe_u32 v2, v2, s1, 8
	s_delay_alu instid0(VALU_DEP_1)
	v_dual_mov_b32 v3, 1 :: v_dual_lshlrev_b32 v2, 2, v2
	ds_add_u32 v2, v3
.LBB151_25:
	s_or_b32 exec_lo, exec_lo, s4
.LBB151_26:
	s_wait_dscnt 0x0
	s_barrier_signal -1
	s_barrier_wait -1
	s_and_saveexec_b32 s0, vcc_lo
	s_cbranch_execz .LBB151_28
; %bb.27:
	ds_load_b32 v1, v1
	v_lshl_or_b32 v0, s24, 8, v0
	s_wait_dscnt 0x0
	global_store_b16 v0, v1, s[10:11] scale_offset
.LBB151_28:
	s_endpgm
	.section	.rodata,"a",@progbits
	.p2align	6, 0x0
	.amdhsa_kernel _ZN2at6native6mbtopk23computeBlockDigitCountsIimjLin1EEEvNS_4cuda6detail10TensorInfoIKT_T0_EEjPjjS8_iijT1_PSB_Ps
		.amdhsa_group_segment_fixed_size 1024
		.amdhsa_private_segment_fixed_size 0
		.amdhsa_kernarg_size 736
		.amdhsa_user_sgpr_count 2
		.amdhsa_user_sgpr_dispatch_ptr 0
		.amdhsa_user_sgpr_queue_ptr 0
		.amdhsa_user_sgpr_kernarg_segment_ptr 1
		.amdhsa_user_sgpr_dispatch_id 0
		.amdhsa_user_sgpr_kernarg_preload_length 0
		.amdhsa_user_sgpr_kernarg_preload_offset 0
		.amdhsa_user_sgpr_private_segment_size 0
		.amdhsa_wavefront_size32 1
		.amdhsa_uses_dynamic_stack 0
		.amdhsa_enable_private_segment 0
		.amdhsa_system_sgpr_workgroup_id_x 1
		.amdhsa_system_sgpr_workgroup_id_y 1
		.amdhsa_system_sgpr_workgroup_id_z 1
		.amdhsa_system_sgpr_workgroup_info 0
		.amdhsa_system_vgpr_workitem_id 0
		.amdhsa_next_free_vgpr 8
		.amdhsa_next_free_sgpr 28
		.amdhsa_named_barrier_count 0
		.amdhsa_reserve_vcc 1
		.amdhsa_float_round_mode_32 0
		.amdhsa_float_round_mode_16_64 0
		.amdhsa_float_denorm_mode_32 3
		.amdhsa_float_denorm_mode_16_64 3
		.amdhsa_fp16_overflow 0
		.amdhsa_memory_ordered 1
		.amdhsa_forward_progress 1
		.amdhsa_inst_pref_size 10
		.amdhsa_round_robin_scheduling 0
		.amdhsa_exception_fp_ieee_invalid_op 0
		.amdhsa_exception_fp_denorm_src 0
		.amdhsa_exception_fp_ieee_div_zero 0
		.amdhsa_exception_fp_ieee_overflow 0
		.amdhsa_exception_fp_ieee_underflow 0
		.amdhsa_exception_fp_ieee_inexact 0
		.amdhsa_exception_int_div_zero 0
	.end_amdhsa_kernel
	.section	.text._ZN2at6native6mbtopk23computeBlockDigitCountsIimjLin1EEEvNS_4cuda6detail10TensorInfoIKT_T0_EEjPjjS8_iijT1_PSB_Ps,"axG",@progbits,_ZN2at6native6mbtopk23computeBlockDigitCountsIimjLin1EEEvNS_4cuda6detail10TensorInfoIKT_T0_EEjPjjS8_iijT1_PSB_Ps,comdat
.Lfunc_end151:
	.size	_ZN2at6native6mbtopk23computeBlockDigitCountsIimjLin1EEEvNS_4cuda6detail10TensorInfoIKT_T0_EEjPjjS8_iijT1_PSB_Ps, .Lfunc_end151-_ZN2at6native6mbtopk23computeBlockDigitCountsIimjLin1EEEvNS_4cuda6detail10TensorInfoIKT_T0_EEjPjjS8_iijT1_PSB_Ps
                                        ; -- End function
	.set _ZN2at6native6mbtopk23computeBlockDigitCountsIimjLin1EEEvNS_4cuda6detail10TensorInfoIKT_T0_EEjPjjS8_iijT1_PSB_Ps.num_vgpr, 8
	.set _ZN2at6native6mbtopk23computeBlockDigitCountsIimjLin1EEEvNS_4cuda6detail10TensorInfoIKT_T0_EEjPjjS8_iijT1_PSB_Ps.num_agpr, 0
	.set _ZN2at6native6mbtopk23computeBlockDigitCountsIimjLin1EEEvNS_4cuda6detail10TensorInfoIKT_T0_EEjPjjS8_iijT1_PSB_Ps.numbered_sgpr, 28
	.set _ZN2at6native6mbtopk23computeBlockDigitCountsIimjLin1EEEvNS_4cuda6detail10TensorInfoIKT_T0_EEjPjjS8_iijT1_PSB_Ps.num_named_barrier, 0
	.set _ZN2at6native6mbtopk23computeBlockDigitCountsIimjLin1EEEvNS_4cuda6detail10TensorInfoIKT_T0_EEjPjjS8_iijT1_PSB_Ps.private_seg_size, 0
	.set _ZN2at6native6mbtopk23computeBlockDigitCountsIimjLin1EEEvNS_4cuda6detail10TensorInfoIKT_T0_EEjPjjS8_iijT1_PSB_Ps.uses_vcc, 1
	.set _ZN2at6native6mbtopk23computeBlockDigitCountsIimjLin1EEEvNS_4cuda6detail10TensorInfoIKT_T0_EEjPjjS8_iijT1_PSB_Ps.uses_flat_scratch, 0
	.set _ZN2at6native6mbtopk23computeBlockDigitCountsIimjLin1EEEvNS_4cuda6detail10TensorInfoIKT_T0_EEjPjjS8_iijT1_PSB_Ps.has_dyn_sized_stack, 0
	.set _ZN2at6native6mbtopk23computeBlockDigitCountsIimjLin1EEEvNS_4cuda6detail10TensorInfoIKT_T0_EEjPjjS8_iijT1_PSB_Ps.has_recursion, 0
	.set _ZN2at6native6mbtopk23computeBlockDigitCountsIimjLin1EEEvNS_4cuda6detail10TensorInfoIKT_T0_EEjPjjS8_iijT1_PSB_Ps.has_indirect_call, 0
	.section	.AMDGPU.csdata,"",@progbits
; Kernel info:
; codeLenInByte = 1260
; TotalNumSgprs: 30
; NumVgprs: 8
; ScratchSize: 0
; MemoryBound: 0
; FloatMode: 240
; IeeeMode: 1
; LDSByteSize: 1024 bytes/workgroup (compile time only)
; SGPRBlocks: 0
; VGPRBlocks: 0
; NumSGPRsForWavesPerEU: 30
; NumVGPRsForWavesPerEU: 8
; NamedBarCnt: 0
; Occupancy: 16
; WaveLimiterHint : 0
; COMPUTE_PGM_RSRC2:SCRATCH_EN: 0
; COMPUTE_PGM_RSRC2:USER_SGPR: 2
; COMPUTE_PGM_RSRC2:TRAP_HANDLER: 0
; COMPUTE_PGM_RSRC2:TGID_X_EN: 1
; COMPUTE_PGM_RSRC2:TGID_Y_EN: 1
; COMPUTE_PGM_RSRC2:TGID_Z_EN: 1
; COMPUTE_PGM_RSRC2:TIDIG_COMP_CNT: 0
	.section	.text._ZN2at6native6mbtopk10gatherTopKIimLin1EEEvNS_4cuda6detail10TensorInfoIKT_T0_EES8_S8_bjS8_NS5_IS6_S8_EES8_NS5_IlS8_EES8_jjPS6_PjSD_j,"axG",@progbits,_ZN2at6native6mbtopk10gatherTopKIimLin1EEEvNS_4cuda6detail10TensorInfoIKT_T0_EES8_S8_bjS8_NS5_IS6_S8_EES8_NS5_IlS8_EES8_jjPS6_PjSD_j,comdat
	.protected	_ZN2at6native6mbtopk10gatherTopKIimLin1EEEvNS_4cuda6detail10TensorInfoIKT_T0_EES8_S8_bjS8_NS5_IS6_S8_EES8_NS5_IlS8_EES8_jjPS6_PjSD_j ; -- Begin function _ZN2at6native6mbtopk10gatherTopKIimLin1EEEvNS_4cuda6detail10TensorInfoIKT_T0_EES8_S8_bjS8_NS5_IS6_S8_EES8_NS5_IlS8_EES8_jjPS6_PjSD_j
	.globl	_ZN2at6native6mbtopk10gatherTopKIimLin1EEEvNS_4cuda6detail10TensorInfoIKT_T0_EES8_S8_bjS8_NS5_IS6_S8_EES8_NS5_IlS8_EES8_jjPS6_PjSD_j
	.p2align	8
	.type	_ZN2at6native6mbtopk10gatherTopKIimLin1EEEvNS_4cuda6detail10TensorInfoIKT_T0_EES8_S8_bjS8_NS5_IS6_S8_EES8_NS5_IlS8_EES8_jjPS6_PjSD_j,@function
_ZN2at6native6mbtopk10gatherTopKIimLin1EEEvNS_4cuda6detail10TensorInfoIKT_T0_EES8_S8_bjS8_NS5_IS6_S8_EES8_NS5_IlS8_EES8_jjPS6_PjSD_j: ; @_ZN2at6native6mbtopk10gatherTopKIimLin1EEEvNS_4cuda6detail10TensorInfoIKT_T0_EES8_S8_bjS8_NS5_IS6_S8_EES8_NS5_IlS8_EES8_jjPS6_PjSD_j
; %bb.0:
	s_bfe_u32 s2, ttmp6, 0x40010
	s_and_b32 s4, ttmp7, 0xffff
	s_add_co_i32 s5, s2, 1
	s_clause 0x1
	s_load_b32 s6, s[0:1], 0x530
	s_load_b64 s[2:3], s[0:1], 0x538
	s_bfe_u32 s8, ttmp6, 0x4000c
	s_mul_i32 s5, s4, s5
	s_bfe_u32 s7, ttmp6, 0x40004
	s_add_co_i32 s8, s8, 1
	s_bfe_u32 s9, ttmp6, 0x40014
	s_add_co_i32 s7, s7, s5
	s_and_b32 s5, ttmp6, 15
	s_mul_i32 s8, ttmp9, s8
	s_lshr_b32 s10, ttmp7, 16
	s_add_co_i32 s9, s9, 1
	s_add_co_i32 s5, s5, s8
	s_mul_i32 s8, s10, s9
	s_bfe_u32 s9, ttmp6, 0x40008
	s_getreg_b32 s11, hwreg(HW_REG_IB_STS2, 6, 4)
	s_add_co_i32 s9, s9, s8
	s_cmp_eq_u32 s11, 0
	s_cselect_b32 s8, s10, s9
	s_cselect_b32 s4, s4, s7
	s_wait_kmcnt 0x0
	s_mul_i32 s3, s3, s8
	s_cselect_b32 s5, ttmp9, s5
	s_add_co_i32 s3, s3, s4
	s_delay_alu instid0(SALU_CYCLE_1) | instskip(NEXT) | instid1(SALU_CYCLE_1)
	s_mul_i32 s3, s3, s2
	s_add_co_i32 s3, s3, s5
	s_delay_alu instid0(SALU_CYCLE_1)
	s_cmp_ge_u32 s3, s6
	s_cbranch_scc1 .LBB152_61
; %bb.1:
	s_load_b64 s[16:17], s[0:1], 0x510
	s_wait_kmcnt 0x0
	s_cvt_f32_u32 s2, s17
	s_sub_co_i32 s4, 0, s17
	s_lshl_b32 s44, s16, 8
	s_delay_alu instid0(SALU_CYCLE_1) | instskip(SKIP_1) | instid1(TRANS32_DEP_1)
	v_rcp_iflag_f32_e32 v1, s2
	v_nop
	v_readfirstlane_b32 s2, v1
	s_mul_f32 s2, s2, 0x4f7ffffe
	s_delay_alu instid0(SALU_CYCLE_3) | instskip(NEXT) | instid1(SALU_CYCLE_3)
	s_cvt_u32_f32 s2, s2
	s_mul_i32 s4, s4, s2
	s_delay_alu instid0(SALU_CYCLE_1) | instskip(NEXT) | instid1(SALU_CYCLE_1)
	s_mul_hi_u32 s4, s2, s4
	s_add_co_i32 s2, s2, s4
	s_load_b128 s[4:7], s[0:1], 0x1a0
	s_mul_hi_u32 s2, s3, s2
	s_delay_alu instid0(SALU_CYCLE_1) | instskip(SKIP_2) | instid1(SALU_CYCLE_1)
	s_mul_i32 s8, s2, s17
	s_add_co_i32 s9, s2, 1
	s_sub_co_i32 s8, s3, s8
	s_sub_co_i32 s10, s8, s17
	s_cmp_ge_u32 s8, s17
	s_cselect_b32 s2, s9, s2
	s_cselect_b32 s8, s10, s8
	s_add_co_i32 s9, s2, 1
	s_cmp_ge_u32 s8, s17
	s_cselect_b32 s2, s9, s2
	s_delay_alu instid0(SALU_CYCLE_1) | instskip(NEXT) | instid1(SALU_CYCLE_1)
	s_mul_i32 s20, s2, s17
	s_sub_co_i32 s45, s3, s20
	s_delay_alu instid0(SALU_CYCLE_1) | instskip(NEXT) | instid1(SALU_CYCLE_1)
	s_add_co_i32 s3, s45, 1
	s_cmp_lt_u32 s3, s17
	s_cbranch_scc1 .LBB152_3
; %bb.2:
	s_mul_i32 s8, s45, s44
	s_mov_b32 s9, 0
	s_wait_kmcnt 0x0
	s_sub_nc_u64 s[10:11], s[4:5], s[8:9]
	s_delay_alu instid0(SALU_CYCLE_1) | instskip(NEXT) | instid1(SALU_CYCLE_1)
	s_add_nc_u64 s[10:11], s[10:11], 0xff
	s_ashr_i32 s3, s11, 31
	s_delay_alu instid0(SALU_CYCLE_1) | instskip(NEXT) | instid1(SALU_CYCLE_1)
	s_lshr_b32 s8, s3, 24
	s_add_nc_u64 s[8:9], s[10:11], s[8:9]
	s_delay_alu instid0(SALU_CYCLE_1) | instskip(NEXT) | instid1(SALU_CYCLE_1)
	s_lshr_b64 s[8:9], s[8:9], 8
	s_mov_b32 s16, s8
.LBB152_3:
	s_load_b32 s10, s[0:1], 0x198
	s_mov_b32 s9, 0
	s_mov_b64 s[18:19], 0
	s_mov_b32 s3, s9
	s_delay_alu instid0(SALU_CYCLE_1)
	s_mov_b64 s[22:23], s[2:3]
	s_wait_kmcnt 0x0
	s_cmp_lt_i32 s10, 2
	s_cbranch_scc1 .LBB152_9
; %bb.4:
	s_add_co_i32 s8, s10, -1
	s_add_co_i32 s21, s10, 1
	s_lshl_b64 s[12:13], s[8:9], 3
	s_delay_alu instid0(SALU_CYCLE_1)
	s_add_nc_u64 s[10:11], s[0:1], s[12:13]
	s_mov_b64 s[12:13], s[2:3]
	s_add_nc_u64 s[10:11], s[10:11], 8
.LBB152_5:                              ; =>This Inner Loop Header: Depth=1
	s_load_b64 s[14:15], s[10:11], 0x0
	s_mov_b64 s[22:23], 0
	s_wait_kmcnt 0x0
	v_cmp_lt_u64_e64 s8, s[12:13], s[14:15]
	s_and_b32 vcc_lo, exec_lo, s8
	s_cbranch_vccnz .LBB152_7
; %bb.6:                                ;   in Loop: Header=BB152_5 Depth=1
	v_cvt_f32_u32_e32 v1, s14
	s_sub_co_i32 s22, 0, s14
	s_delay_alu instid0(VALU_DEP_1) | instskip(SKIP_1) | instid1(TRANS32_DEP_1)
	v_rcp_iflag_f32_e32 v1, v1
	v_nop
	v_mul_f32_e32 v1, 0x4f7ffffe, v1
	s_delay_alu instid0(VALU_DEP_1) | instskip(NEXT) | instid1(VALU_DEP_1)
	v_cvt_u32_f32_e32 v1, v1
	v_readfirstlane_b32 s8, v1
	s_mul_i32 s22, s22, s8
	s_delay_alu instid0(SALU_CYCLE_1) | instskip(NEXT) | instid1(SALU_CYCLE_1)
	s_mul_hi_u32 s22, s8, s22
	s_add_co_i32 s8, s8, s22
	s_delay_alu instid0(SALU_CYCLE_1) | instskip(NEXT) | instid1(SALU_CYCLE_1)
	s_mul_hi_u32 s8, s12, s8
	s_mul_i32 s22, s8, s14
	s_add_co_i32 s23, s8, 1
	s_sub_co_i32 s22, s12, s22
	s_delay_alu instid0(SALU_CYCLE_1)
	s_sub_co_i32 s24, s22, s14
	s_cmp_ge_u32 s22, s14
	s_cselect_b32 s8, s23, s8
	s_cselect_b32 s22, s24, s22
	s_add_co_i32 s23, s8, 1
	s_cmp_ge_u32 s22, s14
	s_cselect_b32 s8, s23, s8
	s_delay_alu instid0(SALU_CYCLE_1)
	s_mov_b64 s[22:23], s[8:9]
.LBB152_7:                              ;   in Loop: Header=BB152_5 Depth=1
	s_load_b64 s[24:25], s[10:11], 0xc8
	s_mul_u64 s[14:15], s[22:23], s[14:15]
	s_add_co_i32 s21, s21, -1
	s_sub_nc_u64 s[12:13], s[12:13], s[14:15]
	s_cmp_gt_u32 s21, 2
	s_wait_xcnt 0x0
	s_add_nc_u64 s[10:11], s[10:11], -8
	s_wait_kmcnt 0x0
	s_mul_u64 s[12:13], s[24:25], s[12:13]
	s_delay_alu instid0(SALU_CYCLE_1)
	s_add_nc_u64 s[18:19], s[12:13], s[18:19]
	s_cbranch_scc0 .LBB152_9
; %bb.8:                                ;   in Loop: Header=BB152_5 Depth=1
	s_mov_b64 s[12:13], s[22:23]
	s_branch .LBB152_5
.LBB152_9:
	s_load_b32 s12, s[0:1], 0x358
	s_add_nc_u64 s[8:9], s[0:1], 0x1c0
	s_mov_b64 s[24:25], 0
	s_mov_b64 s[26:27], s[2:3]
	s_wait_kmcnt 0x0
	s_cmp_lt_i32 s12, 2
	s_cbranch_scc1 .LBB152_15
; %bb.10:
	s_add_co_i32 s10, s12, -1
	s_mov_b32 s11, 0
	s_add_co_i32 s21, s12, 1
	s_lshl_b64 s[14:15], s[10:11], 3
	s_delay_alu instid0(SALU_CYCLE_1)
	s_add_nc_u64 s[12:13], s[8:9], s[14:15]
	s_mov_b64 s[14:15], s[2:3]
	s_add_nc_u64 s[12:13], s[12:13], 8
.LBB152_11:                             ; =>This Inner Loop Header: Depth=1
	s_load_b64 s[28:29], s[12:13], 0x0
	s_mov_b64 s[26:27], 0
	s_wait_kmcnt 0x0
	v_cmp_lt_u64_e64 s10, s[14:15], s[28:29]
	s_and_b32 vcc_lo, exec_lo, s10
	s_cbranch_vccnz .LBB152_13
; %bb.12:                               ;   in Loop: Header=BB152_11 Depth=1
	v_cvt_f32_u32_e32 v1, s28
	s_sub_co_i32 s26, 0, s28
	s_delay_alu instid0(VALU_DEP_1) | instskip(SKIP_1) | instid1(TRANS32_DEP_1)
	v_rcp_iflag_f32_e32 v1, v1
	v_nop
	v_mul_f32_e32 v1, 0x4f7ffffe, v1
	s_delay_alu instid0(VALU_DEP_1) | instskip(NEXT) | instid1(VALU_DEP_1)
	v_cvt_u32_f32_e32 v1, v1
	v_readfirstlane_b32 s10, v1
	s_mul_i32 s26, s26, s10
	s_delay_alu instid0(SALU_CYCLE_1) | instskip(NEXT) | instid1(SALU_CYCLE_1)
	s_mul_hi_u32 s26, s10, s26
	s_add_co_i32 s10, s10, s26
	s_delay_alu instid0(SALU_CYCLE_1) | instskip(NEXT) | instid1(SALU_CYCLE_1)
	s_mul_hi_u32 s10, s14, s10
	s_mul_i32 s26, s10, s28
	s_add_co_i32 s27, s10, 1
	s_sub_co_i32 s26, s14, s26
	s_delay_alu instid0(SALU_CYCLE_1)
	s_sub_co_i32 s30, s26, s28
	s_cmp_ge_u32 s26, s28
	s_cselect_b32 s10, s27, s10
	s_cselect_b32 s26, s30, s26
	s_add_co_i32 s27, s10, 1
	s_cmp_ge_u32 s26, s28
	s_cselect_b32 s10, s27, s10
	s_delay_alu instid0(SALU_CYCLE_1)
	s_mov_b64 s[26:27], s[10:11]
.LBB152_13:                             ;   in Loop: Header=BB152_11 Depth=1
	s_load_b64 s[30:31], s[12:13], 0xc8
	s_mul_u64 s[28:29], s[26:27], s[28:29]
	s_add_co_i32 s21, s21, -1
	s_sub_nc_u64 s[14:15], s[14:15], s[28:29]
	s_cmp_gt_u32 s21, 2
	s_wait_xcnt 0x0
	s_add_nc_u64 s[12:13], s[12:13], -8
	s_wait_kmcnt 0x0
	s_mul_u64 s[14:15], s[30:31], s[14:15]
	s_delay_alu instid0(SALU_CYCLE_1)
	s_add_nc_u64 s[24:25], s[14:15], s[24:25]
	s_cbranch_scc0 .LBB152_15
; %bb.14:                               ;   in Loop: Header=BB152_11 Depth=1
	s_mov_b64 s[14:15], s[26:27]
	s_branch .LBB152_11
.LBB152_15:
	s_clause 0x1
	s_load_b64 s[28:29], s[0:1], 0xd0
	s_load_b32 s12, s[0:1], 0x500
	s_mov_b64 s[30:31], 0
	s_wait_kmcnt 0x0
	s_cmp_lt_i32 s12, 2
	s_cbranch_scc1 .LBB152_21
; %bb.16:
	s_add_co_i32 s10, s12, -1
	s_mov_b32 s11, 0
	s_add_nc_u64 s[14:15], s[0:1], 0x368
	s_lshl_b64 s[30:31], s[10:11], 3
	s_add_co_i32 s21, s12, 1
	s_add_nc_u64 s[14:15], s[14:15], s[30:31]
	s_mov_b64 s[30:31], 0
	s_add_nc_u64 s[12:13], s[14:15], 8
	s_mov_b64 s[14:15], s[2:3]
.LBB152_17:                             ; =>This Inner Loop Header: Depth=1
	s_load_b64 s[36:37], s[12:13], 0x0
	s_mov_b64 s[34:35], 0
	s_wait_kmcnt 0x0
	v_cmp_lt_u64_e64 s10, s[14:15], s[36:37]
	s_and_b32 vcc_lo, exec_lo, s10
	s_cbranch_vccnz .LBB152_19
; %bb.18:                               ;   in Loop: Header=BB152_17 Depth=1
	v_cvt_f32_u32_e32 v1, s36
	s_sub_co_i32 s33, 0, s36
	s_delay_alu instid0(VALU_DEP_1) | instskip(SKIP_1) | instid1(TRANS32_DEP_1)
	v_rcp_iflag_f32_e32 v1, v1
	v_nop
	v_mul_f32_e32 v1, 0x4f7ffffe, v1
	s_delay_alu instid0(VALU_DEP_1) | instskip(NEXT) | instid1(VALU_DEP_1)
	v_cvt_u32_f32_e32 v1, v1
	v_readfirstlane_b32 s10, v1
	s_mul_i32 s33, s33, s10
	s_delay_alu instid0(SALU_CYCLE_1) | instskip(NEXT) | instid1(SALU_CYCLE_1)
	s_mul_hi_u32 s33, s10, s33
	s_add_co_i32 s10, s10, s33
	s_delay_alu instid0(SALU_CYCLE_1) | instskip(NEXT) | instid1(SALU_CYCLE_1)
	s_mul_hi_u32 s10, s14, s10
	s_mul_i32 s33, s10, s36
	s_add_co_i32 s34, s10, 1
	s_sub_co_i32 s33, s14, s33
	s_delay_alu instid0(SALU_CYCLE_1)
	s_sub_co_i32 s35, s33, s36
	s_cmp_ge_u32 s33, s36
	s_cselect_b32 s10, s34, s10
	s_cselect_b32 s33, s35, s33
	s_add_co_i32 s34, s10, 1
	s_cmp_ge_u32 s33, s36
	s_cselect_b32 s10, s34, s10
	s_delay_alu instid0(SALU_CYCLE_1)
	s_mov_b64 s[34:35], s[10:11]
.LBB152_19:                             ;   in Loop: Header=BB152_17 Depth=1
	s_load_b64 s[38:39], s[12:13], 0xc8
	s_mul_u64 s[36:37], s[34:35], s[36:37]
	s_add_co_i32 s21, s21, -1
	s_sub_nc_u64 s[14:15], s[14:15], s[36:37]
	s_cmp_gt_u32 s21, 2
	s_wait_xcnt 0x0
	s_add_nc_u64 s[12:13], s[12:13], -8
	s_wait_kmcnt 0x0
	s_mul_u64 s[14:15], s[38:39], s[14:15]
	s_delay_alu instid0(SALU_CYCLE_1)
	s_add_nc_u64 s[30:31], s[14:15], s[30:31]
	s_cbranch_scc0 .LBB152_22
; %bb.20:                               ;   in Loop: Header=BB152_17 Depth=1
	s_mov_b64 s[14:15], s[34:35]
	s_branch .LBB152_17
.LBB152_21:
	s_mov_b64 s[34:35], s[2:3]
.LBB152_22:
	s_load_b64 s[36:37], s[8:9], 0xd0
	s_wait_xcnt 0x0
	s_load_b128 s[8:11], s[0:1], 0x518
	s_lshl_b64 s[2:3], s[2:3], 2
	s_mov_b32 s21, 0
	s_wait_kmcnt 0x0
	s_add_nc_u64 s[2:3], s[8:9], s[2:3]
	s_load_b32 s33, s[2:3], 0x0
	s_wait_xcnt 0x0
	v_cmp_ne_u32_e64 s2, 0, v0
	v_cmp_eq_u32_e64 s3, 0, v0
	s_and_saveexec_b32 s46, s3
	s_cbranch_execz .LBB152_38
; %bb.23:
	s_load_b64 s[38:39], s[0:1], 0x528
	s_cmp_lt_u32 s17, 4
	s_cbranch_scc1 .LBB152_35
; %bb.24:
	s_lshl_b64 s[40:41], s[20:21], 2
	s_mov_b64 s[8:9], 0
	s_mov_b32 s20, 0
.LBB152_25:                             ; =>This Inner Loop Header: Depth=1
	s_add_nc_u64 s[42:43], s[10:11], s[40:41]
	s_cmp_ge_u32 s20, s45
	s_load_b128 s[12:15], s[42:43], 0x0
	s_wait_kmcnt 0x0
	s_add_nc_u64 s[42:43], s[38:39], s[40:41]
	s_cbranch_scc0 .LBB152_32
; %bb.26:                               ;   in Loop: Header=BB152_25 Depth=1
	s_add_co_i32 s47, s20, 1
	s_delay_alu instid0(SALU_CYCLE_1)
	s_cmp_ge_u32 s47, s45
	s_cbranch_scc0 .LBB152_33
.LBB152_27:                             ;   in Loop: Header=BB152_25 Depth=1
	s_add_co_i32 s47, s47, 1
	s_delay_alu instid0(SALU_CYCLE_1)
	s_cmp_ge_u32 s47, s45
	s_cbranch_scc0 .LBB152_34
.LBB152_28:                             ;   in Loop: Header=BB152_25 Depth=1
	s_add_co_i32 s47, s47, 1
	s_delay_alu instid0(SALU_CYCLE_1)
	s_cmp_ge_u32 s47, s45
	s_cbranch_scc1 .LBB152_30
.LBB152_29:                             ;   in Loop: Header=BB152_25 Depth=1
	s_load_b32 s42, s[42:43], 0xc
	s_add_co_i32 s9, s15, s9
	s_wait_kmcnt 0x0
	s_add_co_i32 s8, s42, s8
.LBB152_30:                             ;   in Loop: Header=BB152_25 Depth=1
	s_add_co_i32 s12, s12, s21
	s_add_nc_u64 s[10:11], s[10:11], 16
	s_add_co_i32 s12, s12, s13
	s_add_co_i32 s13, s47, 4
	;; [unrolled: 1-line block ×3, first 2 shown]
	s_add_nc_u64 s[38:39], s[38:39], 16
	s_add_co_i32 s21, s12, s15
	s_add_co_i32 s12, s47, 1
	s_cmp_ge_u32 s13, s17
	s_cbranch_scc1 .LBB152_36
; %bb.31:                               ;   in Loop: Header=BB152_25 Depth=1
	s_mov_b32 s20, s12
	s_branch .LBB152_25
.LBB152_32:                             ;   in Loop: Header=BB152_25 Depth=1
	s_load_b32 s47, s[42:43], 0x0
	s_add_co_i32 s9, s12, s9
	s_wait_kmcnt 0x0
	s_add_co_i32 s8, s47, s8
	s_add_co_i32 s47, s20, 1
	s_delay_alu instid0(SALU_CYCLE_1)
	s_cmp_ge_u32 s47, s45
	s_cbranch_scc1 .LBB152_27
.LBB152_33:                             ;   in Loop: Header=BB152_25 Depth=1
	s_load_b32 s48, s[42:43], 0x4
	s_add_co_i32 s9, s13, s9
	s_wait_kmcnt 0x0
	s_add_co_i32 s8, s48, s8
	s_add_co_i32 s47, s47, 1
	s_delay_alu instid0(SALU_CYCLE_1)
	s_cmp_ge_u32 s47, s45
	s_cbranch_scc1 .LBB152_28
.LBB152_34:                             ;   in Loop: Header=BB152_25 Depth=1
	s_load_b32 s48, s[42:43], 0x8
	s_add_co_i32 s9, s14, s9
	s_wait_kmcnt 0x0
	s_add_co_i32 s8, s48, s8
	s_add_co_i32 s47, s47, 1
	s_delay_alu instid0(SALU_CYCLE_1)
	s_cmp_ge_u32 s47, s45
	s_cbranch_scc0 .LBB152_29
	s_branch .LBB152_30
.LBB152_35:
	s_lshl_b64 s[12:13], s[20:21], 2
	s_mov_b64 s[8:9], 0
	s_add_nc_u64 s[10:11], s[10:11], s[12:13]
	s_wait_kmcnt 0x0
	s_add_nc_u64 s[12:13], s[38:39], s[12:13]
	s_mov_b32 s14, s21
	s_delay_alu instid0(SALU_CYCLE_1)
	s_cmp_ge_u32 s14, s17
	s_cbranch_scc0 .LBB152_59
	s_branch .LBB152_37
.LBB152_36:
	s_add_co_i32 s14, s20, 4
	s_add_nc_u64 s[12:13], s[38:39], s[40:41]
	s_add_nc_u64 s[10:11], s[10:11], s[40:41]
	s_cmp_ge_u32 s14, s17
	s_cbranch_scc0 .LBB152_59
.LBB152_37:
	v_dual_mov_b32 v2, s8 :: v_dual_mov_b32 v3, s21
	v_dual_mov_b32 v4, s9 :: v_dual_mov_b32 v1, 0
	ds_store_b96 v1, v[2:4] offset:1056
.LBB152_38:
	s_or_b32 exec_lo, exec_lo, s46
	s_clause 0x3
	s_load_b64 s[8:9], s[0:1], 0x438
	s_load_b64 s[14:15], s[0:1], 0x0
	s_load_b64 s[20:21], s[0:1], 0x1c0
	s_load_b64 s[38:39], s[0:1], 0x368
	s_cmp_eq_u32 s16, 0
	s_wait_dscnt 0x0
	s_barrier_signal -1
	s_barrier_wait -1
	s_cbranch_scc1 .LBB152_61
; %bb.39:
	v_dual_mov_b32 v7, 0 :: v_dual_lshrrev_b32 v1, 3, v0
	s_mul_u64 s[22:23], s[28:29], s[22:23]
	s_wait_kmcnt 0x0
	s_mul_u64 s[28:29], s[8:9], s[34:35]
	v_add_nc_u32_e32 v9, -1, v0
	ds_load_b96 v[2:4], v7 offset:1056
	s_clause 0x3
	s_load_b32 s34, s[0:1], 0x1b0
	s_load_b64 s[8:9], s[0:1], 0x1b8
	s_load_b64 s[10:11], s[0:1], 0x360
	;; [unrolled: 1-line block ×3, first 2 shown]
	v_dual_lshlrev_b32 v10, 5, v0 :: v_dual_bitop2_b32 v1, 28, v1 bitop3:0x40
	v_lshrrev_b32_e32 v6, 3, v9
	v_mbcnt_lo_u32_b32 v8, -1, 0
	s_wait_xcnt 0x0
	s_lshl_b64 s[0:1], s[22:23], 2
	v_lshl_add_u32 v5, v0, 2, v1
	v_and_b32_e32 v1, 0xfc, v0
	s_mul_u64 s[26:27], s[36:37], s[26:27]
	s_lshl_b64 s[18:19], s[18:19], 2
	s_add_nc_u64 s[0:1], s[14:15], s[0:1]
	s_lshl_b64 s[22:23], s[26:27], 2
	s_lshl_b64 s[26:27], s[28:29], 3
	;; [unrolled: 1-line block ×4, first 2 shown]
	s_xor_b32 s17, s33, 0x80000000
	s_add_nc_u64 s[14:15], s[0:1], s[18:19]
	v_cmp_gt_u32_e64 s0, 32, v0
	v_dual_add_nc_u32 v10, v1, v10 :: v_dual_bitop2_b32 v11, 15, v8 bitop3:0x40
	s_wait_dscnt 0x0
	v_add_nc_u32_e32 v2, v2, v3
	v_and_b32_e32 v3, 0x1ffffffc, v6
	v_mad_u32 v6, s45, s44, v0
	v_bfe_i32 v12, v8, 4, 1
	v_add_nc_u32_e32 v13, -1, v8
	s_add_nc_u64 s[20:21], s[20:21], s[22:23]
	v_lshl_add_u32 v9, v9, 2, v3
	s_add_nc_u64 s[22:23], s[38:39], s[26:27]
	s_wait_kmcnt 0x0
	s_bitcmp1_b32 s34, 0
	s_add_nc_u64 s[18:19], s[20:21], s[24:25]
	s_add_nc_u64 s[20:21], s[22:23], s[30:31]
	s_cselect_b32 s1, -1, 0
                                        ; implicit-def: $vgpr14
	s_branch .LBB152_42
.LBB152_40:                             ;   in Loop: Header=BB152_42 Depth=1
	s_wait_xcnt 0x0
	s_or_b32 exec_lo, exec_lo, s22
	v_add_nc_u32_e32 v2, v3, v2
.LBB152_41:                             ;   in Loop: Header=BB152_42 Depth=1
	v_add_nc_u32_e32 v4, v15, v4
	v_add_nc_u32_e32 v6, 0x100, v6
	s_add_co_i32 s16, s16, -1
	s_delay_alu instid0(SALU_CYCLE_1)
	s_cmp_lg_u32 s16, 0
	s_cbranch_scc0 .LBB152_61
.LBB152_42:                             ; =>This Inner Loop Header: Depth=1
	v_dual_mov_b32 v1, v7 :: v_dual_mov_b32 v0, v7
	s_mov_b32 s22, exec_lo
	v_cmpx_gt_u64_e64 s[4:5], v[6:7]
	s_cbranch_execz .LBB152_44
; %bb.43:                               ;   in Loop: Header=BB152_42 Depth=1
	v_mul_u64_e32 v[0:1], s[8:9], v[6:7]
	s_delay_alu instid0(VALU_DEP_1) | instskip(SKIP_4) | instid1(VALU_DEP_1)
	v_lshl_add_u64 v[0:1], v[0:1], 2, s[14:15]
	global_load_b32 v14, v[0:1], off
	s_wait_loadcnt 0x0
	s_wait_xcnt 0x0
	v_xor_b32_e32 v0, 0x80000000, v14
	v_cmp_lt_u32_e32 vcc_lo, s17, v0
	v_cndmask_b32_e64 v1, 0, 1, vcc_lo
	v_cmp_gt_u32_e32 vcc_lo, s17, v0
	v_cndmask_b32_e64 v0, 0, 1, vcc_lo
	v_cmp_eq_u32_e32 vcc_lo, s33, v14
	s_delay_alu instid0(VALU_DEP_2) | instskip(NEXT) | instid1(VALU_DEP_1)
	v_cndmask_b32_e64 v0, v0, v1, s1
	v_and_b32_e32 v1, 1, v0
	v_cndmask_b32_e64 v0, 0, 1, vcc_lo
.LBB152_44:                             ;   in Loop: Header=BB152_42 Depth=1
	s_or_b32 exec_lo, exec_lo, s22
	ds_store_b32 v5, v1
	s_wait_dscnt 0x0
	s_barrier_signal -1
	s_barrier_wait -1
	s_and_saveexec_b32 s22, s0
	s_cbranch_execz .LBB152_46
; %bb.45:                               ;   in Loop: Header=BB152_42 Depth=1
	ds_load_2addr_b32 v[16:17], v10 offset1:1
	ds_load_2addr_b32 v[18:19], v10 offset0:2 offset1:3
	ds_load_2addr_b32 v[20:21], v10 offset0:4 offset1:5
	;; [unrolled: 1-line block ×3, first 2 shown]
	v_cmp_ne_u32_e32 vcc_lo, 0, v11
	; wave barrier
	s_wait_dscnt 0x3
	v_add_nc_u32_e32 v3, v17, v16
	s_wait_dscnt 0x2
	s_delay_alu instid0(VALU_DEP_1) | instskip(SKIP_1) | instid1(VALU_DEP_1)
	v_add3_u32 v3, v3, v18, v19
	s_wait_dscnt 0x1
	v_add3_u32 v3, v3, v20, v21
	s_wait_dscnt 0x0
	s_delay_alu instid0(VALU_DEP_1) | instskip(NEXT) | instid1(VALU_DEP_1)
	v_add3_u32 v3, v3, v22, v23
	v_mov_b32_dpp v15, v3 row_shr:1 row_mask:0xf bank_mask:0xf
	s_delay_alu instid0(VALU_DEP_1) | instskip(SKIP_1) | instid1(VALU_DEP_2)
	v_cndmask_b32_e32 v15, 0, v15, vcc_lo
	v_cmp_lt_u32_e32 vcc_lo, 1, v11
	v_add_nc_u32_e32 v3, v15, v3
	s_delay_alu instid0(VALU_DEP_1) | instskip(NEXT) | instid1(VALU_DEP_1)
	v_mov_b32_dpp v15, v3 row_shr:2 row_mask:0xf bank_mask:0xf
	v_cndmask_b32_e32 v15, 0, v15, vcc_lo
	v_cmp_lt_u32_e32 vcc_lo, 3, v11
	s_delay_alu instid0(VALU_DEP_2) | instskip(NEXT) | instid1(VALU_DEP_1)
	v_add_nc_u32_e32 v3, v3, v15
	v_mov_b32_dpp v15, v3 row_shr:4 row_mask:0xf bank_mask:0xf
	s_delay_alu instid0(VALU_DEP_1) | instskip(SKIP_1) | instid1(VALU_DEP_2)
	v_cndmask_b32_e32 v15, 0, v15, vcc_lo
	v_cmp_lt_u32_e32 vcc_lo, 7, v11
	v_add_nc_u32_e32 v3, v3, v15
	s_delay_alu instid0(VALU_DEP_1) | instskip(NEXT) | instid1(VALU_DEP_1)
	v_mov_b32_dpp v15, v3 row_shr:8 row_mask:0xf bank_mask:0xf
	v_cndmask_b32_e32 v15, 0, v15, vcc_lo
	v_cmp_gt_i32_e32 vcc_lo, 0, v13
	s_delay_alu instid0(VALU_DEP_2) | instskip(SKIP_3) | instid1(VALU_DEP_1)
	v_dual_add_nc_u32 v3, v3, v15 :: v_dual_cndmask_b32 v17, v13, v8, vcc_lo
	ds_swizzle_b32 v15, v3 offset:swizzle(BROADCAST,32,15)
	s_wait_dscnt 0x0
	v_dual_lshlrev_b32 v17, 2, v17 :: v_dual_bitop2_b32 v15, v12, v15 bitop3:0x40
	v_add_nc_u32_e32 v3, v3, v15
	ds_bpermute_b32 v3, v17, v3
	s_wait_dscnt 0x0
	v_add_nc_u32_e32 v3, v3, v16
	s_delay_alu instid0(VALU_DEP_1)
	v_cndmask_b32_e64 v3, v3, v1, s3
	ds_store_b32 v10, v3
	; wave barrier
	ds_load_2addr_b32 v[16:17], v10 offset0:1 offset1:2
	ds_load_2addr_b32 v[18:19], v10 offset0:3 offset1:4
	;; [unrolled: 1-line block ×3, first 2 shown]
	ds_load_b32 v15, v10 offset:28
	s_wait_dscnt 0x3
	v_add_nc_u32_e32 v3, v16, v3
	s_delay_alu instid0(VALU_DEP_1) | instskip(SKIP_1) | instid1(VALU_DEP_1)
	v_add_nc_u32_e32 v16, v17, v3
	s_wait_dscnt 0x2
	v_add_nc_u32_e32 v17, v18, v16
	s_delay_alu instid0(VALU_DEP_1) | instskip(SKIP_1) | instid1(VALU_DEP_1)
	v_add_nc_u32_e32 v18, v19, v17
	s_wait_dscnt 0x1
	v_add_nc_u32_e32 v19, v20, v18
	s_delay_alu instid0(VALU_DEP_1) | instskip(SKIP_1) | instid1(VALU_DEP_1)
	v_add_nc_u32_e32 v20, v21, v19
	s_wait_dscnt 0x0
	v_add_nc_u32_e32 v15, v15, v20
	ds_store_2addr_b32 v10, v3, v16 offset0:1 offset1:2
	ds_store_2addr_b32 v10, v17, v18 offset0:3 offset1:4
	;; [unrolled: 1-line block ×3, first 2 shown]
	ds_store_b32 v10, v15 offset:28
.LBB152_46:                             ;   in Loop: Header=BB152_42 Depth=1
	s_or_b32 exec_lo, exec_lo, s22
	v_mov_b32_e32 v3, 0
	s_wait_dscnt 0x0
	s_barrier_signal -1
	s_barrier_wait -1
	s_and_saveexec_b32 s22, s2
; %bb.47:                               ;   in Loop: Header=BB152_42 Depth=1
	ds_load_b32 v3, v9
; %bb.48:                               ;   in Loop: Header=BB152_42 Depth=1
	s_or_b32 exec_lo, exec_lo, s22
	ds_load_b32 v15, v7 offset:1048
	s_mov_b32 s22, exec_lo
	s_wait_dscnt 0x0
	s_barrier_signal -1
	s_barrier_wait -1
	v_cmpx_ne_u32_e32 0, v1
	s_cbranch_execz .LBB152_50
; %bb.49:                               ;   in Loop: Header=BB152_42 Depth=1
	v_add_nc_u32_e32 v16, v3, v4
	v_mov_b32_e32 v17, v7
	s_delay_alu instid0(VALU_DEP_1) | instskip(SKIP_1) | instid1(VALU_DEP_2)
	v_mul_u64_e32 v[18:19], s[10:11], v[16:17]
	v_mul_u64_e32 v[16:17], s[12:13], v[16:17]
	v_lshl_add_u64 v[18:19], v[18:19], 2, s[18:19]
	s_delay_alu instid0(VALU_DEP_2)
	v_lshl_add_u64 v[16:17], v[16:17], 3, s[20:21]
	global_store_b32 v[18:19], v14, off
	global_store_b64 v[16:17], v[6:7], off
.LBB152_50:                             ;   in Loop: Header=BB152_42 Depth=1
	s_wait_xcnt 0x0
	s_or_b32 exec_lo, exec_lo, s22
	v_mov_b32_e32 v3, v7
	s_delay_alu instid0(VALU_DEP_1)
	v_cmp_le_u64_e32 vcc_lo, s[6:7], v[2:3]
	s_cbranch_vccnz .LBB152_41
; %bb.51:                               ;   in Loop: Header=BB152_42 Depth=1
	ds_store_b32 v5, v0
	s_wait_storecnt_dscnt 0x0
	s_barrier_signal -1
	s_barrier_wait -1
	s_and_saveexec_b32 s22, s0
	s_cbranch_execz .LBB152_53
; %bb.52:                               ;   in Loop: Header=BB152_42 Depth=1
	ds_load_2addr_b32 v[16:17], v10 offset1:1
	ds_load_2addr_b32 v[18:19], v10 offset0:2 offset1:3
	ds_load_2addr_b32 v[20:21], v10 offset0:4 offset1:5
	;; [unrolled: 1-line block ×3, first 2 shown]
	v_cmp_ne_u32_e32 vcc_lo, 0, v11
	; wave barrier
	s_wait_dscnt 0x3
	v_add_nc_u32_e32 v1, v17, v16
	s_wait_dscnt 0x2
	s_delay_alu instid0(VALU_DEP_1) | instskip(SKIP_1) | instid1(VALU_DEP_1)
	v_add3_u32 v1, v1, v18, v19
	s_wait_dscnt 0x1
	v_add3_u32 v1, v1, v20, v21
	s_wait_dscnt 0x0
	s_delay_alu instid0(VALU_DEP_1) | instskip(NEXT) | instid1(VALU_DEP_1)
	v_add3_u32 v1, v1, v22, v23
	v_mov_b32_dpp v3, v1 row_shr:1 row_mask:0xf bank_mask:0xf
	s_delay_alu instid0(VALU_DEP_1) | instskip(SKIP_1) | instid1(VALU_DEP_2)
	v_cndmask_b32_e32 v3, 0, v3, vcc_lo
	v_cmp_lt_u32_e32 vcc_lo, 1, v11
	v_add_nc_u32_e32 v1, v3, v1
	s_delay_alu instid0(VALU_DEP_1) | instskip(NEXT) | instid1(VALU_DEP_1)
	v_mov_b32_dpp v3, v1 row_shr:2 row_mask:0xf bank_mask:0xf
	v_cndmask_b32_e32 v3, 0, v3, vcc_lo
	v_cmp_lt_u32_e32 vcc_lo, 3, v11
	s_delay_alu instid0(VALU_DEP_2) | instskip(NEXT) | instid1(VALU_DEP_1)
	v_add_nc_u32_e32 v1, v1, v3
	v_mov_b32_dpp v3, v1 row_shr:4 row_mask:0xf bank_mask:0xf
	s_delay_alu instid0(VALU_DEP_1) | instskip(SKIP_1) | instid1(VALU_DEP_2)
	v_cndmask_b32_e32 v3, 0, v3, vcc_lo
	v_cmp_lt_u32_e32 vcc_lo, 7, v11
	v_add_nc_u32_e32 v1, v1, v3
	s_delay_alu instid0(VALU_DEP_1) | instskip(NEXT) | instid1(VALU_DEP_1)
	v_mov_b32_dpp v3, v1 row_shr:8 row_mask:0xf bank_mask:0xf
	v_cndmask_b32_e32 v3, 0, v3, vcc_lo
	v_cmp_gt_i32_e32 vcc_lo, 0, v13
	s_delay_alu instid0(VALU_DEP_2) | instskip(SKIP_4) | instid1(VALU_DEP_1)
	v_add_nc_u32_e32 v1, v1, v3
	v_cndmask_b32_e32 v17, v13, v8, vcc_lo
	ds_swizzle_b32 v3, v1 offset:swizzle(BROADCAST,32,15)
	s_wait_dscnt 0x0
	v_dual_lshlrev_b32 v17, 2, v17 :: v_dual_bitop2_b32 v3, v12, v3 bitop3:0x40
	v_add_nc_u32_e32 v1, v1, v3
	ds_bpermute_b32 v1, v17, v1
	s_wait_dscnt 0x0
	v_add_nc_u32_e32 v1, v1, v16
	s_delay_alu instid0(VALU_DEP_1)
	v_cndmask_b32_e64 v1, v1, v0, s3
	ds_store_b32 v10, v1
	; wave barrier
	ds_load_2addr_b32 v[16:17], v10 offset0:1 offset1:2
	ds_load_2addr_b32 v[18:19], v10 offset0:3 offset1:4
	;; [unrolled: 1-line block ×3, first 2 shown]
	ds_load_b32 v3, v10 offset:28
	s_wait_dscnt 0x3
	v_add_nc_u32_e32 v1, v16, v1
	s_delay_alu instid0(VALU_DEP_1) | instskip(SKIP_1) | instid1(VALU_DEP_1)
	v_add_nc_u32_e32 v16, v17, v1
	s_wait_dscnt 0x2
	v_add_nc_u32_e32 v17, v18, v16
	s_delay_alu instid0(VALU_DEP_1) | instskip(SKIP_1) | instid1(VALU_DEP_1)
	v_add_nc_u32_e32 v18, v19, v17
	;; [unrolled: 4-line block ×3, first 2 shown]
	s_wait_dscnt 0x0
	v_add_nc_u32_e32 v3, v3, v20
	ds_store_2addr_b32 v10, v1, v16 offset0:1 offset1:2
	ds_store_2addr_b32 v10, v17, v18 offset0:3 offset1:4
	;; [unrolled: 1-line block ×3, first 2 shown]
	ds_store_b32 v10, v3 offset:28
.LBB152_53:                             ;   in Loop: Header=BB152_42 Depth=1
	s_or_b32 exec_lo, exec_lo, s22
	v_mov_b32_e32 v1, 0
	s_wait_dscnt 0x0
	s_barrier_signal -1
	s_barrier_wait -1
	s_and_saveexec_b32 s22, s2
; %bb.54:                               ;   in Loop: Header=BB152_42 Depth=1
	ds_load_b32 v1, v9
; %bb.55:                               ;   in Loop: Header=BB152_42 Depth=1
	s_or_b32 exec_lo, exec_lo, s22
	ds_load_b32 v3, v7 offset:1048
	s_mov_b32 s22, exec_lo
	s_wait_dscnt 0x0
	s_barrier_signal -1
	s_barrier_wait -1
	v_cmpx_ne_u32_e32 0, v0
	s_cbranch_execz .LBB152_40
; %bb.56:                               ;   in Loop: Header=BB152_42 Depth=1
	v_dual_mov_b32 v1, v7 :: v_dual_add_nc_u32 v0, v1, v2
	s_delay_alu instid0(VALU_DEP_1)
	v_cmp_gt_u64_e32 vcc_lo, s[6:7], v[0:1]
	s_and_b32 exec_lo, exec_lo, vcc_lo
	s_cbranch_execz .LBB152_40
; %bb.57:                               ;   in Loop: Header=BB152_42 Depth=1
	v_mul_u64_e32 v[16:17], s[10:11], v[0:1]
	v_mul_u64_e32 v[0:1], s[12:13], v[0:1]
	s_delay_alu instid0(VALU_DEP_2) | instskip(NEXT) | instid1(VALU_DEP_2)
	v_lshl_add_u64 v[16:17], v[16:17], 2, s[18:19]
	v_lshl_add_u64 v[0:1], v[0:1], 3, s[20:21]
	global_store_b32 v[16:17], v14, off
	global_store_b64 v[0:1], v[6:7], off
	s_branch .LBB152_40
.LBB152_58:                             ;   in Loop: Header=BB152_59 Depth=1
	s_add_co_i32 s14, s14, 1
	s_wait_kmcnt 0x0
	s_add_co_i32 s21, s15, s21
	s_add_nc_u64 s[10:11], s[10:11], 4
	s_cmp_lt_u32 s14, s17
	s_add_nc_u64 s[12:13], s[12:13], 4
	s_cbranch_scc0 .LBB152_37
.LBB152_59:                             ; =>This Inner Loop Header: Depth=1
	s_load_b32 s15, s[10:11], 0x0
	s_cmp_ge_u32 s14, s45
	s_cbranch_scc1 .LBB152_58
; %bb.60:                               ;   in Loop: Header=BB152_59 Depth=1
	s_load_b32 s20, s[12:13], 0x0
	s_wait_kmcnt 0x0
	s_add_co_i32 s9, s15, s9
	s_add_co_i32 s8, s20, s8
	s_branch .LBB152_58
.LBB152_61:
	s_endpgm
	.section	.rodata,"a",@progbits
	.p2align	6, 0x0
	.amdhsa_kernel _ZN2at6native6mbtopk10gatherTopKIimLin1EEEvNS_4cuda6detail10TensorInfoIKT_T0_EES8_S8_bjS8_NS5_IS6_S8_EES8_NS5_IlS8_EES8_jjPS6_PjSD_j
		.amdhsa_group_segment_fixed_size 1068
		.amdhsa_private_segment_fixed_size 0
		.amdhsa_kernarg_size 1592
		.amdhsa_user_sgpr_count 2
		.amdhsa_user_sgpr_dispatch_ptr 0
		.amdhsa_user_sgpr_queue_ptr 0
		.amdhsa_user_sgpr_kernarg_segment_ptr 1
		.amdhsa_user_sgpr_dispatch_id 0
		.amdhsa_user_sgpr_kernarg_preload_length 0
		.amdhsa_user_sgpr_kernarg_preload_offset 0
		.amdhsa_user_sgpr_private_segment_size 0
		.amdhsa_wavefront_size32 1
		.amdhsa_uses_dynamic_stack 0
		.amdhsa_enable_private_segment 0
		.amdhsa_system_sgpr_workgroup_id_x 1
		.amdhsa_system_sgpr_workgroup_id_y 1
		.amdhsa_system_sgpr_workgroup_id_z 1
		.amdhsa_system_sgpr_workgroup_info 0
		.amdhsa_system_vgpr_workitem_id 0
		.amdhsa_next_free_vgpr 24
		.amdhsa_next_free_sgpr 49
		.amdhsa_named_barrier_count 0
		.amdhsa_reserve_vcc 1
		.amdhsa_float_round_mode_32 0
		.amdhsa_float_round_mode_16_64 0
		.amdhsa_float_denorm_mode_32 3
		.amdhsa_float_denorm_mode_16_64 3
		.amdhsa_fp16_overflow 0
		.amdhsa_memory_ordered 1
		.amdhsa_forward_progress 1
		.amdhsa_inst_pref_size 27
		.amdhsa_round_robin_scheduling 0
		.amdhsa_exception_fp_ieee_invalid_op 0
		.amdhsa_exception_fp_denorm_src 0
		.amdhsa_exception_fp_ieee_div_zero 0
		.amdhsa_exception_fp_ieee_overflow 0
		.amdhsa_exception_fp_ieee_underflow 0
		.amdhsa_exception_fp_ieee_inexact 0
		.amdhsa_exception_int_div_zero 0
	.end_amdhsa_kernel
	.section	.text._ZN2at6native6mbtopk10gatherTopKIimLin1EEEvNS_4cuda6detail10TensorInfoIKT_T0_EES8_S8_bjS8_NS5_IS6_S8_EES8_NS5_IlS8_EES8_jjPS6_PjSD_j,"axG",@progbits,_ZN2at6native6mbtopk10gatherTopKIimLin1EEEvNS_4cuda6detail10TensorInfoIKT_T0_EES8_S8_bjS8_NS5_IS6_S8_EES8_NS5_IlS8_EES8_jjPS6_PjSD_j,comdat
.Lfunc_end152:
	.size	_ZN2at6native6mbtopk10gatherTopKIimLin1EEEvNS_4cuda6detail10TensorInfoIKT_T0_EES8_S8_bjS8_NS5_IS6_S8_EES8_NS5_IlS8_EES8_jjPS6_PjSD_j, .Lfunc_end152-_ZN2at6native6mbtopk10gatherTopKIimLin1EEEvNS_4cuda6detail10TensorInfoIKT_T0_EES8_S8_bjS8_NS5_IS6_S8_EES8_NS5_IlS8_EES8_jjPS6_PjSD_j
                                        ; -- End function
	.set _ZN2at6native6mbtopk10gatherTopKIimLin1EEEvNS_4cuda6detail10TensorInfoIKT_T0_EES8_S8_bjS8_NS5_IS6_S8_EES8_NS5_IlS8_EES8_jjPS6_PjSD_j.num_vgpr, 24
	.set _ZN2at6native6mbtopk10gatherTopKIimLin1EEEvNS_4cuda6detail10TensorInfoIKT_T0_EES8_S8_bjS8_NS5_IS6_S8_EES8_NS5_IlS8_EES8_jjPS6_PjSD_j.num_agpr, 0
	.set _ZN2at6native6mbtopk10gatherTopKIimLin1EEEvNS_4cuda6detail10TensorInfoIKT_T0_EES8_S8_bjS8_NS5_IS6_S8_EES8_NS5_IlS8_EES8_jjPS6_PjSD_j.numbered_sgpr, 49
	.set _ZN2at6native6mbtopk10gatherTopKIimLin1EEEvNS_4cuda6detail10TensorInfoIKT_T0_EES8_S8_bjS8_NS5_IS6_S8_EES8_NS5_IlS8_EES8_jjPS6_PjSD_j.num_named_barrier, 0
	.set _ZN2at6native6mbtopk10gatherTopKIimLin1EEEvNS_4cuda6detail10TensorInfoIKT_T0_EES8_S8_bjS8_NS5_IS6_S8_EES8_NS5_IlS8_EES8_jjPS6_PjSD_j.private_seg_size, 0
	.set _ZN2at6native6mbtopk10gatherTopKIimLin1EEEvNS_4cuda6detail10TensorInfoIKT_T0_EES8_S8_bjS8_NS5_IS6_S8_EES8_NS5_IlS8_EES8_jjPS6_PjSD_j.uses_vcc, 1
	.set _ZN2at6native6mbtopk10gatherTopKIimLin1EEEvNS_4cuda6detail10TensorInfoIKT_T0_EES8_S8_bjS8_NS5_IS6_S8_EES8_NS5_IlS8_EES8_jjPS6_PjSD_j.uses_flat_scratch, 0
	.set _ZN2at6native6mbtopk10gatherTopKIimLin1EEEvNS_4cuda6detail10TensorInfoIKT_T0_EES8_S8_bjS8_NS5_IS6_S8_EES8_NS5_IlS8_EES8_jjPS6_PjSD_j.has_dyn_sized_stack, 0
	.set _ZN2at6native6mbtopk10gatherTopKIimLin1EEEvNS_4cuda6detail10TensorInfoIKT_T0_EES8_S8_bjS8_NS5_IS6_S8_EES8_NS5_IlS8_EES8_jjPS6_PjSD_j.has_recursion, 0
	.set _ZN2at6native6mbtopk10gatherTopKIimLin1EEEvNS_4cuda6detail10TensorInfoIKT_T0_EES8_S8_bjS8_NS5_IS6_S8_EES8_NS5_IlS8_EES8_jjPS6_PjSD_j.has_indirect_call, 0
	.section	.AMDGPU.csdata,"",@progbits
; Kernel info:
; codeLenInByte = 3336
; TotalNumSgprs: 51
; NumVgprs: 24
; ScratchSize: 0
; MemoryBound: 0
; FloatMode: 240
; IeeeMode: 1
; LDSByteSize: 1068 bytes/workgroup (compile time only)
; SGPRBlocks: 0
; VGPRBlocks: 1
; NumSGPRsForWavesPerEU: 51
; NumVGPRsForWavesPerEU: 24
; NamedBarCnt: 0
; Occupancy: 16
; WaveLimiterHint : 1
; COMPUTE_PGM_RSRC2:SCRATCH_EN: 0
; COMPUTE_PGM_RSRC2:USER_SGPR: 2
; COMPUTE_PGM_RSRC2:TRAP_HANDLER: 0
; COMPUTE_PGM_RSRC2:TGID_X_EN: 1
; COMPUTE_PGM_RSRC2:TGID_Y_EN: 1
; COMPUTE_PGM_RSRC2:TGID_Z_EN: 1
; COMPUTE_PGM_RSRC2:TIDIG_COMP_CNT: 0
	.section	.text._ZN2at6native6sbtopk10gatherTopKIimLin1ELb0EEEvNS_4cuda6detail10TensorInfoIKT_T0_EES8_S8_bS8_S8_NS5_IS6_S8_EES8_NS5_IlS8_EES8_PS6_,"axG",@progbits,_ZN2at6native6sbtopk10gatherTopKIimLin1ELb0EEEvNS_4cuda6detail10TensorInfoIKT_T0_EES8_S8_bS8_S8_NS5_IS6_S8_EES8_NS5_IlS8_EES8_PS6_,comdat
	.protected	_ZN2at6native6sbtopk10gatherTopKIimLin1ELb0EEEvNS_4cuda6detail10TensorInfoIKT_T0_EES8_S8_bS8_S8_NS5_IS6_S8_EES8_NS5_IlS8_EES8_PS6_ ; -- Begin function _ZN2at6native6sbtopk10gatherTopKIimLin1ELb0EEEvNS_4cuda6detail10TensorInfoIKT_T0_EES8_S8_bS8_S8_NS5_IS6_S8_EES8_NS5_IlS8_EES8_PS6_
	.globl	_ZN2at6native6sbtopk10gatherTopKIimLin1ELb0EEEvNS_4cuda6detail10TensorInfoIKT_T0_EES8_S8_bS8_S8_NS5_IS6_S8_EES8_NS5_IlS8_EES8_PS6_
	.p2align	8
	.type	_ZN2at6native6sbtopk10gatherTopKIimLin1ELb0EEEvNS_4cuda6detail10TensorInfoIKT_T0_EES8_S8_bS8_S8_NS5_IS6_S8_EES8_NS5_IlS8_EES8_PS6_,@function
_ZN2at6native6sbtopk10gatherTopKIimLin1ELb0EEEvNS_4cuda6detail10TensorInfoIKT_T0_EES8_S8_bS8_S8_NS5_IS6_S8_EES8_NS5_IlS8_EES8_PS6_: ; @_ZN2at6native6sbtopk10gatherTopKIimLin1ELb0EEEvNS_4cuda6detail10TensorInfoIKT_T0_EES8_S8_bS8_S8_NS5_IS6_S8_EES8_NS5_IlS8_EES8_PS6_
; %bb.0:
	s_clause 0x1
	s_load_b128 s[28:31], s[0:1], 0x1b8
	s_load_b64 s[8:9], s[0:1], 0x520
	s_bfe_u32 s2, ttmp6, 0x40010
	s_and_b32 s3, ttmp7, 0xffff
	s_add_co_i32 s2, s2, 1
	s_bfe_u32 s5, ttmp6, 0x4000c
	s_mul_i32 s2, s3, s2
	s_bfe_u32 s4, ttmp6, 0x40004
	s_add_co_i32 s5, s5, 1
	s_bfe_u32 s6, ttmp6, 0x40014
	s_add_co_i32 s4, s4, s2
	s_and_b32 s2, ttmp6, 15
	s_mul_i32 s5, ttmp9, s5
	s_lshr_b32 s7, ttmp7, 16
	s_add_co_i32 s6, s6, 1
	s_add_co_i32 s2, s2, s5
	s_mul_i32 s5, s7, s6
	s_bfe_u32 s6, ttmp6, 0x40008
	s_getreg_b32 s10, hwreg(HW_REG_IB_STS2, 6, 4)
	s_add_co_i32 s6, s6, s5
	s_cmp_eq_u32 s10, 0
	s_cselect_b32 s5, s7, s6
	s_cselect_b32 s3, s3, s4
	s_wait_kmcnt 0x0
	s_mul_i32 s5, s9, s5
	s_cselect_b32 s9, ttmp9, s2
	s_add_co_i32 s2, s5, s3
	s_mov_b32 s5, 0
	s_mul_i32 s2, s2, s8
	s_delay_alu instid0(SALU_CYCLE_1) | instskip(NEXT) | instid1(SALU_CYCLE_1)
	s_add_co_i32 s4, s2, s9
	v_cmp_le_u64_e64 s2, s[28:29], s[4:5]
	s_and_b32 vcc_lo, exec_lo, s2
	s_cbranch_vccnz .LBB153_498
; %bb.1:
	s_load_b32 s12, s[0:1], 0x198
	s_mov_b64 s[2:3], 0
	s_mov_b64 s[6:7], s[4:5]
	s_wait_kmcnt 0x0
	s_cmp_lt_i32 s12, 2
	s_cbranch_scc1 .LBB153_9
; %bb.2:
	s_add_co_i32 s10, s12, -1
	s_mov_b32 s11, 0
	s_add_co_i32 s18, s12, 1
	s_lshl_b64 s[2:3], s[10:11], 3
	s_mov_b64 s[14:15], s[4:5]
	s_add_nc_u64 s[6:7], s[0:1], s[2:3]
	s_mov_b64 s[2:3], 0
	s_add_nc_u64 s[12:13], s[6:7], 8
.LBB153_3:                              ; =>This Inner Loop Header: Depth=1
	s_load_b64 s[16:17], s[12:13], 0x0
	s_mov_b32 s10, -1
	s_wait_kmcnt 0x0
	s_or_b64 s[6:7], s[14:15], s[16:17]
	s_delay_alu instid0(SALU_CYCLE_1) | instskip(NEXT) | instid1(SALU_CYCLE_1)
	s_and_b64 s[6:7], s[6:7], 0xffffffff00000000
	s_cmp_lg_u64 s[6:7], 0
                                        ; implicit-def: $sgpr6_sgpr7
	s_cbranch_scc0 .LBB153_5
; %bb.4:                                ;   in Loop: Header=BB153_3 Depth=1
	s_cvt_f32_u32 s6, s16
	s_cvt_f32_u32 s7, s17
	s_sub_nc_u64 s[20:21], 0, s[16:17]
	s_delay_alu instid0(SALU_CYCLE_2) | instskip(NEXT) | instid1(SALU_CYCLE_3)
	s_fmamk_f32 s6, s7, 0x4f800000, s6
	v_s_rcp_f32 s6, s6
	s_delay_alu instid0(TRANS32_DEP_1) | instskip(NEXT) | instid1(SALU_CYCLE_3)
	s_mul_f32 s6, s6, 0x5f7ffffc
	s_mul_f32 s7, s6, 0x2f800000
	s_delay_alu instid0(SALU_CYCLE_3) | instskip(NEXT) | instid1(SALU_CYCLE_3)
	s_trunc_f32 s7, s7
	s_fmamk_f32 s6, s7, 0xcf800000, s6
	s_cvt_u32_f32 s7, s7
	s_delay_alu instid0(SALU_CYCLE_2) | instskip(NEXT) | instid1(SALU_CYCLE_3)
	s_cvt_u32_f32 s6, s6
	s_mul_u64 s[22:23], s[20:21], s[6:7]
	s_delay_alu instid0(SALU_CYCLE_1)
	s_mul_hi_u32 s25, s6, s23
	s_mul_i32 s24, s6, s23
	s_mul_hi_u32 s10, s6, s22
	s_mul_i32 s26, s7, s22
	s_add_nc_u64 s[24:25], s[10:11], s[24:25]
	s_mul_hi_u32 s19, s7, s22
	s_mul_hi_u32 s27, s7, s23
	s_add_co_u32 s10, s24, s26
	s_add_co_ci_u32 s10, s25, s19
	s_mul_i32 s22, s7, s23
	s_add_co_ci_u32 s23, s27, 0
	s_delay_alu instid0(SALU_CYCLE_1) | instskip(NEXT) | instid1(SALU_CYCLE_1)
	s_add_nc_u64 s[22:23], s[10:11], s[22:23]
	s_add_co_u32 s6, s6, s22
	s_cselect_b32 s10, -1, 0
	s_delay_alu instid0(SALU_CYCLE_1) | instskip(SKIP_1) | instid1(SALU_CYCLE_1)
	s_cmp_lg_u32 s10, 0
	s_add_co_ci_u32 s7, s7, s23
	s_mul_u64 s[20:21], s[20:21], s[6:7]
	s_delay_alu instid0(SALU_CYCLE_1)
	s_mul_hi_u32 s23, s6, s21
	s_mul_i32 s22, s6, s21
	s_mul_hi_u32 s10, s6, s20
	s_mul_i32 s24, s7, s20
	s_add_nc_u64 s[22:23], s[10:11], s[22:23]
	s_mul_hi_u32 s19, s7, s20
	s_mul_hi_u32 s25, s7, s21
	s_add_co_u32 s10, s22, s24
	s_add_co_ci_u32 s10, s23, s19
	s_mul_i32 s20, s7, s21
	s_add_co_ci_u32 s21, s25, 0
	s_delay_alu instid0(SALU_CYCLE_1) | instskip(NEXT) | instid1(SALU_CYCLE_1)
	s_add_nc_u64 s[20:21], s[10:11], s[20:21]
	s_add_co_u32 s6, s6, s20
	s_cselect_b32 s19, -1, 0
	s_mul_hi_u32 s10, s14, s6
	s_cmp_lg_u32 s19, 0
	s_mul_hi_u32 s19, s15, s6
	s_add_co_ci_u32 s20, s7, s21
	s_mul_i32 s21, s15, s6
	s_mul_hi_u32 s7, s14, s20
	s_mul_i32 s6, s14, s20
	s_mul_hi_u32 s22, s15, s20
	s_add_nc_u64 s[6:7], s[10:11], s[6:7]
	s_mul_i32 s20, s15, s20
	s_add_co_u32 s6, s6, s21
	s_add_co_ci_u32 s10, s7, s19
	s_add_co_ci_u32 s21, s22, 0
	s_delay_alu instid0(SALU_CYCLE_1) | instskip(NEXT) | instid1(SALU_CYCLE_1)
	s_add_nc_u64 s[6:7], s[10:11], s[20:21]
	s_and_b64 s[20:21], s[6:7], 0xffffffff00000000
	s_delay_alu instid0(SALU_CYCLE_1) | instskip(NEXT) | instid1(SALU_CYCLE_1)
	s_or_b32 s20, s20, s6
	s_mul_u64 s[6:7], s[16:17], s[20:21]
	s_delay_alu instid0(SALU_CYCLE_1)
	s_sub_co_u32 s6, s14, s6
	s_cselect_b32 s10, -1, 0
	s_sub_co_i32 s19, s15, s7
	s_cmp_lg_u32 s10, 0
	s_sub_co_ci_u32 s19, s19, s17
	s_sub_co_u32 s22, s6, s16
	s_cselect_b32 s23, -1, 0
	s_delay_alu instid0(SALU_CYCLE_1) | instskip(SKIP_1) | instid1(SALU_CYCLE_1)
	s_cmp_lg_u32 s23, 0
	s_sub_co_ci_u32 s19, s19, 0
	s_cmp_ge_u32 s19, s17
	s_cselect_b32 s24, -1, 0
	s_cmp_ge_u32 s22, s16
	s_add_nc_u64 s[22:23], s[20:21], 1
	s_cselect_b32 s25, -1, 0
	s_cmp_eq_u32 s19, s17
	s_cselect_b32 s19, s25, s24
	s_add_nc_u64 s[24:25], s[20:21], 2
	s_cmp_lg_u32 s19, 0
	s_cselect_b32 s19, s24, s22
	s_cselect_b32 s22, s25, s23
	s_cmp_lg_u32 s10, 0
	s_sub_co_ci_u32 s7, s15, s7
	s_delay_alu instid0(SALU_CYCLE_1)
	s_cmp_ge_u32 s7, s17
	s_cselect_b32 s10, -1, 0
	s_cmp_ge_u32 s6, s16
	s_cselect_b32 s6, -1, 0
	s_cmp_eq_u32 s7, s17
	s_cselect_b32 s6, s6, s10
	s_mov_b32 s10, 0
	s_cmp_lg_u32 s6, 0
	s_cselect_b32 s7, s22, s21
	s_cselect_b32 s6, s19, s20
.LBB153_5:                              ;   in Loop: Header=BB153_3 Depth=1
	s_and_not1_b32 vcc_lo, exec_lo, s10
	s_cbranch_vccnz .LBB153_7
; %bb.6:                                ;   in Loop: Header=BB153_3 Depth=1
	v_cvt_f32_u32_e32 v1, s16
	s_sub_co_i32 s7, 0, s16
	s_delay_alu instid0(VALU_DEP_1) | instskip(SKIP_1) | instid1(TRANS32_DEP_1)
	v_rcp_iflag_f32_e32 v1, v1
	v_nop
	v_mul_f32_e32 v1, 0x4f7ffffe, v1
	s_delay_alu instid0(VALU_DEP_1) | instskip(NEXT) | instid1(VALU_DEP_1)
	v_cvt_u32_f32_e32 v1, v1
	v_readfirstlane_b32 s6, v1
	s_mul_i32 s7, s7, s6
	s_delay_alu instid0(SALU_CYCLE_1) | instskip(NEXT) | instid1(SALU_CYCLE_1)
	s_mul_hi_u32 s7, s6, s7
	s_add_co_i32 s6, s6, s7
	s_delay_alu instid0(SALU_CYCLE_1) | instskip(NEXT) | instid1(SALU_CYCLE_1)
	s_mul_hi_u32 s6, s14, s6
	s_mul_i32 s7, s6, s16
	s_add_co_i32 s10, s6, 1
	s_sub_co_i32 s7, s14, s7
	s_delay_alu instid0(SALU_CYCLE_1)
	s_sub_co_i32 s19, s7, s16
	s_cmp_ge_u32 s7, s16
	s_cselect_b32 s6, s10, s6
	s_cselect_b32 s7, s19, s7
	s_add_co_i32 s10, s6, 1
	s_cmp_ge_u32 s7, s16
	s_cselect_b32 s10, s10, s6
	s_delay_alu instid0(SALU_CYCLE_1)
	s_mov_b64 s[6:7], s[10:11]
.LBB153_7:                              ;   in Loop: Header=BB153_3 Depth=1
	s_load_b64 s[20:21], s[12:13], 0xc8
	s_mul_u64 s[16:17], s[6:7], s[16:17]
	s_add_co_i32 s18, s18, -1
	s_sub_nc_u64 s[14:15], s[14:15], s[16:17]
	s_cmp_gt_u32 s18, 2
	s_wait_xcnt 0x0
	s_add_nc_u64 s[12:13], s[12:13], -8
	s_wait_kmcnt 0x0
	s_mul_u64 s[14:15], s[20:21], s[14:15]
	s_delay_alu instid0(SALU_CYCLE_1)
	s_add_nc_u64 s[2:3], s[14:15], s[2:3]
	s_cbranch_scc0 .LBB153_9
; %bb.8:                                ;   in Loop: Header=BB153_3 Depth=1
	s_mov_b64 s[14:15], s[6:7]
	s_branch .LBB153_3
.LBB153_9:
	s_load_b32 s16, s[0:1], 0x360
	s_add_nc_u64 s[10:11], s[0:1], 0x520
	s_add_nc_u64 s[12:13], s[0:1], 0x1c8
	s_mov_b64 s[34:35], 0
	s_mov_b64 s[42:43], s[4:5]
	s_wait_kmcnt 0x0
	s_cmp_lt_i32 s16, 2
	s_cbranch_scc1 .LBB153_17
; %bb.10:
	s_add_co_i32 s14, s16, -1
	s_mov_b32 s15, 0
	s_add_co_i32 s22, s16, 1
	s_lshl_b64 s[18:19], s[14:15], 3
	s_delay_alu instid0(SALU_CYCLE_1)
	s_add_nc_u64 s[16:17], s[12:13], s[18:19]
	s_mov_b64 s[18:19], s[4:5]
	s_add_nc_u64 s[16:17], s[16:17], 8
.LBB153_11:                             ; =>This Inner Loop Header: Depth=1
	s_load_b64 s[20:21], s[16:17], 0x0
	s_mov_b32 s14, -1
                                        ; implicit-def: $sgpr42_sgpr43
	s_wait_kmcnt 0x0
	s_or_b64 s[24:25], s[18:19], s[20:21]
	s_delay_alu instid0(SALU_CYCLE_1) | instskip(NEXT) | instid1(SALU_CYCLE_1)
	s_and_b64 s[24:25], s[24:25], 0xffffffff00000000
	s_cmp_lg_u64 s[24:25], 0
	s_cbranch_scc0 .LBB153_13
; %bb.12:                               ;   in Loop: Header=BB153_11 Depth=1
	s_cvt_f32_u32 s14, s20
	s_cvt_f32_u32 s23, s21
	s_sub_nc_u64 s[26:27], 0, s[20:21]
	s_delay_alu instid0(SALU_CYCLE_2) | instskip(NEXT) | instid1(SALU_CYCLE_3)
	s_fmamk_f32 s14, s23, 0x4f800000, s14
	v_s_rcp_f32 s14, s14
	s_delay_alu instid0(TRANS32_DEP_1) | instskip(NEXT) | instid1(SALU_CYCLE_3)
	s_mul_f32 s14, s14, 0x5f7ffffc
	s_mul_f32 s23, s14, 0x2f800000
	s_delay_alu instid0(SALU_CYCLE_3) | instskip(NEXT) | instid1(SALU_CYCLE_3)
	s_trunc_f32 s23, s23
	s_fmamk_f32 s14, s23, 0xcf800000, s14
	s_cvt_u32_f32 s25, s23
	s_delay_alu instid0(SALU_CYCLE_2) | instskip(NEXT) | instid1(SALU_CYCLE_3)
	s_cvt_u32_f32 s24, s14
	s_mul_u64 s[28:29], s[26:27], s[24:25]
	s_delay_alu instid0(SALU_CYCLE_1)
	s_mul_hi_u32 s37, s24, s29
	s_mul_i32 s36, s24, s29
	s_mul_hi_u32 s14, s24, s28
	s_mul_i32 s33, s25, s28
	s_add_nc_u64 s[36:37], s[14:15], s[36:37]
	s_mul_hi_u32 s23, s25, s28
	s_mul_hi_u32 s38, s25, s29
	s_add_co_u32 s14, s36, s33
	s_add_co_ci_u32 s14, s37, s23
	s_mul_i32 s28, s25, s29
	s_add_co_ci_u32 s29, s38, 0
	s_delay_alu instid0(SALU_CYCLE_1) | instskip(NEXT) | instid1(SALU_CYCLE_1)
	s_add_nc_u64 s[28:29], s[14:15], s[28:29]
	s_add_co_u32 s24, s24, s28
	s_cselect_b32 s14, -1, 0
	s_delay_alu instid0(SALU_CYCLE_1) | instskip(SKIP_1) | instid1(SALU_CYCLE_1)
	s_cmp_lg_u32 s14, 0
	s_add_co_ci_u32 s25, s25, s29
	s_mul_u64 s[26:27], s[26:27], s[24:25]
	s_delay_alu instid0(SALU_CYCLE_1)
	s_mul_hi_u32 s29, s24, s27
	s_mul_i32 s28, s24, s27
	s_mul_hi_u32 s14, s24, s26
	s_mul_i32 s33, s25, s26
	s_add_nc_u64 s[28:29], s[14:15], s[28:29]
	s_mul_hi_u32 s23, s25, s26
	s_mul_hi_u32 s36, s25, s27
	s_add_co_u32 s14, s28, s33
	s_add_co_ci_u32 s14, s29, s23
	s_mul_i32 s26, s25, s27
	s_add_co_ci_u32 s27, s36, 0
	s_delay_alu instid0(SALU_CYCLE_1) | instskip(NEXT) | instid1(SALU_CYCLE_1)
	s_add_nc_u64 s[26:27], s[14:15], s[26:27]
	s_add_co_u32 s23, s24, s26
	s_cselect_b32 s24, -1, 0
	s_mul_hi_u32 s14, s18, s23
	s_cmp_lg_u32 s24, 0
	s_mul_hi_u32 s28, s19, s23
	s_add_co_ci_u32 s26, s25, s27
	s_mul_i32 s23, s19, s23
	s_mul_hi_u32 s25, s18, s26
	s_mul_i32 s24, s18, s26
	s_mul_hi_u32 s27, s19, s26
	s_add_nc_u64 s[24:25], s[14:15], s[24:25]
	s_mul_i32 s26, s19, s26
	s_add_co_u32 s14, s24, s23
	s_add_co_ci_u32 s14, s25, s28
	s_add_co_ci_u32 s27, s27, 0
	s_delay_alu instid0(SALU_CYCLE_1) | instskip(NEXT) | instid1(SALU_CYCLE_1)
	s_add_nc_u64 s[24:25], s[14:15], s[26:27]
	s_and_b64 s[26:27], s[24:25], 0xffffffff00000000
	s_delay_alu instid0(SALU_CYCLE_1) | instskip(NEXT) | instid1(SALU_CYCLE_1)
	s_or_b32 s26, s26, s24
	s_mul_u64 s[24:25], s[20:21], s[26:27]
	s_delay_alu instid0(SALU_CYCLE_1)
	s_sub_co_u32 s14, s18, s24
	s_cselect_b32 s23, -1, 0
	s_sub_co_i32 s24, s19, s25
	s_cmp_lg_u32 s23, 0
	s_sub_co_ci_u32 s24, s24, s21
	s_sub_co_u32 s28, s14, s20
	s_cselect_b32 s29, -1, 0
	s_delay_alu instid0(SALU_CYCLE_1) | instskip(SKIP_1) | instid1(SALU_CYCLE_1)
	s_cmp_lg_u32 s29, 0
	s_sub_co_ci_u32 s24, s24, 0
	s_cmp_ge_u32 s24, s21
	s_cselect_b32 s33, -1, 0
	s_cmp_ge_u32 s28, s20
	s_add_nc_u64 s[28:29], s[26:27], 1
	s_cselect_b32 s36, -1, 0
	s_cmp_eq_u32 s24, s21
	s_cselect_b32 s24, s36, s33
	s_add_nc_u64 s[36:37], s[26:27], 2
	s_cmp_lg_u32 s24, 0
	s_cselect_b32 s24, s36, s28
	s_cselect_b32 s28, s37, s29
	s_cmp_lg_u32 s23, 0
	s_sub_co_ci_u32 s23, s19, s25
	s_delay_alu instid0(SALU_CYCLE_1)
	s_cmp_ge_u32 s23, s21
	s_cselect_b32 s25, -1, 0
	s_cmp_ge_u32 s14, s20
	s_cselect_b32 s14, -1, 0
	s_cmp_eq_u32 s23, s21
	s_cselect_b32 s14, s14, s25
	s_delay_alu instid0(SALU_CYCLE_1)
	s_cmp_lg_u32 s14, 0
	s_mov_b32 s14, 0
	s_cselect_b32 s43, s28, s27
	s_cselect_b32 s42, s24, s26
.LBB153_13:                             ;   in Loop: Header=BB153_11 Depth=1
	s_and_not1_b32 vcc_lo, exec_lo, s14
	s_cbranch_vccnz .LBB153_15
; %bb.14:                               ;   in Loop: Header=BB153_11 Depth=1
	v_cvt_f32_u32_e32 v1, s20
	s_sub_co_i32 s23, 0, s20
	s_delay_alu instid0(VALU_DEP_1) | instskip(SKIP_1) | instid1(TRANS32_DEP_1)
	v_rcp_iflag_f32_e32 v1, v1
	v_nop
	v_mul_f32_e32 v1, 0x4f7ffffe, v1
	s_delay_alu instid0(VALU_DEP_1) | instskip(NEXT) | instid1(VALU_DEP_1)
	v_cvt_u32_f32_e32 v1, v1
	v_readfirstlane_b32 s14, v1
	s_mul_i32 s23, s23, s14
	s_delay_alu instid0(SALU_CYCLE_1) | instskip(NEXT) | instid1(SALU_CYCLE_1)
	s_mul_hi_u32 s23, s14, s23
	s_add_co_i32 s14, s14, s23
	s_delay_alu instid0(SALU_CYCLE_1) | instskip(NEXT) | instid1(SALU_CYCLE_1)
	s_mul_hi_u32 s14, s18, s14
	s_mul_i32 s23, s14, s20
	s_add_co_i32 s24, s14, 1
	s_sub_co_i32 s23, s18, s23
	s_delay_alu instid0(SALU_CYCLE_1)
	s_sub_co_i32 s25, s23, s20
	s_cmp_ge_u32 s23, s20
	s_cselect_b32 s14, s24, s14
	s_cselect_b32 s23, s25, s23
	s_add_co_i32 s24, s14, 1
	s_cmp_ge_u32 s23, s20
	s_cselect_b32 s14, s24, s14
	s_delay_alu instid0(SALU_CYCLE_1)
	s_mov_b64 s[42:43], s[14:15]
.LBB153_15:                             ;   in Loop: Header=BB153_11 Depth=1
	s_load_b64 s[24:25], s[16:17], 0xc8
	s_mul_u64 s[20:21], s[42:43], s[20:21]
	s_add_co_i32 s22, s22, -1
	s_sub_nc_u64 s[18:19], s[18:19], s[20:21]
	s_cmp_gt_u32 s22, 2
	s_wait_xcnt 0x0
	s_add_nc_u64 s[16:17], s[16:17], -8
	s_wait_kmcnt 0x0
	s_mul_u64 s[18:19], s[24:25], s[18:19]
	s_delay_alu instid0(SALU_CYCLE_1)
	s_add_nc_u64 s[34:35], s[18:19], s[34:35]
	s_cbranch_scc0 .LBB153_17
; %bb.16:                               ;   in Loop: Header=BB153_11 Depth=1
	s_mov_b64 s[18:19], s[42:43]
	s_branch .LBB153_11
.LBB153_17:
	s_clause 0x1
	s_load_b64 s[14:15], s[0:1], 0xd0
	s_load_b32 s18, s[0:1], 0x508
	s_mov_b64 s[46:47], 0
	s_wait_kmcnt 0x0
	s_cmp_lt_i32 s18, 2
	s_cbranch_scc1 .LBB153_25
; %bb.18:
	s_add_co_i32 s16, s18, -1
	s_mov_b32 s17, 0
	s_add_nc_u64 s[20:21], s[0:1], 0x370
	s_lshl_b64 s[22:23], s[16:17], 3
	s_delay_alu instid0(SALU_CYCLE_1)
	s_add_nc_u64 s[20:21], s[20:21], s[22:23]
	s_add_co_i32 s22, s18, 1
	s_add_nc_u64 s[18:19], s[20:21], 8
.LBB153_19:                             ; =>This Inner Loop Header: Depth=1
	s_load_b64 s[20:21], s[18:19], 0x0
	s_mov_b32 s16, -1
                                        ; implicit-def: $sgpr48_sgpr49
	s_wait_kmcnt 0x0
	s_or_b64 s[24:25], s[4:5], s[20:21]
	s_delay_alu instid0(SALU_CYCLE_1) | instskip(NEXT) | instid1(SALU_CYCLE_1)
	s_and_b64 s[24:25], s[24:25], 0xffffffff00000000
	s_cmp_lg_u64 s[24:25], 0
	s_cbranch_scc0 .LBB153_21
; %bb.20:                               ;   in Loop: Header=BB153_19 Depth=1
	s_cvt_f32_u32 s16, s20
	s_cvt_f32_u32 s23, s21
	s_sub_nc_u64 s[26:27], 0, s[20:21]
	s_delay_alu instid0(SALU_CYCLE_2) | instskip(NEXT) | instid1(SALU_CYCLE_3)
	s_fmamk_f32 s16, s23, 0x4f800000, s16
	v_s_rcp_f32 s16, s16
	s_delay_alu instid0(TRANS32_DEP_1) | instskip(NEXT) | instid1(SALU_CYCLE_3)
	s_mul_f32 s16, s16, 0x5f7ffffc
	s_mul_f32 s23, s16, 0x2f800000
	s_delay_alu instid0(SALU_CYCLE_3) | instskip(NEXT) | instid1(SALU_CYCLE_3)
	s_trunc_f32 s23, s23
	s_fmamk_f32 s16, s23, 0xcf800000, s16
	s_cvt_u32_f32 s25, s23
	s_delay_alu instid0(SALU_CYCLE_2) | instskip(NEXT) | instid1(SALU_CYCLE_3)
	s_cvt_u32_f32 s24, s16
	s_mul_u64 s[28:29], s[26:27], s[24:25]
	s_delay_alu instid0(SALU_CYCLE_1)
	s_mul_hi_u32 s37, s24, s29
	s_mul_i32 s36, s24, s29
	s_mul_hi_u32 s16, s24, s28
	s_mul_i32 s33, s25, s28
	s_add_nc_u64 s[36:37], s[16:17], s[36:37]
	s_mul_hi_u32 s23, s25, s28
	s_mul_hi_u32 s38, s25, s29
	s_add_co_u32 s16, s36, s33
	s_add_co_ci_u32 s16, s37, s23
	s_mul_i32 s28, s25, s29
	s_add_co_ci_u32 s29, s38, 0
	s_delay_alu instid0(SALU_CYCLE_1) | instskip(NEXT) | instid1(SALU_CYCLE_1)
	s_add_nc_u64 s[28:29], s[16:17], s[28:29]
	s_add_co_u32 s24, s24, s28
	s_cselect_b32 s16, -1, 0
	s_delay_alu instid0(SALU_CYCLE_1) | instskip(SKIP_1) | instid1(SALU_CYCLE_1)
	s_cmp_lg_u32 s16, 0
	s_add_co_ci_u32 s25, s25, s29
	s_mul_u64 s[26:27], s[26:27], s[24:25]
	s_delay_alu instid0(SALU_CYCLE_1)
	s_mul_hi_u32 s29, s24, s27
	s_mul_i32 s28, s24, s27
	s_mul_hi_u32 s16, s24, s26
	s_mul_i32 s33, s25, s26
	s_add_nc_u64 s[28:29], s[16:17], s[28:29]
	s_mul_hi_u32 s23, s25, s26
	s_mul_hi_u32 s36, s25, s27
	s_add_co_u32 s16, s28, s33
	s_add_co_ci_u32 s16, s29, s23
	s_mul_i32 s26, s25, s27
	s_add_co_ci_u32 s27, s36, 0
	s_delay_alu instid0(SALU_CYCLE_1) | instskip(NEXT) | instid1(SALU_CYCLE_1)
	s_add_nc_u64 s[26:27], s[16:17], s[26:27]
	s_add_co_u32 s23, s24, s26
	s_cselect_b32 s24, -1, 0
	s_mul_hi_u32 s16, s4, s23
	s_cmp_lg_u32 s24, 0
	s_mul_hi_u32 s28, s5, s23
	s_add_co_ci_u32 s26, s25, s27
	s_mul_i32 s23, s5, s23
	s_mul_hi_u32 s25, s4, s26
	s_mul_i32 s24, s4, s26
	s_mul_hi_u32 s27, s5, s26
	s_add_nc_u64 s[24:25], s[16:17], s[24:25]
	s_mul_i32 s26, s5, s26
	s_add_co_u32 s16, s24, s23
	s_add_co_ci_u32 s16, s25, s28
	s_add_co_ci_u32 s27, s27, 0
	s_delay_alu instid0(SALU_CYCLE_1) | instskip(NEXT) | instid1(SALU_CYCLE_1)
	s_add_nc_u64 s[24:25], s[16:17], s[26:27]
	s_and_b64 s[26:27], s[24:25], 0xffffffff00000000
	s_delay_alu instid0(SALU_CYCLE_1) | instskip(NEXT) | instid1(SALU_CYCLE_1)
	s_or_b32 s26, s26, s24
	s_mul_u64 s[24:25], s[20:21], s[26:27]
	s_delay_alu instid0(SALU_CYCLE_1)
	s_sub_co_u32 s16, s4, s24
	s_cselect_b32 s23, -1, 0
	s_sub_co_i32 s24, s5, s25
	s_cmp_lg_u32 s23, 0
	s_sub_co_ci_u32 s24, s24, s21
	s_sub_co_u32 s28, s16, s20
	s_cselect_b32 s29, -1, 0
	s_delay_alu instid0(SALU_CYCLE_1) | instskip(SKIP_1) | instid1(SALU_CYCLE_1)
	s_cmp_lg_u32 s29, 0
	s_sub_co_ci_u32 s24, s24, 0
	s_cmp_ge_u32 s24, s21
	s_cselect_b32 s33, -1, 0
	s_cmp_ge_u32 s28, s20
	s_add_nc_u64 s[28:29], s[26:27], 1
	s_cselect_b32 s36, -1, 0
	s_cmp_eq_u32 s24, s21
	s_cselect_b32 s24, s36, s33
	s_add_nc_u64 s[36:37], s[26:27], 2
	s_cmp_lg_u32 s24, 0
	s_cselect_b32 s24, s36, s28
	s_cselect_b32 s28, s37, s29
	s_cmp_lg_u32 s23, 0
	s_sub_co_ci_u32 s23, s5, s25
	s_delay_alu instid0(SALU_CYCLE_1)
	s_cmp_ge_u32 s23, s21
	s_cselect_b32 s25, -1, 0
	s_cmp_ge_u32 s16, s20
	s_cselect_b32 s16, -1, 0
	s_cmp_eq_u32 s23, s21
	s_cselect_b32 s16, s16, s25
	s_delay_alu instid0(SALU_CYCLE_1)
	s_cmp_lg_u32 s16, 0
	s_mov_b32 s16, 0
	s_cselect_b32 s49, s28, s27
	s_cselect_b32 s48, s24, s26
.LBB153_21:                             ;   in Loop: Header=BB153_19 Depth=1
	s_and_not1_b32 vcc_lo, exec_lo, s16
	s_cbranch_vccnz .LBB153_23
; %bb.22:                               ;   in Loop: Header=BB153_19 Depth=1
	v_cvt_f32_u32_e32 v1, s20
	s_sub_co_i32 s23, 0, s20
	s_delay_alu instid0(VALU_DEP_1) | instskip(SKIP_1) | instid1(TRANS32_DEP_1)
	v_rcp_iflag_f32_e32 v1, v1
	v_nop
	v_mul_f32_e32 v1, 0x4f7ffffe, v1
	s_delay_alu instid0(VALU_DEP_1) | instskip(NEXT) | instid1(VALU_DEP_1)
	v_cvt_u32_f32_e32 v1, v1
	v_readfirstlane_b32 s16, v1
	s_mul_i32 s23, s23, s16
	s_delay_alu instid0(SALU_CYCLE_1) | instskip(NEXT) | instid1(SALU_CYCLE_1)
	s_mul_hi_u32 s23, s16, s23
	s_add_co_i32 s16, s16, s23
	s_delay_alu instid0(SALU_CYCLE_1) | instskip(NEXT) | instid1(SALU_CYCLE_1)
	s_mul_hi_u32 s16, s4, s16
	s_mul_i32 s23, s16, s20
	s_add_co_i32 s24, s16, 1
	s_sub_co_i32 s23, s4, s23
	s_delay_alu instid0(SALU_CYCLE_1)
	s_sub_co_i32 s25, s23, s20
	s_cmp_ge_u32 s23, s20
	s_cselect_b32 s16, s24, s16
	s_cselect_b32 s23, s25, s23
	s_add_co_i32 s24, s16, 1
	s_cmp_ge_u32 s23, s20
	s_cselect_b32 s16, s24, s16
	s_delay_alu instid0(SALU_CYCLE_1)
	s_mov_b64 s[48:49], s[16:17]
.LBB153_23:                             ;   in Loop: Header=BB153_19 Depth=1
	s_load_b64 s[24:25], s[18:19], 0xc8
	s_mul_u64 s[20:21], s[48:49], s[20:21]
	s_add_co_i32 s22, s22, -1
	s_sub_nc_u64 s[4:5], s[4:5], s[20:21]
	s_cmp_gt_u32 s22, 2
	s_wait_xcnt 0x0
	s_add_nc_u64 s[18:19], s[18:19], -8
	s_wait_kmcnt 0x0
	s_mul_u64 s[4:5], s[24:25], s[4:5]
	s_delay_alu instid0(SALU_CYCLE_1)
	s_add_nc_u64 s[46:47], s[4:5], s[46:47]
	s_cbranch_scc0 .LBB153_26
; %bb.24:                               ;   in Loop: Header=BB153_19 Depth=1
	s_mov_b64 s[4:5], s[48:49]
	s_branch .LBB153_19
.LBB153_25:
	s_mov_b64 s[48:49], s[4:5]
.LBB153_26:
	s_clause 0x1
	s_load_b64 s[4:5], s[12:13], 0xd0
	s_load_b128 s[36:39], s[0:1], 0x1a0
	s_wait_xcnt 0x0
	s_load_b64 s[12:13], s[0:1], 0x0
                                        ; implicit-def: $vgpr62 : SGPR spill to VGPR lane
	s_mov_b32 s29, 0
	s_wait_kmcnt 0x0
	v_writelane_b32 v62, s4, 0
	v_writelane_b32 v62, s5, 1
	v_cmp_eq_u32_e64 s5, 0, v0
	s_and_saveexec_b32 s4, s5
	s_cbranch_execz .LBB153_28
; %bb.27:
	v_dual_mov_b32 v2, 0 :: v_dual_mov_b32 v4, s36
	s_delay_alu instid0(VALU_DEP_1)
	v_dual_mov_b32 v5, s37 :: v_dual_mov_b32 v3, v2
	ds_store_b32 v2, v2 offset:5144
	ds_store_b128 v2, v[2:5] offset:5120
.LBB153_28:
	s_or_b32 exec_lo, exec_lo, s4
	s_lshl_b64 s[60:61], s[2:3], 2
	s_load_b64 s[2:3], s[0:1], 0x440
	v_dual_mov_b32 v3, 0 :: v_dual_add_nc_u32 v2, 2, v0
	s_wait_dscnt 0x0
	s_barrier_signal -1
	s_barrier_wait -1
	s_delay_alu instid0(VALU_DEP_1)
	v_max_u64 v[4:5], s[36:37], v[2:3]
	s_load_b32 s18, s[10:11], 0xc
	v_dual_mov_b32 v9, -1 :: v_dual_mov_b32 v17, v3
	v_not_b32_e32 v8, v0
	v_mbcnt_lo_u32_b32 v13, -1, 0
	s_mul_u64 s[14:15], s[14:15], s[6:7]
	v_cmp_gt_u32_e32 vcc_lo, 32, v0
	v_dual_mov_b32 v1, v3 :: v_dual_lshlrev_b32 v16, 2, v0
	s_delay_alu instid0(VALU_DEP_3)
	v_cmp_gt_i32_e64 s7, 4, v13
	s_lshl_b64 s[14:15], s[14:15], 2
	v_dual_mov_b32 v35, 0 :: v_dual_lshlrev_b32 v52, 4, v0
	s_wait_kmcnt 0x0
	v_writelane_b32 v62, s2, 2
	v_mul_u64_e32 v[6:7], s[30:31], v[0:1]
	s_add_nc_u64 s[16:17], s[12:13], s[14:15]
	s_load_b32 s4, s[0:1], 0x1b0
	v_dual_mov_b32 v53, 0 :: v_dual_bitop2_b32 v2, 12, v52 bitop3:0x54
	v_writelane_b32 v62, s3, 3
	s_load_b64 s[2:3], s[0:1], 0x1c8
	v_lshlrev_b64_e64 v[10:11], v13, -1
	s_delay_alu instid0(VALU_DEP_3)
	v_mad_nc_u64_u32 v[22:23], s30, v2, s[16:17]
	s_add_nc_u64 s[62:63], s[16:17], s[60:61]
	v_cmp_lt_u64_e64 s33, 0x300, s[36:37]
	s_movk_i32 s19, 0x3e0
	v_mov_b64_e32 v[36:37], s[38:39]
	s_mov_b32 s41, s29
	v_cmp_gt_u32_e64 s6, 2, v0
	v_not_b32_e32 v12, v10
	v_and_or_b32 v51, v0, s19, 0xc00
	v_add_nc_u64_e32 v[4:5], v[4:5], v[8:9]
	v_add_nc_u32_e32 v50, 0xc00, v16
	v_mad_u32 v23, s31, v2, v23
	v_lshl_or_b32 v54, v13, 3, 0xc00
	v_mov_b32_e32 v32, 1
	s_wait_kmcnt 0x0
	s_bitcmp1_b32 s4, 0
	s_mov_b32 s68, s30
	s_cselect_b32 s97, -1, 0
	s_and_b32 s94, vcc_lo, s7
	v_writelane_b32 v62, s2, 4
	v_cmp_lt_u64_e64 s7, 1, v[4:5]
	v_dual_mov_b32 v19, v5 :: v_dual_bitop2_b32 v18, -2, v4 bitop3:0x40
	s_and_b32 s40, s18, 0xffff
	v_writelane_b32 v62, s3, 5
	s_load_b64 s[2:3], s[0:1], 0x370
	s_bfe_u32 s4, s18, 0xb0005
	s_xor_b32 s95, s97, -1
	s_cmp_gt_u32 s40, 31
	v_lshlrev_b64_e32 v[8:9], 2, v[6:7]
	s_cselect_b32 s96, -1, 0
	s_cmp_lt_u32 s9, s8
	v_add_nc_u64_e32 v[20:21], v[18:19], v[0:1]
	s_cselect_b32 s28, 12, 18
	s_bfe_u32 s8, s40, 0x30005
	v_lshl_add_u64 v[28:29], v[6:7], 4, s[16:17]
	v_add_nc_u64_e32 v[14:15], s[62:63], v[8:9]
	s_add_nc_u64 s[64:65], s[40:41], -1
	s_mov_b32 s69, s31
	s_add_nc_u64 s[66:67], s[64:65], s[36:37]
	s_mov_b32 s103, 30
	s_mov_b32 s102, 0x4f800000
	s_add_nc_u64 s[78:79], s[10:11], s[28:29]
	s_mov_b32 s104, 0
	s_mov_b32 s52, 0
	s_wait_kmcnt 0x0
	v_writelane_b32 v62, s2, 6
                                        ; implicit-def: $vcc_hi
                                        ; implicit-def: $sgpr55
                                        ; implicit-def: $sgpr54
                                        ; implicit-def: $sgpr56
                                        ; implicit-def: $sgpr53
                                        ; implicit-def: $sgpr50
                                        ; implicit-def: $sgpr57
                                        ; implicit-def: $sgpr59
                                        ; implicit-def: $sgpr58
	v_mov_b32_e32 v55, 0
	v_writelane_b32 v62, s3, 7
	v_cmp_gt_u64_e64 s3, s[36:37], v[0:1]
	v_cmp_eq_u32_e64 s2, 0, v13
	v_writelane_b32 v62, s7, 8
	v_cmp_ne_u64_e64 s7, v[4:5], v[18:19]
	v_or_b32_e32 v4, 8, v52
	v_or_b32_e32 v5, 4, v52
	s_delay_alu instid0(VALU_DEP_2) | instskip(NEXT) | instid1(VALU_DEP_4)
	v_mad_nc_u64_u32 v[24:25], s30, v4, s[16:17]
	v_writelane_b32 v62, s7, 9
	s_add_co_i32 s7, s4, -1
	s_delay_alu instid0(VALU_DEP_3) | instskip(SKIP_1) | instid1(SALU_CYCLE_1)
	v_mad_nc_u64_u32 v[26:27], s30, v5, s[16:17]
	s_and_b32 s7, s7, 0xffff
	s_cmp_gt_u32 s7, 6
	v_writelane_b32 v62, s8, 10
	s_cselect_b32 s98, -1, 0
	s_and_b32 s99, s4, 0x7f8
	s_cmp_lg_u32 s8, 0
	s_add_nc_u64 s[8:9], s[14:15], s[60:61]
	s_cselect_b32 s100, -1, 0
	s_add_nc_u64 s[8:9], s[12:13], s[8:9]
	v_mad_u32 v25, s31, v4, v25
	v_writelane_b32 v62, s8, 11
	v_mad_u32 v27, s31, v5, v27
	s_lshl_b32 s101, s40, 2
	s_and_b64 s[76:77], s[36:37], 0xffffffff00000000
	v_writelane_b32 v62, s9, 12
	s_lshl_b64 s[8:9], s[30:31], 2
	s_delay_alu instid0(SALU_CYCLE_1) | instskip(SKIP_2) | instid1(SALU_CYCLE_1)
	v_writelane_b32 v62, s8, 13
	v_writelane_b32 v62, s9, 14
	s_lshl_b64 s[8:9], s[30:31], 4
	v_writelane_b32 v62, s8, 15
	v_writelane_b32 v62, s9, 16
	s_add_nc_u64 s[8:9], s[12:13], s[60:61]
	s_delay_alu instid0(SALU_CYCLE_1)
	s_add_nc_u64 s[12:13], s[8:9], s[14:15]
	s_mul_u64 s[8:9], s[30:31], s[40:41]
	v_writelane_b32 v62, s12, 17
	v_add_nc_u64_e32 v[30:31], s[12:13], v[8:9]
	s_lshl_b64 s[44:45], s[8:9], 2
                                        ; implicit-def: $sgpr8
	v_writelane_b32 v62, s13, 18
	s_branch .LBB153_31
.LBB153_29:                             ;   in Loop: Header=BB153_31 Depth=1
	s_or_b32 exec_lo, exec_lo, s10
	v_mov_b64_e32 v[36:37], v[4:5]
	s_and_not1_b32 s10, s58, exec_lo
	s_and_b32 s9, s9, exec_lo
	s_and_not1_b32 s59, s59, exec_lo
	s_or_b32 s58, s10, s9
	s_and_not1_b32 s57, s57, exec_lo
	s_and_not1_b32 s50, s50, exec_lo
	;; [unrolled: 1-line block ×3, first 2 shown]
	s_or_not1_b32 s7, s7, exec_lo
.LBB153_30:                             ;   in Loop: Header=BB153_31 Depth=1
	s_or_b32 exec_lo, exec_lo, s4
	s_delay_alu instid0(SALU_CYCLE_1) | instskip(NEXT) | instid1(SALU_CYCLE_1)
	s_and_b32 s4, exec_lo, s7
	s_or_b32 s104, s4, s104
	s_and_not1_b32 s4, s53, exec_lo
	s_and_b32 s7, s58, exec_lo
	s_and_not1_b32 s9, s56, exec_lo
	s_or_b32 s53, s4, s7
	s_and_b32 s4, s59, exec_lo
	s_and_not1_b32 s7, s54, exec_lo
	s_and_b32 s10, s57, exec_lo
	s_or_b32 s56, s9, s4
	s_or_b32 s54, s7, s10
	s_and_not1_b32 s4, s55, exec_lo
	s_and_b32 s7, s50, exec_lo
	s_and_not1_b32 s9, vcc_hi, exec_lo
	s_and_b32 s10, s8, exec_lo
	s_or_b32 s55, s4, s7
	s_or_b32 vcc_hi, s9, s10
	s_and_not1_b32 exec_lo, exec_lo, s104
	s_cbranch_execz .LBB153_494
.LBB153_31:                             ; =>This Loop Header: Depth=1
                                        ;     Child Loop BB153_37 Depth 2
                                        ;     Child Loop BB153_51 Depth 2
                                        ;     Child Loop BB153_55 Depth 2
                                        ;     Child Loop BB153_90 Depth 2
                                        ;     Child Loop BB153_94 Depth 2
                                        ;     Child Loop BB153_79 Depth 2
                                        ;     Child Loop BB153_84 Depth 2
                                        ;     Child Loop BB153_72 Depth 2
                                        ;     Child Loop BB153_100 Depth 2
                                        ;     Child Loop BB153_114 Depth 2
                                        ;     Child Loop BB153_131 Depth 2
                                        ;     Child Loop BB153_160 Depth 2
                                        ;     Child Loop BB153_176 Depth 2
                                        ;     Child Loop BB153_205 Depth 2
                                        ;     Child Loop BB153_221 Depth 2
                                        ;     Child Loop BB153_254 Depth 2
                                        ;     Child Loop BB153_270 Depth 2
                                        ;     Child Loop BB153_309 Depth 2
                                        ;     Child Loop BB153_324 Depth 2
                                        ;     Child Loop BB153_353 Depth 2
                                        ;     Child Loop BB153_369 Depth 2
                                        ;     Child Loop BB153_398 Depth 2
                                        ;     Child Loop BB153_414 Depth 2
                                        ;     Child Loop BB153_447 Depth 2
                                        ;     Child Loop BB153_463 Depth 2
	ds_load_b128 v[4:7], v3 offset:5120
	s_wait_dscnt 0x0
	v_readfirstlane_b32 s81, v5
	v_readfirstlane_b32 s80, v4
	s_cmp_lg_u64 s[80:81], 0
	s_cbranch_scc1 .LBB153_64
; %bb.32:                               ;   in Loop: Header=BB153_31 Depth=1
	s_and_b32 vcc_lo, exec_lo, s33
	s_cbranch_vccz .LBB153_45
; %bb.33:                               ;   in Loop: Header=BB153_31 Depth=1
	v_cmp_gt_u64_e32 vcc_lo, 0x301, v[6:7]
	s_mov_b32 s4, 0
	s_mov_b32 s7, 0
	s_cbranch_vccz .LBB153_46
; %bb.34:                               ;   in Loop: Header=BB153_31 Depth=1
	s_and_saveexec_b32 s7, s3
	s_cbranch_execz .LBB153_118
; %bb.35:                               ;   in Loop: Header=BB153_31 Depth=1
	global_load_u16 v2, v3, s[78:79]
	global_load_b32 v10, v[14:15], off
	v_readlane_b32 s12, v62, 13
	v_readlane_b32 s13, v62, 14
	;; [unrolled: 1-line block ×4, first 2 shown]
	s_wait_loadcnt 0x1
	v_and_b32_e32 v2, 0xffff, v2
	s_delay_alu instid0(VALU_DEP_1) | instskip(SKIP_1) | instid1(VALU_DEP_1)
	v_mul_u64_e32 v[4:5], s[12:13], v[2:3]
	v_add_nc_u32_e32 v8, v0, v2
	v_mad_nc_u64_u32 v[6:7], s12, v8, s[10:11]
	s_mov_b32 s11, 0
	s_delay_alu instid0(VALU_DEP_1)
	v_mad_u32 v7, s13, v8, v7
	v_mov_b64_e32 v[8:9], v[0:1]
	s_branch .LBB153_37
.LBB153_36:                             ;   in Loop: Header=BB153_37 Depth=2
	s_or_b32 exec_lo, exec_lo, s10
	v_add_nc_u64_e32 v[6:7], v[6:7], v[4:5]
	v_mov_b32_e32 v10, v11
	s_and_not1_b32 exec_lo, exec_lo, s11
	s_cbranch_execz .LBB153_118
.LBB153_37:                             ;   Parent Loop BB153_31 Depth=1
                                        ; =>  This Inner Loop Header: Depth=2
	s_delay_alu instid0(VALU_DEP_1) | instskip(SKIP_3) | instid1(VALU_DEP_2)
	v_add_nc_u64_e32 v[8:9], v[8:9], v[2:3]
	s_wait_dscnt 0x0
	v_dual_mov_b32 v33, 0 :: v_dual_mov_b32 v11, 0
	s_mov_b32 s10, exec_lo
	v_cmp_le_u64_e32 vcc_lo, s[36:37], v[8:9]
	s_wait_xcnt 0x0
	v_cmpx_gt_u64_e64 s[36:37], v[8:9]
	s_cbranch_execz .LBB153_39
; %bb.38:                               ;   in Loop: Header=BB153_37 Depth=2
	global_load_b32 v11, v[6:7], off
.LBB153_39:                             ;   in Loop: Header=BB153_37 Depth=2
	s_wait_xcnt 0x0
	s_or_b32 exec_lo, exec_lo, s10
	s_wait_loadcnt 0x0
	v_bitop3_b32 v34, v10, v55, 0x80000000 bitop3:0x48
	s_delay_alu instid0(VALU_DEP_1) | instskip(SKIP_2) | instid1(SALU_CYCLE_1)
	v_cmp_eq_u32_e64 s9, v34, v53
	s_cmp_lg_u32 s9, 0
	s_cselect_b32 s10, -1, 0
	s_and_b32 s10, s2, s10
	s_delay_alu instid0(SALU_CYCLE_1)
	s_and_saveexec_b32 s12, s10
	s_cbranch_execz .LBB153_43
; %bb.40:                               ;   in Loop: Header=BB153_37 Depth=2
	s_mov_b32 s15, exec_lo
	s_bcnt1_i32_b32 s13, s9
	v_mbcnt_lo_u32_b32 v33, s15, 0
	s_mov_b32 s14, exec_lo
                                        ; implicit-def: $vgpr34
	s_delay_alu instid0(VALU_DEP_1)
	v_cmpx_eq_u32_e32 0, v33
; %bb.41:                               ;   in Loop: Header=BB153_37 Depth=2
	s_bcnt1_i32_b32 s10, s15
	s_delay_alu instid0(SALU_CYCLE_1) | instskip(NEXT) | instid1(SALU_CYCLE_1)
	s_mul_i32 s10, s13, s10
	v_mov_b32_e32 v34, s10
	ds_add_rtn_u32 v34, v3, v34 offset:5144
; %bb.42:                               ;   in Loop: Header=BB153_37 Depth=2
	s_or_b32 exec_lo, exec_lo, s14
	s_wait_dscnt 0x0
	v_readfirstlane_b32 s10, v34
	s_delay_alu instid0(VALU_DEP_1)
	v_mad_u32_u24 v33, s13, v33, s10
.LBB153_43:                             ;   in Loop: Header=BB153_37 Depth=2
	s_or_b32 exec_lo, exec_lo, s12
	ds_bpermute_b32 v33, v3, v33
	s_and_b32 s10, exec_lo, vcc_lo
	s_delay_alu instid0(SALU_CYCLE_1)
	s_or_b32 s11, s10, s11
	s_and_saveexec_b32 s10, s9
	s_cbranch_execz .LBB153_36
; %bb.44:                               ;   in Loop: Header=BB153_37 Depth=2
	v_and_b32_e32 v34, s9, v12
	s_delay_alu instid0(VALU_DEP_1) | instskip(NEXT) | instid1(VALU_DEP_1)
	v_bcnt_u32_b32 v34, v34, 0
	v_lshlrev_b32_e32 v34, 2, v34
	s_wait_dscnt 0x0
	s_delay_alu instid0(VALU_DEP_1)
	v_lshl_add_u32 v33, v33, 2, v34
	ds_store_b32 v33, v10
	s_branch .LBB153_36
.LBB153_45:                             ;   in Loop: Header=BB153_31 Depth=1
	s_mov_b32 s4, -1
	s_mov_b32 s7, 0
.LBB153_46:                             ;   in Loop: Header=BB153_31 Depth=1
	s_and_b32 vcc_lo, exec_lo, s4
	s_cbranch_vccz .LBB153_62
.LBB153_47:                             ;   in Loop: Header=BB153_31 Depth=1
	s_and_saveexec_b32 s4, s3
	s_cbranch_execz .LBB153_59
; %bb.48:                               ;   in Loop: Header=BB153_31 Depth=1
	global_load_u16 v4, v3, s[78:79]
	global_load_b32 v10, v[14:15], off
	s_mov_b32 s7, exec_lo
	v_mov_b32_e32 v8, v0
	s_wait_loadcnt 0x1
	v_and_b32_e32 v2, 0xffff, v4
	v_readfirstlane_b32 s9, v4
	s_delay_alu instid0(VALU_DEP_2) | instskip(SKIP_1) | instid1(VALU_DEP_1)
	v_add_nc_u32_e32 v2, v2, v0
	s_wait_xcnt 0x0
	v_cmpx_gt_u64_e64 s[36:37], v[2:3]
	s_cbranch_execz .LBB153_58
; %bb.49:                               ;   in Loop: Header=BB153_31 Depth=1
	s_and_b32 s28, s9, 0xffff
	v_mov_b64_e32 v[6:7], v[0:1]
	v_mov_b64_e32 v[4:5], v[2:3]
	v_readlane_b32 s10, v62, 8
	s_cmp_eq_u32 s28, 1
                                        ; implicit-def: $vgpr11
                                        ; implicit-def: $vgpr8_vgpr9
	s_cselect_b32 s9, -1, 0
	s_delay_alu instid0(SALU_CYCLE_1)
	s_and_b32 s11, s10, s9
	s_mov_b32 s10, -1
	s_and_saveexec_b32 s9, s11
	s_cbranch_execz .LBB153_53
; %bb.50:                               ;   in Loop: Header=BB153_31 Depth=1
	v_add_nc_u64_e32 v[4:5], 1, v[2:3]
	v_mov_b64_e32 v[8:9], v[18:19]
	v_mov_b32_e32 v33, v16
	s_mov_b32 s10, 0
	s_delay_alu instid0(VALU_DEP_3)
	v_mov_b64_e32 v[6:7], v[4:5]
	v_mov_b64_e32 v[4:5], v[2:3]
.LBB153_51:                             ;   Parent Loop BB153_31 Depth=1
                                        ; =>  This Inner Loop Header: Depth=2
	s_delay_alu instid0(VALU_DEP_1) | instskip(NEXT) | instid1(VALU_DEP_3)
	v_mul_u64_e32 v[38:39], s[68:69], v[4:5]
	v_mul_u64_e32 v[40:41], s[30:31], v[6:7]
	v_add_nc_u64_e32 v[8:9], -2, v[8:9]
	v_add_nc_u64_e32 v[6:7], 2, v[6:7]
	v_add_nc_u64_e32 v[4:5], 2, v[4:5]
	s_delay_alu instid0(VALU_DEP_3)
	v_cmp_eq_u64_e32 vcc_lo, 0, v[8:9]
	s_or_b32 s10, vcc_lo, s10
	v_lshl_add_u64 v[38:39], v[38:39], 2, s[62:63]
	v_lshl_add_u64 v[40:41], v[40:41], 2, s[62:63]
	s_clause 0x1
	global_load_b32 v34, v[38:39], off
	global_load_b32 v11, v[40:41], off
	s_wait_loadcnt 0x1
	ds_store_2addr_b32 v33, v10, v34 offset1:1
	s_wait_loadcnt 0x0
	v_dual_mov_b32 v10, v11 :: v_dual_add_nc_u32 v33, 8, v33
	s_wait_xcnt 0x0
	s_and_not1_b32 exec_lo, exec_lo, s10
	s_cbranch_execnz .LBB153_51
; %bb.52:                               ;   in Loop: Header=BB153_31 Depth=1
	s_or_b32 exec_lo, exec_lo, s10
	v_add_nc_u64_e32 v[4:5], v[2:3], v[18:19]
	v_mov_b64_e32 v[6:7], v[20:21]
	v_readlane_b32 s10, v62, 9
	v_mov_b32_e32 v10, v11
	s_or_not1_b32 s10, s10, exec_lo
	v_add_nc_u64_e32 v[8:9], -1, v[4:5]
.LBB153_53:                             ;   in Loop: Header=BB153_31 Depth=1
	s_or_b32 exec_lo, exec_lo, s9
	s_and_saveexec_b32 s9, s10
	s_cbranch_execz .LBB153_57
; %bb.54:                               ;   in Loop: Header=BB153_31 Depth=1
	v_readlane_b32 s10, v62, 11
	v_readlane_b32 s11, v62, 12
	;; [unrolled: 1-line block ×4, first 2 shown]
	s_mov_b32 s14, 0
	v_mad_nc_u64_u32 v[8:9], s12, v4, s[10:11]
	s_sub_nc_u64 s[10:11], 0, s[28:29]
	s_delay_alu instid0(VALU_DEP_1) | instskip(NEXT) | instid1(VALU_DEP_1)
	v_mad_u32 v2, s13, v4, v9
	v_mad_u32 v9, s12, v5, v2
	s_mul_u64 s[12:13], s[12:13], s[28:29]
.LBB153_55:                             ;   Parent Loop BB153_31 Depth=1
                                        ; =>  This Inner Loop Header: Depth=2
	global_load_b32 v11, v[8:9], off
	v_mov_b64_e32 v[38:39], v[4:5]
	v_lshlrev_b32_e32 v2, 2, v6
	s_wait_xcnt 0x0
	v_add_nc_u64_e32 v[8:9], s[12:13], v[8:9]
	s_wait_loadcnt 0x1
	ds_store_b32 v2, v10
	v_add_nc_u64_e32 v[4:5], s[28:29], v[38:39]
	v_mov_b64_e32 v[6:7], v[38:39]
	s_delay_alu instid0(VALU_DEP_2)
	v_cmp_le_u64_e32 vcc_lo, s[36:37], v[4:5]
	s_or_b32 s14, vcc_lo, s14
	s_wait_loadcnt 0x0
	v_mov_b32_e32 v10, v11
	s_and_not1_b32 exec_lo, exec_lo, s14
	s_cbranch_execnz .LBB153_55
; %bb.56:                               ;   in Loop: Header=BB153_31 Depth=1
	s_or_b32 exec_lo, exec_lo, s14
	v_add_nc_u64_e32 v[8:9], s[10:11], v[4:5]
.LBB153_57:                             ;   in Loop: Header=BB153_31 Depth=1
	s_or_b32 exec_lo, exec_lo, s9
	s_wait_loadcnt 0x0
	v_mov_b32_e32 v10, v11
.LBB153_58:                             ;   in Loop: Header=BB153_31 Depth=1
	s_or_b32 exec_lo, exec_lo, s7
	s_delay_alu instid0(VALU_DEP_2)
	v_lshlrev_b32_e32 v2, 2, v8
	s_wait_loadcnt 0x0
	ds_store_b32 v2, v10
.LBB153_59:                             ;   in Loop: Header=BB153_31 Depth=1
	s_or_b32 exec_lo, exec_lo, s4
	s_wait_dscnt 0x0
	s_barrier_signal -1
	s_barrier_wait -1
	s_and_saveexec_b32 s4, s5
; %bb.60:                               ;   in Loop: Header=BB153_31 Depth=1
	v_mov_b64_e32 v[4:5], s[36:37]
	ds_store_b64 v3, v[4:5] offset:5120
; %bb.61:                               ;   in Loop: Header=BB153_31 Depth=1
	s_or_b32 exec_lo, exec_lo, s4
	s_wait_dscnt 0x0
	s_barrier_signal -1
	s_mov_b32 s7, -1
	s_barrier_wait -1
.LBB153_62:                             ;   in Loop: Header=BB153_31 Depth=1
	s_and_b32 vcc_lo, exec_lo, s7
	s_mov_b64 s[80:81], 0
	s_cbranch_vccz .LBB153_64
; %bb.63:                               ;   in Loop: Header=BB153_31 Depth=1
	ds_load_b64 v[4:5], v3 offset:5120
	s_wait_dscnt 0x0
	v_readfirstlane_b32 s80, v4
	v_readfirstlane_b32 s81, v5
.LBB153_64:                             ;   in Loop: Header=BB153_31 Depth=1
	s_delay_alu instid0(VALU_DEP_2)
	s_cmp_lt_i32 s80, 1
	s_mov_b32 s4, -1
                                        ; implicit-def: $vgpr4_vgpr5
                                        ; implicit-def: $vgpr8_vgpr9
	s_cbranch_scc1 .LBB153_74
; %bb.65:                               ;   in Loop: Header=BB153_31 Depth=1
	s_and_b32 vcc_lo, exec_lo, s4
	s_cbranch_vccnz .LBB153_88
.LBB153_66:                             ;   in Loop: Header=BB153_31 Depth=1
	s_lshl_b32 s4, s52, 7
	s_and_saveexec_b32 s7, s2
	s_cbranch_execz .LBB153_68
.LBB153_67:                             ;   in Loop: Header=BB153_31 Depth=1
	v_lshl_add_u32 v2, s4, 3, v51
	ds_store_b128 v2, v[4:7]
	ds_store_b128 v2, v[8:11] offset:16
.LBB153_68:                             ;   in Loop: Header=BB153_31 Depth=1
	s_or_b32 exec_lo, exec_lo, s7
	s_wait_dscnt 0x0
	s_barrier_signal -1
	s_barrier_wait -1
	s_and_saveexec_b32 s7, s94
	s_cbranch_execz .LBB153_102
; %bb.69:                               ;   in Loop: Header=BB153_31 Depth=1
	v_mov_b64_e32 v[4:5], 0
	s_and_not1_b32 vcc_lo, exec_lo, s96
	s_cbranch_vccnz .LBB153_101
; %bb.70:                               ;   in Loop: Header=BB153_31 Depth=1
	v_mov_b64_e32 v[4:5], 0
	s_and_not1_b32 vcc_lo, exec_lo, s98
	s_cbranch_vccnz .LBB153_98
; %bb.71:                               ;   in Loop: Header=BB153_31 Depth=1
	v_lshl_add_u32 v2, s52, 10, v54
	s_mov_b32 s9, 0
.LBB153_72:                             ;   Parent Loop BB153_31 Depth=1
                                        ; =>  This Inner Loop Header: Depth=2
	ds_load_2addr_b64 v[6:9], v2 offset1:4
	ds_load_2addr_b64 v[38:41], v2 offset0:8 offset1:12
	s_add_co_i32 s9, s9, 8
	s_delay_alu instid0(SALU_CYCLE_1) | instskip(SKIP_2) | instid1(VALU_DEP_1)
	s_cmp_eq_u32 s99, s9
	s_wait_dscnt 0x1
	v_add_nc_u64_e32 v[4:5], v[6:7], v[4:5]
	v_add_nc_u64_e32 v[8:9], v[8:9], v[4:5]
	ds_load_2addr_b64 v[4:7], v2 offset0:16 offset1:20
	s_wait_dscnt 0x1
	v_add_nc_u64_e32 v[8:9], v[38:39], v[8:9]
	s_delay_alu instid0(VALU_DEP_1) | instskip(SKIP_4) | instid1(VALU_DEP_1)
	v_add_nc_u64_e32 v[38:39], v[40:41], v[8:9]
	ds_load_2addr_b64 v[8:11], v2 offset0:24 offset1:28
	v_add_nc_u32_e32 v2, 0x100, v2
	s_wait_dscnt 0x1
	v_add_nc_u64_e32 v[4:5], v[4:5], v[38:39]
	v_add_nc_u64_e32 v[4:5], v[6:7], v[4:5]
	s_wait_dscnt 0x0
	s_delay_alu instid0(VALU_DEP_1) | instskip(NEXT) | instid1(VALU_DEP_1)
	v_add_nc_u64_e32 v[4:5], v[8:9], v[4:5]
	v_add_nc_u64_e32 v[4:5], v[10:11], v[4:5]
	s_cbranch_scc0 .LBB153_72
; %bb.73:                               ;   in Loop: Header=BB153_31 Depth=1
	s_mov_b32 s9, s99
	s_and_not1_b32 vcc_lo, exec_lo, s100
	s_cbranch_vccz .LBB153_99
	s_branch .LBB153_101
.LBB153_74:                             ;   in Loop: Header=BB153_31 Depth=1
	global_load_u16 v2, v3, s[78:79]
	s_mov_b32 s83, s29
	s_wait_loadcnt 0x0
	v_readfirstlane_b32 s4, v2
	s_and_b32 s4, 0xffff, s4
	s_delay_alu instid0(SALU_CYCLE_1)
	s_lshl_b32 s82, s4, 2
	s_cmp_lg_u64 s[76:77], 0
	s_cbranch_scc0 .LBB153_97
; %bb.75:                               ;   in Loop: Header=BB153_31 Depth=1
	s_cvt_f32_u32 s4, s82
	s_sub_nc_u64 s[12:13], 0, s[82:83]
	s_delay_alu instid0(SALU_CYCLE_2) | instskip(NEXT) | instid1(SALU_CYCLE_3)
	s_fmamk_f32 s4, s102, 0x0, s4
	v_s_rcp_f32 s4, s4
	s_delay_alu instid0(TRANS32_DEP_1) | instskip(NEXT) | instid1(SALU_CYCLE_3)
	s_mul_f32 s4, s4, 0x5f7ffffc
	s_mul_f32 s7, s4, 0x2f800000
	s_delay_alu instid0(SALU_CYCLE_3) | instskip(NEXT) | instid1(SALU_CYCLE_3)
	s_trunc_f32 s7, s7
	s_fmamk_f32 s4, s7, 0xcf800000, s4
	s_cvt_u32_f32 s11, s7
	s_delay_alu instid0(SALU_CYCLE_2) | instskip(NEXT) | instid1(SALU_CYCLE_3)
	s_cvt_u32_f32 s10, s4
	s_mul_u64 s[14:15], s[12:13], s[10:11]
	s_delay_alu instid0(SALU_CYCLE_1)
	s_mul_hi_u32 s17, s10, s15
	s_mul_i32 s16, s10, s15
	s_mul_hi_u32 s28, s10, s14
	s_mul_i32 s7, s11, s14
	s_add_nc_u64 s[16:17], s[28:29], s[16:17]
	s_mul_hi_u32 s4, s11, s14
	s_mul_hi_u32 s9, s11, s15
	s_add_co_u32 s7, s16, s7
	s_add_co_ci_u32 s28, s17, s4
	s_mul_i32 s14, s11, s15
	s_add_co_ci_u32 s15, s9, 0
	s_delay_alu instid0(SALU_CYCLE_1) | instskip(NEXT) | instid1(SALU_CYCLE_1)
	s_add_nc_u64 s[14:15], s[28:29], s[14:15]
	s_add_co_u32 s10, s10, s14
	s_cselect_b32 s4, -1, 0
	s_delay_alu instid0(SALU_CYCLE_1) | instskip(SKIP_1) | instid1(SALU_CYCLE_1)
	s_cmp_lg_u32 s4, 0
	s_add_co_ci_u32 s11, s11, s15
	s_mul_u64 s[12:13], s[12:13], s[10:11]
	s_delay_alu instid0(SALU_CYCLE_1)
	s_mul_hi_u32 s15, s10, s13
	s_mul_i32 s14, s10, s13
	s_mul_hi_u32 s28, s10, s12
	s_mul_i32 s7, s11, s12
	s_add_nc_u64 s[14:15], s[28:29], s[14:15]
	s_mul_hi_u32 s4, s11, s12
	s_mul_hi_u32 s9, s11, s13
	s_add_co_u32 s7, s14, s7
	s_add_co_ci_u32 s28, s15, s4
	s_mul_i32 s12, s11, s13
	s_add_co_ci_u32 s13, s9, 0
	s_delay_alu instid0(SALU_CYCLE_1) | instskip(NEXT) | instid1(SALU_CYCLE_1)
	s_add_nc_u64 s[12:13], s[28:29], s[12:13]
	s_add_co_u32 s4, s10, s12
	s_cselect_b32 s7, -1, 0
	s_mul_hi_u32 s28, s36, s4
	s_cmp_lg_u32 s7, 0
	s_mul_hi_u32 s7, s37, s4
	s_add_co_ci_u32 s9, s11, s13
	s_mul_i32 s4, s37, s4
	s_mul_hi_u32 s11, s36, s9
	s_mul_i32 s10, s36, s9
	s_mul_hi_u32 s13, s37, s9
	s_add_nc_u64 s[10:11], s[28:29], s[10:11]
	s_mul_i32 s12, s37, s9
	s_add_co_u32 s4, s10, s4
	s_add_co_ci_u32 s28, s11, s7
	s_add_co_ci_u32 s13, s13, 0
	s_delay_alu instid0(SALU_CYCLE_1) | instskip(NEXT) | instid1(SALU_CYCLE_1)
	s_add_nc_u64 s[10:11], s[28:29], s[12:13]
	s_and_b64 s[12:13], s[10:11], 0xffffffff00000000
	s_delay_alu instid0(SALU_CYCLE_1) | instskip(NEXT) | instid1(SALU_CYCLE_1)
	s_or_b32 s12, s12, s10
	s_mul_u64 s[10:11], s[82:83], s[12:13]
	s_delay_alu instid0(SALU_CYCLE_1) | instskip(SKIP_1) | instid1(SALU_CYCLE_1)
	s_sub_co_u32 s4, s36, s10
	s_cselect_b32 s7, -1, 0
	s_cmp_lg_u32 s7, 0
	s_sub_co_ci_u32 s7, s37, s11
	s_sub_co_u32 s9, s4, s82
	s_cselect_b32 s10, -1, 0
	s_delay_alu instid0(SALU_CYCLE_1) | instskip(SKIP_3) | instid1(SALU_CYCLE_1)
	s_cmp_lg_u32 s10, 0
	s_sub_co_ci_u32 s10, s7, 0
	s_sub_co_u32 s11, s9, s82
	s_cselect_b32 s12, -1, 0
	s_cmp_lg_u32 s12, 0
	s_sub_co_ci_u32 s12, s10, 0
	s_cmp_ge_u32 s9, s82
	s_cselect_b32 s13, -1, 0
	s_cmp_eq_u32 s10, 0
	s_cselect_b32 s13, s13, -1
	s_delay_alu instid0(SALU_CYCLE_1)
	s_cmp_lg_u32 s13, 0
	s_cselect_b32 s10, s12, s10
	s_cselect_b32 s9, s11, s9
	s_cmp_ge_u32 s4, s82
	s_cselect_b32 s11, -1, 0
	s_cmp_eq_u32 s7, 0
	s_cselect_b32 s11, s11, -1
	s_delay_alu instid0(SALU_CYCLE_1)
	s_cmp_lg_u32 s11, 0
	s_cselect_b32 s11, s10, s7
	s_cselect_b32 s10, s9, s4
	s_cbranch_execnz .LBB153_77
.LBB153_76:                             ;   in Loop: Header=BB153_31 Depth=1
	v_cvt_f32_u32_e32 v4, s82
	s_sub_co_i32 s7, 0, s82
	s_delay_alu instid0(VALU_DEP_1) | instskip(SKIP_1) | instid1(TRANS32_DEP_1)
	v_rcp_iflag_f32_e32 v4, v4
	v_nop
	v_mul_f32_e32 v4, 0x4f7ffffe, v4
	s_delay_alu instid0(VALU_DEP_1) | instskip(NEXT) | instid1(VALU_DEP_1)
	v_cvt_u32_f32_e32 v4, v4
	v_readfirstlane_b32 s4, v4
	s_mul_i32 s7, s7, s4
	s_delay_alu instid0(SALU_CYCLE_1) | instskip(NEXT) | instid1(SALU_CYCLE_1)
	s_mul_hi_u32 s7, s4, s7
	s_add_co_i32 s4, s4, s7
	s_delay_alu instid0(SALU_CYCLE_1) | instskip(NEXT) | instid1(SALU_CYCLE_1)
	s_mul_hi_u32 s4, s36, s4
	s_mul_i32 s4, s4, s82
	s_delay_alu instid0(SALU_CYCLE_1) | instskip(NEXT) | instid1(SALU_CYCLE_1)
	s_sub_co_i32 s4, s36, s4
	s_sub_co_i32 s7, s4, s82
	s_cmp_ge_u32 s4, s82
	s_cselect_b32 s4, s7, s4
	s_delay_alu instid0(SALU_CYCLE_1) | instskip(SKIP_2) | instid1(SALU_CYCLE_1)
	s_sub_co_i32 s7, s4, s82
	s_cmp_ge_u32 s4, s82
	s_cselect_b32 s28, s7, s4
	s_mov_b64 s[10:11], s[28:29]
.LBB153_77:                             ;   in Loop: Header=BB153_31 Depth=1
	v_mov_b64_e32 v[4:5], 0
	v_mov_b64_e32 v[6:7], 0
	;; [unrolled: 1-line block ×4, first 2 shown]
	v_and_b32_e32 v2, 0xffff, v2
	s_sub_nc_u64 s[84:85], s[36:37], s[10:11]
	s_mov_b32 s7, exec_lo
	v_cmpx_gt_u64_e64 s[84:85], v[16:17]
	s_cbranch_execz .LBB153_81
; %bb.78:                               ;   in Loop: Header=BB153_31 Depth=1
	v_readlane_b32 s10, v62, 15
	v_readlane_b32 s11, v62, 16
	v_mov_b64_e32 v[40:41], v[28:29]
	v_mov_b64_e32 v[42:43], v[26:27]
	;; [unrolled: 1-line block ×4, first 2 shown]
	v_mul_u64_e32 v[38:39], s[10:11], v[2:3]
	v_mov_b64_e32 v[48:49], v[16:17]
	s_mov_b64 s[86:87], 0
	s_mov_b32 s51, 0
	s_mov_b64 s[88:89], 0
	s_mov_b64 s[90:91], 0
	;; [unrolled: 1-line block ×3, first 2 shown]
.LBB153_79:                             ;   Parent Loop BB153_31 Depth=1
                                        ; =>  This Inner Loop Header: Depth=2
	v_add_nc_u64_e32 v[4:5], s[60:61], v[40:41]
	v_add_nc_u64_e32 v[6:7], s[60:61], v[42:43]
	;; [unrolled: 1-line block ×7, first 2 shown]
	global_load_b32 v4, v[4:5], off
	global_load_b32 v5, v[6:7], off
	;; [unrolled: 1-line block ×4, first 2 shown]
	v_add_nc_u64_e32 v[42:43], v[42:43], v[38:39]
	v_add_nc_u64_e32 v[40:41], v[40:41], v[38:39]
	v_cmp_le_u64_e32 vcc_lo, s[84:85], v[48:49]
	s_wait_loadcnt 0x3
	s_wait_xcnt 0x1
	v_xor_b32_e32 v8, 0x80000000, v4
	s_wait_loadcnt 0x2
	v_xor_b32_e32 v9, 0x80000000, v5
	v_bitop3_b32 v4, v4, v55, 0x80000000 bitop3:0x48
	v_bitop3_b32 v5, v5, v55, 0x80000000 bitop3:0x48
	s_wait_loadcnt 0x1
	s_wait_xcnt 0x0
	v_xor_b32_e32 v10, 0x80000000, v6
	v_bitop3_b32 v6, v6, v55, 0x80000000 bitop3:0x48
	s_wait_loadcnt 0x0
	v_xor_b32_e32 v11, 0x80000000, v7
	v_cmp_eq_u32_e64 s9, v4, v53
	v_cmp_eq_u32_e64 s10, v5, v53
	v_bfe_u32 v4, v8, s103, 2
	v_bfe_u32 v5, v9, s103, 2
	v_bitop3_b32 v7, v7, v55, 0x80000000 bitop3:0x48
	v_cmp_eq_u32_e64 s11, v6, v53
	v_bfe_u32 v6, v10, s103, 2
	v_bfe_u32 v8, v11, s103, 2
	v_cmp_eq_u32_e64 s13, 0, v4
	v_cmp_eq_u32_e64 s14, 0, v5
	;; [unrolled: 1-line block ×13, first 2 shown]
	s_and_b32 s4, s9, s13
	s_and_b32 s13, s10, s14
	v_cmp_eq_u32_e64 s23, 2, v6
	v_cmp_eq_u32_e64 s24, 2, v8
	;; [unrolled: 1-line block ×4, first 2 shown]
	s_and_b32 s14, s11, s15
	s_and_b32 s15, s12, s16
	;; [unrolled: 1-line block ×4, first 2 shown]
	v_cndmask_b32_e64 v4, 0, 1, s4
	v_cndmask_b32_e64 v5, 0, 1, s13
	s_and_b32 s18, s11, s19
	s_and_b32 s19, s12, s20
	;; [unrolled: 1-line block ×4, first 2 shown]
	v_cndmask_b32_e64 v6, 0, 1, s14
	v_cndmask_b32_e64 v7, 0, 1, s15
	;; [unrolled: 1-line block ×4, first 2 shown]
	s_and_b32 s9, s9, s25
	s_and_b32 s10, s10, s26
	;; [unrolled: 1-line block ×4, first 2 shown]
	v_cndmask_b32_e64 v10, 0, 1, s18
	v_cndmask_b32_e64 v11, 0, 1, s19
	;; [unrolled: 1-line block ×4, first 2 shown]
	s_and_b32 s11, s11, s27
	s_and_b32 s12, s12, s28
	v_cndmask_b32_e64 v58, 0, 1, s9
	v_cndmask_b32_e64 v59, 0, 1, s10
	v_cmp_ne_u32_e64 s9, 0, v4
	v_cmp_ne_u32_e64 s10, 0, v5
	v_cndmask_b32_e64 v56, 0, 1, s22
	v_cndmask_b32_e64 v57, 0, 1, s23
	;; [unrolled: 1-line block ×4, first 2 shown]
	v_cmp_ne_u32_e64 s11, 0, v6
	v_cmp_ne_u32_e64 s12, 0, v7
	;; [unrolled: 1-line block ×8, first 2 shown]
	s_bcnt1_i32_b32 s4, s9
	s_bcnt1_i32_b32 s9, s10
	v_cmp_ne_u32_e64 s19, 0, v56
	v_cmp_ne_u32_e64 s20, 0, v57
	;; [unrolled: 1-line block ×4, first 2 shown]
	s_bcnt1_i32_b32 s10, s11
	s_bcnt1_i32_b32 s11, s12
	;; [unrolled: 1-line block ×4, first 2 shown]
	s_add_co_i32 s4, s9, s4
	v_cmp_ne_u32_e64 s23, 0, v60
	s_bcnt1_i32_b32 s14, s15
	s_bcnt1_i32_b32 s15, s16
	;; [unrolled: 1-line block ×4, first 2 shown]
	s_add_co_i32 s9, s13, s12
	s_add_co_i32 s4, s4, s10
	v_cmp_ne_u32_e64 s24, 0, v61
	s_bcnt1_i32_b32 s18, s19
	s_bcnt1_i32_b32 s19, s20
	;; [unrolled: 1-line block ×4, first 2 shown]
	s_add_co_i32 s12, s17, s16
	s_add_co_i32 s9, s9, s14
	s_add_co_i32 s28, s4, s11
	s_bcnt1_i32_b32 s22, s23
	s_add_co_i32 s13, s21, s20
	s_add_co_i32 s10, s12, s18
	s_add_nc_u64 s[92:93], s[92:93], s[28:29]
	s_add_co_i32 s28, s9, s15
	s_bcnt1_i32_b32 s23, s24
	s_add_co_i32 s12, s13, s22
	s_add_nc_u64 s[90:91], s[90:91], s[28:29]
	s_add_co_i32 s28, s10, s19
	v_mov_b64_e32 v[4:5], s[92:93]
	s_add_nc_u64 s[88:89], s[88:89], s[28:29]
	s_add_co_i32 s28, s12, s23
	v_mov_b64_e32 v[6:7], s[90:91]
	s_add_nc_u64 s[86:87], s[86:87], s[28:29]
	v_mov_b64_e32 v[8:9], s[88:89]
	v_mov_b64_e32 v[10:11], s[86:87]
	s_or_b32 s51, vcc_lo, s51
	s_delay_alu instid0(SALU_CYCLE_1)
	s_and_not1_b32 exec_lo, exec_lo, s51
	s_cbranch_execnz .LBB153_79
; %bb.80:                               ;   in Loop: Header=BB153_31 Depth=1
	s_or_b32 exec_lo, exec_lo, s51
.LBB153_81:                             ;   in Loop: Header=BB153_31 Depth=1
	s_delay_alu instid0(SALU_CYCLE_1) | instskip(SKIP_2) | instid1(VALU_DEP_1)
	s_or_b32 exec_lo, exec_lo, s7
	v_add_nc_u64_e32 v[38:39], s[84:85], v[0:1]
	s_mov_b32 s4, exec_lo
	v_cmpx_gt_u64_e64 s[36:37], v[38:39]
	s_cbranch_execz .LBB153_87
; %bb.82:                               ;   in Loop: Header=BB153_31 Depth=1
	v_mul_u64_e32 v[40:41], s[30:31], v[38:39]
	s_mov_b32 s7, 0
	s_delay_alu instid0(VALU_DEP_1)
	v_lshl_add_u64 v[40:41], v[40:41], 2, s[62:63]
	global_load_b32 v34, v[40:41], off
	s_branch .LBB153_84
.LBB153_83:                             ;   in Loop: Header=BB153_84 Depth=2
	s_wait_xcnt 0x0
	s_or_b32 exec_lo, exec_lo, s10
	s_wait_loadcnt 0x0
	v_xor_b32_e32 v40, 0x80000000, v34
	v_bitop3_b32 v34, v34, v55, 0x80000000 bitop3:0x48
	s_and_b32 s11, exec_lo, vcc_lo
	s_delay_alu instid0(SALU_CYCLE_1) | instskip(NEXT) | instid1(VALU_DEP_2)
	s_or_b32 s7, s11, s7
	v_bfe_u32 v40, v40, s103, 2
	s_delay_alu instid0(VALU_DEP_2) | instskip(NEXT) | instid1(VALU_DEP_2)
	v_cmp_eq_u32_e64 s9, v34, v53
	v_cmp_eq_u32_e64 s10, 0, v40
	v_cmp_eq_u32_e32 vcc_lo, 1, v40
	s_and_b32 s10, s9, s10
	s_and_b32 s11, s9, vcc_lo
	v_cndmask_b32_e64 v34, 0, 1, s10
	v_cmp_eq_u32_e64 s10, 2, v40
	v_cmp_eq_u32_e32 vcc_lo, 3, v40
	v_cndmask_b32_e64 v41, 0, 1, s11
	s_delay_alu instid0(VALU_DEP_4)
	v_cmp_ne_u32_e64 s11, 0, v34
	s_and_b32 s10, s9, s10
	s_and_b32 s9, s9, vcc_lo
	v_cndmask_b32_e64 v34, 0, 1, s10
	v_cndmask_b32_e64 v40, 0, 1, s9
	v_cmp_ne_u32_e64 s10, 0, v41
	s_bcnt1_i32_b32 s28, s11
	v_cmp_ne_u32_e32 vcc_lo, 0, v34
	v_cmp_ne_u32_e64 s9, 0, v40
	v_add_nc_u64_e32 v[4:5], s[28:29], v[4:5]
	s_bcnt1_i32_b32 s28, s10
	v_mov_b32_e32 v34, v33
	v_add_nc_u64_e32 v[6:7], s[28:29], v[6:7]
	s_bcnt1_i32_b32 s28, vcc_lo
	s_delay_alu instid0(SALU_CYCLE_1) | instskip(SKIP_1) | instid1(SALU_CYCLE_1)
	v_add_nc_u64_e32 v[8:9], s[28:29], v[8:9]
	s_bcnt1_i32_b32 s28, s9
	v_add_nc_u64_e32 v[10:11], s[28:29], v[10:11]
	s_and_not1_b32 exec_lo, exec_lo, s7
	s_cbranch_execz .LBB153_86
.LBB153_84:                             ;   Parent Loop BB153_31 Depth=1
                                        ; =>  This Inner Loop Header: Depth=2
	v_add_nc_u64_e32 v[38:39], v[38:39], v[2:3]
	v_mov_b32_e32 v33, 0
	s_mov_b32 s10, exec_lo
	s_delay_alu instid0(VALU_DEP_2)
	v_cmp_le_u64_e32 vcc_lo, s[36:37], v[38:39]
	s_wait_xcnt 0x0
	v_cmpx_gt_u64_e64 s[36:37], v[38:39]
	s_cbranch_execz .LBB153_83
; %bb.85:                               ;   in Loop: Header=BB153_84 Depth=2
	v_mul_u64_e32 v[40:41], s[30:31], v[38:39]
	s_delay_alu instid0(VALU_DEP_1)
	v_lshl_add_u64 v[40:41], v[40:41], 2, s[62:63]
	global_load_b32 v33, v[40:41], off
	s_branch .LBB153_83
.LBB153_86:                             ;   in Loop: Header=BB153_31 Depth=1
	s_or_b32 exec_lo, exec_lo, s7
.LBB153_87:                             ;   in Loop: Header=BB153_31 Depth=1
	s_delay_alu instid0(SALU_CYCLE_1)
	s_or_b32 exec_lo, exec_lo, s4
	s_branch .LBB153_66
.LBB153_88:                             ;   in Loop: Header=BB153_31 Depth=1
	global_load_u16 v2, v3, s[78:79]
	s_mov_b32 s85, s29
	v_mov_b64_e32 v[6:7], 0
	v_mov_b64_e32 v[8:9], 0
	;; [unrolled: 1-line block ×3, first 2 shown]
	s_mov_b32 s51, exec_lo
	s_wait_loadcnt 0x0
	v_readfirstlane_b32 s4, v2
	v_and_b32_e32 v2, 0xffff, v2
	s_and_b32 s7, 0xffff, s4
	s_delay_alu instid0(SALU_CYCLE_1) | instskip(NEXT) | instid1(SALU_CYCLE_1)
	s_lshl_b32 s82, s7, 2
	s_cvt_f32_u32 s4, s82
	s_sub_co_i32 s9, 0, s82
	s_delay_alu instid0(SALU_CYCLE_2) | instskip(SKIP_1) | instid1(TRANS32_DEP_1)
	v_rcp_iflag_f32_e32 v4, s4
	v_nop
	v_readfirstlane_b32 s4, v4
	s_mul_f32 s4, s4, 0x4f7ffffe
	s_delay_alu instid0(SALU_CYCLE_3) | instskip(NEXT) | instid1(SALU_CYCLE_3)
	s_cvt_u32_f32 s4, s4
	s_mul_i32 s9, s9, s4
	s_delay_alu instid0(SALU_CYCLE_1) | instskip(NEXT) | instid1(SALU_CYCLE_1)
	s_mul_hi_u32 s9, s4, s9
	s_add_co_i32 s4, s4, s9
	s_delay_alu instid0(SALU_CYCLE_1) | instskip(NEXT) | instid1(SALU_CYCLE_1)
	s_mul_hi_u32 s4, s80, s4
	s_mul_i32 s9, s4, s82
	s_add_co_i32 s10, s4, 1
	s_sub_co_i32 s9, s80, s9
	s_delay_alu instid0(SALU_CYCLE_1)
	s_sub_co_i32 s11, s9, s82
	s_cmp_ge_u32 s9, s82
	s_cselect_b32 s4, s10, s4
	s_cselect_b32 s9, s11, s9
	s_add_co_i32 s10, s4, 1
	s_cmp_ge_u32 s9, s82
	s_cselect_b32 s84, s10, s4
	s_delay_alu instid0(SALU_CYCLE_1) | instskip(NEXT) | instid1(VALU_DEP_1)
	v_mul_u64_e32 v[4:5], s[84:85], v[2:3]
	v_lshlrev_b64_e32 v[38:39], 2, v[4:5]
	v_mov_b64_e32 v[4:5], 0
	s_delay_alu instid0(VALU_DEP_2)
	v_cmpx_gt_u64_e64 v[38:39], v[16:17]
	s_cbranch_execz .LBB153_92
; %bb.89:                               ;   in Loop: Header=BB153_31 Depth=1
	v_mov_b64_e32 v[40:41], v[16:17]
	v_mov_b32_e32 v33, v52
	s_mov_b32 s83, s29
	s_lshl_b32 s85, s7, 4
	s_mov_b64 s[86:87], 0
	s_mov_b32 s4, 0
	s_mov_b64 s[88:89], 0
	s_mov_b64 s[90:91], 0
	;; [unrolled: 1-line block ×3, first 2 shown]
.LBB153_90:                             ;   Parent Loop BB153_31 Depth=1
                                        ; =>  This Inner Loop Header: Depth=2
	ds_load_b128 v[4:7], v33
	v_add_nc_u64_e32 v[40:41], s[82:83], v[40:41]
	v_add_nc_u32_e32 v33, s85, v33
	s_delay_alu instid0(VALU_DEP_2)
	v_cmp_ge_u64_e32 vcc_lo, v[40:41], v[38:39]
	s_wait_dscnt 0x0
	v_xor_b32_e32 v8, 0x80000000, v4
	v_xor_b32_e32 v9, 0x80000000, v5
	v_bitop3_b32 v4, v4, v55, 0x80000000 bitop3:0x48
	v_bitop3_b32 v5, v5, v55, 0x80000000 bitop3:0x48
	v_xor_b32_e32 v10, 0x80000000, v6
	v_bitop3_b32 v6, v6, v55, 0x80000000 bitop3:0x48
	v_xor_b32_e32 v11, 0x80000000, v7
	v_cmp_eq_u32_e64 s9, v4, v53
	v_cmp_eq_u32_e64 s10, v5, v53
	v_bfe_u32 v4, v8, s103, 2
	v_bfe_u32 v5, v9, s103, 2
	v_cmp_eq_u32_e64 s11, v6, v53
	v_bfe_u32 v6, v10, s103, 2
	v_bitop3_b32 v7, v7, v55, 0x80000000 bitop3:0x48
	v_bfe_u32 v8, v11, s103, 2
	v_cmp_eq_u32_e64 s13, 0, v4
	v_cmp_eq_u32_e64 s14, 0, v5
	;; [unrolled: 1-line block ×12, first 2 shown]
	s_and_b32 s13, s9, s13
	s_and_b32 s14, s10, s14
	v_cmp_eq_u32_e64 s20, 1, v8
	v_cmp_eq_u32_e64 s23, 2, v6
	;; [unrolled: 1-line block ×3, first 2 shown]
	s_and_b32 s15, s11, s15
	s_and_b32 s17, s9, s17
	;; [unrolled: 1-line block ×3, first 2 shown]
	v_cndmask_b32_e64 v4, 0, 1, s13
	v_cndmask_b32_e64 v5, 0, 1, s14
	v_cmp_eq_u32_e64 s24, 2, v8
	v_cmp_eq_u32_e64 s28, 3, v8
	s_and_b32 s16, s12, s16
	s_and_b32 s19, s11, s19
	;; [unrolled: 1-line block ×4, first 2 shown]
	v_cndmask_b32_e64 v6, 0, 1, s15
	v_cndmask_b32_e64 v8, 0, 1, s17
	v_cndmask_b32_e64 v9, 0, 1, s18
	s_and_b32 s9, s9, s25
	s_and_b32 s10, s10, s26
	;; [unrolled: 1-line block ×4, first 2 shown]
	v_cndmask_b32_e64 v7, 0, 1, s16
	v_cndmask_b32_e64 v10, 0, 1, s19
	;; [unrolled: 1-line block ×4, first 2 shown]
	s_and_b32 s11, s11, s27
	v_cndmask_b32_e64 v45, 0, 1, s9
	v_cndmask_b32_e64 v46, 0, 1, s10
	v_cmp_ne_u32_e64 s9, 0, v4
	v_cmp_ne_u32_e64 s10, 0, v5
	s_and_b32 s24, s12, s24
	v_cndmask_b32_e64 v11, 0, 1, s20
	v_cndmask_b32_e64 v43, 0, 1, s23
	s_and_b32 s12, s12, s28
	v_cndmask_b32_e64 v47, 0, 1, s11
	v_cmp_ne_u32_e64 s11, 0, v6
	v_cmp_ne_u32_e64 s13, 0, v8
	;; [unrolled: 1-line block ×3, first 2 shown]
	v_cndmask_b32_e64 v44, 0, 1, s24
	v_cndmask_b32_e64 v48, 0, 1, s12
	v_cmp_ne_u32_e64 s12, 0, v7
	v_cmp_ne_u32_e64 s15, 0, v10
	;; [unrolled: 1-line block ×4, first 2 shown]
	s_bcnt1_i32_b32 s9, s9
	s_bcnt1_i32_b32 s10, s10
	v_cmp_ne_u32_e64 s16, 0, v11
	v_cmp_ne_u32_e64 s19, 0, v43
	;; [unrolled: 1-line block ×4, first 2 shown]
	s_bcnt1_i32_b32 s11, s11
	s_bcnt1_i32_b32 s13, s13
	;; [unrolled: 1-line block ×3, first 2 shown]
	s_add_co_i32 s9, s10, s9
	v_cmp_ne_u32_e64 s20, 0, v44
	v_cmp_ne_u32_e64 s23, 0, v47
	s_bcnt1_i32_b32 s12, s12
	s_bcnt1_i32_b32 s15, s15
	;; [unrolled: 1-line block ×4, first 2 shown]
	s_add_co_i32 s10, s14, s13
	s_add_co_i32 s9, s9, s11
	v_cmp_ne_u32_e64 s24, 0, v48
	s_bcnt1_i32_b32 s16, s16
	s_bcnt1_i32_b32 s19, s19
	;; [unrolled: 1-line block ×4, first 2 shown]
	s_add_co_i32 s13, s18, s17
	s_add_co_i32 s10, s10, s15
	;; [unrolled: 1-line block ×3, first 2 shown]
	s_bcnt1_i32_b32 s20, s20
	s_bcnt1_i32_b32 s23, s23
	s_add_co_i32 s14, s22, s21
	s_add_co_i32 s11, s13, s19
	s_add_nc_u64 s[92:93], s[92:93], s[28:29]
	s_add_co_i32 s28, s10, s16
	s_bcnt1_i32_b32 s24, s24
	s_add_co_i32 s13, s14, s23
	s_add_nc_u64 s[90:91], s[90:91], s[28:29]
	s_add_co_i32 s28, s11, s20
	v_mov_b64_e32 v[4:5], s[92:93]
	s_add_nc_u64 s[88:89], s[88:89], s[28:29]
	s_add_co_i32 s28, s13, s24
	v_mov_b64_e32 v[6:7], s[90:91]
	s_add_nc_u64 s[86:87], s[86:87], s[28:29]
	v_mov_b64_e32 v[8:9], s[88:89]
	v_mov_b64_e32 v[10:11], s[86:87]
	s_or_b32 s4, vcc_lo, s4
	s_delay_alu instid0(SALU_CYCLE_1)
	s_and_not1_b32 exec_lo, exec_lo, s4
	s_cbranch_execnz .LBB153_90
; %bb.91:                               ;   in Loop: Header=BB153_31 Depth=1
	s_or_b32 exec_lo, exec_lo, s4
.LBB153_92:                             ;   in Loop: Header=BB153_31 Depth=1
	s_delay_alu instid0(SALU_CYCLE_1) | instskip(SKIP_3) | instid1(VALU_DEP_1)
	s_or_b32 exec_lo, exec_lo, s51
	v_add_nc_u64_e32 v[38:39], v[38:39], v[0:1]
	s_and_b64 s[14:15], s[80:81], 0x7fffffff
	s_mov_b32 s4, exec_lo
	v_cmpx_gt_u64_e64 s[14:15], v[38:39]
	s_cbranch_execz .LBB153_96
; %bb.93:                               ;   in Loop: Header=BB153_31 Depth=1
	s_mul_i32 s7, s84, s7
	s_delay_alu instid0(SALU_CYCLE_1)
	v_lshl_add_u32 v33, s7, 4, v16
	s_mov_b32 s7, 0
.LBB153_94:                             ;   Parent Loop BB153_31 Depth=1
                                        ; =>  This Inner Loop Header: Depth=2
	ds_load_b32 v34, v33
	v_add_nc_u64_e32 v[38:39], v[38:39], v[2:3]
	v_add_nc_u32_e32 v33, s82, v33
	s_delay_alu instid0(VALU_DEP_2) | instskip(SKIP_3) | instid1(VALU_DEP_2)
	v_cmp_le_u64_e32 vcc_lo, s[14:15], v[38:39]
	s_wait_dscnt 0x0
	v_xor_b32_e32 v40, 0x80000000, v34
	v_bitop3_b32 v34, v34, v55, 0x80000000 bitop3:0x48
	v_bfe_u32 v40, v40, s103, 2
	s_delay_alu instid0(VALU_DEP_2) | instskip(NEXT) | instid1(VALU_DEP_2)
	v_cmp_eq_u32_e64 s9, v34, v53
	v_cmp_eq_u32_e64 s10, 0, v40
	;; [unrolled: 1-line block ×5, first 2 shown]
	s_and_b32 s10, s9, s10
	s_delay_alu instid0(SALU_CYCLE_1) | instskip(SKIP_1) | instid1(SALU_CYCLE_1)
	v_cndmask_b32_e64 v34, 0, 1, s10
	s_and_b32 s10, s9, s11
	v_cndmask_b32_e64 v40, 0, 1, s10
	s_and_b32 s10, s9, s12
	s_and_b32 s9, s9, s13
	v_cndmask_b32_e64 v41, 0, 1, s10
	v_cndmask_b32_e64 v42, 0, 1, s9
	v_cmp_ne_u32_e64 s9, 0, v34
	v_cmp_ne_u32_e64 s10, 0, v40
	s_delay_alu instid0(VALU_DEP_4) | instskip(NEXT) | instid1(VALU_DEP_4)
	v_cmp_ne_u32_e64 s11, 0, v41
	v_cmp_ne_u32_e64 s12, 0, v42
	s_bcnt1_i32_b32 s28, s9
	s_delay_alu instid0(SALU_CYCLE_1) | instskip(SKIP_1) | instid1(SALU_CYCLE_1)
	v_add_nc_u64_e32 v[4:5], s[28:29], v[4:5]
	s_bcnt1_i32_b32 s28, s10
	v_add_nc_u64_e32 v[6:7], s[28:29], v[6:7]
	s_bcnt1_i32_b32 s28, s11
	s_delay_alu instid0(SALU_CYCLE_1)
	v_add_nc_u64_e32 v[8:9], s[28:29], v[8:9]
	s_bcnt1_i32_b32 s28, s12
	s_or_b32 s7, vcc_lo, s7
	v_add_nc_u64_e32 v[10:11], s[28:29], v[10:11]
	s_and_not1_b32 exec_lo, exec_lo, s7
	s_cbranch_execnz .LBB153_94
; %bb.95:                               ;   in Loop: Header=BB153_31 Depth=1
	s_or_b32 exec_lo, exec_lo, s7
.LBB153_96:                             ;   in Loop: Header=BB153_31 Depth=1
	s_delay_alu instid0(SALU_CYCLE_1)
	s_or_b32 exec_lo, exec_lo, s4
	s_lshl_b32 s4, s52, 7
	s_and_saveexec_b32 s7, s2
	s_cbranch_execnz .LBB153_67
	s_branch .LBB153_68
.LBB153_97:                             ;   in Loop: Header=BB153_31 Depth=1
                                        ; implicit-def: $sgpr10_sgpr11
	s_branch .LBB153_76
.LBB153_98:                             ;   in Loop: Header=BB153_31 Depth=1
	s_mov_b32 s9, 0
	s_and_not1_b32 vcc_lo, exec_lo, s100
	s_cbranch_vccnz .LBB153_101
.LBB153_99:                             ;   in Loop: Header=BB153_31 Depth=1
	s_lshl_b32 s10, s52, 10
	s_lshl_b32 s9, s9, 5
	s_delay_alu instid0(SALU_CYCLE_1)
	v_add3_u32 v2, s10, s9, v54
	v_readlane_b32 s9, v62, 10
.LBB153_100:                            ;   Parent Loop BB153_31 Depth=1
                                        ; =>  This Inner Loop Header: Depth=2
	ds_load_b64 v[6:7], v2
	v_add_nc_u32_e32 v2, 32, v2
	s_add_co_i32 s9, s9, -1
	s_delay_alu instid0(SALU_CYCLE_1)
	s_cmp_lg_u32 s9, 0
	s_wait_dscnt 0x0
	v_add_nc_u64_e32 v[4:5], v[6:7], v[4:5]
	s_cbranch_scc1 .LBB153_100
.LBB153_101:                            ;   in Loop: Header=BB153_31 Depth=1
	v_add_lshl_u32 v2, s4, v13, 3
	ds_store_b64 v2, v[4:5] offset:3072
.LBB153_102:                            ;   in Loop: Header=BB153_31 Depth=1
	s_or_b32 exec_lo, exec_lo, s7
	s_lshl_b32 s4, s4, 3
	s_wait_dscnt 0x0
	v_mov_b32_e32 v2, s4
	s_barrier_signal -1
	s_barrier_wait -1
	v_cmp_eq_u64_e64 s9, 1, v[36:37]
	ds_load_b128 v[4:7], v2 offset:3072
	ds_load_b128 v[8:11], v2 offset:3088
	s_lshl_b32 s24, 3, s103
	s_mov_b32 s82, -1
	s_not_b32 s25, s24
	s_mov_b32 s26, 0
	s_and_not1_b32 vcc_lo, exec_lo, s95
	s_mov_b32 s51, 0
	s_mov_b32 s27, 0
                                        ; implicit-def: $sgpr80
                                        ; implicit-def: $sgpr81
                                        ; implicit-def: $vgpr2
                                        ; implicit-def: $vgpr34
                                        ; implicit-def: $vgpr38
	s_wait_dscnt 0x1
	v_readfirstlane_b32 s13, v5
	v_readfirstlane_b32 s12, v4
	;; [unrolled: 1-line block ×4, first 2 shown]
	s_wait_dscnt 0x0
	v_readfirstlane_b32 s17, v9
	v_readfirstlane_b32 s16, v8
	;; [unrolled: 1-line block ×4, first 2 shown]
                                        ; implicit-def: $vgpr4_vgpr5
                                        ; implicit-def: $vgpr7
	s_cbranch_vccnz .LBB153_297
; %bb.103:                              ;   in Loop: Header=BB153_31 Depth=1
	s_cmp_eq_u64 s[12:13], 1
	v_dual_mov_b32 v34, v53 :: v_dual_mov_b32 v38, v55
	v_mov_b32_e32 v7, v35
	s_cselect_b32 s4, -1, 0
                                        ; implicit-def: $sgpr81
                                        ; implicit-def: $sgpr80
	s_delay_alu instid0(SALU_CYCLE_1)
	s_and_b32 s84, s4, s9
	s_mov_b32 s4, -1
	s_and_saveexec_b32 s27, s84
	s_cbranch_execz .LBB153_138
; %bb.104:                              ;   in Loop: Header=BB153_31 Depth=1
	ds_load_b64 v[4:5], v3 offset:5120
	s_wait_dscnt 0x0
	s_barrier_signal -1
	s_barrier_wait -1
	v_readfirstlane_b32 s10, v4
	v_readfirstlane_b32 s11, v5
	s_and_saveexec_b32 s4, s6
; %bb.105:                              ;   in Loop: Header=BB153_31 Depth=1
	ds_store_b32 v50, v3
; %bb.106:                              ;   in Loop: Header=BB153_31 Depth=1
	s_or_b32 exec_lo, exec_lo, s4
	v_and_b32_e32 v34, s25, v53
	v_or_b32_e32 v38, s24, v55
	s_mov_b32 s80, -1
	s_mov_b32 s81, 0
	s_cmp_eq_u64 s[10:11], 0
	s_mov_b32 s7, 0
	s_mov_b32 s4, -1
	s_wait_dscnt 0x0
	s_barrier_signal -1
	s_barrier_wait -1
                                        ; implicit-def: $vgpr7
	s_cbranch_scc1 .LBB153_123
; %bb.107:                              ;   in Loop: Header=BB153_31 Depth=1
	s_add_nc_u64 s[20:21], s[10:11], s[64:65]
	s_delay_alu instid0(SALU_CYCLE_1) | instskip(NEXT) | instid1(SALU_CYCLE_1)
	s_and_b64 s[22:23], s[20:21], 0xffffffff00000000
	s_cmp_lg_u64 s[22:23], 0
	s_cbranch_scc0 .LBB153_164
; %bb.108:                              ;   in Loop: Header=BB153_31 Depth=1
	s_cvt_f32_u32 s4, s40
	s_sub_nc_u64 s[70:71], 0, s[40:41]
	s_delay_alu instid0(SALU_CYCLE_2) | instskip(NEXT) | instid1(SALU_CYCLE_3)
	s_fmamk_f32 s4, s102, 0x0, s4
	v_s_rcp_f32 s4, s4
	s_delay_alu instid0(TRANS32_DEP_1) | instskip(NEXT) | instid1(SALU_CYCLE_3)
	s_mul_f32 s4, s4, 0x5f7ffffc
	s_mul_f32 s7, s4, 0x2f800000
	s_delay_alu instid0(SALU_CYCLE_3) | instskip(NEXT) | instid1(SALU_CYCLE_3)
	s_trunc_f32 s7, s7
	s_fmamk_f32 s4, s7, 0xcf800000, s4
	s_cvt_u32_f32 s23, s7
	s_delay_alu instid0(SALU_CYCLE_2) | instskip(NEXT) | instid1(SALU_CYCLE_3)
	s_cvt_u32_f32 s22, s4
	s_mul_u64 s[72:73], s[70:71], s[22:23]
	s_delay_alu instid0(SALU_CYCLE_1)
	s_mul_hi_u32 s75, s22, s73
	s_mul_i32 s74, s22, s73
	s_mul_hi_u32 s28, s22, s72
	s_mul_i32 s7, s23, s72
	s_add_nc_u64 s[74:75], s[28:29], s[74:75]
	s_mul_hi_u32 s4, s23, s72
	s_mul_hi_u32 s51, s23, s73
	s_add_co_u32 s7, s74, s7
	s_add_co_ci_u32 s28, s75, s4
	s_mul_i32 s72, s23, s73
	s_add_co_ci_u32 s73, s51, 0
	s_delay_alu instid0(SALU_CYCLE_1) | instskip(NEXT) | instid1(SALU_CYCLE_1)
	s_add_nc_u64 s[72:73], s[28:29], s[72:73]
	s_add_co_u32 s22, s22, s72
	s_cselect_b32 s4, -1, 0
	s_delay_alu instid0(SALU_CYCLE_1) | instskip(SKIP_1) | instid1(SALU_CYCLE_1)
	s_cmp_lg_u32 s4, 0
	s_add_co_ci_u32 s23, s23, s73
	s_mul_u64 s[70:71], s[70:71], s[22:23]
	s_delay_alu instid0(SALU_CYCLE_1)
	s_mul_hi_u32 s73, s22, s71
	s_mul_i32 s72, s22, s71
	s_mul_hi_u32 s28, s22, s70
	s_mul_i32 s7, s23, s70
	s_add_nc_u64 s[72:73], s[28:29], s[72:73]
	s_mul_hi_u32 s4, s23, s70
	s_mul_hi_u32 s51, s23, s71
	s_add_co_u32 s7, s72, s7
	s_add_co_ci_u32 s28, s73, s4
	s_mul_i32 s70, s23, s71
	s_add_co_ci_u32 s71, s51, 0
	s_delay_alu instid0(SALU_CYCLE_1) | instskip(NEXT) | instid1(SALU_CYCLE_1)
	s_add_nc_u64 s[70:71], s[28:29], s[70:71]
	s_add_co_u32 s4, s22, s70
	s_cselect_b32 s7, -1, 0
	s_mul_hi_u32 s28, s20, s4
	s_cmp_lg_u32 s7, 0
	s_mul_hi_u32 s7, s21, s4
	s_add_co_ci_u32 s51, s23, s71
	s_mul_i32 s4, s21, s4
	s_mul_hi_u32 s23, s20, s51
	s_mul_i32 s22, s20, s51
	s_mul_hi_u32 s71, s21, s51
	s_add_nc_u64 s[22:23], s[28:29], s[22:23]
	s_mul_i32 s70, s21, s51
	s_add_co_u32 s4, s22, s4
	s_add_co_ci_u32 s28, s23, s7
	s_add_co_ci_u32 s71, s71, 0
	s_delay_alu instid0(SALU_CYCLE_1) | instskip(NEXT) | instid1(SALU_CYCLE_1)
	s_add_nc_u64 s[22:23], s[28:29], s[70:71]
	s_and_b64 s[70:71], s[22:23], 0xffffffff00000000
	s_delay_alu instid0(SALU_CYCLE_1) | instskip(NEXT) | instid1(SALU_CYCLE_1)
	s_or_b32 s70, s70, s22
	s_mul_u64 s[22:23], s[40:41], s[70:71]
	s_delay_alu instid0(SALU_CYCLE_1) | instskip(SKIP_1) | instid1(SALU_CYCLE_1)
	s_sub_co_u32 s4, s20, s22
	s_cselect_b32 s7, -1, 0
	s_cmp_lg_u32 s7, 0
	s_sub_co_ci_u32 s7, s21, s23
	s_sub_co_u32 s22, s4, s40
	s_cselect_b32 s23, -1, 0
	s_delay_alu instid0(SALU_CYCLE_1) | instskip(SKIP_3) | instid1(SALU_CYCLE_1)
	s_cmp_lg_u32 s23, 0
	s_sub_co_ci_u32 s23, s7, 0
	s_sub_co_u32 s28, s22, s40
	s_cselect_b32 s51, -1, 0
	s_cmp_lg_u32 s51, 0
	s_sub_co_ci_u32 s51, s23, 0
	s_cmp_ge_u32 s22, s40
	s_cselect_b32 s70, -1, 0
	s_cmp_eq_u32 s23, 0
	s_cselect_b32 s70, s70, -1
	s_delay_alu instid0(SALU_CYCLE_1)
	s_cmp_lg_u32 s70, 0
	s_cselect_b32 s23, s51, s23
	s_cselect_b32 s22, s28, s22
	s_cmp_ge_u32 s4, s40
	s_cselect_b32 s28, -1, 0
	s_cmp_eq_u32 s7, 0
	s_cselect_b32 s28, s28, -1
	s_delay_alu instid0(SALU_CYCLE_1)
	s_cmp_lg_u32 s28, 0
	s_cselect_b32 s23, s23, s7
	s_cselect_b32 s22, s22, s4
	s_cbranch_execnz .LBB153_110
.LBB153_109:                            ;   in Loop: Header=BB153_31 Depth=1
	v_cvt_f32_u32_e32 v2, s40
	s_sub_co_i32 s7, 0, s40
	s_delay_alu instid0(VALU_DEP_1) | instskip(SKIP_1) | instid1(TRANS32_DEP_1)
	v_rcp_iflag_f32_e32 v2, v2
	v_nop
	v_mul_f32_e32 v2, 0x4f7ffffe, v2
	s_delay_alu instid0(VALU_DEP_1) | instskip(NEXT) | instid1(VALU_DEP_1)
	v_cvt_u32_f32_e32 v2, v2
	v_readfirstlane_b32 s4, v2
	s_mul_i32 s7, s7, s4
	s_delay_alu instid0(SALU_CYCLE_1) | instskip(NEXT) | instid1(SALU_CYCLE_1)
	s_mul_hi_u32 s7, s4, s7
	s_add_co_i32 s4, s4, s7
	s_delay_alu instid0(SALU_CYCLE_1) | instskip(NEXT) | instid1(SALU_CYCLE_1)
	s_mul_hi_u32 s4, s20, s4
	s_mul_i32 s4, s4, s40
	s_delay_alu instid0(SALU_CYCLE_1) | instskip(NEXT) | instid1(SALU_CYCLE_1)
	s_sub_co_i32 s4, s20, s4
	s_sub_co_i32 s7, s4, s40
	s_cmp_ge_u32 s4, s40
	s_cselect_b32 s4, s7, s4
	s_delay_alu instid0(SALU_CYCLE_1) | instskip(SKIP_2) | instid1(SALU_CYCLE_1)
	s_sub_co_i32 s7, s4, s40
	s_cmp_ge_u32 s4, s40
	s_cselect_b32 s28, s7, s4
	s_mov_b64 s[22:23], s[28:29]
.LBB153_110:                            ;   in Loop: Header=BB153_31 Depth=1
	s_delay_alu instid0(SALU_CYCLE_1)
	s_sub_nc_u64 s[20:21], s[20:21], s[22:23]
	s_mov_b32 s4, 0
	s_mov_b32 s7, 0
	s_mov_b32 s22, exec_lo
                                        ; implicit-def: $vgpr7
	v_cmpx_gt_u64_e64 s[20:21], v[0:1]
	s_cbranch_execz .LBB153_122
; %bb.111:                              ;   in Loop: Header=BB153_31 Depth=1
	v_mov_b64_e32 v[4:5], v[0:1]
	v_mov_b32_e32 v2, v16
                                        ; implicit-def: $sgpr23
	s_branch .LBB153_114
.LBB153_112:                            ;   in Loop: Header=BB153_114 Depth=2
	s_or_b32 exec_lo, exec_lo, s28
	s_wait_dscnt 0x0
	s_barrier_signal -1
	s_barrier_wait -1
	ds_load_b64 v[6:7], v3 offset:3072
	s_mov_b32 s28, -1
	s_mov_b32 s51, -1
	s_wait_dscnt 0x0
	s_barrier_signal -1
	s_barrier_wait -1
	v_cmp_ne_u32_e32 vcc_lo, 0, v6
	s_cbranch_vccz .LBB153_117
.LBB153_113:                            ;   in Loop: Header=BB153_114 Depth=2
	s_and_b32 s28, exec_lo, s28
	s_delay_alu instid0(SALU_CYCLE_1) | instskip(SKIP_2) | instid1(SALU_CYCLE_1)
	s_or_b32 s7, s28, s7
	s_and_not1_b32 s23, s23, exec_lo
	s_and_b32 s28, s51, exec_lo
	s_or_b32 s23, s23, s28
	s_and_not1_b32 exec_lo, exec_lo, s7
	s_cbranch_execz .LBB153_121
.LBB153_114:                            ;   Parent Loop BB153_31 Depth=1
                                        ; =>  This Inner Loop Header: Depth=2
	s_mov_b32 s28, exec_lo
	s_delay_alu instid0(VALU_DEP_2)
	v_cmpx_gt_u64_e64 s[10:11], v[4:5]
	s_cbranch_execz .LBB153_112
; %bb.115:                              ;   in Loop: Header=BB153_114 Depth=2
	ds_load_b32 v33, v2
	s_wait_dscnt 0x0
	v_bitop3_b32 v6, v33, v38, 0x80000000 bitop3:0x48
	s_delay_alu instid0(VALU_DEP_1)
	v_cmp_eq_u32_e32 vcc_lo, v6, v34
	s_and_b32 exec_lo, exec_lo, vcc_lo
	s_cbranch_execz .LBB153_112
; %bb.116:                              ;   in Loop: Header=BB153_114 Depth=2
	ds_store_b64 v3, v[32:33] offset:3072
	s_branch .LBB153_112
.LBB153_117:                            ;   in Loop: Header=BB153_114 Depth=2
	v_add_nc_u64_e32 v[4:5], s[40:41], v[4:5]
	v_add_nc_u32_e32 v2, s101, v2
	s_mov_b32 s51, 0
	s_delay_alu instid0(VALU_DEP_2)
	v_cmp_le_u64_e32 vcc_lo, s[20:21], v[4:5]
	s_or_not1_b32 s28, vcc_lo, exec_lo
	s_branch .LBB153_113
.LBB153_118:                            ;   in Loop: Header=BB153_31 Depth=1
	s_or_b32 exec_lo, exec_lo, s7
	s_wait_dscnt 0x0
	s_barrier_signal -1
	s_barrier_wait -1
	s_and_saveexec_b32 s7, s5
	s_cbranch_execz .LBB153_120
; %bb.119:                              ;   in Loop: Header=BB153_31 Depth=1
	ds_load_b32 v4, v3 offset:5144
	s_wait_dscnt 0x0
	v_ashrrev_i32_e32 v5, 31, v4
	ds_store_b64 v3, v[4:5] offset:5120
.LBB153_120:                            ;   in Loop: Header=BB153_31 Depth=1
	s_or_b32 exec_lo, exec_lo, s7
	s_wait_dscnt 0x0
	s_barrier_signal -1
	s_mov_b32 s7, -1
	s_barrier_wait -1
	s_and_b32 vcc_lo, exec_lo, s4
	s_cbranch_vccnz .LBB153_47
	s_branch .LBB153_62
.LBB153_121:                            ;   in Loop: Header=BB153_31 Depth=1
	s_or_b32 exec_lo, exec_lo, s7
	s_delay_alu instid0(SALU_CYCLE_1)
	s_and_b32 s7, s23, exec_lo
.LBB153_122:                            ;   in Loop: Header=BB153_31 Depth=1
	s_or_b32 exec_lo, exec_lo, s22
.LBB153_123:                            ;   in Loop: Header=BB153_31 Depth=1
	s_delay_alu instid0(SALU_CYCLE_1)
	s_and_b32 vcc_lo, exec_lo, s4
	s_cbranch_vccz .LBB153_137
; %bb.124:                              ;   in Loop: Header=BB153_31 Depth=1
	s_and_b64 s[10:11], s[66:67], 0xffffffff00000000
	s_delay_alu instid0(SALU_CYCLE_1)
	s_cmp_lg_u64 s[10:11], 0
	s_cbranch_scc0 .LBB153_165
; %bb.125:                              ;   in Loop: Header=BB153_31 Depth=1
	s_cvt_f32_u32 s4, s40
	s_sub_nc_u64 s[20:21], 0, s[40:41]
	s_delay_alu instid0(SALU_CYCLE_2) | instskip(NEXT) | instid1(SALU_CYCLE_3)
	s_fmamk_f32 s4, s102, 0x0, s4
	v_s_rcp_f32 s4, s4
	s_delay_alu instid0(TRANS32_DEP_1) | instskip(NEXT) | instid1(SALU_CYCLE_3)
	s_mul_f32 s4, s4, 0x5f7ffffc
	s_mul_f32 s10, s4, 0x2f800000
	s_delay_alu instid0(SALU_CYCLE_3) | instskip(NEXT) | instid1(SALU_CYCLE_3)
	s_trunc_f32 s10, s10
	s_fmamk_f32 s4, s10, 0xcf800000, s4
	s_cvt_u32_f32 s11, s10
	s_delay_alu instid0(SALU_CYCLE_2) | instskip(NEXT) | instid1(SALU_CYCLE_3)
	s_cvt_u32_f32 s10, s4
	s_mul_u64 s[22:23], s[20:21], s[10:11]
	s_delay_alu instid0(SALU_CYCLE_1)
	s_mul_hi_u32 s71, s10, s23
	s_mul_i32 s70, s10, s23
	s_mul_hi_u32 s28, s10, s22
	s_mul_i32 s51, s11, s22
	s_add_nc_u64 s[70:71], s[28:29], s[70:71]
	s_mul_hi_u32 s4, s11, s22
	s_mul_hi_u32 s72, s11, s23
	s_mul_i32 s22, s11, s23
	s_add_co_u32 s23, s70, s51
	s_add_co_ci_u32 s28, s71, s4
	s_add_co_ci_u32 s23, s72, 0
	s_delay_alu instid0(SALU_CYCLE_1) | instskip(NEXT) | instid1(SALU_CYCLE_1)
	s_add_nc_u64 s[22:23], s[28:29], s[22:23]
	s_add_co_u32 s10, s10, s22
	s_cselect_b32 s4, -1, 0
	s_delay_alu instid0(SALU_CYCLE_1) | instskip(SKIP_1) | instid1(SALU_CYCLE_1)
	s_cmp_lg_u32 s4, 0
	s_add_co_ci_u32 s11, s11, s23
	s_mul_u64 s[20:21], s[20:21], s[10:11]
	s_delay_alu instid0(SALU_CYCLE_1)
	s_mul_hi_u32 s23, s10, s21
	s_mul_i32 s22, s10, s21
	s_mul_hi_u32 s28, s10, s20
	s_mul_i32 s51, s11, s20
	s_add_nc_u64 s[22:23], s[28:29], s[22:23]
	s_mul_hi_u32 s4, s11, s20
	s_mul_hi_u32 s70, s11, s21
	s_mul_i32 s20, s11, s21
	s_add_co_u32 s21, s22, s51
	s_add_co_ci_u32 s28, s23, s4
	s_add_co_ci_u32 s21, s70, 0
	s_delay_alu instid0(SALU_CYCLE_1) | instskip(NEXT) | instid1(SALU_CYCLE_1)
	s_add_nc_u64 s[20:21], s[28:29], s[20:21]
	s_add_co_u32 s4, s10, s20
	s_cselect_b32 s10, -1, 0
	s_mul_hi_u32 s28, s66, s4
	s_cmp_lg_u32 s10, 0
	s_mul_hi_u32 s22, s67, s4
	s_add_co_ci_u32 s20, s11, s21
	s_mul_i32 s4, s67, s4
	s_mul_hi_u32 s11, s66, s20
	s_mul_i32 s10, s66, s20
	s_mul_hi_u32 s21, s67, s20
	s_add_nc_u64 s[10:11], s[28:29], s[10:11]
	s_mul_i32 s20, s67, s20
	s_add_co_u32 s4, s10, s4
	s_add_co_ci_u32 s28, s11, s22
	s_add_co_ci_u32 s21, s21, 0
	s_delay_alu instid0(SALU_CYCLE_1) | instskip(NEXT) | instid1(SALU_CYCLE_1)
	s_add_nc_u64 s[10:11], s[28:29], s[20:21]
	s_and_b64 s[20:21], s[10:11], 0xffffffff00000000
	s_delay_alu instid0(SALU_CYCLE_1) | instskip(NEXT) | instid1(SALU_CYCLE_1)
	s_or_b32 s20, s20, s10
	s_mul_u64 s[10:11], s[40:41], s[20:21]
	s_delay_alu instid0(SALU_CYCLE_1) | instskip(SKIP_1) | instid1(SALU_CYCLE_1)
	s_sub_co_u32 s4, s66, s10
	s_cselect_b32 s10, -1, 0
	s_cmp_lg_u32 s10, 0
	s_sub_co_ci_u32 s10, s67, s11
	s_sub_co_u32 s11, s4, s40
	s_cselect_b32 s20, -1, 0
	s_delay_alu instid0(SALU_CYCLE_1) | instskip(SKIP_3) | instid1(SALU_CYCLE_1)
	s_cmp_lg_u32 s20, 0
	s_sub_co_ci_u32 s20, s10, 0
	s_sub_co_u32 s21, s11, s40
	s_cselect_b32 s22, -1, 0
	s_cmp_lg_u32 s22, 0
	s_sub_co_ci_u32 s22, s20, 0
	s_cmp_ge_u32 s11, s40
	s_cselect_b32 s23, -1, 0
	s_cmp_eq_u32 s20, 0
	s_cselect_b32 s23, s23, -1
	s_delay_alu instid0(SALU_CYCLE_1)
	s_cmp_lg_u32 s23, 0
	s_cselect_b32 s20, s22, s20
	s_cselect_b32 s21, s21, s11
	s_cmp_ge_u32 s4, s40
	s_cselect_b32 s11, -1, 0
	s_cmp_eq_u32 s10, 0
	s_cselect_b32 s11, s11, -1
	s_delay_alu instid0(SALU_CYCLE_1)
	s_cmp_lg_u32 s11, 0
	s_cselect_b32 s11, s20, s10
	s_cselect_b32 s10, s21, s4
	s_cbranch_execnz .LBB153_127
.LBB153_126:                            ;   in Loop: Header=BB153_31 Depth=1
	v_cvt_f32_u32_e32 v2, s40
	s_sub_co_i32 s10, 0, s40
	s_delay_alu instid0(VALU_DEP_1) | instskip(SKIP_1) | instid1(TRANS32_DEP_1)
	v_rcp_iflag_f32_e32 v2, v2
	v_nop
	v_mul_f32_e32 v2, 0x4f7ffffe, v2
	s_delay_alu instid0(VALU_DEP_1) | instskip(NEXT) | instid1(VALU_DEP_1)
	v_cvt_u32_f32_e32 v2, v2
	v_readfirstlane_b32 s4, v2
	s_mul_i32 s10, s10, s4
	s_delay_alu instid0(SALU_CYCLE_1) | instskip(NEXT) | instid1(SALU_CYCLE_1)
	s_mul_hi_u32 s10, s4, s10
	s_add_co_i32 s4, s4, s10
	s_delay_alu instid0(SALU_CYCLE_1) | instskip(NEXT) | instid1(SALU_CYCLE_1)
	s_mul_hi_u32 s4, s66, s4
	s_mul_i32 s4, s4, s40
	s_delay_alu instid0(SALU_CYCLE_1) | instskip(NEXT) | instid1(SALU_CYCLE_1)
	s_sub_co_i32 s4, s66, s4
	s_sub_co_i32 s10, s4, s40
	s_cmp_ge_u32 s4, s40
	s_cselect_b32 s4, s10, s4
	s_delay_alu instid0(SALU_CYCLE_1) | instskip(SKIP_2) | instid1(SALU_CYCLE_1)
	s_sub_co_i32 s10, s4, s40
	s_cmp_ge_u32 s4, s40
	s_cselect_b32 s28, s10, s4
	s_mov_b64 s[10:11], s[28:29]
.LBB153_127:                            ;   in Loop: Header=BB153_31 Depth=1
	s_delay_alu instid0(SALU_CYCLE_1)
	s_sub_nc_u64 s[10:11], s[66:67], s[10:11]
	s_mov_b32 s4, exec_lo
                                        ; implicit-def: $vgpr7
	v_cmpx_gt_u64_e64 s[10:11], v[0:1]
	s_cbranch_execz .LBB153_136
; %bb.128:                              ;   in Loop: Header=BB153_31 Depth=1
	v_mov_b64_e32 v[4:5], v[30:31]
	v_mov_b64_e32 v[8:9], v[0:1]
	s_mov_b32 s20, 0
                                        ; implicit-def: $sgpr21
	s_branch .LBB153_131
.LBB153_129:                            ;   in Loop: Header=BB153_131 Depth=2
	s_or_b32 exec_lo, exec_lo, s22
	s_wait_dscnt 0x0
	s_barrier_signal -1
	s_barrier_wait -1
	ds_load_b64 v[6:7], v3 offset:3072
	s_mov_b32 s22, -1
	s_mov_b32 s23, -1
	s_wait_dscnt 0x0
	s_barrier_signal -1
	s_barrier_wait -1
	v_cmp_ne_u32_e32 vcc_lo, 0, v6
	s_cbranch_vccz .LBB153_134
.LBB153_130:                            ;   in Loop: Header=BB153_131 Depth=2
	s_and_b32 s22, exec_lo, s22
	s_delay_alu instid0(SALU_CYCLE_1) | instskip(SKIP_2) | instid1(SALU_CYCLE_1)
	s_or_b32 s20, s22, s20
	s_and_not1_b32 s21, s21, exec_lo
	s_and_b32 s22, s23, exec_lo
	s_or_b32 s21, s21, s22
	s_and_not1_b32 exec_lo, exec_lo, s20
	s_cbranch_execz .LBB153_135
.LBB153_131:                            ;   Parent Loop BB153_31 Depth=1
                                        ; =>  This Inner Loop Header: Depth=2
	s_mov_b32 s22, exec_lo
	s_delay_alu instid0(VALU_DEP_1)
	v_cmpx_gt_u64_e64 s[36:37], v[8:9]
	s_cbranch_execz .LBB153_129
; %bb.132:                              ;   in Loop: Header=BB153_131 Depth=2
	global_load_b32 v33, v[4:5], off
	s_wait_loadcnt 0x0
	v_bitop3_b32 v2, v33, v38, 0x80000000 bitop3:0x48
	s_delay_alu instid0(VALU_DEP_1)
	v_cmp_eq_u32_e32 vcc_lo, v2, v34
	s_and_b32 exec_lo, exec_lo, vcc_lo
	s_cbranch_execz .LBB153_129
; %bb.133:                              ;   in Loop: Header=BB153_131 Depth=2
	ds_store_b64 v3, v[32:33] offset:3072
	s_branch .LBB153_129
.LBB153_134:                            ;   in Loop: Header=BB153_131 Depth=2
	v_add_nc_u64_e32 v[8:9], s[40:41], v[8:9]
	v_add_nc_u64_e32 v[4:5], s[44:45], v[4:5]
	s_mov_b32 s23, 0
	s_delay_alu instid0(VALU_DEP_2)
	v_cmp_le_u64_e32 vcc_lo, s[10:11], v[8:9]
	s_or_not1_b32 s22, vcc_lo, exec_lo
	s_branch .LBB153_130
.LBB153_135:                            ;   in Loop: Header=BB153_31 Depth=1
	s_or_b32 exec_lo, exec_lo, s20
	s_delay_alu instid0(SALU_CYCLE_1) | instskip(SKIP_1) | instid1(SALU_CYCLE_1)
	s_and_not1_b32 s7, s7, exec_lo
	s_and_b32 s10, s21, exec_lo
	s_or_b32 s7, s7, s10
.LBB153_136:                            ;   in Loop: Header=BB153_31 Depth=1
	s_or_b32 exec_lo, exec_lo, s4
	s_mov_b32 s80, 0
	s_mov_b32 s81, -1
.LBB153_137:                            ;   in Loop: Header=BB153_31 Depth=1
	s_or_not1_b32 s4, s7, exec_lo
.LBB153_138:                            ;   in Loop: Header=BB153_31 Depth=1
	s_or_b32 exec_lo, exec_lo, s27
	s_mov_b32 s82, 0
	s_mov_b32 s51, 0
	;; [unrolled: 1-line block ×3, first 2 shown]
                                        ; implicit-def: $vgpr4_vgpr5
                                        ; implicit-def: $vgpr2
	s_and_saveexec_b32 s83, s4
	s_cbranch_execz .LBB153_296
; %bb.139:                              ;   in Loop: Header=BB153_31 Depth=1
	v_mov_b64_e32 v[4:5], 1
	v_mov_b32_e32 v2, 1
	s_xor_b32 s10, s84, -1
	s_mov_b32 s7, 0
	s_and_saveexec_b32 s4, s10
	s_cbranch_execz .LBB153_148
; %bb.140:                              ;   in Loop: Header=BB153_31 Depth=1
	s_mov_b32 s7, exec_lo
	v_cmpx_ge_u64_e64 s[12:13], v[36:37]
	s_xor_b32 s7, exec_lo, s7
	s_cbranch_execz .LBB153_145
; %bb.141:                              ;   in Loop: Header=BB153_31 Depth=1
	ds_load_b64 v[4:5], v3 offset:5120
	v_and_b32_e32 v34, s25, v34
	v_or_b32_e32 v38, s24, v38
	s_wait_dscnt 0x0
	v_cmp_ne_u64_e32 vcc_lo, 0, v[4:5]
	s_cbranch_vccnz .LBB153_145
; %bb.142:                              ;   in Loop: Header=BB153_31 Depth=1
	s_and_saveexec_b32 s10, s5
; %bb.143:                              ;   in Loop: Header=BB153_31 Depth=1
	v_mov_b64_e32 v[4:5], s[12:13]
	ds_store_b64 v3, v[4:5] offset:5128
; %bb.144:                              ;   in Loop: Header=BB153_31 Depth=1
	s_or_b32 exec_lo, exec_lo, s10
	s_wait_dscnt 0x0
	s_barrier_signal -1
	s_barrier_wait -1
.LBB153_145:                            ;   in Loop: Header=BB153_31 Depth=1
	s_or_saveexec_b32 s7, s7
	v_mov_b64_e32 v[4:5], v[36:37]
	v_mov_b32_e32 v2, 8
	s_mov_b32 s10, 0
	s_xor_b32 exec_lo, exec_lo, s7
; %bb.146:                              ;   in Loop: Header=BB153_31 Depth=1
	v_sub_nc_u64_e64 v[4:5], v[36:37], s[12:13]
	v_mov_b32_e32 v2, 0
	s_mov_b32 s10, exec_lo
; %bb.147:                              ;   in Loop: Header=BB153_31 Depth=1
	s_or_b32 exec_lo, exec_lo, s7
	s_delay_alu instid0(SALU_CYCLE_1)
	s_and_b32 s7, s10, exec_lo
.LBB153_148:                            ;   in Loop: Header=BB153_31 Depth=1
	s_or_b32 exec_lo, exec_lo, s4
	s_mov_b32 s4, -1
                                        ; implicit-def: $sgpr51
                                        ; implicit-def: $sgpr84
	s_and_saveexec_b32 s10, s7
	s_delay_alu instid0(SALU_CYCLE_1)
	s_xor_b32 s27, exec_lo, s10
	s_cbranch_execz .LBB153_293
; %bb.149:                              ;   in Loop: Header=BB153_31 Depth=1
	v_cmp_eq_u64_e32 vcc_lo, 1, v[4:5]
	s_cmp_eq_u64 s[14:15], 1
                                        ; implicit-def: $sgpr84
                                        ; implicit-def: $sgpr51
	s_cselect_b32 s4, -1, 0
	s_delay_alu instid0(SALU_CYCLE_1)
	s_and_b32 s86, s4, vcc_lo
	s_mov_b32 s4, -1
	s_and_saveexec_b32 s85, s86
	s_cbranch_execz .LBB153_183
; %bb.150:                              ;   in Loop: Header=BB153_31 Depth=1
	ds_load_b64 v[6:7], v3 offset:5120
	s_wait_dscnt 0x0
	s_barrier_signal -1
	s_barrier_wait -1
	v_readfirstlane_b32 s10, v6
	v_readfirstlane_b32 s11, v7
	s_and_saveexec_b32 s4, s6
; %bb.151:                              ;   in Loop: Header=BB153_31 Depth=1
	ds_store_b32 v50, v3
; %bb.152:                              ;   in Loop: Header=BB153_31 Depth=1
	s_or_b32 exec_lo, exec_lo, s4
	s_lshl_b32 s4, 1, s103
	v_or_b32_e32 v38, s24, v38
	v_and_or_b32 v34, v34, s25, s4
	s_mov_b32 s51, -1
	s_mov_b32 s84, 0
	s_cmp_eq_u64 s[10:11], 0
	s_mov_b32 s7, 0
	s_mov_b32 s4, -1
	s_wait_dscnt 0x0
	s_barrier_signal -1
	s_barrier_wait -1
                                        ; implicit-def: $vgpr7
	s_cbranch_scc1 .LBB153_168
; %bb.153:                              ;   in Loop: Header=BB153_31 Depth=1
	s_add_nc_u64 s[20:21], s[10:11], s[64:65]
	s_delay_alu instid0(SALU_CYCLE_1) | instskip(NEXT) | instid1(SALU_CYCLE_1)
	s_and_b64 s[22:23], s[20:21], 0xffffffff00000000
	s_cmp_lg_u64 s[22:23], 0
	s_cbranch_scc0 .LBB153_209
; %bb.154:                              ;   in Loop: Header=BB153_31 Depth=1
	s_cvt_f32_u32 s4, s40
	s_sub_nc_u64 s[70:71], 0, s[40:41]
	s_delay_alu instid0(SALU_CYCLE_2) | instskip(NEXT) | instid1(SALU_CYCLE_3)
	s_fmamk_f32 s4, s102, 0x0, s4
	v_s_rcp_f32 s4, s4
	s_delay_alu instid0(TRANS32_DEP_1) | instskip(NEXT) | instid1(SALU_CYCLE_3)
	s_mul_f32 s4, s4, 0x5f7ffffc
	s_mul_f32 s7, s4, 0x2f800000
	s_delay_alu instid0(SALU_CYCLE_3) | instskip(NEXT) | instid1(SALU_CYCLE_3)
	s_trunc_f32 s7, s7
	s_fmamk_f32 s4, s7, 0xcf800000, s4
	s_cvt_u32_f32 s23, s7
	s_delay_alu instid0(SALU_CYCLE_2) | instskip(NEXT) | instid1(SALU_CYCLE_3)
	s_cvt_u32_f32 s22, s4
	s_mul_u64 s[88:89], s[70:71], s[22:23]
	s_delay_alu instid0(SALU_CYCLE_1)
	s_mul_hi_u32 s91, s22, s89
	s_mul_i32 s90, s22, s89
	s_mul_hi_u32 s28, s22, s88
	s_mul_i32 s7, s23, s88
	s_add_nc_u64 s[90:91], s[28:29], s[90:91]
	s_mul_hi_u32 s4, s23, s88
	s_mul_hi_u32 s72, s23, s89
	s_add_co_u32 s7, s90, s7
	s_add_co_ci_u32 s28, s91, s4
	s_mul_i32 s88, s23, s89
	s_add_co_ci_u32 s89, s72, 0
	s_delay_alu instid0(SALU_CYCLE_1) | instskip(NEXT) | instid1(SALU_CYCLE_1)
	s_add_nc_u64 s[88:89], s[28:29], s[88:89]
	s_add_co_u32 s22, s22, s88
	s_cselect_b32 s4, -1, 0
	s_delay_alu instid0(SALU_CYCLE_1) | instskip(SKIP_1) | instid1(SALU_CYCLE_1)
	s_cmp_lg_u32 s4, 0
	s_add_co_ci_u32 s23, s23, s89
	s_mul_u64 s[70:71], s[70:71], s[22:23]
	s_delay_alu instid0(SALU_CYCLE_1)
	s_mul_hi_u32 s89, s22, s71
	s_mul_i32 s88, s22, s71
	s_mul_hi_u32 s28, s22, s70
	s_mul_i32 s7, s23, s70
	s_add_nc_u64 s[88:89], s[28:29], s[88:89]
	s_mul_hi_u32 s4, s23, s70
	s_mul_hi_u32 s72, s23, s71
	s_add_co_u32 s7, s88, s7
	s_add_co_ci_u32 s28, s89, s4
	s_mul_i32 s70, s23, s71
	s_add_co_ci_u32 s71, s72, 0
	s_delay_alu instid0(SALU_CYCLE_1) | instskip(NEXT) | instid1(SALU_CYCLE_1)
	s_add_nc_u64 s[70:71], s[28:29], s[70:71]
	s_add_co_u32 s4, s22, s70
	s_cselect_b32 s7, -1, 0
	s_mul_hi_u32 s28, s20, s4
	s_cmp_lg_u32 s7, 0
	s_mul_hi_u32 s7, s21, s4
	s_add_co_ci_u32 s70, s23, s71
	s_mul_i32 s4, s21, s4
	s_mul_hi_u32 s23, s20, s70
	s_mul_i32 s22, s20, s70
	s_mul_hi_u32 s71, s21, s70
	s_add_nc_u64 s[22:23], s[28:29], s[22:23]
	s_mul_i32 s70, s21, s70
	s_add_co_u32 s4, s22, s4
	s_add_co_ci_u32 s28, s23, s7
	s_add_co_ci_u32 s71, s71, 0
	s_delay_alu instid0(SALU_CYCLE_1) | instskip(NEXT) | instid1(SALU_CYCLE_1)
	s_add_nc_u64 s[22:23], s[28:29], s[70:71]
	s_and_b64 s[70:71], s[22:23], 0xffffffff00000000
	s_delay_alu instid0(SALU_CYCLE_1) | instskip(NEXT) | instid1(SALU_CYCLE_1)
	s_or_b32 s70, s70, s22
	s_mul_u64 s[22:23], s[40:41], s[70:71]
	s_delay_alu instid0(SALU_CYCLE_1) | instskip(SKIP_1) | instid1(SALU_CYCLE_1)
	s_sub_co_u32 s4, s20, s22
	s_cselect_b32 s7, -1, 0
	s_cmp_lg_u32 s7, 0
	s_sub_co_ci_u32 s7, s21, s23
	s_sub_co_u32 s22, s4, s40
	s_cselect_b32 s23, -1, 0
	s_delay_alu instid0(SALU_CYCLE_1) | instskip(SKIP_3) | instid1(SALU_CYCLE_1)
	s_cmp_lg_u32 s23, 0
	s_sub_co_ci_u32 s23, s7, 0
	s_sub_co_u32 s28, s22, s40
	s_cselect_b32 s70, -1, 0
	s_cmp_lg_u32 s70, 0
	s_sub_co_ci_u32 s70, s23, 0
	s_cmp_ge_u32 s22, s40
	s_cselect_b32 s71, -1, 0
	s_cmp_eq_u32 s23, 0
	s_cselect_b32 s71, s71, -1
	s_delay_alu instid0(SALU_CYCLE_1)
	s_cmp_lg_u32 s71, 0
	s_cselect_b32 s23, s70, s23
	s_cselect_b32 s22, s28, s22
	s_cmp_ge_u32 s4, s40
	s_cselect_b32 s28, -1, 0
	s_cmp_eq_u32 s7, 0
	s_cselect_b32 s28, s28, -1
	s_delay_alu instid0(SALU_CYCLE_1)
	s_cmp_lg_u32 s28, 0
	s_cselect_b32 s23, s23, s7
	s_cselect_b32 s22, s22, s4
	s_cbranch_execnz .LBB153_156
.LBB153_155:                            ;   in Loop: Header=BB153_31 Depth=1
	v_cvt_f32_u32_e32 v6, s40
	s_sub_co_i32 s7, 0, s40
	s_delay_alu instid0(VALU_DEP_1) | instskip(SKIP_1) | instid1(TRANS32_DEP_1)
	v_rcp_iflag_f32_e32 v6, v6
	v_nop
	v_mul_f32_e32 v6, 0x4f7ffffe, v6
	s_delay_alu instid0(VALU_DEP_1) | instskip(NEXT) | instid1(VALU_DEP_1)
	v_cvt_u32_f32_e32 v6, v6
	v_readfirstlane_b32 s4, v6
	s_mul_i32 s7, s7, s4
	s_delay_alu instid0(SALU_CYCLE_1) | instskip(NEXT) | instid1(SALU_CYCLE_1)
	s_mul_hi_u32 s7, s4, s7
	s_add_co_i32 s4, s4, s7
	s_delay_alu instid0(SALU_CYCLE_1) | instskip(NEXT) | instid1(SALU_CYCLE_1)
	s_mul_hi_u32 s4, s20, s4
	s_mul_i32 s4, s4, s40
	s_delay_alu instid0(SALU_CYCLE_1) | instskip(NEXT) | instid1(SALU_CYCLE_1)
	s_sub_co_i32 s4, s20, s4
	s_sub_co_i32 s7, s4, s40
	s_cmp_ge_u32 s4, s40
	s_cselect_b32 s4, s7, s4
	s_delay_alu instid0(SALU_CYCLE_1) | instskip(SKIP_2) | instid1(SALU_CYCLE_1)
	s_sub_co_i32 s7, s4, s40
	s_cmp_ge_u32 s4, s40
	s_cselect_b32 s28, s7, s4
	s_mov_b64 s[22:23], s[28:29]
.LBB153_156:                            ;   in Loop: Header=BB153_31 Depth=1
	s_delay_alu instid0(SALU_CYCLE_1)
	s_sub_nc_u64 s[20:21], s[20:21], s[22:23]
	s_mov_b32 s4, 0
	s_mov_b32 s7, 0
	s_mov_b32 s22, exec_lo
                                        ; implicit-def: $vgpr7
	v_cmpx_gt_u64_e64 s[20:21], v[0:1]
	s_cbranch_execz .LBB153_167
; %bb.157:                              ;   in Loop: Header=BB153_31 Depth=1
	v_mov_b64_e32 v[8:9], v[0:1]
	v_mov_b32_e32 v10, v16
                                        ; implicit-def: $sgpr23
	s_branch .LBB153_160
.LBB153_158:                            ;   in Loop: Header=BB153_160 Depth=2
	s_or_b32 exec_lo, exec_lo, s28
	s_wait_dscnt 0x0
	s_barrier_signal -1
	s_barrier_wait -1
	ds_load_b64 v[6:7], v3 offset:3072
	s_mov_b32 s28, -1
	s_mov_b32 s70, -1
	s_wait_dscnt 0x0
	s_barrier_signal -1
	s_barrier_wait -1
	v_cmp_ne_u32_e32 vcc_lo, 0, v6
	s_cbranch_vccz .LBB153_163
.LBB153_159:                            ;   in Loop: Header=BB153_160 Depth=2
	s_and_b32 s28, exec_lo, s28
	s_delay_alu instid0(SALU_CYCLE_1) | instskip(SKIP_2) | instid1(SALU_CYCLE_1)
	s_or_b32 s7, s28, s7
	s_and_not1_b32 s23, s23, exec_lo
	s_and_b32 s28, s70, exec_lo
	s_or_b32 s23, s23, s28
	s_and_not1_b32 exec_lo, exec_lo, s7
	s_cbranch_execz .LBB153_166
.LBB153_160:                            ;   Parent Loop BB153_31 Depth=1
                                        ; =>  This Inner Loop Header: Depth=2
	s_mov_b32 s28, exec_lo
	s_delay_alu instid0(VALU_DEP_2)
	v_cmpx_gt_u64_e64 s[10:11], v[8:9]
	s_cbranch_execz .LBB153_158
; %bb.161:                              ;   in Loop: Header=BB153_160 Depth=2
	ds_load_b32 v33, v10
	s_wait_dscnt 0x0
	v_bitop3_b32 v6, v33, v38, 0x80000000 bitop3:0x48
	s_delay_alu instid0(VALU_DEP_1)
	v_cmp_eq_u32_e32 vcc_lo, v6, v34
	s_and_b32 exec_lo, exec_lo, vcc_lo
	s_cbranch_execz .LBB153_158
; %bb.162:                              ;   in Loop: Header=BB153_160 Depth=2
	ds_store_b64 v3, v[32:33] offset:3072
	s_branch .LBB153_158
.LBB153_163:                            ;   in Loop: Header=BB153_160 Depth=2
	v_add_nc_u64_e32 v[8:9], s[40:41], v[8:9]
	v_add_nc_u32_e32 v10, s101, v10
	s_mov_b32 s70, 0
	s_delay_alu instid0(VALU_DEP_2)
	v_cmp_le_u64_e32 vcc_lo, s[20:21], v[8:9]
	s_or_not1_b32 s28, vcc_lo, exec_lo
	s_branch .LBB153_159
.LBB153_164:                            ;   in Loop: Header=BB153_31 Depth=1
                                        ; implicit-def: $sgpr22_sgpr23
	s_and_not1_b32 vcc_lo, exec_lo, s4
	s_cbranch_vccz .LBB153_109
	s_branch .LBB153_110
.LBB153_165:                            ;   in Loop: Header=BB153_31 Depth=1
                                        ; implicit-def: $sgpr10_sgpr11
	s_branch .LBB153_126
.LBB153_166:                            ;   in Loop: Header=BB153_31 Depth=1
	s_or_b32 exec_lo, exec_lo, s7
	s_delay_alu instid0(SALU_CYCLE_1)
	s_and_b32 s7, s23, exec_lo
.LBB153_167:                            ;   in Loop: Header=BB153_31 Depth=1
	s_or_b32 exec_lo, exec_lo, s22
.LBB153_168:                            ;   in Loop: Header=BB153_31 Depth=1
	s_delay_alu instid0(SALU_CYCLE_1)
	s_and_b32 vcc_lo, exec_lo, s4
	s_cbranch_vccz .LBB153_182
; %bb.169:                              ;   in Loop: Header=BB153_31 Depth=1
	s_and_b64 s[10:11], s[66:67], 0xffffffff00000000
	s_delay_alu instid0(SALU_CYCLE_1)
	s_cmp_lg_u64 s[10:11], 0
	s_cbranch_scc0 .LBB153_210
; %bb.170:                              ;   in Loop: Header=BB153_31 Depth=1
	s_cvt_f32_u32 s4, s40
	s_sub_nc_u64 s[20:21], 0, s[40:41]
	s_delay_alu instid0(SALU_CYCLE_2) | instskip(NEXT) | instid1(SALU_CYCLE_3)
	s_fmamk_f32 s4, s102, 0x0, s4
	v_s_rcp_f32 s4, s4
	s_delay_alu instid0(TRANS32_DEP_1) | instskip(NEXT) | instid1(SALU_CYCLE_3)
	s_mul_f32 s4, s4, 0x5f7ffffc
	s_mul_f32 s10, s4, 0x2f800000
	s_delay_alu instid0(SALU_CYCLE_3) | instskip(NEXT) | instid1(SALU_CYCLE_3)
	s_trunc_f32 s10, s10
	s_fmamk_f32 s4, s10, 0xcf800000, s4
	s_cvt_u32_f32 s11, s10
	s_delay_alu instid0(SALU_CYCLE_2) | instskip(NEXT) | instid1(SALU_CYCLE_3)
	s_cvt_u32_f32 s10, s4
	s_mul_u64 s[22:23], s[20:21], s[10:11]
	s_delay_alu instid0(SALU_CYCLE_1)
	s_mul_hi_u32 s71, s10, s23
	s_mul_i32 s70, s10, s23
	s_mul_hi_u32 s28, s10, s22
	s_mul_i32 s51, s11, s22
	s_add_nc_u64 s[70:71], s[28:29], s[70:71]
	s_mul_hi_u32 s4, s11, s22
	s_mul_hi_u32 s72, s11, s23
	s_mul_i32 s22, s11, s23
	s_add_co_u32 s23, s70, s51
	s_add_co_ci_u32 s28, s71, s4
	s_add_co_ci_u32 s23, s72, 0
	s_delay_alu instid0(SALU_CYCLE_1) | instskip(NEXT) | instid1(SALU_CYCLE_1)
	s_add_nc_u64 s[22:23], s[28:29], s[22:23]
	s_add_co_u32 s10, s10, s22
	s_cselect_b32 s4, -1, 0
	s_delay_alu instid0(SALU_CYCLE_1) | instskip(SKIP_1) | instid1(SALU_CYCLE_1)
	s_cmp_lg_u32 s4, 0
	s_add_co_ci_u32 s11, s11, s23
	s_mul_u64 s[20:21], s[20:21], s[10:11]
	s_delay_alu instid0(SALU_CYCLE_1)
	s_mul_hi_u32 s23, s10, s21
	s_mul_i32 s22, s10, s21
	s_mul_hi_u32 s28, s10, s20
	s_mul_i32 s51, s11, s20
	s_add_nc_u64 s[22:23], s[28:29], s[22:23]
	s_mul_hi_u32 s4, s11, s20
	s_mul_hi_u32 s70, s11, s21
	s_mul_i32 s20, s11, s21
	s_add_co_u32 s21, s22, s51
	s_add_co_ci_u32 s28, s23, s4
	s_add_co_ci_u32 s21, s70, 0
	s_delay_alu instid0(SALU_CYCLE_1) | instskip(NEXT) | instid1(SALU_CYCLE_1)
	s_add_nc_u64 s[20:21], s[28:29], s[20:21]
	s_add_co_u32 s4, s10, s20
	s_cselect_b32 s10, -1, 0
	s_mul_hi_u32 s28, s66, s4
	s_cmp_lg_u32 s10, 0
	s_mul_hi_u32 s22, s67, s4
	s_add_co_ci_u32 s20, s11, s21
	s_mul_i32 s4, s67, s4
	s_mul_hi_u32 s11, s66, s20
	s_mul_i32 s10, s66, s20
	s_mul_hi_u32 s21, s67, s20
	s_add_nc_u64 s[10:11], s[28:29], s[10:11]
	s_mul_i32 s20, s67, s20
	s_add_co_u32 s4, s10, s4
	s_add_co_ci_u32 s28, s11, s22
	s_add_co_ci_u32 s21, s21, 0
	s_delay_alu instid0(SALU_CYCLE_1) | instskip(NEXT) | instid1(SALU_CYCLE_1)
	s_add_nc_u64 s[10:11], s[28:29], s[20:21]
	s_and_b64 s[20:21], s[10:11], 0xffffffff00000000
	s_delay_alu instid0(SALU_CYCLE_1) | instskip(NEXT) | instid1(SALU_CYCLE_1)
	s_or_b32 s20, s20, s10
	s_mul_u64 s[10:11], s[40:41], s[20:21]
	s_delay_alu instid0(SALU_CYCLE_1) | instskip(SKIP_1) | instid1(SALU_CYCLE_1)
	s_sub_co_u32 s4, s66, s10
	s_cselect_b32 s10, -1, 0
	s_cmp_lg_u32 s10, 0
	s_sub_co_ci_u32 s10, s67, s11
	s_sub_co_u32 s11, s4, s40
	s_cselect_b32 s20, -1, 0
	s_delay_alu instid0(SALU_CYCLE_1) | instskip(SKIP_3) | instid1(SALU_CYCLE_1)
	s_cmp_lg_u32 s20, 0
	s_sub_co_ci_u32 s20, s10, 0
	s_sub_co_u32 s21, s11, s40
	s_cselect_b32 s22, -1, 0
	s_cmp_lg_u32 s22, 0
	s_sub_co_ci_u32 s22, s20, 0
	s_cmp_ge_u32 s11, s40
	s_cselect_b32 s23, -1, 0
	s_cmp_eq_u32 s20, 0
	s_cselect_b32 s23, s23, -1
	s_delay_alu instid0(SALU_CYCLE_1)
	s_cmp_lg_u32 s23, 0
	s_cselect_b32 s20, s22, s20
	s_cselect_b32 s21, s21, s11
	s_cmp_ge_u32 s4, s40
	s_cselect_b32 s11, -1, 0
	s_cmp_eq_u32 s10, 0
	s_cselect_b32 s11, s11, -1
	s_delay_alu instid0(SALU_CYCLE_1)
	s_cmp_lg_u32 s11, 0
	s_cselect_b32 s11, s20, s10
	s_cselect_b32 s10, s21, s4
	s_cbranch_execnz .LBB153_172
.LBB153_171:                            ;   in Loop: Header=BB153_31 Depth=1
	v_cvt_f32_u32_e32 v6, s40
	s_sub_co_i32 s10, 0, s40
	s_delay_alu instid0(VALU_DEP_1) | instskip(SKIP_1) | instid1(TRANS32_DEP_1)
	v_rcp_iflag_f32_e32 v6, v6
	v_nop
	v_mul_f32_e32 v6, 0x4f7ffffe, v6
	s_delay_alu instid0(VALU_DEP_1) | instskip(NEXT) | instid1(VALU_DEP_1)
	v_cvt_u32_f32_e32 v6, v6
	v_readfirstlane_b32 s4, v6
	s_mul_i32 s10, s10, s4
	s_delay_alu instid0(SALU_CYCLE_1) | instskip(NEXT) | instid1(SALU_CYCLE_1)
	s_mul_hi_u32 s10, s4, s10
	s_add_co_i32 s4, s4, s10
	s_delay_alu instid0(SALU_CYCLE_1) | instskip(NEXT) | instid1(SALU_CYCLE_1)
	s_mul_hi_u32 s4, s66, s4
	s_mul_i32 s4, s4, s40
	s_delay_alu instid0(SALU_CYCLE_1) | instskip(NEXT) | instid1(SALU_CYCLE_1)
	s_sub_co_i32 s4, s66, s4
	s_sub_co_i32 s10, s4, s40
	s_cmp_ge_u32 s4, s40
	s_cselect_b32 s4, s10, s4
	s_delay_alu instid0(SALU_CYCLE_1) | instskip(SKIP_2) | instid1(SALU_CYCLE_1)
	s_sub_co_i32 s10, s4, s40
	s_cmp_ge_u32 s4, s40
	s_cselect_b32 s28, s10, s4
	s_mov_b64 s[10:11], s[28:29]
.LBB153_172:                            ;   in Loop: Header=BB153_31 Depth=1
	s_delay_alu instid0(SALU_CYCLE_1)
	s_sub_nc_u64 s[10:11], s[66:67], s[10:11]
	s_mov_b32 s4, exec_lo
                                        ; implicit-def: $vgpr7
	v_cmpx_gt_u64_e64 s[10:11], v[0:1]
	s_cbranch_execz .LBB153_181
; %bb.173:                              ;   in Loop: Header=BB153_31 Depth=1
	v_mov_b64_e32 v[8:9], v[30:31]
	v_mov_b64_e32 v[10:11], v[0:1]
	s_mov_b32 s20, 0
                                        ; implicit-def: $sgpr21
	s_branch .LBB153_176
.LBB153_174:                            ;   in Loop: Header=BB153_176 Depth=2
	s_or_b32 exec_lo, exec_lo, s22
	s_wait_dscnt 0x0
	s_barrier_signal -1
	s_barrier_wait -1
	ds_load_b64 v[6:7], v3 offset:3072
	s_mov_b32 s22, -1
	s_mov_b32 s23, -1
	s_wait_dscnt 0x0
	s_barrier_signal -1
	s_barrier_wait -1
	v_cmp_eq_u32_e32 vcc_lo, 0, v6
	s_cbranch_vccnz .LBB153_179
.LBB153_175:                            ;   in Loop: Header=BB153_176 Depth=2
	s_and_b32 s22, exec_lo, s22
	s_delay_alu instid0(SALU_CYCLE_1) | instskip(SKIP_2) | instid1(SALU_CYCLE_1)
	s_or_b32 s20, s22, s20
	s_and_not1_b32 s21, s21, exec_lo
	s_and_b32 s22, s23, exec_lo
	s_or_b32 s21, s21, s22
	s_and_not1_b32 exec_lo, exec_lo, s20
	s_cbranch_execz .LBB153_180
.LBB153_176:                            ;   Parent Loop BB153_31 Depth=1
                                        ; =>  This Inner Loop Header: Depth=2
	s_mov_b32 s22, exec_lo
	s_delay_alu instid0(VALU_DEP_1)
	v_cmpx_gt_u64_e64 s[36:37], v[10:11]
	s_cbranch_execz .LBB153_174
; %bb.177:                              ;   in Loop: Header=BB153_176 Depth=2
	global_load_b32 v33, v[8:9], off
	s_wait_loadcnt 0x0
	v_bitop3_b32 v6, v33, v38, 0x80000000 bitop3:0x48
	s_delay_alu instid0(VALU_DEP_1)
	v_cmp_eq_u32_e32 vcc_lo, v6, v34
	s_and_b32 exec_lo, exec_lo, vcc_lo
	s_cbranch_execz .LBB153_174
; %bb.178:                              ;   in Loop: Header=BB153_176 Depth=2
	ds_store_b64 v3, v[32:33] offset:3072
	s_branch .LBB153_174
.LBB153_179:                            ;   in Loop: Header=BB153_176 Depth=2
	v_add_nc_u64_e32 v[10:11], s[40:41], v[10:11]
	v_add_nc_u64_e32 v[8:9], s[44:45], v[8:9]
	s_mov_b32 s23, 0
	s_delay_alu instid0(VALU_DEP_2)
	v_cmp_le_u64_e32 vcc_lo, s[10:11], v[10:11]
	s_or_not1_b32 s22, vcc_lo, exec_lo
	s_branch .LBB153_175
.LBB153_180:                            ;   in Loop: Header=BB153_31 Depth=1
	s_or_b32 exec_lo, exec_lo, s20
	s_delay_alu instid0(SALU_CYCLE_1) | instskip(SKIP_1) | instid1(SALU_CYCLE_1)
	s_and_not1_b32 s7, s7, exec_lo
	s_and_b32 s10, s21, exec_lo
	s_or_b32 s7, s7, s10
.LBB153_181:                            ;   in Loop: Header=BB153_31 Depth=1
	s_or_b32 exec_lo, exec_lo, s4
	s_mov_b32 s51, 0
	s_mov_b32 s84, -1
.LBB153_182:                            ;   in Loop: Header=BB153_31 Depth=1
	s_or_not1_b32 s4, s7, exec_lo
.LBB153_183:                            ;   in Loop: Header=BB153_31 Depth=1
	s_or_b32 exec_lo, exec_lo, s85
	s_mov_b32 s7, 0
	s_and_saveexec_b32 s85, s4
	s_cbranch_execz .LBB153_292
; %bb.184:                              ;   in Loop: Header=BB153_31 Depth=1
	v_mov_b64_e32 v[8:9], 1
	v_mov_b32_e32 v2, 1
	s_xor_b32 s10, s86, -1
	s_delay_alu instid0(SALU_CYCLE_1)
	s_and_saveexec_b32 s4, s10
	s_cbranch_execz .LBB153_193
; %bb.185:                              ;   in Loop: Header=BB153_31 Depth=1
	s_mov_b32 s7, exec_lo
	v_cmpx_ge_u64_e64 s[14:15], v[4:5]
	s_xor_b32 s7, exec_lo, s7
	s_cbranch_execz .LBB153_190
; %bb.186:                              ;   in Loop: Header=BB153_31 Depth=1
	ds_load_b64 v[8:9], v3 offset:5120
	s_lshl_b32 s10, 1, s103
	v_or_b32_e32 v38, s24, v38
	v_and_or_b32 v34, v34, s25, s10
	s_wait_dscnt 0x0
	v_cmp_ne_u64_e32 vcc_lo, 0, v[8:9]
	s_cbranch_vccnz .LBB153_190
; %bb.187:                              ;   in Loop: Header=BB153_31 Depth=1
	s_and_saveexec_b32 s10, s5
; %bb.188:                              ;   in Loop: Header=BB153_31 Depth=1
	v_mov_b64_e32 v[8:9], s[14:15]
	ds_store_b64 v3, v[8:9] offset:5128
; %bb.189:                              ;   in Loop: Header=BB153_31 Depth=1
	s_or_b32 exec_lo, exec_lo, s10
	s_wait_dscnt 0x0
	s_barrier_signal -1
	s_barrier_wait -1
.LBB153_190:                            ;   in Loop: Header=BB153_31 Depth=1
	s_or_saveexec_b32 s7, s7
	v_mov_b32_e32 v2, 8
	s_mov_b32 s10, 0
	s_xor_b32 exec_lo, exec_lo, s7
; %bb.191:                              ;   in Loop: Header=BB153_31 Depth=1
	v_sub_nc_u64_e64 v[4:5], v[4:5], s[14:15]
	v_mov_b32_e32 v2, 0
	s_mov_b32 s10, exec_lo
; %bb.192:                              ;   in Loop: Header=BB153_31 Depth=1
	s_or_b32 exec_lo, exec_lo, s7
	s_delay_alu instid0(VALU_DEP_2)
	v_mov_b64_e32 v[8:9], v[4:5]
	s_and_b32 s7, s10, exec_lo
.LBB153_193:                            ;   in Loop: Header=BB153_31 Depth=1
	s_or_b32 exec_lo, exec_lo, s4
	s_mov_b32 s4, -1
                                        ; implicit-def: $sgpr87
                                        ; implicit-def: $sgpr88
	s_and_saveexec_b32 s86, s7
	s_cbranch_execz .LBB153_291
; %bb.194:                              ;   in Loop: Header=BB153_31 Depth=1
	s_delay_alu instid0(VALU_DEP_1) | instskip(SKIP_2) | instid1(SALU_CYCLE_1)
	v_cmp_eq_u64_e32 vcc_lo, 1, v[8:9]
	s_cmp_eq_u64 s[16:17], 1
                                        ; implicit-def: $sgpr88
                                        ; implicit-def: $sgpr87
	s_cselect_b32 s4, -1, 0
	s_and_b32 s90, s4, vcc_lo
	s_mov_b32 s4, -1
	s_and_saveexec_b32 s89, s90
	s_cbranch_execz .LBB153_228
; %bb.195:                              ;   in Loop: Header=BB153_31 Depth=1
	ds_load_b64 v[4:5], v3 offset:5120
	s_wait_dscnt 0x0
	s_barrier_signal -1
	s_barrier_wait -1
	v_readfirstlane_b32 s10, v4
	v_readfirstlane_b32 s11, v5
	s_and_saveexec_b32 s4, s6
; %bb.196:                              ;   in Loop: Header=BB153_31 Depth=1
	ds_store_b32 v50, v3
; %bb.197:                              ;   in Loop: Header=BB153_31 Depth=1
	s_or_b32 exec_lo, exec_lo, s4
	s_lshl_b32 s4, 2, s103
	v_or_b32_e32 v38, s24, v38
	v_and_or_b32 v34, v34, s25, s4
	s_mov_b32 s87, -1
	s_mov_b32 s88, 0
	s_cmp_eq_u64 s[10:11], 0
	s_mov_b32 s7, 0
	s_mov_b32 s4, -1
	s_wait_dscnt 0x0
	s_barrier_signal -1
	s_barrier_wait -1
                                        ; implicit-def: $vgpr7
	s_cbranch_scc1 .LBB153_213
; %bb.198:                              ;   in Loop: Header=BB153_31 Depth=1
	s_add_nc_u64 s[20:21], s[10:11], s[64:65]
	s_delay_alu instid0(SALU_CYCLE_1) | instskip(NEXT) | instid1(SALU_CYCLE_1)
	s_and_b64 s[22:23], s[20:21], 0xffffffff00000000
	s_cmp_lg_u64 s[22:23], 0
	s_cbranch_scc0 .LBB153_245
; %bb.199:                              ;   in Loop: Header=BB153_31 Depth=1
	s_cvt_f32_u32 s4, s40
	s_sub_nc_u64 s[70:71], 0, s[40:41]
	s_delay_alu instid0(SALU_CYCLE_2) | instskip(NEXT) | instid1(SALU_CYCLE_3)
	s_fmamk_f32 s4, s102, 0x0, s4
	v_s_rcp_f32 s4, s4
	s_delay_alu instid0(TRANS32_DEP_1) | instskip(NEXT) | instid1(SALU_CYCLE_3)
	s_mul_f32 s4, s4, 0x5f7ffffc
	s_mul_f32 s7, s4, 0x2f800000
	s_delay_alu instid0(SALU_CYCLE_3) | instskip(NEXT) | instid1(SALU_CYCLE_3)
	s_trunc_f32 s7, s7
	s_fmamk_f32 s4, s7, 0xcf800000, s4
	s_cvt_u32_f32 s23, s7
	s_delay_alu instid0(SALU_CYCLE_2) | instskip(NEXT) | instid1(SALU_CYCLE_3)
	s_cvt_u32_f32 s22, s4
	s_mul_u64 s[92:93], s[70:71], s[22:23]
	s_delay_alu instid0(SALU_CYCLE_1)
	s_mul_hi_u32 s73, s22, s93
	s_mul_i32 s72, s22, s93
	s_mul_hi_u32 s28, s22, s92
	s_mul_i32 s7, s23, s92
	s_add_nc_u64 s[72:73], s[28:29], s[72:73]
	s_mul_hi_u32 s4, s23, s92
	s_mul_hi_u32 s74, s23, s93
	s_add_co_u32 s7, s72, s7
	s_add_co_ci_u32 s28, s73, s4
	s_mul_i32 s92, s23, s93
	s_add_co_ci_u32 s93, s74, 0
	s_delay_alu instid0(SALU_CYCLE_1) | instskip(NEXT) | instid1(SALU_CYCLE_1)
	s_add_nc_u64 s[72:73], s[28:29], s[92:93]
	s_add_co_u32 s22, s22, s72
	s_cselect_b32 s4, -1, 0
	s_delay_alu instid0(SALU_CYCLE_1) | instskip(SKIP_1) | instid1(SALU_CYCLE_1)
	s_cmp_lg_u32 s4, 0
	s_add_co_ci_u32 s23, s23, s73
	s_mul_u64 s[70:71], s[70:71], s[22:23]
	s_delay_alu instid0(SALU_CYCLE_1)
	s_mul_hi_u32 s73, s22, s71
	s_mul_i32 s72, s22, s71
	s_mul_hi_u32 s28, s22, s70
	s_mul_i32 s7, s23, s70
	s_add_nc_u64 s[72:73], s[28:29], s[72:73]
	s_mul_hi_u32 s4, s23, s70
	s_mul_hi_u32 s74, s23, s71
	s_add_co_u32 s7, s72, s7
	s_add_co_ci_u32 s28, s73, s4
	s_mul_i32 s70, s23, s71
	s_add_co_ci_u32 s71, s74, 0
	s_delay_alu instid0(SALU_CYCLE_1) | instskip(NEXT) | instid1(SALU_CYCLE_1)
	s_add_nc_u64 s[70:71], s[28:29], s[70:71]
	s_add_co_u32 s4, s22, s70
	s_cselect_b32 s7, -1, 0
	s_mul_hi_u32 s28, s20, s4
	s_cmp_lg_u32 s7, 0
	s_mul_hi_u32 s7, s21, s4
	s_add_co_ci_u32 s70, s23, s71
	s_mul_i32 s4, s21, s4
	s_mul_hi_u32 s23, s20, s70
	s_mul_i32 s22, s20, s70
	s_mul_hi_u32 s71, s21, s70
	s_add_nc_u64 s[22:23], s[28:29], s[22:23]
	s_mul_i32 s70, s21, s70
	s_add_co_u32 s4, s22, s4
	s_add_co_ci_u32 s28, s23, s7
	s_add_co_ci_u32 s71, s71, 0
	s_delay_alu instid0(SALU_CYCLE_1) | instskip(NEXT) | instid1(SALU_CYCLE_1)
	s_add_nc_u64 s[22:23], s[28:29], s[70:71]
	s_and_b64 s[70:71], s[22:23], 0xffffffff00000000
	s_delay_alu instid0(SALU_CYCLE_1) | instskip(NEXT) | instid1(SALU_CYCLE_1)
	s_or_b32 s70, s70, s22
	s_mul_u64 s[22:23], s[40:41], s[70:71]
	s_delay_alu instid0(SALU_CYCLE_1) | instskip(SKIP_1) | instid1(SALU_CYCLE_1)
	s_sub_co_u32 s4, s20, s22
	s_cselect_b32 s7, -1, 0
	s_cmp_lg_u32 s7, 0
	s_sub_co_ci_u32 s7, s21, s23
	s_sub_co_u32 s22, s4, s40
	s_cselect_b32 s23, -1, 0
	s_delay_alu instid0(SALU_CYCLE_1) | instskip(SKIP_3) | instid1(SALU_CYCLE_1)
	s_cmp_lg_u32 s23, 0
	s_sub_co_ci_u32 s23, s7, 0
	s_sub_co_u32 s28, s22, s40
	s_cselect_b32 s70, -1, 0
	s_cmp_lg_u32 s70, 0
	s_sub_co_ci_u32 s70, s23, 0
	s_cmp_ge_u32 s22, s40
	s_cselect_b32 s71, -1, 0
	s_cmp_eq_u32 s23, 0
	s_cselect_b32 s71, s71, -1
	s_delay_alu instid0(SALU_CYCLE_1)
	s_cmp_lg_u32 s71, 0
	s_cselect_b32 s23, s70, s23
	s_cselect_b32 s22, s28, s22
	s_cmp_ge_u32 s4, s40
	s_cselect_b32 s28, -1, 0
	s_cmp_eq_u32 s7, 0
	s_cselect_b32 s28, s28, -1
	s_delay_alu instid0(SALU_CYCLE_1)
	s_cmp_lg_u32 s28, 0
	s_cselect_b32 s23, s23, s7
	s_cselect_b32 s22, s22, s4
	s_cbranch_execnz .LBB153_201
.LBB153_200:                            ;   in Loop: Header=BB153_31 Depth=1
	v_cvt_f32_u32_e32 v4, s40
	s_sub_co_i32 s7, 0, s40
	s_delay_alu instid0(VALU_DEP_1) | instskip(SKIP_1) | instid1(TRANS32_DEP_1)
	v_rcp_iflag_f32_e32 v4, v4
	v_nop
	v_mul_f32_e32 v4, 0x4f7ffffe, v4
	s_delay_alu instid0(VALU_DEP_1) | instskip(NEXT) | instid1(VALU_DEP_1)
	v_cvt_u32_f32_e32 v4, v4
	v_readfirstlane_b32 s4, v4
	s_mul_i32 s7, s7, s4
	s_delay_alu instid0(SALU_CYCLE_1) | instskip(NEXT) | instid1(SALU_CYCLE_1)
	s_mul_hi_u32 s7, s4, s7
	s_add_co_i32 s4, s4, s7
	s_delay_alu instid0(SALU_CYCLE_1) | instskip(NEXT) | instid1(SALU_CYCLE_1)
	s_mul_hi_u32 s4, s20, s4
	s_mul_i32 s4, s4, s40
	s_delay_alu instid0(SALU_CYCLE_1) | instskip(NEXT) | instid1(SALU_CYCLE_1)
	s_sub_co_i32 s4, s20, s4
	s_sub_co_i32 s7, s4, s40
	s_cmp_ge_u32 s4, s40
	s_cselect_b32 s4, s7, s4
	s_delay_alu instid0(SALU_CYCLE_1) | instskip(SKIP_2) | instid1(SALU_CYCLE_1)
	s_sub_co_i32 s7, s4, s40
	s_cmp_ge_u32 s4, s40
	s_cselect_b32 s28, s7, s4
	s_mov_b64 s[22:23], s[28:29]
.LBB153_201:                            ;   in Loop: Header=BB153_31 Depth=1
	s_delay_alu instid0(SALU_CYCLE_1)
	s_sub_nc_u64 s[20:21], s[20:21], s[22:23]
	s_mov_b32 s4, 0
	s_mov_b32 s7, 0
	s_mov_b32 s22, exec_lo
                                        ; implicit-def: $vgpr7
	v_cmpx_gt_u64_e64 s[20:21], v[0:1]
	s_cbranch_execz .LBB153_212
; %bb.202:                              ;   in Loop: Header=BB153_31 Depth=1
	v_mov_b64_e32 v[4:5], v[0:1]
	v_mov_b32_e32 v10, v16
                                        ; implicit-def: $sgpr23
	s_branch .LBB153_205
.LBB153_203:                            ;   in Loop: Header=BB153_205 Depth=2
	s_or_b32 exec_lo, exec_lo, s28
	s_wait_dscnt 0x0
	s_barrier_signal -1
	s_barrier_wait -1
	ds_load_b64 v[6:7], v3 offset:3072
	s_mov_b32 s28, -1
	s_mov_b32 s70, -1
	s_wait_dscnt 0x0
	s_barrier_signal -1
	s_barrier_wait -1
	v_cmp_ne_u32_e32 vcc_lo, 0, v6
	s_cbranch_vccz .LBB153_208
.LBB153_204:                            ;   in Loop: Header=BB153_205 Depth=2
	s_and_b32 s28, exec_lo, s28
	s_delay_alu instid0(SALU_CYCLE_1) | instskip(SKIP_2) | instid1(SALU_CYCLE_1)
	s_or_b32 s7, s28, s7
	s_and_not1_b32 s23, s23, exec_lo
	s_and_b32 s28, s70, exec_lo
	s_or_b32 s23, s23, s28
	s_and_not1_b32 exec_lo, exec_lo, s7
	s_cbranch_execz .LBB153_211
.LBB153_205:                            ;   Parent Loop BB153_31 Depth=1
                                        ; =>  This Inner Loop Header: Depth=2
	s_mov_b32 s28, exec_lo
	s_delay_alu instid0(VALU_DEP_2)
	v_cmpx_gt_u64_e64 s[10:11], v[4:5]
	s_cbranch_execz .LBB153_203
; %bb.206:                              ;   in Loop: Header=BB153_205 Depth=2
	ds_load_b32 v33, v10
	s_wait_dscnt 0x0
	v_bitop3_b32 v6, v33, v38, 0x80000000 bitop3:0x48
	s_delay_alu instid0(VALU_DEP_1)
	v_cmp_eq_u32_e32 vcc_lo, v6, v34
	s_and_b32 exec_lo, exec_lo, vcc_lo
	s_cbranch_execz .LBB153_203
; %bb.207:                              ;   in Loop: Header=BB153_205 Depth=2
	ds_store_b64 v3, v[32:33] offset:3072
	s_branch .LBB153_203
.LBB153_208:                            ;   in Loop: Header=BB153_205 Depth=2
	v_add_nc_u64_e32 v[4:5], s[40:41], v[4:5]
	v_add_nc_u32_e32 v10, s101, v10
	s_mov_b32 s70, 0
	s_delay_alu instid0(VALU_DEP_2)
	v_cmp_le_u64_e32 vcc_lo, s[20:21], v[4:5]
	s_or_not1_b32 s28, vcc_lo, exec_lo
	s_branch .LBB153_204
.LBB153_209:                            ;   in Loop: Header=BB153_31 Depth=1
                                        ; implicit-def: $sgpr22_sgpr23
	s_and_not1_b32 vcc_lo, exec_lo, s4
	s_cbranch_vccz .LBB153_155
	s_branch .LBB153_156
.LBB153_210:                            ;   in Loop: Header=BB153_31 Depth=1
                                        ; implicit-def: $sgpr10_sgpr11
	s_branch .LBB153_171
.LBB153_211:                            ;   in Loop: Header=BB153_31 Depth=1
	s_or_b32 exec_lo, exec_lo, s7
	s_delay_alu instid0(SALU_CYCLE_1)
	s_and_b32 s7, s23, exec_lo
.LBB153_212:                            ;   in Loop: Header=BB153_31 Depth=1
	s_or_b32 exec_lo, exec_lo, s22
.LBB153_213:                            ;   in Loop: Header=BB153_31 Depth=1
	s_delay_alu instid0(SALU_CYCLE_1)
	s_and_b32 vcc_lo, exec_lo, s4
	s_cbranch_vccz .LBB153_227
; %bb.214:                              ;   in Loop: Header=BB153_31 Depth=1
	s_and_b64 s[10:11], s[66:67], 0xffffffff00000000
	s_delay_alu instid0(SALU_CYCLE_1)
	s_cmp_lg_u64 s[10:11], 0
	s_cbranch_scc0 .LBB153_246
; %bb.215:                              ;   in Loop: Header=BB153_31 Depth=1
	s_cvt_f32_u32 s4, s40
	s_sub_nc_u64 s[20:21], 0, s[40:41]
	s_delay_alu instid0(SALU_CYCLE_2) | instskip(NEXT) | instid1(SALU_CYCLE_3)
	s_fmamk_f32 s4, s102, 0x0, s4
	v_s_rcp_f32 s4, s4
	s_delay_alu instid0(TRANS32_DEP_1) | instskip(NEXT) | instid1(SALU_CYCLE_3)
	s_mul_f32 s4, s4, 0x5f7ffffc
	s_mul_f32 s10, s4, 0x2f800000
	s_delay_alu instid0(SALU_CYCLE_3) | instskip(NEXT) | instid1(SALU_CYCLE_3)
	s_trunc_f32 s10, s10
	s_fmamk_f32 s4, s10, 0xcf800000, s4
	s_cvt_u32_f32 s11, s10
	s_delay_alu instid0(SALU_CYCLE_2) | instskip(NEXT) | instid1(SALU_CYCLE_3)
	s_cvt_u32_f32 s10, s4
	s_mul_u64 s[22:23], s[20:21], s[10:11]
	s_delay_alu instid0(SALU_CYCLE_1)
	s_mul_hi_u32 s71, s10, s23
	s_mul_i32 s70, s10, s23
	s_mul_hi_u32 s28, s10, s22
	s_mul_i32 s72, s11, s22
	s_add_nc_u64 s[70:71], s[28:29], s[70:71]
	s_mul_hi_u32 s4, s11, s22
	s_mul_hi_u32 s73, s11, s23
	s_mul_i32 s22, s11, s23
	s_add_co_u32 s23, s70, s72
	s_add_co_ci_u32 s28, s71, s4
	s_add_co_ci_u32 s23, s73, 0
	s_delay_alu instid0(SALU_CYCLE_1) | instskip(NEXT) | instid1(SALU_CYCLE_1)
	s_add_nc_u64 s[22:23], s[28:29], s[22:23]
	s_add_co_u32 s10, s10, s22
	s_cselect_b32 s4, -1, 0
	s_delay_alu instid0(SALU_CYCLE_1) | instskip(SKIP_1) | instid1(SALU_CYCLE_1)
	s_cmp_lg_u32 s4, 0
	s_add_co_ci_u32 s11, s11, s23
	s_mul_u64 s[20:21], s[20:21], s[10:11]
	s_delay_alu instid0(SALU_CYCLE_1)
	s_mul_hi_u32 s23, s10, s21
	s_mul_i32 s22, s10, s21
	s_mul_hi_u32 s28, s10, s20
	s_mul_i32 s70, s11, s20
	s_add_nc_u64 s[22:23], s[28:29], s[22:23]
	s_mul_hi_u32 s4, s11, s20
	s_mul_hi_u32 s71, s11, s21
	s_mul_i32 s20, s11, s21
	s_add_co_u32 s21, s22, s70
	s_add_co_ci_u32 s28, s23, s4
	s_add_co_ci_u32 s21, s71, 0
	s_delay_alu instid0(SALU_CYCLE_1) | instskip(NEXT) | instid1(SALU_CYCLE_1)
	s_add_nc_u64 s[20:21], s[28:29], s[20:21]
	s_add_co_u32 s4, s10, s20
	s_cselect_b32 s10, -1, 0
	s_mul_hi_u32 s28, s66, s4
	s_cmp_lg_u32 s10, 0
	s_mul_hi_u32 s22, s67, s4
	s_add_co_ci_u32 s20, s11, s21
	s_mul_i32 s4, s67, s4
	s_mul_hi_u32 s11, s66, s20
	s_mul_i32 s10, s66, s20
	s_mul_hi_u32 s21, s67, s20
	s_add_nc_u64 s[10:11], s[28:29], s[10:11]
	s_mul_i32 s20, s67, s20
	s_add_co_u32 s4, s10, s4
	s_add_co_ci_u32 s28, s11, s22
	s_add_co_ci_u32 s21, s21, 0
	s_delay_alu instid0(SALU_CYCLE_1) | instskip(NEXT) | instid1(SALU_CYCLE_1)
	s_add_nc_u64 s[10:11], s[28:29], s[20:21]
	s_and_b64 s[20:21], s[10:11], 0xffffffff00000000
	s_delay_alu instid0(SALU_CYCLE_1) | instskip(NEXT) | instid1(SALU_CYCLE_1)
	s_or_b32 s20, s20, s10
	s_mul_u64 s[10:11], s[40:41], s[20:21]
	s_delay_alu instid0(SALU_CYCLE_1) | instskip(SKIP_1) | instid1(SALU_CYCLE_1)
	s_sub_co_u32 s4, s66, s10
	s_cselect_b32 s10, -1, 0
	s_cmp_lg_u32 s10, 0
	s_sub_co_ci_u32 s10, s67, s11
	s_sub_co_u32 s11, s4, s40
	s_cselect_b32 s20, -1, 0
	s_delay_alu instid0(SALU_CYCLE_1) | instskip(SKIP_3) | instid1(SALU_CYCLE_1)
	s_cmp_lg_u32 s20, 0
	s_sub_co_ci_u32 s20, s10, 0
	s_sub_co_u32 s21, s11, s40
	s_cselect_b32 s22, -1, 0
	s_cmp_lg_u32 s22, 0
	s_sub_co_ci_u32 s22, s20, 0
	s_cmp_ge_u32 s11, s40
	s_cselect_b32 s23, -1, 0
	s_cmp_eq_u32 s20, 0
	s_cselect_b32 s23, s23, -1
	s_delay_alu instid0(SALU_CYCLE_1)
	s_cmp_lg_u32 s23, 0
	s_cselect_b32 s20, s22, s20
	s_cselect_b32 s21, s21, s11
	s_cmp_ge_u32 s4, s40
	s_cselect_b32 s11, -1, 0
	s_cmp_eq_u32 s10, 0
	s_cselect_b32 s11, s11, -1
	s_delay_alu instid0(SALU_CYCLE_1)
	s_cmp_lg_u32 s11, 0
	s_cselect_b32 s11, s20, s10
	s_cselect_b32 s10, s21, s4
	s_cbranch_execnz .LBB153_217
.LBB153_216:                            ;   in Loop: Header=BB153_31 Depth=1
	v_cvt_f32_u32_e32 v4, s40
	s_sub_co_i32 s10, 0, s40
	s_delay_alu instid0(VALU_DEP_1) | instskip(SKIP_1) | instid1(TRANS32_DEP_1)
	v_rcp_iflag_f32_e32 v4, v4
	v_nop
	v_mul_f32_e32 v4, 0x4f7ffffe, v4
	s_delay_alu instid0(VALU_DEP_1) | instskip(NEXT) | instid1(VALU_DEP_1)
	v_cvt_u32_f32_e32 v4, v4
	v_readfirstlane_b32 s4, v4
	s_mul_i32 s10, s10, s4
	s_delay_alu instid0(SALU_CYCLE_1) | instskip(NEXT) | instid1(SALU_CYCLE_1)
	s_mul_hi_u32 s10, s4, s10
	s_add_co_i32 s4, s4, s10
	s_delay_alu instid0(SALU_CYCLE_1) | instskip(NEXT) | instid1(SALU_CYCLE_1)
	s_mul_hi_u32 s4, s66, s4
	s_mul_i32 s4, s4, s40
	s_delay_alu instid0(SALU_CYCLE_1) | instskip(NEXT) | instid1(SALU_CYCLE_1)
	s_sub_co_i32 s4, s66, s4
	s_sub_co_i32 s10, s4, s40
	s_cmp_ge_u32 s4, s40
	s_cselect_b32 s4, s10, s4
	s_delay_alu instid0(SALU_CYCLE_1) | instskip(SKIP_2) | instid1(SALU_CYCLE_1)
	s_sub_co_i32 s10, s4, s40
	s_cmp_ge_u32 s4, s40
	s_cselect_b32 s28, s10, s4
	s_mov_b64 s[10:11], s[28:29]
.LBB153_217:                            ;   in Loop: Header=BB153_31 Depth=1
	s_delay_alu instid0(SALU_CYCLE_1)
	s_sub_nc_u64 s[10:11], s[66:67], s[10:11]
	s_mov_b32 s4, exec_lo
                                        ; implicit-def: $vgpr7
	v_cmpx_gt_u64_e64 s[10:11], v[0:1]
	s_cbranch_execz .LBB153_226
; %bb.218:                              ;   in Loop: Header=BB153_31 Depth=1
	v_mov_b64_e32 v[4:5], v[30:31]
	v_mov_b64_e32 v[10:11], v[0:1]
	s_mov_b32 s20, 0
                                        ; implicit-def: $sgpr21
	s_branch .LBB153_221
.LBB153_219:                            ;   in Loop: Header=BB153_221 Depth=2
	s_or_b32 exec_lo, exec_lo, s22
	s_wait_dscnt 0x0
	s_barrier_signal -1
	s_barrier_wait -1
	ds_load_b64 v[6:7], v3 offset:3072
	s_mov_b32 s22, -1
	s_mov_b32 s23, -1
	s_wait_dscnt 0x0
	s_barrier_signal -1
	s_barrier_wait -1
	v_cmp_eq_u32_e32 vcc_lo, 0, v6
	s_cbranch_vccnz .LBB153_224
.LBB153_220:                            ;   in Loop: Header=BB153_221 Depth=2
	s_and_b32 s22, exec_lo, s22
	s_delay_alu instid0(SALU_CYCLE_1) | instskip(SKIP_2) | instid1(SALU_CYCLE_1)
	s_or_b32 s20, s22, s20
	s_and_not1_b32 s21, s21, exec_lo
	s_and_b32 s22, s23, exec_lo
	s_or_b32 s21, s21, s22
	s_and_not1_b32 exec_lo, exec_lo, s20
	s_cbranch_execz .LBB153_225
.LBB153_221:                            ;   Parent Loop BB153_31 Depth=1
                                        ; =>  This Inner Loop Header: Depth=2
	s_mov_b32 s22, exec_lo
	s_delay_alu instid0(VALU_DEP_1)
	v_cmpx_gt_u64_e64 s[36:37], v[10:11]
	s_cbranch_execz .LBB153_219
; %bb.222:                              ;   in Loop: Header=BB153_221 Depth=2
	global_load_b32 v33, v[4:5], off
	s_wait_loadcnt 0x0
	v_bitop3_b32 v6, v33, v38, 0x80000000 bitop3:0x48
	s_delay_alu instid0(VALU_DEP_1)
	v_cmp_eq_u32_e32 vcc_lo, v6, v34
	s_and_b32 exec_lo, exec_lo, vcc_lo
	s_cbranch_execz .LBB153_219
; %bb.223:                              ;   in Loop: Header=BB153_221 Depth=2
	ds_store_b64 v3, v[32:33] offset:3072
	s_branch .LBB153_219
.LBB153_224:                            ;   in Loop: Header=BB153_221 Depth=2
	v_add_nc_u64_e32 v[10:11], s[40:41], v[10:11]
	v_add_nc_u64_e32 v[4:5], s[44:45], v[4:5]
	s_mov_b32 s23, 0
	s_delay_alu instid0(VALU_DEP_2)
	v_cmp_le_u64_e32 vcc_lo, s[10:11], v[10:11]
	s_or_not1_b32 s22, vcc_lo, exec_lo
	s_branch .LBB153_220
.LBB153_225:                            ;   in Loop: Header=BB153_31 Depth=1
	s_or_b32 exec_lo, exec_lo, s20
	s_delay_alu instid0(SALU_CYCLE_1) | instskip(SKIP_1) | instid1(SALU_CYCLE_1)
	s_and_not1_b32 s7, s7, exec_lo
	s_and_b32 s10, s21, exec_lo
	s_or_b32 s7, s7, s10
.LBB153_226:                            ;   in Loop: Header=BB153_31 Depth=1
	s_or_b32 exec_lo, exec_lo, s4
	s_mov_b32 s87, 0
	s_mov_b32 s88, -1
.LBB153_227:                            ;   in Loop: Header=BB153_31 Depth=1
	s_or_not1_b32 s4, s7, exec_lo
.LBB153_228:                            ;   in Loop: Header=BB153_31 Depth=1
	s_or_b32 exec_lo, exec_lo, s89
	s_mov_b32 s7, 0
	s_and_saveexec_b32 s89, s4
	s_cbranch_execz .LBB153_290
; %bb.229:                              ;   in Loop: Header=BB153_31 Depth=1
	v_mov_b64_e32 v[4:5], 1
	v_mov_b32_e32 v2, 1
	s_xor_b32 s7, s90, -1
	s_mov_b32 s10, 0
	s_and_saveexec_b32 s4, s7
	s_cbranch_execz .LBB153_238
; %bb.230:                              ;   in Loop: Header=BB153_31 Depth=1
	s_mov_b32 s7, exec_lo
	v_cmpx_ge_u64_e64 s[16:17], v[8:9]
	s_xor_b32 s7, exec_lo, s7
	s_cbranch_execz .LBB153_235
; %bb.231:                              ;   in Loop: Header=BB153_31 Depth=1
	ds_load_b64 v[4:5], v3 offset:5120
	s_lshl_b32 s10, 2, s103
	v_or_b32_e32 v38, s24, v38
	v_and_or_b32 v34, v34, s25, s10
	s_wait_dscnt 0x0
	v_cmp_ne_u64_e32 vcc_lo, 0, v[4:5]
	s_cbranch_vccnz .LBB153_235
; %bb.232:                              ;   in Loop: Header=BB153_31 Depth=1
	s_and_saveexec_b32 s10, s5
; %bb.233:                              ;   in Loop: Header=BB153_31 Depth=1
	v_mov_b64_e32 v[4:5], s[16:17]
	ds_store_b64 v3, v[4:5] offset:5128
; %bb.234:                              ;   in Loop: Header=BB153_31 Depth=1
	s_or_b32 exec_lo, exec_lo, s10
	s_wait_dscnt 0x0
	s_barrier_signal -1
	s_barrier_wait -1
.LBB153_235:                            ;   in Loop: Header=BB153_31 Depth=1
	s_or_saveexec_b32 s7, s7
	v_mov_b32_e32 v2, 8
	s_mov_b32 s10, 0
	s_xor_b32 exec_lo, exec_lo, s7
; %bb.236:                              ;   in Loop: Header=BB153_31 Depth=1
	v_sub_nc_u64_e64 v[8:9], v[8:9], s[16:17]
	v_mov_b32_e32 v2, 0
	s_mov_b32 s10, exec_lo
; %bb.237:                              ;   in Loop: Header=BB153_31 Depth=1
	s_or_b32 exec_lo, exec_lo, s7
	s_delay_alu instid0(VALU_DEP_2)
	v_mov_b64_e32 v[4:5], v[8:9]
	s_and_b32 s10, s10, exec_lo
.LBB153_238:                            ;   in Loop: Header=BB153_31 Depth=1
	s_or_b32 exec_lo, exec_lo, s4
	s_mov_b32 s4, -1
                                        ; implicit-def: $sgpr7
                                        ; implicit-def: $sgpr93
	s_and_saveexec_b32 s90, s10
	s_cbranch_execz .LBB153_289
; %bb.239:                              ;   in Loop: Header=BB153_31 Depth=1
	s_delay_alu instid0(VALU_DEP_1) | instskip(SKIP_3) | instid1(SALU_CYCLE_1)
	v_cmp_eq_u64_e32 vcc_lo, 1, v[4:5]
	s_cmp_eq_u64 s[18:19], 1
	s_mov_b32 s10, -1
	s_cselect_b32 s4, -1, 0
                                        ; implicit-def: $sgpr7
                                        ; implicit-def: $sgpr93
	s_and_b32 s91, s4, vcc_lo
	s_delay_alu instid0(SALU_CYCLE_1)
	s_and_saveexec_b32 s92, s91
	s_cbranch_execz .LBB153_277
; %bb.240:                              ;   in Loop: Header=BB153_31 Depth=1
	ds_load_b64 v[6:7], v3 offset:5120
	s_wait_dscnt 0x0
	s_barrier_signal -1
	s_barrier_wait -1
	v_readfirstlane_b32 s10, v6
	v_readfirstlane_b32 s11, v7
	s_and_saveexec_b32 s4, s6
; %bb.241:                              ;   in Loop: Header=BB153_31 Depth=1
	ds_store_b32 v50, v3
; %bb.242:                              ;   in Loop: Header=BB153_31 Depth=1
	s_or_b32 exec_lo, exec_lo, s4
	v_or_b32_e32 v34, s24, v34
	v_or_b32_e32 v38, s24, v38
	s_mov_b32 s93, -1
	s_mov_b32 s7, 0
	s_cmp_eq_u64 s[10:11], 0
	s_mov_b32 s22, 0
	s_mov_b32 s4, -1
	s_wait_dscnt 0x0
	s_barrier_signal -1
	s_barrier_wait -1
                                        ; implicit-def: $vgpr7
	s_cbranch_scc1 .LBB153_260
; %bb.243:                              ;   in Loop: Header=BB153_31 Depth=1
	s_add_nc_u64 s[20:21], s[10:11], s[64:65]
	v_writelane_b32 v62, s97, 19
	s_and_b64 s[22:23], s[20:21], 0xffffffff00000000
	s_delay_alu instid0(SALU_CYCLE_1)
	s_cmp_lg_u64 s[22:23], 0
	s_cbranch_scc0 .LBB153_247
; %bb.244:                              ;   in Loop: Header=BB153_31 Depth=1
	s_cvt_f32_u32 s4, s40
	s_sub_nc_u64 s[70:71], 0, s[40:41]
	s_delay_alu instid0(SALU_CYCLE_2) | instskip(NEXT) | instid1(SALU_CYCLE_3)
	s_fmamk_f32 s4, s102, 0x0, s4
	v_s_rcp_f32 s4, s4
	s_delay_alu instid0(TRANS32_DEP_1) | instskip(NEXT) | instid1(SALU_CYCLE_3)
	s_mul_f32 s4, s4, 0x5f7ffffc
	s_mul_f32 s22, s4, 0x2f800000
	s_delay_alu instid0(SALU_CYCLE_3) | instskip(NEXT) | instid1(SALU_CYCLE_3)
	s_trunc_f32 s22, s22
	s_fmamk_f32 s4, s22, 0xcf800000, s4
	s_cvt_u32_f32 s23, s22
	s_delay_alu instid0(SALU_CYCLE_2) | instskip(NEXT) | instid1(SALU_CYCLE_3)
	s_cvt_u32_f32 s22, s4
	s_mul_u64 s[72:73], s[70:71], s[22:23]
	s_delay_alu instid0(SALU_CYCLE_1)
	s_mul_hi_u32 s75, s22, s73
	s_mul_i32 s74, s22, s73
	s_mul_hi_u32 s28, s22, s72
	s_mul_i32 vcc_lo, s23, s72
	s_add_nc_u64 s[74:75], s[28:29], s[74:75]
	s_mul_hi_u32 s4, s23, s72
	s_mul_hi_u32 s97, s23, s73
	s_add_co_u32 s28, s74, vcc_lo
	s_add_co_ci_u32 s28, s75, s4
	s_mul_i32 s72, s23, s73
	s_add_co_ci_u32 s73, s97, 0
	s_delay_alu instid0(SALU_CYCLE_1) | instskip(NEXT) | instid1(SALU_CYCLE_1)
	s_add_nc_u64 s[72:73], s[28:29], s[72:73]
	s_add_co_u32 s22, s22, s72
	s_cselect_b32 s4, -1, 0
	s_delay_alu instid0(SALU_CYCLE_1) | instskip(SKIP_1) | instid1(SALU_CYCLE_1)
	s_cmp_lg_u32 s4, 0
	s_add_co_ci_u32 s23, s23, s73
	s_mul_u64 s[70:71], s[70:71], s[22:23]
	s_delay_alu instid0(SALU_CYCLE_1)
	s_mul_hi_u32 s73, s22, s71
	s_mul_i32 s72, s22, s71
	s_mul_hi_u32 s28, s22, s70
	s_mul_i32 s74, s23, s70
	s_add_nc_u64 s[72:73], s[28:29], s[72:73]
	s_mul_hi_u32 s4, s23, s70
	s_mul_hi_u32 s75, s23, s71
	s_add_co_u32 s28, s72, s74
	s_add_co_ci_u32 s28, s73, s4
	s_mul_i32 s70, s23, s71
	s_add_co_ci_u32 s71, s75, 0
	s_delay_alu instid0(SALU_CYCLE_1) | instskip(NEXT) | instid1(SALU_CYCLE_1)
	s_add_nc_u64 s[70:71], s[28:29], s[70:71]
	s_add_co_u32 s4, s22, s70
	s_cselect_b32 s22, -1, 0
	s_mul_hi_u32 s28, s20, s4
	s_cmp_lg_u32 s22, 0
	s_mul_hi_u32 s72, s21, s4
	s_add_co_ci_u32 s70, s23, s71
	s_mul_i32 s4, s21, s4
	s_mul_hi_u32 s23, s20, s70
	s_mul_i32 s22, s20, s70
	s_mul_hi_u32 s71, s21, s70
	s_add_nc_u64 s[22:23], s[28:29], s[22:23]
	s_mul_i32 s70, s21, s70
	s_add_co_u32 s4, s22, s4
	s_add_co_ci_u32 s28, s23, s72
	s_add_co_ci_u32 s71, s71, 0
	s_delay_alu instid0(SALU_CYCLE_1) | instskip(NEXT) | instid1(SALU_CYCLE_1)
	s_add_nc_u64 s[22:23], s[28:29], s[70:71]
	s_and_b64 s[70:71], s[22:23], 0xffffffff00000000
	s_delay_alu instid0(SALU_CYCLE_1) | instskip(NEXT) | instid1(SALU_CYCLE_1)
	s_or_b32 s70, s70, s22
	s_mul_u64 s[22:23], s[40:41], s[70:71]
	s_delay_alu instid0(SALU_CYCLE_1) | instskip(SKIP_1) | instid1(SALU_CYCLE_1)
	s_sub_co_u32 s4, s20, s22
	s_cselect_b32 s22, -1, 0
	s_cmp_lg_u32 s22, 0
	s_sub_co_ci_u32 s22, s21, s23
	s_sub_co_u32 s23, s4, s40
	s_cselect_b32 s28, -1, 0
	s_delay_alu instid0(SALU_CYCLE_1) | instskip(SKIP_3) | instid1(SALU_CYCLE_1)
	s_cmp_lg_u32 s28, 0
	s_sub_co_ci_u32 s28, s22, 0
	s_sub_co_u32 s70, s23, s40
	s_cselect_b32 s71, -1, 0
	s_cmp_lg_u32 s71, 0
	s_sub_co_ci_u32 s71, s28, 0
	s_cmp_ge_u32 s23, s40
	s_cselect_b32 s72, -1, 0
	s_cmp_eq_u32 s28, 0
	s_cselect_b32 s72, s72, -1
	s_delay_alu instid0(SALU_CYCLE_1)
	s_cmp_lg_u32 s72, 0
	s_cselect_b32 s28, s71, s28
	s_cselect_b32 s70, s70, s23
	s_cmp_ge_u32 s4, s40
	s_cselect_b32 s23, -1, 0
	s_cmp_eq_u32 s22, 0
	s_cselect_b32 s23, s23, -1
	s_delay_alu instid0(SALU_CYCLE_1)
	s_cmp_lg_u32 s23, 0
	s_cselect_b32 s23, s28, s22
	s_cselect_b32 s22, s70, s4
	s_mov_b32 s4, 0
	s_branch .LBB153_248
.LBB153_245:                            ;   in Loop: Header=BB153_31 Depth=1
                                        ; implicit-def: $sgpr22_sgpr23
	s_and_not1_b32 vcc_lo, exec_lo, s4
	s_cbranch_vccz .LBB153_200
	s_branch .LBB153_201
.LBB153_246:                            ;   in Loop: Header=BB153_31 Depth=1
                                        ; implicit-def: $sgpr10_sgpr11
	s_branch .LBB153_216
.LBB153_247:                            ;   in Loop: Header=BB153_31 Depth=1
                                        ; implicit-def: $sgpr22_sgpr23
.LBB153_248:                            ;   in Loop: Header=BB153_31 Depth=1
	s_and_not1_b32 vcc_lo, exec_lo, s4
	s_cbranch_vccnz .LBB153_250
; %bb.249:                              ;   in Loop: Header=BB153_31 Depth=1
	v_cvt_f32_u32_e32 v6, s40
	s_sub_co_i32 s22, 0, s40
	s_delay_alu instid0(VALU_DEP_1) | instskip(SKIP_1) | instid1(TRANS32_DEP_1)
	v_rcp_iflag_f32_e32 v6, v6
	v_nop
	v_mul_f32_e32 v6, 0x4f7ffffe, v6
	s_delay_alu instid0(VALU_DEP_1) | instskip(NEXT) | instid1(VALU_DEP_1)
	v_cvt_u32_f32_e32 v6, v6
	v_readfirstlane_b32 s4, v6
	s_mul_i32 s22, s22, s4
	s_delay_alu instid0(SALU_CYCLE_1) | instskip(NEXT) | instid1(SALU_CYCLE_1)
	s_mul_hi_u32 s22, s4, s22
	s_add_co_i32 s4, s4, s22
	s_delay_alu instid0(SALU_CYCLE_1) | instskip(NEXT) | instid1(SALU_CYCLE_1)
	s_mul_hi_u32 s4, s20, s4
	s_mul_i32 s4, s4, s40
	s_delay_alu instid0(SALU_CYCLE_1) | instskip(NEXT) | instid1(SALU_CYCLE_1)
	s_sub_co_i32 s4, s20, s4
	s_sub_co_i32 s22, s4, s40
	s_cmp_ge_u32 s4, s40
	s_cselect_b32 s4, s22, s4
	s_delay_alu instid0(SALU_CYCLE_1) | instskip(SKIP_2) | instid1(SALU_CYCLE_1)
	s_sub_co_i32 s22, s4, s40
	s_cmp_ge_u32 s4, s40
	s_cselect_b32 s28, s22, s4
	s_mov_b64 s[22:23], s[28:29]
.LBB153_250:                            ;   in Loop: Header=BB153_31 Depth=1
	s_delay_alu instid0(SALU_CYCLE_1)
	s_sub_nc_u64 s[20:21], s[20:21], s[22:23]
	s_mov_b32 s4, 0
	s_mov_b32 s22, 0
	s_mov_b32 s23, exec_lo
                                        ; implicit-def: $vgpr7
	v_cmpx_gt_u64_e64 s[20:21], v[0:1]
	v_readlane_b32 s97, v62, 19
	s_cbranch_execz .LBB153_259
; %bb.251:                              ;   in Loop: Header=BB153_31 Depth=1
	v_mov_b64_e32 v[8:9], v[0:1]
	v_mov_b32_e32 v10, v16
                                        ; implicit-def: $sgpr28
	s_branch .LBB153_254
.LBB153_252:                            ;   in Loop: Header=BB153_254 Depth=2
	s_or_b32 exec_lo, exec_lo, s70
	s_wait_dscnt 0x0
	s_barrier_signal -1
	s_barrier_wait -1
	ds_load_b64 v[6:7], v3 offset:3072
	s_mov_b32 s70, -1
	s_mov_b32 s71, -1
	s_wait_dscnt 0x0
	s_barrier_signal -1
	s_barrier_wait -1
	v_cmp_ne_u32_e32 vcc_lo, 0, v6
	s_cbranch_vccz .LBB153_257
.LBB153_253:                            ;   in Loop: Header=BB153_254 Depth=2
	s_and_b32 s70, exec_lo, s70
	s_delay_alu instid0(SALU_CYCLE_1) | instskip(SKIP_2) | instid1(SALU_CYCLE_1)
	s_or_b32 s22, s70, s22
	s_and_not1_b32 s28, s28, exec_lo
	s_and_b32 s70, s71, exec_lo
	s_or_b32 s28, s28, s70
	s_and_not1_b32 exec_lo, exec_lo, s22
	s_cbranch_execz .LBB153_258
.LBB153_254:                            ;   Parent Loop BB153_31 Depth=1
                                        ; =>  This Inner Loop Header: Depth=2
	s_mov_b32 s70, exec_lo
	s_delay_alu instid0(VALU_DEP_2)
	v_cmpx_gt_u64_e64 s[10:11], v[8:9]
	s_cbranch_execz .LBB153_252
; %bb.255:                              ;   in Loop: Header=BB153_254 Depth=2
	ds_load_b32 v33, v10
	s_wait_dscnt 0x0
	v_bitop3_b32 v6, v33, v38, 0x80000000 bitop3:0x48
	s_delay_alu instid0(VALU_DEP_1)
	v_cmp_eq_u32_e32 vcc_lo, v6, v34
	s_and_b32 exec_lo, exec_lo, vcc_lo
	s_cbranch_execz .LBB153_252
; %bb.256:                              ;   in Loop: Header=BB153_254 Depth=2
	ds_store_b64 v3, v[32:33] offset:3072
	s_branch .LBB153_252
.LBB153_257:                            ;   in Loop: Header=BB153_254 Depth=2
	v_add_nc_u64_e32 v[8:9], s[40:41], v[8:9]
	v_add_nc_u32_e32 v10, s101, v10
	s_mov_b32 s71, 0
	s_delay_alu instid0(VALU_DEP_2)
	v_cmp_le_u64_e32 vcc_lo, s[20:21], v[8:9]
	s_or_not1_b32 s70, vcc_lo, exec_lo
	s_branch .LBB153_253
.LBB153_258:                            ;   in Loop: Header=BB153_31 Depth=1
	s_or_b32 exec_lo, exec_lo, s22
	s_delay_alu instid0(SALU_CYCLE_1)
	s_and_b32 s22, s28, exec_lo
.LBB153_259:                            ;   in Loop: Header=BB153_31 Depth=1
	s_or_b32 exec_lo, exec_lo, s23
.LBB153_260:                            ;   in Loop: Header=BB153_31 Depth=1
	s_delay_alu instid0(SALU_CYCLE_1)
	s_and_b32 vcc_lo, exec_lo, s4
	s_cbranch_vccz .LBB153_276
; %bb.261:                              ;   in Loop: Header=BB153_31 Depth=1
	s_and_b64 s[10:11], s[66:67], 0xffffffff00000000
	s_delay_alu instid0(SALU_CYCLE_1)
	s_cmp_lg_u64 s[10:11], 0
	s_cbranch_scc0 .LBB153_263
; %bb.262:                              ;   in Loop: Header=BB153_31 Depth=1
	s_cvt_f32_u32 s4, s40
	s_sub_nc_u64 s[20:21], 0, s[40:41]
	s_delay_alu instid0(SALU_CYCLE_2) | instskip(NEXT) | instid1(SALU_CYCLE_3)
	s_fmamk_f32 s4, s102, 0x0, s4
	v_s_rcp_f32 s4, s4
	s_delay_alu instid0(TRANS32_DEP_1) | instskip(NEXT) | instid1(SALU_CYCLE_3)
	s_mul_f32 s4, s4, 0x5f7ffffc
	s_mul_f32 s7, s4, 0x2f800000
	s_delay_alu instid0(SALU_CYCLE_3) | instskip(NEXT) | instid1(SALU_CYCLE_3)
	s_trunc_f32 s7, s7
	s_fmamk_f32 s4, s7, 0xcf800000, s4
	s_cvt_u32_f32 s11, s7
	s_delay_alu instid0(SALU_CYCLE_2) | instskip(NEXT) | instid1(SALU_CYCLE_3)
	s_cvt_u32_f32 s10, s4
	s_mul_u64 s[70:71], s[20:21], s[10:11]
	s_delay_alu instid0(SALU_CYCLE_1)
	s_mul_hi_u32 s73, s10, s71
	s_mul_i32 s72, s10, s71
	s_mul_hi_u32 s28, s10, s70
	s_mul_i32 s7, s11, s70
	s_add_nc_u64 s[72:73], s[28:29], s[72:73]
	s_mul_hi_u32 s4, s11, s70
	s_mul_hi_u32 s23, s11, s71
	s_add_co_u32 s7, s72, s7
	s_add_co_ci_u32 s28, s73, s4
	s_mul_i32 s70, s11, s71
	s_add_co_ci_u32 s71, s23, 0
	s_delay_alu instid0(SALU_CYCLE_1) | instskip(NEXT) | instid1(SALU_CYCLE_1)
	s_add_nc_u64 s[70:71], s[28:29], s[70:71]
	s_add_co_u32 s10, s10, s70
	s_cselect_b32 s4, -1, 0
	s_delay_alu instid0(SALU_CYCLE_1) | instskip(SKIP_1) | instid1(SALU_CYCLE_1)
	s_cmp_lg_u32 s4, 0
	s_add_co_ci_u32 s11, s11, s71
	s_mul_u64 s[20:21], s[20:21], s[10:11]
	s_delay_alu instid0(SALU_CYCLE_1)
	s_mul_hi_u32 s71, s10, s21
	s_mul_i32 s70, s10, s21
	s_mul_hi_u32 s28, s10, s20
	s_mul_i32 s7, s11, s20
	s_add_nc_u64 s[70:71], s[28:29], s[70:71]
	s_mul_hi_u32 s4, s11, s20
	s_mul_hi_u32 s23, s11, s21
	s_add_co_u32 s7, s70, s7
	s_add_co_ci_u32 s28, s71, s4
	s_mul_i32 s20, s11, s21
	s_add_co_ci_u32 s21, s23, 0
	s_delay_alu instid0(SALU_CYCLE_1) | instskip(NEXT) | instid1(SALU_CYCLE_1)
	s_add_nc_u64 s[20:21], s[28:29], s[20:21]
	s_add_co_u32 s4, s10, s20
	s_cselect_b32 s7, -1, 0
	s_mul_hi_u32 s28, s66, s4
	s_cmp_lg_u32 s7, 0
	s_mul_hi_u32 s7, s67, s4
	s_add_co_ci_u32 s20, s11, s21
	s_mul_i32 s4, s67, s4
	s_mul_hi_u32 s11, s66, s20
	s_mul_i32 s10, s66, s20
	s_mul_hi_u32 s21, s67, s20
	s_add_nc_u64 s[10:11], s[28:29], s[10:11]
	s_mul_i32 s20, s67, s20
	s_add_co_u32 s4, s10, s4
	s_add_co_ci_u32 s28, s11, s7
	s_add_co_ci_u32 s21, s21, 0
	s_delay_alu instid0(SALU_CYCLE_1) | instskip(NEXT) | instid1(SALU_CYCLE_1)
	s_add_nc_u64 s[10:11], s[28:29], s[20:21]
	s_and_b64 s[20:21], s[10:11], 0xffffffff00000000
	s_delay_alu instid0(SALU_CYCLE_1) | instskip(NEXT) | instid1(SALU_CYCLE_1)
	s_or_b32 s20, s20, s10
	s_mul_u64 s[10:11], s[40:41], s[20:21]
	s_delay_alu instid0(SALU_CYCLE_1) | instskip(SKIP_1) | instid1(SALU_CYCLE_1)
	s_sub_co_u32 s4, s66, s10
	s_cselect_b32 s7, -1, 0
	s_cmp_lg_u32 s7, 0
	s_sub_co_ci_u32 s7, s67, s11
	s_sub_co_u32 s10, s4, s40
	s_cselect_b32 s11, -1, 0
	s_delay_alu instid0(SALU_CYCLE_1) | instskip(SKIP_3) | instid1(SALU_CYCLE_1)
	s_cmp_lg_u32 s11, 0
	s_sub_co_ci_u32 s11, s7, 0
	s_sub_co_u32 s20, s10, s40
	s_cselect_b32 s21, -1, 0
	s_cmp_lg_u32 s21, 0
	s_sub_co_ci_u32 s21, s11, 0
	s_cmp_ge_u32 s10, s40
	s_cselect_b32 s23, -1, 0
	s_cmp_eq_u32 s11, 0
	s_cselect_b32 s23, s23, -1
	s_delay_alu instid0(SALU_CYCLE_1)
	s_cmp_lg_u32 s23, 0
	s_cselect_b32 s11, s21, s11
	s_cselect_b32 s10, s20, s10
	s_cmp_ge_u32 s4, s40
	s_cselect_b32 s20, -1, 0
	s_cmp_eq_u32 s7, 0
	s_cselect_b32 s20, s20, -1
	s_delay_alu instid0(SALU_CYCLE_1)
	s_cmp_lg_u32 s20, 0
	s_cselect_b32 s11, s11, s7
	s_cselect_b32 s10, s10, s4
	s_mov_b32 s4, 0
	s_branch .LBB153_264
.LBB153_263:                            ;   in Loop: Header=BB153_31 Depth=1
	s_mov_b32 s4, -1
                                        ; implicit-def: $sgpr10_sgpr11
.LBB153_264:                            ;   in Loop: Header=BB153_31 Depth=1
	s_delay_alu instid0(SALU_CYCLE_1)
	s_and_not1_b32 vcc_lo, exec_lo, s4
	s_cbranch_vccnz .LBB153_266
; %bb.265:                              ;   in Loop: Header=BB153_31 Depth=1
	v_cvt_f32_u32_e32 v6, s40
	s_sub_co_i32 s7, 0, s40
	s_delay_alu instid0(VALU_DEP_1) | instskip(SKIP_1) | instid1(TRANS32_DEP_1)
	v_rcp_iflag_f32_e32 v6, v6
	v_nop
	v_mul_f32_e32 v6, 0x4f7ffffe, v6
	s_delay_alu instid0(VALU_DEP_1) | instskip(NEXT) | instid1(VALU_DEP_1)
	v_cvt_u32_f32_e32 v6, v6
	v_readfirstlane_b32 s4, v6
	s_mul_i32 s7, s7, s4
	s_delay_alu instid0(SALU_CYCLE_1) | instskip(NEXT) | instid1(SALU_CYCLE_1)
	s_mul_hi_u32 s7, s4, s7
	s_add_co_i32 s4, s4, s7
	s_delay_alu instid0(SALU_CYCLE_1) | instskip(NEXT) | instid1(SALU_CYCLE_1)
	s_mul_hi_u32 s4, s66, s4
	s_mul_i32 s4, s4, s40
	s_delay_alu instid0(SALU_CYCLE_1) | instskip(NEXT) | instid1(SALU_CYCLE_1)
	s_sub_co_i32 s4, s66, s4
	s_sub_co_i32 s7, s4, s40
	s_cmp_ge_u32 s4, s40
	s_cselect_b32 s4, s7, s4
	s_delay_alu instid0(SALU_CYCLE_1) | instskip(SKIP_2) | instid1(SALU_CYCLE_1)
	s_sub_co_i32 s7, s4, s40
	s_cmp_ge_u32 s4, s40
	s_cselect_b32 s28, s7, s4
	s_mov_b64 s[10:11], s[28:29]
.LBB153_266:                            ;   in Loop: Header=BB153_31 Depth=1
	s_delay_alu instid0(SALU_CYCLE_1)
	s_sub_nc_u64 s[10:11], s[66:67], s[10:11]
	s_mov_b32 s4, exec_lo
                                        ; implicit-def: $vgpr7
	v_cmpx_gt_u64_e64 s[10:11], v[0:1]
	s_cbranch_execz .LBB153_275
; %bb.267:                              ;   in Loop: Header=BB153_31 Depth=1
	v_mov_b64_e32 v[8:9], v[30:31]
	v_mov_b64_e32 v[10:11], v[0:1]
	s_mov_b32 s7, 0
                                        ; implicit-def: $sgpr20
	s_branch .LBB153_270
.LBB153_268:                            ;   in Loop: Header=BB153_270 Depth=2
	s_or_b32 exec_lo, exec_lo, s21
	s_wait_dscnt 0x0
	s_barrier_signal -1
	s_barrier_wait -1
	ds_load_b64 v[6:7], v3 offset:3072
	s_mov_b32 s21, -1
	s_mov_b32 s23, -1
	s_wait_dscnt 0x0
	s_barrier_signal -1
	s_barrier_wait -1
	v_cmp_eq_u32_e32 vcc_lo, 0, v6
	s_cbranch_vccnz .LBB153_273
.LBB153_269:                            ;   in Loop: Header=BB153_270 Depth=2
	s_and_b32 s21, exec_lo, s21
	s_delay_alu instid0(SALU_CYCLE_1) | instskip(SKIP_2) | instid1(SALU_CYCLE_1)
	s_or_b32 s7, s21, s7
	s_and_not1_b32 s20, s20, exec_lo
	s_and_b32 s21, s23, exec_lo
	s_or_b32 s20, s20, s21
	s_and_not1_b32 exec_lo, exec_lo, s7
	s_cbranch_execz .LBB153_274
.LBB153_270:                            ;   Parent Loop BB153_31 Depth=1
                                        ; =>  This Inner Loop Header: Depth=2
	s_mov_b32 s21, exec_lo
	s_delay_alu instid0(VALU_DEP_1)
	v_cmpx_gt_u64_e64 s[36:37], v[10:11]
	s_cbranch_execz .LBB153_268
; %bb.271:                              ;   in Loop: Header=BB153_270 Depth=2
	global_load_b32 v33, v[8:9], off
	s_wait_loadcnt 0x0
	v_bitop3_b32 v6, v33, v38, 0x80000000 bitop3:0x48
	s_delay_alu instid0(VALU_DEP_1)
	v_cmp_eq_u32_e32 vcc_lo, v6, v34
	s_and_b32 exec_lo, exec_lo, vcc_lo
	s_cbranch_execz .LBB153_268
; %bb.272:                              ;   in Loop: Header=BB153_270 Depth=2
	ds_store_b64 v3, v[32:33] offset:3072
	s_branch .LBB153_268
.LBB153_273:                            ;   in Loop: Header=BB153_270 Depth=2
	v_add_nc_u64_e32 v[10:11], s[40:41], v[10:11]
	v_add_nc_u64_e32 v[8:9], s[44:45], v[8:9]
	s_mov_b32 s23, 0
	s_delay_alu instid0(VALU_DEP_2)
	v_cmp_le_u64_e32 vcc_lo, s[10:11], v[10:11]
	s_or_not1_b32 s21, vcc_lo, exec_lo
	s_branch .LBB153_269
.LBB153_274:                            ;   in Loop: Header=BB153_31 Depth=1
	s_or_b32 exec_lo, exec_lo, s7
	s_delay_alu instid0(SALU_CYCLE_1) | instskip(SKIP_1) | instid1(SALU_CYCLE_1)
	s_and_not1_b32 s7, s22, exec_lo
	s_and_b32 s10, s20, exec_lo
	s_or_b32 s22, s7, s10
.LBB153_275:                            ;   in Loop: Header=BB153_31 Depth=1
	s_or_b32 exec_lo, exec_lo, s4
	s_mov_b32 s93, 0
	s_mov_b32 s7, -1
.LBB153_276:                            ;   in Loop: Header=BB153_31 Depth=1
	s_or_not1_b32 s10, s22, exec_lo
.LBB153_277:                            ;   in Loop: Header=BB153_31 Depth=1
	s_or_b32 exec_lo, exec_lo, s92
	s_mov_b32 s11, 0
	s_and_saveexec_b32 s4, s10
	s_cbranch_execz .LBB153_288
; %bb.278:                              ;   in Loop: Header=BB153_31 Depth=1
	v_mov_b64_e32 v[8:9], 1
	v_mov_b32_e32 v2, 1
	s_xor_b32 s11, s91, -1
	s_delay_alu instid0(SALU_CYCLE_1)
	s_and_saveexec_b32 s10, s11
	s_cbranch_execz .LBB153_287
; %bb.279:                              ;   in Loop: Header=BB153_31 Depth=1
	s_mov_b32 s11, exec_lo
	v_cmpx_ge_u64_e64 s[18:19], v[4:5]
	s_xor_b32 s11, exec_lo, s11
	s_cbranch_execz .LBB153_284
; %bb.280:                              ;   in Loop: Header=BB153_31 Depth=1
	ds_load_b64 v[8:9], v3 offset:5120
	v_or_b32_e32 v34, s24, v34
	v_or_b32_e32 v38, s24, v38
	s_wait_dscnt 0x0
	v_cmp_ne_u64_e32 vcc_lo, 0, v[8:9]
	s_cbranch_vccnz .LBB153_284
; %bb.281:                              ;   in Loop: Header=BB153_31 Depth=1
	s_and_saveexec_b32 s20, s5
; %bb.282:                              ;   in Loop: Header=BB153_31 Depth=1
	v_mov_b64_e32 v[8:9], s[18:19]
	ds_store_b64 v3, v[8:9] offset:5128
; %bb.283:                              ;   in Loop: Header=BB153_31 Depth=1
	s_or_b32 exec_lo, exec_lo, s20
	s_wait_dscnt 0x0
	s_barrier_signal -1
	s_barrier_wait -1
.LBB153_284:                            ;   in Loop: Header=BB153_31 Depth=1
	s_and_not1_saveexec_b32 s11, s11
; %bb.285:                              ;   in Loop: Header=BB153_31 Depth=1
	v_sub_nc_u64_e64 v[4:5], v[4:5], s[18:19]
; %bb.286:                              ;   in Loop: Header=BB153_31 Depth=1
	s_or_b32 exec_lo, exec_lo, s11
	s_delay_alu instid0(VALU_DEP_1)
	v_mov_b64_e32 v[8:9], v[4:5]
	v_mov_b32_e32 v2, 8
.LBB153_287:                            ;   in Loop: Header=BB153_31 Depth=1
	s_or_b32 exec_lo, exec_lo, s10
	s_delay_alu instid0(VALU_DEP_2)
	v_mov_b64_e32 v[4:5], v[8:9]
	s_mov_b32 s11, exec_lo
.LBB153_288:                            ;   in Loop: Header=BB153_31 Depth=1
	s_or_b32 exec_lo, exec_lo, s4
	s_delay_alu instid0(SALU_CYCLE_1)
	s_or_not1_b32 s4, s11, exec_lo
.LBB153_289:                            ;   in Loop: Header=BB153_31 Depth=1
	s_or_b32 exec_lo, exec_lo, s90
	s_delay_alu instid0(VALU_DEP_1)
	v_mov_b64_e32 v[8:9], v[4:5]
	s_and_not1_b32 s10, s88, exec_lo
	s_and_b32 s7, s7, exec_lo
	s_and_not1_b32 s11, s87, exec_lo
	s_and_b32 s20, s93, exec_lo
	s_or_b32 s88, s10, s7
	s_or_b32 s87, s11, s20
	s_and_b32 s7, s4, exec_lo
.LBB153_290:                            ;   in Loop: Header=BB153_31 Depth=1
	s_or_b32 exec_lo, exec_lo, s89
	s_delay_alu instid0(SALU_CYCLE_1)
	s_or_not1_b32 s4, s7, exec_lo
.LBB153_291:                            ;   in Loop: Header=BB153_31 Depth=1
	s_or_b32 exec_lo, exec_lo, s86
	v_mov_b64_e32 v[4:5], v[8:9]
	s_and_not1_b32 s7, s84, exec_lo
	s_and_b32 s10, s88, exec_lo
	s_and_not1_b32 s11, s51, exec_lo
	s_and_b32 s20, s87, exec_lo
	s_or_b32 s84, s7, s10
	s_or_b32 s51, s11, s20
	s_and_b32 s7, s4, exec_lo
.LBB153_292:                            ;   in Loop: Header=BB153_31 Depth=1
	s_or_b32 exec_lo, exec_lo, s85
	s_delay_alu instid0(SALU_CYCLE_1)
	s_or_not1_b32 s4, s7, exec_lo
.LBB153_293:                            ;   in Loop: Header=BB153_31 Depth=1
	s_or_b32 exec_lo, exec_lo, s27
	s_mov_b32 s7, 0
	s_mov_b32 s11, 0
	s_and_saveexec_b32 s10, s4
	s_delay_alu instid0(SALU_CYCLE_1)
	s_xor_b32 s4, exec_lo, s10
; %bb.294:                              ;   in Loop: Header=BB153_31 Depth=1
	v_cmp_ne_u32_e32 vcc_lo, 8, v2
	v_cmp_eq_u32_e64 s10, 8, v2
	s_and_b32 s11, vcc_lo, exec_lo
	s_and_b32 s7, s10, exec_lo
; %bb.295:                              ;   in Loop: Header=BB153_31 Depth=1
	s_or_b32 exec_lo, exec_lo, s4
	s_delay_alu instid0(SALU_CYCLE_1)
	s_and_not1_b32 s4, s81, exec_lo
	s_and_b32 s10, s84, exec_lo
	s_and_not1_b32 s20, s80, exec_lo
	s_and_b32 s21, s51, exec_lo
	s_or_b32 s81, s4, s10
	s_or_b32 s80, s20, s21
	s_and_b32 s27, s11, exec_lo
	s_and_b32 s51, s7, exec_lo
.LBB153_296:                            ;   in Loop: Header=BB153_31 Depth=1
	s_or_b32 exec_lo, exec_lo, s83
.LBB153_297:                            ;   in Loop: Header=BB153_31 Depth=1
	s_delay_alu instid0(SALU_CYCLE_1)
	s_and_b32 vcc_lo, exec_lo, s82
	s_cbranch_vccz .LBB153_313
; %bb.298:                              ;   in Loop: Header=BB153_31 Depth=1
	s_cmp_eq_u64 s[18:19], 1
                                        ; implicit-def: $sgpr82
                                        ; implicit-def: $sgpr26
	s_cselect_b32 s4, -1, 0
	s_delay_alu instid0(SALU_CYCLE_1)
	s_and_b32 s9, s4, s9
	s_mov_b32 s4, -1
	s_and_saveexec_b32 s80, s9
	s_cbranch_execz .LBB153_331
; %bb.299:                              ;   in Loop: Header=BB153_31 Depth=1
	ds_load_b64 v[4:5], v3 offset:5120
	s_wait_dscnt 0x0
	s_barrier_signal -1
	s_barrier_wait -1
	v_readfirstlane_b32 s10, v4
	v_readfirstlane_b32 s11, v5
	s_and_saveexec_b32 s4, s6
; %bb.300:                              ;   in Loop: Header=BB153_31 Depth=1
	ds_store_b32 v50, v3
; %bb.301:                              ;   in Loop: Header=BB153_31 Depth=1
	s_or_b32 exec_lo, exec_lo, s4
	v_or_b32_e32 v53, s24, v53
	v_or_b32_e32 v55, s24, v55
	s_mov_b32 s26, -1
	s_mov_b32 s82, 0
	s_cmp_eq_u64 s[10:11], 0
	s_mov_b32 s7, 0
	s_mov_b32 s4, -1
	s_wait_dscnt 0x0
	s_barrier_signal -1
	s_barrier_wait -1
                                        ; implicit-def: $vgpr35
	s_cbranch_scc1 .LBB153_316
; %bb.302:                              ;   in Loop: Header=BB153_31 Depth=1
	s_add_nc_u64 s[20:21], s[10:11], s[64:65]
	s_delay_alu instid0(SALU_CYCLE_1) | instskip(NEXT) | instid1(SALU_CYCLE_1)
	s_and_b64 s[22:23], s[20:21], 0xffffffff00000000
	s_cmp_lg_u64 s[22:23], 0
	s_cbranch_scc0 .LBB153_357
; %bb.303:                              ;   in Loop: Header=BB153_31 Depth=1
	s_cvt_f32_u32 s4, s40
	s_sub_nc_u64 s[70:71], 0, s[40:41]
	s_delay_alu instid0(SALU_CYCLE_2) | instskip(NEXT) | instid1(SALU_CYCLE_3)
	s_fmamk_f32 s4, s102, 0x0, s4
	v_s_rcp_f32 s4, s4
	s_delay_alu instid0(TRANS32_DEP_1) | instskip(NEXT) | instid1(SALU_CYCLE_3)
	s_mul_f32 s4, s4, 0x5f7ffffc
	s_mul_f32 s7, s4, 0x2f800000
	s_delay_alu instid0(SALU_CYCLE_3) | instskip(NEXT) | instid1(SALU_CYCLE_3)
	s_trunc_f32 s7, s7
	s_fmamk_f32 s4, s7, 0xcf800000, s4
	s_cvt_u32_f32 s23, s7
	s_delay_alu instid0(SALU_CYCLE_2) | instskip(NEXT) | instid1(SALU_CYCLE_3)
	s_cvt_u32_f32 s22, s4
	s_mul_u64 s[84:85], s[70:71], s[22:23]
	s_delay_alu instid0(SALU_CYCLE_1)
	s_mul_hi_u32 s87, s22, s85
	s_mul_i32 s86, s22, s85
	s_mul_hi_u32 s28, s22, s84
	s_mul_i32 s7, s23, s84
	s_add_nc_u64 s[86:87], s[28:29], s[86:87]
	s_mul_hi_u32 s4, s23, s84
	s_mul_hi_u32 s72, s23, s85
	s_add_co_u32 s7, s86, s7
	s_add_co_ci_u32 s28, s87, s4
	s_mul_i32 s84, s23, s85
	s_add_co_ci_u32 s85, s72, 0
	s_delay_alu instid0(SALU_CYCLE_1) | instskip(NEXT) | instid1(SALU_CYCLE_1)
	s_add_nc_u64 s[84:85], s[28:29], s[84:85]
	s_add_co_u32 s22, s22, s84
	s_cselect_b32 s4, -1, 0
	s_delay_alu instid0(SALU_CYCLE_1) | instskip(SKIP_1) | instid1(SALU_CYCLE_1)
	s_cmp_lg_u32 s4, 0
	s_add_co_ci_u32 s23, s23, s85
	s_mul_u64 s[70:71], s[70:71], s[22:23]
	s_delay_alu instid0(SALU_CYCLE_1)
	s_mul_hi_u32 s85, s22, s71
	s_mul_i32 s84, s22, s71
	s_mul_hi_u32 s28, s22, s70
	s_mul_i32 s7, s23, s70
	s_add_nc_u64 s[84:85], s[28:29], s[84:85]
	s_mul_hi_u32 s4, s23, s70
	s_mul_hi_u32 s72, s23, s71
	s_add_co_u32 s7, s84, s7
	s_add_co_ci_u32 s28, s85, s4
	s_mul_i32 s70, s23, s71
	s_add_co_ci_u32 s71, s72, 0
	s_delay_alu instid0(SALU_CYCLE_1) | instskip(NEXT) | instid1(SALU_CYCLE_1)
	s_add_nc_u64 s[70:71], s[28:29], s[70:71]
	s_add_co_u32 s4, s22, s70
	s_cselect_b32 s7, -1, 0
	s_mul_hi_u32 s28, s20, s4
	s_cmp_lg_u32 s7, 0
	s_mul_hi_u32 s7, s21, s4
	s_add_co_ci_u32 s70, s23, s71
	s_mul_i32 s4, s21, s4
	s_mul_hi_u32 s23, s20, s70
	s_mul_i32 s22, s20, s70
	s_mul_hi_u32 s71, s21, s70
	s_add_nc_u64 s[22:23], s[28:29], s[22:23]
	s_mul_i32 s70, s21, s70
	s_add_co_u32 s4, s22, s4
	s_add_co_ci_u32 s28, s23, s7
	s_add_co_ci_u32 s71, s71, 0
	s_delay_alu instid0(SALU_CYCLE_1) | instskip(NEXT) | instid1(SALU_CYCLE_1)
	s_add_nc_u64 s[22:23], s[28:29], s[70:71]
	s_and_b64 s[70:71], s[22:23], 0xffffffff00000000
	s_delay_alu instid0(SALU_CYCLE_1) | instskip(NEXT) | instid1(SALU_CYCLE_1)
	s_or_b32 s70, s70, s22
	s_mul_u64 s[22:23], s[40:41], s[70:71]
	s_delay_alu instid0(SALU_CYCLE_1) | instskip(SKIP_1) | instid1(SALU_CYCLE_1)
	s_sub_co_u32 s4, s20, s22
	s_cselect_b32 s7, -1, 0
	s_cmp_lg_u32 s7, 0
	s_sub_co_ci_u32 s7, s21, s23
	s_sub_co_u32 s22, s4, s40
	s_cselect_b32 s23, -1, 0
	s_delay_alu instid0(SALU_CYCLE_1) | instskip(SKIP_3) | instid1(SALU_CYCLE_1)
	s_cmp_lg_u32 s23, 0
	s_sub_co_ci_u32 s23, s7, 0
	s_sub_co_u32 s28, s22, s40
	s_cselect_b32 s70, -1, 0
	s_cmp_lg_u32 s70, 0
	s_sub_co_ci_u32 s70, s23, 0
	s_cmp_ge_u32 s22, s40
	s_cselect_b32 s71, -1, 0
	s_cmp_eq_u32 s23, 0
	s_cselect_b32 s71, s71, -1
	s_delay_alu instid0(SALU_CYCLE_1)
	s_cmp_lg_u32 s71, 0
	s_cselect_b32 s23, s70, s23
	s_cselect_b32 s22, s28, s22
	s_cmp_ge_u32 s4, s40
	s_cselect_b32 s28, -1, 0
	s_cmp_eq_u32 s7, 0
	s_cselect_b32 s28, s28, -1
	s_delay_alu instid0(SALU_CYCLE_1)
	s_cmp_lg_u32 s28, 0
	s_cselect_b32 s23, s23, s7
	s_cselect_b32 s22, s22, s4
	s_cbranch_execnz .LBB153_305
.LBB153_304:                            ;   in Loop: Header=BB153_31 Depth=1
	v_cvt_f32_u32_e32 v2, s40
	s_sub_co_i32 s7, 0, s40
	s_delay_alu instid0(VALU_DEP_1) | instskip(SKIP_1) | instid1(TRANS32_DEP_1)
	v_rcp_iflag_f32_e32 v2, v2
	v_nop
	v_mul_f32_e32 v2, 0x4f7ffffe, v2
	s_delay_alu instid0(VALU_DEP_1) | instskip(NEXT) | instid1(VALU_DEP_1)
	v_cvt_u32_f32_e32 v2, v2
	v_readfirstlane_b32 s4, v2
	s_mul_i32 s7, s7, s4
	s_delay_alu instid0(SALU_CYCLE_1) | instskip(NEXT) | instid1(SALU_CYCLE_1)
	s_mul_hi_u32 s7, s4, s7
	s_add_co_i32 s4, s4, s7
	s_delay_alu instid0(SALU_CYCLE_1) | instskip(NEXT) | instid1(SALU_CYCLE_1)
	s_mul_hi_u32 s4, s20, s4
	s_mul_i32 s4, s4, s40
	s_delay_alu instid0(SALU_CYCLE_1) | instskip(NEXT) | instid1(SALU_CYCLE_1)
	s_sub_co_i32 s4, s20, s4
	s_sub_co_i32 s7, s4, s40
	s_cmp_ge_u32 s4, s40
	s_cselect_b32 s4, s7, s4
	s_delay_alu instid0(SALU_CYCLE_1) | instskip(SKIP_2) | instid1(SALU_CYCLE_1)
	s_sub_co_i32 s7, s4, s40
	s_cmp_ge_u32 s4, s40
	s_cselect_b32 s28, s7, s4
	s_mov_b64 s[22:23], s[28:29]
.LBB153_305:                            ;   in Loop: Header=BB153_31 Depth=1
	s_delay_alu instid0(SALU_CYCLE_1)
	s_sub_nc_u64 s[20:21], s[20:21], s[22:23]
	s_mov_b32 s4, 0
	s_mov_b32 s7, 0
	s_mov_b32 s22, exec_lo
                                        ; implicit-def: $vgpr35
	v_cmpx_gt_u64_e64 s[20:21], v[0:1]
	s_cbranch_execz .LBB153_315
; %bb.306:                              ;   in Loop: Header=BB153_31 Depth=1
	v_mov_b64_e32 v[4:5], v[0:1]
	v_mov_b32_e32 v2, v16
                                        ; implicit-def: $sgpr23
	s_branch .LBB153_309
.LBB153_307:                            ;   in Loop: Header=BB153_309 Depth=2
	s_or_b32 exec_lo, exec_lo, s28
	s_wait_dscnt 0x0
	s_barrier_signal -1
	s_barrier_wait -1
	ds_load_b64 v[34:35], v3 offset:3072
	s_mov_b32 s28, -1
	s_mov_b32 s70, -1
	s_wait_dscnt 0x0
	s_barrier_signal -1
	s_barrier_wait -1
	v_cmp_ne_u32_e32 vcc_lo, 0, v34
	s_cbranch_vccz .LBB153_312
.LBB153_308:                            ;   in Loop: Header=BB153_309 Depth=2
	s_and_b32 s28, exec_lo, s28
	s_delay_alu instid0(SALU_CYCLE_1) | instskip(SKIP_2) | instid1(SALU_CYCLE_1)
	s_or_b32 s7, s28, s7
	s_and_not1_b32 s23, s23, exec_lo
	s_and_b32 s28, s70, exec_lo
	s_or_b32 s23, s23, s28
	s_and_not1_b32 exec_lo, exec_lo, s7
	s_cbranch_execz .LBB153_314
.LBB153_309:                            ;   Parent Loop BB153_31 Depth=1
                                        ; =>  This Inner Loop Header: Depth=2
	s_mov_b32 s28, exec_lo
	s_delay_alu instid0(VALU_DEP_2)
	v_cmpx_gt_u64_e64 s[10:11], v[4:5]
	s_cbranch_execz .LBB153_307
; %bb.310:                              ;   in Loop: Header=BB153_309 Depth=2
	ds_load_b32 v33, v2
	s_wait_dscnt 0x0
	v_bitop3_b32 v6, v33, v55, 0x80000000 bitop3:0x48
	s_delay_alu instid0(VALU_DEP_1)
	v_cmp_eq_u32_e32 vcc_lo, v6, v53
	s_and_b32 exec_lo, exec_lo, vcc_lo
	s_cbranch_execz .LBB153_307
; %bb.311:                              ;   in Loop: Header=BB153_309 Depth=2
	ds_store_b64 v3, v[32:33] offset:3072
	s_branch .LBB153_307
.LBB153_312:                            ;   in Loop: Header=BB153_309 Depth=2
	v_add_nc_u64_e32 v[4:5], s[40:41], v[4:5]
	v_add_nc_u32_e32 v2, s101, v2
	s_mov_b32 s70, 0
	s_delay_alu instid0(VALU_DEP_2)
	v_cmp_le_u64_e32 vcc_lo, s[20:21], v[4:5]
	s_or_not1_b32 s28, vcc_lo, exec_lo
	s_branch .LBB153_308
.LBB153_313:                            ;   in Loop: Header=BB153_31 Depth=1
	v_dual_mov_b32 v53, v34 :: v_dual_mov_b32 v55, v38
	v_mov_b32_e32 v35, v7
	s_mov_b32 s82, 0
	s_and_saveexec_b32 s4, s51
	s_cbranch_execnz .LBB153_490
	s_branch .LBB153_491
.LBB153_314:                            ;   in Loop: Header=BB153_31 Depth=1
	s_or_b32 exec_lo, exec_lo, s7
	s_delay_alu instid0(SALU_CYCLE_1)
	s_and_b32 s7, s23, exec_lo
.LBB153_315:                            ;   in Loop: Header=BB153_31 Depth=1
	s_or_b32 exec_lo, exec_lo, s22
.LBB153_316:                            ;   in Loop: Header=BB153_31 Depth=1
	s_delay_alu instid0(SALU_CYCLE_1)
	s_and_b32 vcc_lo, exec_lo, s4
	s_cbranch_vccz .LBB153_330
; %bb.317:                              ;   in Loop: Header=BB153_31 Depth=1
	s_and_b64 s[10:11], s[66:67], 0xffffffff00000000
	s_delay_alu instid0(SALU_CYCLE_1)
	s_cmp_lg_u64 s[10:11], 0
	s_cbranch_scc0 .LBB153_358
; %bb.318:                              ;   in Loop: Header=BB153_31 Depth=1
	s_cvt_f32_u32 s4, s40
	s_sub_nc_u64 s[20:21], 0, s[40:41]
	s_delay_alu instid0(SALU_CYCLE_2) | instskip(NEXT) | instid1(SALU_CYCLE_3)
	s_fmamk_f32 s4, s102, 0x0, s4
	v_s_rcp_f32 s4, s4
	s_delay_alu instid0(TRANS32_DEP_1) | instskip(NEXT) | instid1(SALU_CYCLE_3)
	s_mul_f32 s4, s4, 0x5f7ffffc
	s_mul_f32 s10, s4, 0x2f800000
	s_delay_alu instid0(SALU_CYCLE_3) | instskip(NEXT) | instid1(SALU_CYCLE_3)
	s_trunc_f32 s10, s10
	s_fmamk_f32 s4, s10, 0xcf800000, s4
	s_cvt_u32_f32 s11, s10
	s_delay_alu instid0(SALU_CYCLE_2) | instskip(NEXT) | instid1(SALU_CYCLE_3)
	s_cvt_u32_f32 s10, s4
	s_mul_u64 s[22:23], s[20:21], s[10:11]
	s_delay_alu instid0(SALU_CYCLE_1)
	s_mul_hi_u32 s71, s10, s23
	s_mul_i32 s70, s10, s23
	s_mul_hi_u32 s28, s10, s22
	s_mul_i32 s26, s11, s22
	s_add_nc_u64 s[70:71], s[28:29], s[70:71]
	s_mul_hi_u32 s4, s11, s22
	s_mul_hi_u32 s72, s11, s23
	s_mul_i32 s22, s11, s23
	s_add_co_u32 s23, s70, s26
	s_add_co_ci_u32 s28, s71, s4
	s_add_co_ci_u32 s23, s72, 0
	s_delay_alu instid0(SALU_CYCLE_1) | instskip(NEXT) | instid1(SALU_CYCLE_1)
	s_add_nc_u64 s[22:23], s[28:29], s[22:23]
	s_add_co_u32 s10, s10, s22
	s_cselect_b32 s4, -1, 0
	s_delay_alu instid0(SALU_CYCLE_1) | instskip(SKIP_1) | instid1(SALU_CYCLE_1)
	s_cmp_lg_u32 s4, 0
	s_add_co_ci_u32 s11, s11, s23
	s_mul_u64 s[20:21], s[20:21], s[10:11]
	s_delay_alu instid0(SALU_CYCLE_1)
	s_mul_hi_u32 s23, s10, s21
	s_mul_i32 s22, s10, s21
	s_mul_hi_u32 s28, s10, s20
	s_mul_i32 s26, s11, s20
	s_add_nc_u64 s[22:23], s[28:29], s[22:23]
	s_mul_hi_u32 s4, s11, s20
	s_mul_hi_u32 s70, s11, s21
	s_mul_i32 s20, s11, s21
	s_add_co_u32 s21, s22, s26
	s_add_co_ci_u32 s28, s23, s4
	s_add_co_ci_u32 s21, s70, 0
	s_delay_alu instid0(SALU_CYCLE_1) | instskip(NEXT) | instid1(SALU_CYCLE_1)
	s_add_nc_u64 s[20:21], s[28:29], s[20:21]
	s_add_co_u32 s4, s10, s20
	s_cselect_b32 s10, -1, 0
	s_mul_hi_u32 s28, s66, s4
	s_cmp_lg_u32 s10, 0
	s_mul_hi_u32 s22, s67, s4
	s_add_co_ci_u32 s20, s11, s21
	s_mul_i32 s4, s67, s4
	s_mul_hi_u32 s11, s66, s20
	s_mul_i32 s10, s66, s20
	s_mul_hi_u32 s21, s67, s20
	s_add_nc_u64 s[10:11], s[28:29], s[10:11]
	s_mul_i32 s20, s67, s20
	s_add_co_u32 s4, s10, s4
	s_add_co_ci_u32 s28, s11, s22
	s_add_co_ci_u32 s21, s21, 0
	s_delay_alu instid0(SALU_CYCLE_1) | instskip(NEXT) | instid1(SALU_CYCLE_1)
	s_add_nc_u64 s[10:11], s[28:29], s[20:21]
	s_and_b64 s[20:21], s[10:11], 0xffffffff00000000
	s_delay_alu instid0(SALU_CYCLE_1) | instskip(NEXT) | instid1(SALU_CYCLE_1)
	s_or_b32 s20, s20, s10
	s_mul_u64 s[10:11], s[40:41], s[20:21]
	s_delay_alu instid0(SALU_CYCLE_1) | instskip(SKIP_1) | instid1(SALU_CYCLE_1)
	s_sub_co_u32 s4, s66, s10
	s_cselect_b32 s10, -1, 0
	s_cmp_lg_u32 s10, 0
	s_sub_co_ci_u32 s10, s67, s11
	s_sub_co_u32 s11, s4, s40
	s_cselect_b32 s20, -1, 0
	s_delay_alu instid0(SALU_CYCLE_1) | instskip(SKIP_3) | instid1(SALU_CYCLE_1)
	s_cmp_lg_u32 s20, 0
	s_sub_co_ci_u32 s20, s10, 0
	s_sub_co_u32 s21, s11, s40
	s_cselect_b32 s22, -1, 0
	s_cmp_lg_u32 s22, 0
	s_sub_co_ci_u32 s22, s20, 0
	s_cmp_ge_u32 s11, s40
	s_cselect_b32 s23, -1, 0
	s_cmp_eq_u32 s20, 0
	s_cselect_b32 s23, s23, -1
	s_delay_alu instid0(SALU_CYCLE_1)
	s_cmp_lg_u32 s23, 0
	s_cselect_b32 s20, s22, s20
	s_cselect_b32 s21, s21, s11
	s_cmp_ge_u32 s4, s40
	s_cselect_b32 s11, -1, 0
	s_cmp_eq_u32 s10, 0
	s_cselect_b32 s11, s11, -1
	s_delay_alu instid0(SALU_CYCLE_1)
	s_cmp_lg_u32 s11, 0
	s_cselect_b32 s11, s20, s10
	s_cselect_b32 s10, s21, s4
	s_cbranch_execnz .LBB153_320
.LBB153_319:                            ;   in Loop: Header=BB153_31 Depth=1
	v_cvt_f32_u32_e32 v2, s40
	s_sub_co_i32 s10, 0, s40
	s_delay_alu instid0(VALU_DEP_1) | instskip(SKIP_1) | instid1(TRANS32_DEP_1)
	v_rcp_iflag_f32_e32 v2, v2
	v_nop
	v_mul_f32_e32 v2, 0x4f7ffffe, v2
	s_delay_alu instid0(VALU_DEP_1) | instskip(NEXT) | instid1(VALU_DEP_1)
	v_cvt_u32_f32_e32 v2, v2
	v_readfirstlane_b32 s4, v2
	s_mul_i32 s10, s10, s4
	s_delay_alu instid0(SALU_CYCLE_1) | instskip(NEXT) | instid1(SALU_CYCLE_1)
	s_mul_hi_u32 s10, s4, s10
	s_add_co_i32 s4, s4, s10
	s_delay_alu instid0(SALU_CYCLE_1) | instskip(NEXT) | instid1(SALU_CYCLE_1)
	s_mul_hi_u32 s4, s66, s4
	s_mul_i32 s4, s4, s40
	s_delay_alu instid0(SALU_CYCLE_1) | instskip(NEXT) | instid1(SALU_CYCLE_1)
	s_sub_co_i32 s4, s66, s4
	s_sub_co_i32 s10, s4, s40
	s_cmp_ge_u32 s4, s40
	s_cselect_b32 s4, s10, s4
	s_delay_alu instid0(SALU_CYCLE_1) | instskip(SKIP_2) | instid1(SALU_CYCLE_1)
	s_sub_co_i32 s10, s4, s40
	s_cmp_ge_u32 s4, s40
	s_cselect_b32 s28, s10, s4
	s_mov_b64 s[10:11], s[28:29]
.LBB153_320:                            ;   in Loop: Header=BB153_31 Depth=1
	s_delay_alu instid0(SALU_CYCLE_1)
	s_sub_nc_u64 s[10:11], s[66:67], s[10:11]
	s_mov_b32 s4, exec_lo
                                        ; implicit-def: $vgpr35
	v_cmpx_gt_u64_e64 s[10:11], v[0:1]
	s_cbranch_execz .LBB153_329
; %bb.321:                              ;   in Loop: Header=BB153_31 Depth=1
	v_mov_b64_e32 v[4:5], v[30:31]
	v_mov_b64_e32 v[6:7], v[0:1]
	s_mov_b32 s20, 0
                                        ; implicit-def: $sgpr21
	s_branch .LBB153_324
.LBB153_322:                            ;   in Loop: Header=BB153_324 Depth=2
	s_or_b32 exec_lo, exec_lo, s22
	s_wait_dscnt 0x0
	s_barrier_signal -1
	s_barrier_wait -1
	ds_load_b64 v[34:35], v3 offset:3072
	s_mov_b32 s22, -1
	s_mov_b32 s23, -1
	s_wait_dscnt 0x0
	s_barrier_signal -1
	s_barrier_wait -1
	v_cmp_ne_u32_e32 vcc_lo, 0, v34
	s_cbranch_vccz .LBB153_327
.LBB153_323:                            ;   in Loop: Header=BB153_324 Depth=2
	s_and_b32 s22, exec_lo, s22
	s_delay_alu instid0(SALU_CYCLE_1) | instskip(SKIP_2) | instid1(SALU_CYCLE_1)
	s_or_b32 s20, s22, s20
	s_and_not1_b32 s21, s21, exec_lo
	s_and_b32 s22, s23, exec_lo
	s_or_b32 s21, s21, s22
	s_and_not1_b32 exec_lo, exec_lo, s20
	s_cbranch_execz .LBB153_328
.LBB153_324:                            ;   Parent Loop BB153_31 Depth=1
                                        ; =>  This Inner Loop Header: Depth=2
	s_mov_b32 s22, exec_lo
	s_delay_alu instid0(VALU_DEP_1)
	v_cmpx_gt_u64_e64 s[36:37], v[6:7]
	s_cbranch_execz .LBB153_322
; %bb.325:                              ;   in Loop: Header=BB153_324 Depth=2
	global_load_b32 v33, v[4:5], off
	s_wait_loadcnt 0x0
	v_bitop3_b32 v2, v33, v55, 0x80000000 bitop3:0x48
	s_delay_alu instid0(VALU_DEP_1)
	v_cmp_eq_u32_e32 vcc_lo, v2, v53
	s_and_b32 exec_lo, exec_lo, vcc_lo
	s_cbranch_execz .LBB153_322
; %bb.326:                              ;   in Loop: Header=BB153_324 Depth=2
	ds_store_b64 v3, v[32:33] offset:3072
	s_branch .LBB153_322
.LBB153_327:                            ;   in Loop: Header=BB153_324 Depth=2
	v_add_nc_u64_e32 v[6:7], s[40:41], v[6:7]
	v_add_nc_u64_e32 v[4:5], s[44:45], v[4:5]
	s_mov_b32 s23, 0
	s_delay_alu instid0(VALU_DEP_2)
	v_cmp_le_u64_e32 vcc_lo, s[10:11], v[6:7]
	s_or_not1_b32 s22, vcc_lo, exec_lo
	s_branch .LBB153_323
.LBB153_328:                            ;   in Loop: Header=BB153_31 Depth=1
	s_or_b32 exec_lo, exec_lo, s20
	s_delay_alu instid0(SALU_CYCLE_1) | instskip(SKIP_1) | instid1(SALU_CYCLE_1)
	s_and_not1_b32 s7, s7, exec_lo
	s_and_b32 s10, s21, exec_lo
	s_or_b32 s7, s7, s10
.LBB153_329:                            ;   in Loop: Header=BB153_31 Depth=1
	s_or_b32 exec_lo, exec_lo, s4
	s_mov_b32 s26, 0
	s_mov_b32 s82, -1
.LBB153_330:                            ;   in Loop: Header=BB153_31 Depth=1
	s_or_not1_b32 s4, s7, exec_lo
.LBB153_331:                            ;   in Loop: Header=BB153_31 Depth=1
	s_or_b32 exec_lo, exec_lo, s80
                                        ; implicit-def: $vgpr4_vgpr5
                                        ; implicit-def: $vgpr2
	s_and_saveexec_b32 s22, s4
	s_cbranch_execz .LBB153_489
; %bb.332:                              ;   in Loop: Header=BB153_31 Depth=1
	v_mov_b64_e32 v[4:5], 1
	v_mov_b32_e32 v2, 1
	s_xor_b32 s9, s9, -1
	s_mov_b32 s7, 0
	s_and_saveexec_b32 s4, s9
	s_cbranch_execz .LBB153_341
; %bb.333:                              ;   in Loop: Header=BB153_31 Depth=1
	s_mov_b32 s7, exec_lo
	v_cmpx_ge_u64_e64 s[18:19], v[36:37]
	s_xor_b32 s7, exec_lo, s7
	s_cbranch_execz .LBB153_338
; %bb.334:                              ;   in Loop: Header=BB153_31 Depth=1
	ds_load_b64 v[4:5], v3 offset:5120
	v_or_b32_e32 v53, s24, v53
	v_or_b32_e32 v55, s24, v55
	s_wait_dscnt 0x0
	v_cmp_ne_u64_e32 vcc_lo, 0, v[4:5]
	s_cbranch_vccnz .LBB153_338
; %bb.335:                              ;   in Loop: Header=BB153_31 Depth=1
	s_and_saveexec_b32 s9, s5
; %bb.336:                              ;   in Loop: Header=BB153_31 Depth=1
	v_mov_b64_e32 v[4:5], s[18:19]
	ds_store_b64 v3, v[4:5] offset:5128
; %bb.337:                              ;   in Loop: Header=BB153_31 Depth=1
	s_or_b32 exec_lo, exec_lo, s9
	s_wait_dscnt 0x0
	s_barrier_signal -1
	s_barrier_wait -1
.LBB153_338:                            ;   in Loop: Header=BB153_31 Depth=1
	s_or_saveexec_b32 s7, s7
	v_mov_b32_e32 v2, 5
	s_mov_b32 s9, 0
	s_xor_b32 exec_lo, exec_lo, s7
; %bb.339:                              ;   in Loop: Header=BB153_31 Depth=1
	v_sub_nc_u64_e64 v[36:37], v[36:37], s[18:19]
	v_mov_b32_e32 v2, 0
	s_mov_b32 s9, exec_lo
; %bb.340:                              ;   in Loop: Header=BB153_31 Depth=1
	s_or_b32 exec_lo, exec_lo, s7
	s_delay_alu instid0(VALU_DEP_2)
	v_mov_b64_e32 v[4:5], v[36:37]
	s_and_b32 s7, s9, exec_lo
.LBB153_341:                            ;   in Loop: Header=BB153_31 Depth=1
	s_or_b32 exec_lo, exec_lo, s4
	s_mov_b32 s4, -1
                                        ; implicit-def: $sgpr23
                                        ; implicit-def: $sgpr80
	s_and_saveexec_b32 s9, s7
	s_delay_alu instid0(SALU_CYCLE_1)
	s_xor_b32 s9, exec_lo, s9
	s_cbranch_execz .LBB153_486
; %bb.342:                              ;   in Loop: Header=BB153_31 Depth=1
	v_cmp_eq_u64_e32 vcc_lo, 1, v[4:5]
	s_cmp_eq_u64 s[16:17], 1
                                        ; implicit-def: $sgpr80
                                        ; implicit-def: $sgpr23
	s_cselect_b32 s4, -1, 0
	s_delay_alu instid0(SALU_CYCLE_1)
	s_and_b32 s81, s4, vcc_lo
	s_mov_b32 s4, -1
	s_and_saveexec_b32 s83, s81
	s_cbranch_execz .LBB153_376
; %bb.343:                              ;   in Loop: Header=BB153_31 Depth=1
	ds_load_b64 v[6:7], v3 offset:5120
	s_wait_dscnt 0x0
	s_barrier_signal -1
	s_barrier_wait -1
	v_readfirstlane_b32 s10, v6
	v_readfirstlane_b32 s11, v7
	s_and_saveexec_b32 s4, s6
; %bb.344:                              ;   in Loop: Header=BB153_31 Depth=1
	ds_store_b32 v50, v3
; %bb.345:                              ;   in Loop: Header=BB153_31 Depth=1
	s_or_b32 exec_lo, exec_lo, s4
	s_lshl_b32 s4, 2, s103
	v_or_b32_e32 v55, s24, v55
	v_and_or_b32 v53, v53, s25, s4
	s_mov_b32 s23, -1
	s_mov_b32 s80, 0
	s_cmp_eq_u64 s[10:11], 0
	s_mov_b32 s7, 0
	s_mov_b32 s4, -1
	s_wait_dscnt 0x0
	s_barrier_signal -1
	s_barrier_wait -1
                                        ; implicit-def: $vgpr35
	s_cbranch_scc1 .LBB153_361
; %bb.346:                              ;   in Loop: Header=BB153_31 Depth=1
	s_add_nc_u64 s[18:19], s[10:11], s[64:65]
	s_delay_alu instid0(SALU_CYCLE_1) | instskip(NEXT) | instid1(SALU_CYCLE_1)
	s_and_b64 s[20:21], s[18:19], 0xffffffff00000000
	s_cmp_lg_u64 s[20:21], 0
	s_cbranch_scc0 .LBB153_402
; %bb.347:                              ;   in Loop: Header=BB153_31 Depth=1
	s_cvt_f32_u32 s4, s40
	s_sub_nc_u64 s[70:71], 0, s[40:41]
	s_delay_alu instid0(SALU_CYCLE_2) | instskip(NEXT) | instid1(SALU_CYCLE_3)
	s_fmamk_f32 s4, s102, 0x0, s4
	v_s_rcp_f32 s4, s4
	s_delay_alu instid0(TRANS32_DEP_1) | instskip(NEXT) | instid1(SALU_CYCLE_3)
	s_mul_f32 s4, s4, 0x5f7ffffc
	s_mul_f32 s7, s4, 0x2f800000
	s_delay_alu instid0(SALU_CYCLE_3) | instskip(NEXT) | instid1(SALU_CYCLE_3)
	s_trunc_f32 s7, s7
	s_fmamk_f32 s4, s7, 0xcf800000, s4
	s_cvt_u32_f32 s21, s7
	s_delay_alu instid0(SALU_CYCLE_2) | instskip(NEXT) | instid1(SALU_CYCLE_3)
	s_cvt_u32_f32 s20, s4
	s_mul_u64 s[84:85], s[70:71], s[20:21]
	s_delay_alu instid0(SALU_CYCLE_1)
	s_mul_hi_u32 s87, s20, s85
	s_mul_i32 s86, s20, s85
	s_mul_hi_u32 s28, s20, s84
	s_mul_i32 s7, s21, s84
	s_add_nc_u64 s[86:87], s[28:29], s[86:87]
	s_mul_hi_u32 s4, s21, s84
	s_mul_hi_u32 s72, s21, s85
	s_add_co_u32 s7, s86, s7
	s_add_co_ci_u32 s28, s87, s4
	s_mul_i32 s84, s21, s85
	s_add_co_ci_u32 s85, s72, 0
	s_delay_alu instid0(SALU_CYCLE_1) | instskip(NEXT) | instid1(SALU_CYCLE_1)
	s_add_nc_u64 s[84:85], s[28:29], s[84:85]
	s_add_co_u32 s20, s20, s84
	s_cselect_b32 s4, -1, 0
	s_delay_alu instid0(SALU_CYCLE_1) | instskip(SKIP_1) | instid1(SALU_CYCLE_1)
	s_cmp_lg_u32 s4, 0
	s_add_co_ci_u32 s21, s21, s85
	s_mul_u64 s[70:71], s[70:71], s[20:21]
	s_delay_alu instid0(SALU_CYCLE_1)
	s_mul_hi_u32 s85, s20, s71
	s_mul_i32 s84, s20, s71
	s_mul_hi_u32 s28, s20, s70
	s_mul_i32 s7, s21, s70
	s_add_nc_u64 s[84:85], s[28:29], s[84:85]
	s_mul_hi_u32 s4, s21, s70
	s_mul_hi_u32 s72, s21, s71
	s_add_co_u32 s7, s84, s7
	s_add_co_ci_u32 s28, s85, s4
	s_mul_i32 s70, s21, s71
	s_add_co_ci_u32 s71, s72, 0
	s_delay_alu instid0(SALU_CYCLE_1) | instskip(NEXT) | instid1(SALU_CYCLE_1)
	s_add_nc_u64 s[70:71], s[28:29], s[70:71]
	s_add_co_u32 s4, s20, s70
	s_cselect_b32 s7, -1, 0
	s_mul_hi_u32 s28, s18, s4
	s_cmp_lg_u32 s7, 0
	s_mul_hi_u32 s7, s19, s4
	s_add_co_ci_u32 s70, s21, s71
	s_mul_i32 s4, s19, s4
	s_mul_hi_u32 s21, s18, s70
	s_mul_i32 s20, s18, s70
	s_mul_hi_u32 s71, s19, s70
	s_add_nc_u64 s[20:21], s[28:29], s[20:21]
	s_mul_i32 s70, s19, s70
	s_add_co_u32 s4, s20, s4
	s_add_co_ci_u32 s28, s21, s7
	s_add_co_ci_u32 s71, s71, 0
	s_delay_alu instid0(SALU_CYCLE_1) | instskip(NEXT) | instid1(SALU_CYCLE_1)
	s_add_nc_u64 s[20:21], s[28:29], s[70:71]
	s_and_b64 s[70:71], s[20:21], 0xffffffff00000000
	s_delay_alu instid0(SALU_CYCLE_1) | instskip(NEXT) | instid1(SALU_CYCLE_1)
	s_or_b32 s70, s70, s20
	s_mul_u64 s[20:21], s[40:41], s[70:71]
	s_delay_alu instid0(SALU_CYCLE_1) | instskip(SKIP_1) | instid1(SALU_CYCLE_1)
	s_sub_co_u32 s4, s18, s20
	s_cselect_b32 s7, -1, 0
	s_cmp_lg_u32 s7, 0
	s_sub_co_ci_u32 s7, s19, s21
	s_sub_co_u32 s20, s4, s40
	s_cselect_b32 s21, -1, 0
	s_delay_alu instid0(SALU_CYCLE_1) | instskip(SKIP_3) | instid1(SALU_CYCLE_1)
	s_cmp_lg_u32 s21, 0
	s_sub_co_ci_u32 s21, s7, 0
	s_sub_co_u32 s28, s20, s40
	s_cselect_b32 s70, -1, 0
	s_cmp_lg_u32 s70, 0
	s_sub_co_ci_u32 s70, s21, 0
	s_cmp_ge_u32 s20, s40
	s_cselect_b32 s71, -1, 0
	s_cmp_eq_u32 s21, 0
	s_cselect_b32 s71, s71, -1
	s_delay_alu instid0(SALU_CYCLE_1)
	s_cmp_lg_u32 s71, 0
	s_cselect_b32 s21, s70, s21
	s_cselect_b32 s20, s28, s20
	s_cmp_ge_u32 s4, s40
	s_cselect_b32 s28, -1, 0
	s_cmp_eq_u32 s7, 0
	s_cselect_b32 s28, s28, -1
	s_delay_alu instid0(SALU_CYCLE_1)
	s_cmp_lg_u32 s28, 0
	s_cselect_b32 s21, s21, s7
	s_cselect_b32 s20, s20, s4
	s_cbranch_execnz .LBB153_349
.LBB153_348:                            ;   in Loop: Header=BB153_31 Depth=1
	v_cvt_f32_u32_e32 v6, s40
	s_sub_co_i32 s7, 0, s40
	s_delay_alu instid0(VALU_DEP_1) | instskip(SKIP_1) | instid1(TRANS32_DEP_1)
	v_rcp_iflag_f32_e32 v6, v6
	v_nop
	v_mul_f32_e32 v6, 0x4f7ffffe, v6
	s_delay_alu instid0(VALU_DEP_1) | instskip(NEXT) | instid1(VALU_DEP_1)
	v_cvt_u32_f32_e32 v6, v6
	v_readfirstlane_b32 s4, v6
	s_mul_i32 s7, s7, s4
	s_delay_alu instid0(SALU_CYCLE_1) | instskip(NEXT) | instid1(SALU_CYCLE_1)
	s_mul_hi_u32 s7, s4, s7
	s_add_co_i32 s4, s4, s7
	s_delay_alu instid0(SALU_CYCLE_1) | instskip(NEXT) | instid1(SALU_CYCLE_1)
	s_mul_hi_u32 s4, s18, s4
	s_mul_i32 s4, s4, s40
	s_delay_alu instid0(SALU_CYCLE_1) | instskip(NEXT) | instid1(SALU_CYCLE_1)
	s_sub_co_i32 s4, s18, s4
	s_sub_co_i32 s7, s4, s40
	s_cmp_ge_u32 s4, s40
	s_cselect_b32 s4, s7, s4
	s_delay_alu instid0(SALU_CYCLE_1) | instskip(SKIP_2) | instid1(SALU_CYCLE_1)
	s_sub_co_i32 s7, s4, s40
	s_cmp_ge_u32 s4, s40
	s_cselect_b32 s28, s7, s4
	s_mov_b64 s[20:21], s[28:29]
.LBB153_349:                            ;   in Loop: Header=BB153_31 Depth=1
	s_delay_alu instid0(SALU_CYCLE_1)
	s_sub_nc_u64 s[18:19], s[18:19], s[20:21]
	s_mov_b32 s4, 0
	s_mov_b32 s7, 0
	s_mov_b32 s20, exec_lo
                                        ; implicit-def: $vgpr35
	v_cmpx_gt_u64_e64 s[18:19], v[0:1]
	s_cbranch_execz .LBB153_360
; %bb.350:                              ;   in Loop: Header=BB153_31 Depth=1
	v_mov_b64_e32 v[6:7], v[0:1]
	v_mov_b32_e32 v8, v16
                                        ; implicit-def: $sgpr21
	s_branch .LBB153_353
.LBB153_351:                            ;   in Loop: Header=BB153_353 Depth=2
	s_or_b32 exec_lo, exec_lo, s28
	s_wait_dscnt 0x0
	s_barrier_signal -1
	s_barrier_wait -1
	ds_load_b64 v[34:35], v3 offset:3072
	s_mov_b32 s28, -1
	s_mov_b32 s70, -1
	s_wait_dscnt 0x0
	s_barrier_signal -1
	s_barrier_wait -1
	v_cmp_ne_u32_e32 vcc_lo, 0, v34
	s_cbranch_vccz .LBB153_356
.LBB153_352:                            ;   in Loop: Header=BB153_353 Depth=2
	s_and_b32 s28, exec_lo, s28
	s_delay_alu instid0(SALU_CYCLE_1) | instskip(SKIP_2) | instid1(SALU_CYCLE_1)
	s_or_b32 s7, s28, s7
	s_and_not1_b32 s21, s21, exec_lo
	s_and_b32 s28, s70, exec_lo
	s_or_b32 s21, s21, s28
	s_and_not1_b32 exec_lo, exec_lo, s7
	s_cbranch_execz .LBB153_359
.LBB153_353:                            ;   Parent Loop BB153_31 Depth=1
                                        ; =>  This Inner Loop Header: Depth=2
	s_mov_b32 s28, exec_lo
	s_delay_alu instid0(VALU_DEP_2)
	v_cmpx_gt_u64_e64 s[10:11], v[6:7]
	s_cbranch_execz .LBB153_351
; %bb.354:                              ;   in Loop: Header=BB153_353 Depth=2
	ds_load_b32 v33, v8
	s_wait_dscnt 0x0
	v_bitop3_b32 v9, v33, v55, 0x80000000 bitop3:0x48
	s_delay_alu instid0(VALU_DEP_1)
	v_cmp_eq_u32_e32 vcc_lo, v9, v53
	s_and_b32 exec_lo, exec_lo, vcc_lo
	s_cbranch_execz .LBB153_351
; %bb.355:                              ;   in Loop: Header=BB153_353 Depth=2
	ds_store_b64 v3, v[32:33] offset:3072
	s_branch .LBB153_351
.LBB153_356:                            ;   in Loop: Header=BB153_353 Depth=2
	v_add_nc_u64_e32 v[6:7], s[40:41], v[6:7]
	v_add_nc_u32_e32 v8, s101, v8
	s_mov_b32 s70, 0
	s_delay_alu instid0(VALU_DEP_2)
	v_cmp_le_u64_e32 vcc_lo, s[18:19], v[6:7]
	s_or_not1_b32 s28, vcc_lo, exec_lo
	s_branch .LBB153_352
.LBB153_357:                            ;   in Loop: Header=BB153_31 Depth=1
                                        ; implicit-def: $sgpr22_sgpr23
	s_and_not1_b32 vcc_lo, exec_lo, s4
	s_cbranch_vccz .LBB153_304
	s_branch .LBB153_305
.LBB153_358:                            ;   in Loop: Header=BB153_31 Depth=1
                                        ; implicit-def: $sgpr10_sgpr11
	s_branch .LBB153_319
.LBB153_359:                            ;   in Loop: Header=BB153_31 Depth=1
	s_or_b32 exec_lo, exec_lo, s7
	s_delay_alu instid0(SALU_CYCLE_1)
	s_and_b32 s7, s21, exec_lo
.LBB153_360:                            ;   in Loop: Header=BB153_31 Depth=1
	s_or_b32 exec_lo, exec_lo, s20
.LBB153_361:                            ;   in Loop: Header=BB153_31 Depth=1
	s_delay_alu instid0(SALU_CYCLE_1)
	s_and_b32 vcc_lo, exec_lo, s4
	s_cbranch_vccz .LBB153_375
; %bb.362:                              ;   in Loop: Header=BB153_31 Depth=1
	s_and_b64 s[10:11], s[66:67], 0xffffffff00000000
	s_delay_alu instid0(SALU_CYCLE_1)
	s_cmp_lg_u64 s[10:11], 0
	s_cbranch_scc0 .LBB153_403
; %bb.363:                              ;   in Loop: Header=BB153_31 Depth=1
	s_cvt_f32_u32 s4, s40
	s_sub_nc_u64 s[18:19], 0, s[40:41]
	s_delay_alu instid0(SALU_CYCLE_2) | instskip(NEXT) | instid1(SALU_CYCLE_3)
	s_fmamk_f32 s4, s102, 0x0, s4
	v_s_rcp_f32 s4, s4
	s_delay_alu instid0(TRANS32_DEP_1) | instskip(NEXT) | instid1(SALU_CYCLE_3)
	s_mul_f32 s4, s4, 0x5f7ffffc
	s_mul_f32 s10, s4, 0x2f800000
	s_delay_alu instid0(SALU_CYCLE_3) | instskip(NEXT) | instid1(SALU_CYCLE_3)
	s_trunc_f32 s10, s10
	s_fmamk_f32 s4, s10, 0xcf800000, s4
	s_cvt_u32_f32 s11, s10
	s_delay_alu instid0(SALU_CYCLE_2) | instskip(NEXT) | instid1(SALU_CYCLE_3)
	s_cvt_u32_f32 s10, s4
	s_mul_u64 s[20:21], s[18:19], s[10:11]
	s_delay_alu instid0(SALU_CYCLE_1)
	s_mul_hi_u32 s71, s10, s21
	s_mul_i32 s70, s10, s21
	s_mul_hi_u32 s28, s10, s20
	s_mul_i32 s23, s11, s20
	s_add_nc_u64 s[70:71], s[28:29], s[70:71]
	s_mul_hi_u32 s4, s11, s20
	s_mul_hi_u32 s72, s11, s21
	s_mul_i32 s20, s11, s21
	s_add_co_u32 s21, s70, s23
	s_add_co_ci_u32 s28, s71, s4
	s_add_co_ci_u32 s21, s72, 0
	s_delay_alu instid0(SALU_CYCLE_1) | instskip(NEXT) | instid1(SALU_CYCLE_1)
	s_add_nc_u64 s[20:21], s[28:29], s[20:21]
	s_add_co_u32 s10, s10, s20
	s_cselect_b32 s4, -1, 0
	s_delay_alu instid0(SALU_CYCLE_1) | instskip(SKIP_1) | instid1(SALU_CYCLE_1)
	s_cmp_lg_u32 s4, 0
	s_add_co_ci_u32 s11, s11, s21
	s_mul_u64 s[18:19], s[18:19], s[10:11]
	s_delay_alu instid0(SALU_CYCLE_1)
	s_mul_hi_u32 s21, s10, s19
	s_mul_i32 s20, s10, s19
	s_mul_hi_u32 s28, s10, s18
	s_mul_i32 s23, s11, s18
	s_add_nc_u64 s[20:21], s[28:29], s[20:21]
	s_mul_hi_u32 s4, s11, s18
	s_mul_hi_u32 s70, s11, s19
	s_mul_i32 s18, s11, s19
	s_add_co_u32 s19, s20, s23
	s_add_co_ci_u32 s28, s21, s4
	s_add_co_ci_u32 s19, s70, 0
	s_delay_alu instid0(SALU_CYCLE_1) | instskip(NEXT) | instid1(SALU_CYCLE_1)
	s_add_nc_u64 s[18:19], s[28:29], s[18:19]
	s_add_co_u32 s4, s10, s18
	s_cselect_b32 s10, -1, 0
	s_mul_hi_u32 s28, s66, s4
	s_cmp_lg_u32 s10, 0
	s_mul_hi_u32 s20, s67, s4
	s_add_co_ci_u32 s18, s11, s19
	s_mul_i32 s4, s67, s4
	s_mul_hi_u32 s11, s66, s18
	s_mul_i32 s10, s66, s18
	s_mul_hi_u32 s19, s67, s18
	s_add_nc_u64 s[10:11], s[28:29], s[10:11]
	s_mul_i32 s18, s67, s18
	s_add_co_u32 s4, s10, s4
	s_add_co_ci_u32 s28, s11, s20
	s_add_co_ci_u32 s19, s19, 0
	s_delay_alu instid0(SALU_CYCLE_1) | instskip(NEXT) | instid1(SALU_CYCLE_1)
	s_add_nc_u64 s[10:11], s[28:29], s[18:19]
	s_and_b64 s[18:19], s[10:11], 0xffffffff00000000
	s_delay_alu instid0(SALU_CYCLE_1) | instskip(NEXT) | instid1(SALU_CYCLE_1)
	s_or_b32 s18, s18, s10
	s_mul_u64 s[10:11], s[40:41], s[18:19]
	s_delay_alu instid0(SALU_CYCLE_1) | instskip(SKIP_1) | instid1(SALU_CYCLE_1)
	s_sub_co_u32 s4, s66, s10
	s_cselect_b32 s10, -1, 0
	s_cmp_lg_u32 s10, 0
	s_sub_co_ci_u32 s10, s67, s11
	s_sub_co_u32 s11, s4, s40
	s_cselect_b32 s18, -1, 0
	s_delay_alu instid0(SALU_CYCLE_1) | instskip(SKIP_3) | instid1(SALU_CYCLE_1)
	s_cmp_lg_u32 s18, 0
	s_sub_co_ci_u32 s18, s10, 0
	s_sub_co_u32 s19, s11, s40
	s_cselect_b32 s20, -1, 0
	s_cmp_lg_u32 s20, 0
	s_sub_co_ci_u32 s20, s18, 0
	s_cmp_ge_u32 s11, s40
	s_cselect_b32 s21, -1, 0
	s_cmp_eq_u32 s18, 0
	s_cselect_b32 s21, s21, -1
	s_delay_alu instid0(SALU_CYCLE_1)
	s_cmp_lg_u32 s21, 0
	s_cselect_b32 s18, s20, s18
	s_cselect_b32 s19, s19, s11
	s_cmp_ge_u32 s4, s40
	s_cselect_b32 s11, -1, 0
	s_cmp_eq_u32 s10, 0
	s_cselect_b32 s11, s11, -1
	s_delay_alu instid0(SALU_CYCLE_1)
	s_cmp_lg_u32 s11, 0
	s_cselect_b32 s11, s18, s10
	s_cselect_b32 s10, s19, s4
	s_cbranch_execnz .LBB153_365
.LBB153_364:                            ;   in Loop: Header=BB153_31 Depth=1
	v_cvt_f32_u32_e32 v6, s40
	s_sub_co_i32 s10, 0, s40
	s_delay_alu instid0(VALU_DEP_1) | instskip(SKIP_1) | instid1(TRANS32_DEP_1)
	v_rcp_iflag_f32_e32 v6, v6
	v_nop
	v_mul_f32_e32 v6, 0x4f7ffffe, v6
	s_delay_alu instid0(VALU_DEP_1) | instskip(NEXT) | instid1(VALU_DEP_1)
	v_cvt_u32_f32_e32 v6, v6
	v_readfirstlane_b32 s4, v6
	s_mul_i32 s10, s10, s4
	s_delay_alu instid0(SALU_CYCLE_1) | instskip(NEXT) | instid1(SALU_CYCLE_1)
	s_mul_hi_u32 s10, s4, s10
	s_add_co_i32 s4, s4, s10
	s_delay_alu instid0(SALU_CYCLE_1) | instskip(NEXT) | instid1(SALU_CYCLE_1)
	s_mul_hi_u32 s4, s66, s4
	s_mul_i32 s4, s4, s40
	s_delay_alu instid0(SALU_CYCLE_1) | instskip(NEXT) | instid1(SALU_CYCLE_1)
	s_sub_co_i32 s4, s66, s4
	s_sub_co_i32 s10, s4, s40
	s_cmp_ge_u32 s4, s40
	s_cselect_b32 s4, s10, s4
	s_delay_alu instid0(SALU_CYCLE_1) | instskip(SKIP_2) | instid1(SALU_CYCLE_1)
	s_sub_co_i32 s10, s4, s40
	s_cmp_ge_u32 s4, s40
	s_cselect_b32 s28, s10, s4
	s_mov_b64 s[10:11], s[28:29]
.LBB153_365:                            ;   in Loop: Header=BB153_31 Depth=1
	s_delay_alu instid0(SALU_CYCLE_1)
	s_sub_nc_u64 s[10:11], s[66:67], s[10:11]
	s_mov_b32 s4, exec_lo
                                        ; implicit-def: $vgpr35
	v_cmpx_gt_u64_e64 s[10:11], v[0:1]
	s_cbranch_execz .LBB153_374
; %bb.366:                              ;   in Loop: Header=BB153_31 Depth=1
	v_mov_b64_e32 v[6:7], v[30:31]
	v_mov_b64_e32 v[8:9], v[0:1]
	s_mov_b32 s18, 0
                                        ; implicit-def: $sgpr19
	s_branch .LBB153_369
.LBB153_367:                            ;   in Loop: Header=BB153_369 Depth=2
	s_or_b32 exec_lo, exec_lo, s20
	s_wait_dscnt 0x0
	s_barrier_signal -1
	s_barrier_wait -1
	ds_load_b64 v[34:35], v3 offset:3072
	s_mov_b32 s20, -1
	s_mov_b32 s21, -1
	s_wait_dscnt 0x0
	s_barrier_signal -1
	s_barrier_wait -1
	v_cmp_eq_u32_e32 vcc_lo, 0, v34
	s_cbranch_vccnz .LBB153_372
.LBB153_368:                            ;   in Loop: Header=BB153_369 Depth=2
	s_and_b32 s20, exec_lo, s20
	s_delay_alu instid0(SALU_CYCLE_1) | instskip(SKIP_2) | instid1(SALU_CYCLE_1)
	s_or_b32 s18, s20, s18
	s_and_not1_b32 s19, s19, exec_lo
	s_and_b32 s20, s21, exec_lo
	s_or_b32 s19, s19, s20
	s_and_not1_b32 exec_lo, exec_lo, s18
	s_cbranch_execz .LBB153_373
.LBB153_369:                            ;   Parent Loop BB153_31 Depth=1
                                        ; =>  This Inner Loop Header: Depth=2
	s_mov_b32 s20, exec_lo
	s_delay_alu instid0(VALU_DEP_1)
	v_cmpx_gt_u64_e64 s[36:37], v[8:9]
	s_cbranch_execz .LBB153_367
; %bb.370:                              ;   in Loop: Header=BB153_369 Depth=2
	global_load_b32 v33, v[6:7], off
	s_wait_loadcnt 0x0
	v_bitop3_b32 v10, v33, v55, 0x80000000 bitop3:0x48
	s_delay_alu instid0(VALU_DEP_1)
	v_cmp_eq_u32_e32 vcc_lo, v10, v53
	s_and_b32 exec_lo, exec_lo, vcc_lo
	s_cbranch_execz .LBB153_367
; %bb.371:                              ;   in Loop: Header=BB153_369 Depth=2
	ds_store_b64 v3, v[32:33] offset:3072
	s_branch .LBB153_367
.LBB153_372:                            ;   in Loop: Header=BB153_369 Depth=2
	v_add_nc_u64_e32 v[8:9], s[40:41], v[8:9]
	v_add_nc_u64_e32 v[6:7], s[44:45], v[6:7]
	s_mov_b32 s21, 0
	s_delay_alu instid0(VALU_DEP_2)
	v_cmp_le_u64_e32 vcc_lo, s[10:11], v[8:9]
	s_or_not1_b32 s20, vcc_lo, exec_lo
	s_branch .LBB153_368
.LBB153_373:                            ;   in Loop: Header=BB153_31 Depth=1
	s_or_b32 exec_lo, exec_lo, s18
	s_delay_alu instid0(SALU_CYCLE_1) | instskip(SKIP_1) | instid1(SALU_CYCLE_1)
	s_and_not1_b32 s7, s7, exec_lo
	s_and_b32 s10, s19, exec_lo
	s_or_b32 s7, s7, s10
.LBB153_374:                            ;   in Loop: Header=BB153_31 Depth=1
	s_or_b32 exec_lo, exec_lo, s4
	s_mov_b32 s23, 0
	s_mov_b32 s80, -1
.LBB153_375:                            ;   in Loop: Header=BB153_31 Depth=1
	s_or_not1_b32 s4, s7, exec_lo
.LBB153_376:                            ;   in Loop: Header=BB153_31 Depth=1
	s_or_b32 exec_lo, exec_lo, s83
	s_mov_b32 s7, 0
	s_and_saveexec_b32 s20, s4
	s_cbranch_execz .LBB153_485
; %bb.377:                              ;   in Loop: Header=BB153_31 Depth=1
	v_mov_b64_e32 v[6:7], 1
	v_mov_b32_e32 v2, 1
	s_xor_b32 s10, s81, -1
	s_delay_alu instid0(SALU_CYCLE_1)
	s_and_saveexec_b32 s4, s10
	s_cbranch_execz .LBB153_386
; %bb.378:                              ;   in Loop: Header=BB153_31 Depth=1
	s_mov_b32 s7, exec_lo
	v_cmpx_ge_u64_e64 s[16:17], v[4:5]
	s_xor_b32 s7, exec_lo, s7
	s_cbranch_execz .LBB153_383
; %bb.379:                              ;   in Loop: Header=BB153_31 Depth=1
	ds_load_b64 v[6:7], v3 offset:5120
	s_lshl_b32 s10, 2, s103
	v_or_b32_e32 v55, s24, v55
	v_and_or_b32 v53, v53, s25, s10
	s_wait_dscnt 0x0
	v_cmp_ne_u64_e32 vcc_lo, 0, v[6:7]
	s_cbranch_vccnz .LBB153_383
; %bb.380:                              ;   in Loop: Header=BB153_31 Depth=1
	s_and_saveexec_b32 s10, s5
; %bb.381:                              ;   in Loop: Header=BB153_31 Depth=1
	v_mov_b64_e32 v[6:7], s[16:17]
	ds_store_b64 v3, v[6:7] offset:5128
; %bb.382:                              ;   in Loop: Header=BB153_31 Depth=1
	s_or_b32 exec_lo, exec_lo, s10
	s_wait_dscnt 0x0
	s_barrier_signal -1
	s_barrier_wait -1
.LBB153_383:                            ;   in Loop: Header=BB153_31 Depth=1
	s_or_saveexec_b32 s7, s7
	v_mov_b32_e32 v2, 5
	s_mov_b32 s10, 0
	s_xor_b32 exec_lo, exec_lo, s7
; %bb.384:                              ;   in Loop: Header=BB153_31 Depth=1
	v_sub_nc_u64_e64 v[4:5], v[4:5], s[16:17]
	v_mov_b32_e32 v2, 0
	s_mov_b32 s10, exec_lo
; %bb.385:                              ;   in Loop: Header=BB153_31 Depth=1
	s_or_b32 exec_lo, exec_lo, s7
	s_delay_alu instid0(VALU_DEP_2)
	v_mov_b64_e32 v[6:7], v[4:5]
	s_and_b32 s7, s10, exec_lo
.LBB153_386:                            ;   in Loop: Header=BB153_31 Depth=1
	s_or_b32 exec_lo, exec_lo, s4
	s_mov_b32 s4, -1
                                        ; implicit-def: $sgpr81
                                        ; implicit-def: $sgpr83
	s_and_saveexec_b32 s21, s7
	s_cbranch_execz .LBB153_484
; %bb.387:                              ;   in Loop: Header=BB153_31 Depth=1
	s_delay_alu instid0(VALU_DEP_1) | instskip(SKIP_2) | instid1(SALU_CYCLE_1)
	v_cmp_eq_u64_e32 vcc_lo, 1, v[6:7]
	s_cmp_eq_u64 s[14:15], 1
                                        ; implicit-def: $sgpr83
                                        ; implicit-def: $sgpr81
	s_cselect_b32 s4, -1, 0
	s_and_b32 s84, s4, vcc_lo
	s_mov_b32 s4, -1
	s_and_saveexec_b32 s85, s84
	s_cbranch_execz .LBB153_421
; %bb.388:                              ;   in Loop: Header=BB153_31 Depth=1
	ds_load_b64 v[4:5], v3 offset:5120
	s_wait_dscnt 0x0
	s_barrier_signal -1
	s_barrier_wait -1
	v_readfirstlane_b32 s10, v4
	v_readfirstlane_b32 s11, v5
	s_and_saveexec_b32 s4, s6
; %bb.389:                              ;   in Loop: Header=BB153_31 Depth=1
	ds_store_b32 v50, v3
; %bb.390:                              ;   in Loop: Header=BB153_31 Depth=1
	s_or_b32 exec_lo, exec_lo, s4
	s_lshl_b32 s4, 1, s103
	v_or_b32_e32 v55, s24, v55
	v_and_or_b32 v53, v53, s25, s4
	s_mov_b32 s81, -1
	s_mov_b32 s83, 0
	s_cmp_eq_u64 s[10:11], 0
	s_mov_b32 s7, 0
	s_mov_b32 s4, -1
	s_wait_dscnt 0x0
	s_barrier_signal -1
	s_barrier_wait -1
                                        ; implicit-def: $vgpr35
	s_cbranch_scc1 .LBB153_406
; %bb.391:                              ;   in Loop: Header=BB153_31 Depth=1
	s_add_nc_u64 s[16:17], s[10:11], s[64:65]
	s_delay_alu instid0(SALU_CYCLE_1) | instskip(NEXT) | instid1(SALU_CYCLE_1)
	s_and_b64 s[18:19], s[16:17], 0xffffffff00000000
	s_cmp_lg_u64 s[18:19], 0
	s_cbranch_scc0 .LBB153_438
; %bb.392:                              ;   in Loop: Header=BB153_31 Depth=1
	s_cvt_f32_u32 s4, s40
	s_sub_nc_u64 s[70:71], 0, s[40:41]
	s_delay_alu instid0(SALU_CYCLE_2) | instskip(NEXT) | instid1(SALU_CYCLE_3)
	s_fmamk_f32 s4, s102, 0x0, s4
	v_s_rcp_f32 s4, s4
	s_delay_alu instid0(TRANS32_DEP_1) | instskip(NEXT) | instid1(SALU_CYCLE_3)
	s_mul_f32 s4, s4, 0x5f7ffffc
	s_mul_f32 s7, s4, 0x2f800000
	s_delay_alu instid0(SALU_CYCLE_3) | instskip(NEXT) | instid1(SALU_CYCLE_3)
	s_trunc_f32 s7, s7
	s_fmamk_f32 s4, s7, 0xcf800000, s4
	s_cvt_u32_f32 s19, s7
	s_delay_alu instid0(SALU_CYCLE_2) | instskip(NEXT) | instid1(SALU_CYCLE_3)
	s_cvt_u32_f32 s18, s4
	s_mul_u64 s[86:87], s[70:71], s[18:19]
	s_delay_alu instid0(SALU_CYCLE_1)
	s_mul_hi_u32 s89, s18, s87
	s_mul_i32 s88, s18, s87
	s_mul_hi_u32 s28, s18, s86
	s_mul_i32 s7, s19, s86
	s_add_nc_u64 s[88:89], s[28:29], s[88:89]
	s_mul_hi_u32 s4, s19, s86
	s_mul_hi_u32 s72, s19, s87
	s_add_co_u32 s7, s88, s7
	s_add_co_ci_u32 s28, s89, s4
	s_mul_i32 s86, s19, s87
	s_add_co_ci_u32 s87, s72, 0
	s_delay_alu instid0(SALU_CYCLE_1) | instskip(NEXT) | instid1(SALU_CYCLE_1)
	s_add_nc_u64 s[86:87], s[28:29], s[86:87]
	s_add_co_u32 s18, s18, s86
	s_cselect_b32 s4, -1, 0
	s_delay_alu instid0(SALU_CYCLE_1) | instskip(SKIP_1) | instid1(SALU_CYCLE_1)
	s_cmp_lg_u32 s4, 0
	s_add_co_ci_u32 s19, s19, s87
	s_mul_u64 s[70:71], s[70:71], s[18:19]
	s_delay_alu instid0(SALU_CYCLE_1)
	s_mul_hi_u32 s87, s18, s71
	s_mul_i32 s86, s18, s71
	s_mul_hi_u32 s28, s18, s70
	s_mul_i32 s7, s19, s70
	s_add_nc_u64 s[86:87], s[28:29], s[86:87]
	s_mul_hi_u32 s4, s19, s70
	s_mul_hi_u32 s72, s19, s71
	s_add_co_u32 s7, s86, s7
	s_add_co_ci_u32 s28, s87, s4
	s_mul_i32 s70, s19, s71
	s_add_co_ci_u32 s71, s72, 0
	s_delay_alu instid0(SALU_CYCLE_1) | instskip(NEXT) | instid1(SALU_CYCLE_1)
	s_add_nc_u64 s[70:71], s[28:29], s[70:71]
	s_add_co_u32 s4, s18, s70
	s_cselect_b32 s7, -1, 0
	s_mul_hi_u32 s28, s16, s4
	s_cmp_lg_u32 s7, 0
	s_mul_hi_u32 s7, s17, s4
	s_add_co_ci_u32 s70, s19, s71
	s_mul_i32 s4, s17, s4
	s_mul_hi_u32 s19, s16, s70
	s_mul_i32 s18, s16, s70
	s_mul_hi_u32 s71, s17, s70
	s_add_nc_u64 s[18:19], s[28:29], s[18:19]
	s_mul_i32 s70, s17, s70
	s_add_co_u32 s4, s18, s4
	s_add_co_ci_u32 s28, s19, s7
	s_add_co_ci_u32 s71, s71, 0
	s_delay_alu instid0(SALU_CYCLE_1) | instskip(NEXT) | instid1(SALU_CYCLE_1)
	s_add_nc_u64 s[18:19], s[28:29], s[70:71]
	s_and_b64 s[70:71], s[18:19], 0xffffffff00000000
	s_delay_alu instid0(SALU_CYCLE_1) | instskip(NEXT) | instid1(SALU_CYCLE_1)
	s_or_b32 s70, s70, s18
	s_mul_u64 s[18:19], s[40:41], s[70:71]
	s_delay_alu instid0(SALU_CYCLE_1) | instskip(SKIP_1) | instid1(SALU_CYCLE_1)
	s_sub_co_u32 s4, s16, s18
	s_cselect_b32 s7, -1, 0
	s_cmp_lg_u32 s7, 0
	s_sub_co_ci_u32 s7, s17, s19
	s_sub_co_u32 s18, s4, s40
	s_cselect_b32 s19, -1, 0
	s_delay_alu instid0(SALU_CYCLE_1) | instskip(SKIP_3) | instid1(SALU_CYCLE_1)
	s_cmp_lg_u32 s19, 0
	s_sub_co_ci_u32 s19, s7, 0
	s_sub_co_u32 s28, s18, s40
	s_cselect_b32 s70, -1, 0
	s_cmp_lg_u32 s70, 0
	s_sub_co_ci_u32 s70, s19, 0
	s_cmp_ge_u32 s18, s40
	s_cselect_b32 s71, -1, 0
	s_cmp_eq_u32 s19, 0
	s_cselect_b32 s71, s71, -1
	s_delay_alu instid0(SALU_CYCLE_1)
	s_cmp_lg_u32 s71, 0
	s_cselect_b32 s19, s70, s19
	s_cselect_b32 s18, s28, s18
	s_cmp_ge_u32 s4, s40
	s_cselect_b32 s28, -1, 0
	s_cmp_eq_u32 s7, 0
	s_cselect_b32 s28, s28, -1
	s_delay_alu instid0(SALU_CYCLE_1)
	s_cmp_lg_u32 s28, 0
	s_cselect_b32 s19, s19, s7
	s_cselect_b32 s18, s18, s4
	s_cbranch_execnz .LBB153_394
.LBB153_393:                            ;   in Loop: Header=BB153_31 Depth=1
	v_cvt_f32_u32_e32 v4, s40
	s_sub_co_i32 s7, 0, s40
	s_delay_alu instid0(VALU_DEP_1) | instskip(SKIP_1) | instid1(TRANS32_DEP_1)
	v_rcp_iflag_f32_e32 v4, v4
	v_nop
	v_mul_f32_e32 v4, 0x4f7ffffe, v4
	s_delay_alu instid0(VALU_DEP_1) | instskip(NEXT) | instid1(VALU_DEP_1)
	v_cvt_u32_f32_e32 v4, v4
	v_readfirstlane_b32 s4, v4
	s_mul_i32 s7, s7, s4
	s_delay_alu instid0(SALU_CYCLE_1) | instskip(NEXT) | instid1(SALU_CYCLE_1)
	s_mul_hi_u32 s7, s4, s7
	s_add_co_i32 s4, s4, s7
	s_delay_alu instid0(SALU_CYCLE_1) | instskip(NEXT) | instid1(SALU_CYCLE_1)
	s_mul_hi_u32 s4, s16, s4
	s_mul_i32 s4, s4, s40
	s_delay_alu instid0(SALU_CYCLE_1) | instskip(NEXT) | instid1(SALU_CYCLE_1)
	s_sub_co_i32 s4, s16, s4
	s_sub_co_i32 s7, s4, s40
	s_cmp_ge_u32 s4, s40
	s_cselect_b32 s4, s7, s4
	s_delay_alu instid0(SALU_CYCLE_1) | instskip(SKIP_2) | instid1(SALU_CYCLE_1)
	s_sub_co_i32 s7, s4, s40
	s_cmp_ge_u32 s4, s40
	s_cselect_b32 s28, s7, s4
	s_mov_b64 s[18:19], s[28:29]
.LBB153_394:                            ;   in Loop: Header=BB153_31 Depth=1
	s_delay_alu instid0(SALU_CYCLE_1)
	s_sub_nc_u64 s[16:17], s[16:17], s[18:19]
	s_mov_b32 s4, 0
	s_mov_b32 s7, 0
	s_mov_b32 s18, exec_lo
                                        ; implicit-def: $vgpr35
	v_cmpx_gt_u64_e64 s[16:17], v[0:1]
	s_cbranch_execz .LBB153_405
; %bb.395:                              ;   in Loop: Header=BB153_31 Depth=1
	v_mov_b64_e32 v[4:5], v[0:1]
	v_mov_b32_e32 v8, v16
                                        ; implicit-def: $sgpr19
	s_branch .LBB153_398
.LBB153_396:                            ;   in Loop: Header=BB153_398 Depth=2
	s_or_b32 exec_lo, exec_lo, s28
	s_wait_dscnt 0x0
	s_barrier_signal -1
	s_barrier_wait -1
	ds_load_b64 v[34:35], v3 offset:3072
	s_mov_b32 s28, -1
	s_mov_b32 s70, -1
	s_wait_dscnt 0x0
	s_barrier_signal -1
	s_barrier_wait -1
	v_cmp_ne_u32_e32 vcc_lo, 0, v34
	s_cbranch_vccz .LBB153_401
.LBB153_397:                            ;   in Loop: Header=BB153_398 Depth=2
	s_and_b32 s28, exec_lo, s28
	s_delay_alu instid0(SALU_CYCLE_1) | instskip(SKIP_2) | instid1(SALU_CYCLE_1)
	s_or_b32 s7, s28, s7
	s_and_not1_b32 s19, s19, exec_lo
	s_and_b32 s28, s70, exec_lo
	s_or_b32 s19, s19, s28
	s_and_not1_b32 exec_lo, exec_lo, s7
	s_cbranch_execz .LBB153_404
.LBB153_398:                            ;   Parent Loop BB153_31 Depth=1
                                        ; =>  This Inner Loop Header: Depth=2
	s_mov_b32 s28, exec_lo
	s_delay_alu instid0(VALU_DEP_2)
	v_cmpx_gt_u64_e64 s[10:11], v[4:5]
	s_cbranch_execz .LBB153_396
; %bb.399:                              ;   in Loop: Header=BB153_398 Depth=2
	ds_load_b32 v33, v8
	s_wait_dscnt 0x0
	v_bitop3_b32 v9, v33, v55, 0x80000000 bitop3:0x48
	s_delay_alu instid0(VALU_DEP_1)
	v_cmp_eq_u32_e32 vcc_lo, v9, v53
	s_and_b32 exec_lo, exec_lo, vcc_lo
	s_cbranch_execz .LBB153_396
; %bb.400:                              ;   in Loop: Header=BB153_398 Depth=2
	ds_store_b64 v3, v[32:33] offset:3072
	s_branch .LBB153_396
.LBB153_401:                            ;   in Loop: Header=BB153_398 Depth=2
	v_add_nc_u64_e32 v[4:5], s[40:41], v[4:5]
	v_add_nc_u32_e32 v8, s101, v8
	s_mov_b32 s70, 0
	s_delay_alu instid0(VALU_DEP_2)
	v_cmp_le_u64_e32 vcc_lo, s[16:17], v[4:5]
	s_or_not1_b32 s28, vcc_lo, exec_lo
	s_branch .LBB153_397
.LBB153_402:                            ;   in Loop: Header=BB153_31 Depth=1
                                        ; implicit-def: $sgpr20_sgpr21
	s_and_not1_b32 vcc_lo, exec_lo, s4
	s_cbranch_vccz .LBB153_348
	s_branch .LBB153_349
.LBB153_403:                            ;   in Loop: Header=BB153_31 Depth=1
                                        ; implicit-def: $sgpr10_sgpr11
	s_branch .LBB153_364
.LBB153_404:                            ;   in Loop: Header=BB153_31 Depth=1
	s_or_b32 exec_lo, exec_lo, s7
	s_delay_alu instid0(SALU_CYCLE_1)
	s_and_b32 s7, s19, exec_lo
.LBB153_405:                            ;   in Loop: Header=BB153_31 Depth=1
	s_or_b32 exec_lo, exec_lo, s18
.LBB153_406:                            ;   in Loop: Header=BB153_31 Depth=1
	s_delay_alu instid0(SALU_CYCLE_1)
	s_and_b32 vcc_lo, exec_lo, s4
	s_cbranch_vccz .LBB153_420
; %bb.407:                              ;   in Loop: Header=BB153_31 Depth=1
	s_and_b64 s[10:11], s[66:67], 0xffffffff00000000
	s_delay_alu instid0(SALU_CYCLE_1)
	s_cmp_lg_u64 s[10:11], 0
	s_cbranch_scc0 .LBB153_439
; %bb.408:                              ;   in Loop: Header=BB153_31 Depth=1
	s_cvt_f32_u32 s4, s40
	s_sub_nc_u64 s[16:17], 0, s[40:41]
	s_delay_alu instid0(SALU_CYCLE_2) | instskip(NEXT) | instid1(SALU_CYCLE_3)
	s_fmamk_f32 s4, s102, 0x0, s4
	v_s_rcp_f32 s4, s4
	s_delay_alu instid0(TRANS32_DEP_1) | instskip(NEXT) | instid1(SALU_CYCLE_3)
	s_mul_f32 s4, s4, 0x5f7ffffc
	s_mul_f32 s10, s4, 0x2f800000
	s_delay_alu instid0(SALU_CYCLE_3) | instskip(NEXT) | instid1(SALU_CYCLE_3)
	s_trunc_f32 s10, s10
	s_fmamk_f32 s4, s10, 0xcf800000, s4
	s_cvt_u32_f32 s11, s10
	s_delay_alu instid0(SALU_CYCLE_2) | instskip(NEXT) | instid1(SALU_CYCLE_3)
	s_cvt_u32_f32 s10, s4
	s_mul_u64 s[18:19], s[16:17], s[10:11]
	s_delay_alu instid0(SALU_CYCLE_1)
	s_mul_hi_u32 s71, s10, s19
	s_mul_i32 s70, s10, s19
	s_mul_hi_u32 s28, s10, s18
	s_mul_i32 s72, s11, s18
	s_add_nc_u64 s[70:71], s[28:29], s[70:71]
	s_mul_hi_u32 s4, s11, s18
	s_mul_hi_u32 s73, s11, s19
	s_mul_i32 s18, s11, s19
	s_add_co_u32 s19, s70, s72
	s_add_co_ci_u32 s28, s71, s4
	s_add_co_ci_u32 s19, s73, 0
	s_delay_alu instid0(SALU_CYCLE_1) | instskip(NEXT) | instid1(SALU_CYCLE_1)
	s_add_nc_u64 s[18:19], s[28:29], s[18:19]
	s_add_co_u32 s10, s10, s18
	s_cselect_b32 s4, -1, 0
	s_delay_alu instid0(SALU_CYCLE_1) | instskip(SKIP_1) | instid1(SALU_CYCLE_1)
	s_cmp_lg_u32 s4, 0
	s_add_co_ci_u32 s11, s11, s19
	s_mul_u64 s[16:17], s[16:17], s[10:11]
	s_delay_alu instid0(SALU_CYCLE_1)
	s_mul_hi_u32 s19, s10, s17
	s_mul_i32 s18, s10, s17
	s_mul_hi_u32 s28, s10, s16
	s_mul_i32 s70, s11, s16
	s_add_nc_u64 s[18:19], s[28:29], s[18:19]
	s_mul_hi_u32 s4, s11, s16
	s_mul_hi_u32 s71, s11, s17
	s_mul_i32 s16, s11, s17
	s_add_co_u32 s17, s18, s70
	s_add_co_ci_u32 s28, s19, s4
	s_add_co_ci_u32 s17, s71, 0
	s_delay_alu instid0(SALU_CYCLE_1) | instskip(NEXT) | instid1(SALU_CYCLE_1)
	s_add_nc_u64 s[16:17], s[28:29], s[16:17]
	s_add_co_u32 s4, s10, s16
	s_cselect_b32 s10, -1, 0
	s_mul_hi_u32 s28, s66, s4
	s_cmp_lg_u32 s10, 0
	s_mul_hi_u32 s18, s67, s4
	s_add_co_ci_u32 s16, s11, s17
	s_mul_i32 s4, s67, s4
	s_mul_hi_u32 s11, s66, s16
	s_mul_i32 s10, s66, s16
	s_mul_hi_u32 s17, s67, s16
	s_add_nc_u64 s[10:11], s[28:29], s[10:11]
	s_mul_i32 s16, s67, s16
	s_add_co_u32 s4, s10, s4
	s_add_co_ci_u32 s28, s11, s18
	s_add_co_ci_u32 s17, s17, 0
	s_delay_alu instid0(SALU_CYCLE_1) | instskip(NEXT) | instid1(SALU_CYCLE_1)
	s_add_nc_u64 s[10:11], s[28:29], s[16:17]
	s_and_b64 s[16:17], s[10:11], 0xffffffff00000000
	s_delay_alu instid0(SALU_CYCLE_1) | instskip(NEXT) | instid1(SALU_CYCLE_1)
	s_or_b32 s16, s16, s10
	s_mul_u64 s[10:11], s[40:41], s[16:17]
	s_delay_alu instid0(SALU_CYCLE_1) | instskip(SKIP_1) | instid1(SALU_CYCLE_1)
	s_sub_co_u32 s4, s66, s10
	s_cselect_b32 s10, -1, 0
	s_cmp_lg_u32 s10, 0
	s_sub_co_ci_u32 s10, s67, s11
	s_sub_co_u32 s11, s4, s40
	s_cselect_b32 s16, -1, 0
	s_delay_alu instid0(SALU_CYCLE_1) | instskip(SKIP_3) | instid1(SALU_CYCLE_1)
	s_cmp_lg_u32 s16, 0
	s_sub_co_ci_u32 s16, s10, 0
	s_sub_co_u32 s17, s11, s40
	s_cselect_b32 s18, -1, 0
	s_cmp_lg_u32 s18, 0
	s_sub_co_ci_u32 s18, s16, 0
	s_cmp_ge_u32 s11, s40
	s_cselect_b32 s19, -1, 0
	s_cmp_eq_u32 s16, 0
	s_cselect_b32 s19, s19, -1
	s_delay_alu instid0(SALU_CYCLE_1)
	s_cmp_lg_u32 s19, 0
	s_cselect_b32 s16, s18, s16
	s_cselect_b32 s17, s17, s11
	s_cmp_ge_u32 s4, s40
	s_cselect_b32 s11, -1, 0
	s_cmp_eq_u32 s10, 0
	s_cselect_b32 s11, s11, -1
	s_delay_alu instid0(SALU_CYCLE_1)
	s_cmp_lg_u32 s11, 0
	s_cselect_b32 s11, s16, s10
	s_cselect_b32 s10, s17, s4
	s_cbranch_execnz .LBB153_410
.LBB153_409:                            ;   in Loop: Header=BB153_31 Depth=1
	v_cvt_f32_u32_e32 v4, s40
	s_sub_co_i32 s10, 0, s40
	s_delay_alu instid0(VALU_DEP_1) | instskip(SKIP_1) | instid1(TRANS32_DEP_1)
	v_rcp_iflag_f32_e32 v4, v4
	v_nop
	v_mul_f32_e32 v4, 0x4f7ffffe, v4
	s_delay_alu instid0(VALU_DEP_1) | instskip(NEXT) | instid1(VALU_DEP_1)
	v_cvt_u32_f32_e32 v4, v4
	v_readfirstlane_b32 s4, v4
	s_mul_i32 s10, s10, s4
	s_delay_alu instid0(SALU_CYCLE_1) | instskip(NEXT) | instid1(SALU_CYCLE_1)
	s_mul_hi_u32 s10, s4, s10
	s_add_co_i32 s4, s4, s10
	s_delay_alu instid0(SALU_CYCLE_1) | instskip(NEXT) | instid1(SALU_CYCLE_1)
	s_mul_hi_u32 s4, s66, s4
	s_mul_i32 s4, s4, s40
	s_delay_alu instid0(SALU_CYCLE_1) | instskip(NEXT) | instid1(SALU_CYCLE_1)
	s_sub_co_i32 s4, s66, s4
	s_sub_co_i32 s10, s4, s40
	s_cmp_ge_u32 s4, s40
	s_cselect_b32 s4, s10, s4
	s_delay_alu instid0(SALU_CYCLE_1) | instskip(SKIP_2) | instid1(SALU_CYCLE_1)
	s_sub_co_i32 s10, s4, s40
	s_cmp_ge_u32 s4, s40
	s_cselect_b32 s28, s10, s4
	s_mov_b64 s[10:11], s[28:29]
.LBB153_410:                            ;   in Loop: Header=BB153_31 Depth=1
	s_delay_alu instid0(SALU_CYCLE_1)
	s_sub_nc_u64 s[10:11], s[66:67], s[10:11]
	s_mov_b32 s4, exec_lo
                                        ; implicit-def: $vgpr35
	v_cmpx_gt_u64_e64 s[10:11], v[0:1]
	s_cbranch_execz .LBB153_419
; %bb.411:                              ;   in Loop: Header=BB153_31 Depth=1
	v_mov_b64_e32 v[4:5], v[30:31]
	v_mov_b64_e32 v[8:9], v[0:1]
	s_mov_b32 s16, 0
                                        ; implicit-def: $sgpr17
	s_branch .LBB153_414
.LBB153_412:                            ;   in Loop: Header=BB153_414 Depth=2
	s_or_b32 exec_lo, exec_lo, s18
	s_wait_dscnt 0x0
	s_barrier_signal -1
	s_barrier_wait -1
	ds_load_b64 v[34:35], v3 offset:3072
	s_mov_b32 s18, -1
	s_mov_b32 s19, -1
	s_wait_dscnt 0x0
	s_barrier_signal -1
	s_barrier_wait -1
	v_cmp_eq_u32_e32 vcc_lo, 0, v34
	s_cbranch_vccnz .LBB153_417
.LBB153_413:                            ;   in Loop: Header=BB153_414 Depth=2
	s_and_b32 s18, exec_lo, s18
	s_delay_alu instid0(SALU_CYCLE_1) | instskip(SKIP_2) | instid1(SALU_CYCLE_1)
	s_or_b32 s16, s18, s16
	s_and_not1_b32 s17, s17, exec_lo
	s_and_b32 s18, s19, exec_lo
	s_or_b32 s17, s17, s18
	s_and_not1_b32 exec_lo, exec_lo, s16
	s_cbranch_execz .LBB153_418
.LBB153_414:                            ;   Parent Loop BB153_31 Depth=1
                                        ; =>  This Inner Loop Header: Depth=2
	s_mov_b32 s18, exec_lo
	s_delay_alu instid0(VALU_DEP_1)
	v_cmpx_gt_u64_e64 s[36:37], v[8:9]
	s_cbranch_execz .LBB153_412
; %bb.415:                              ;   in Loop: Header=BB153_414 Depth=2
	global_load_b32 v33, v[4:5], off
	s_wait_loadcnt 0x0
	v_bitop3_b32 v10, v33, v55, 0x80000000 bitop3:0x48
	s_delay_alu instid0(VALU_DEP_1)
	v_cmp_eq_u32_e32 vcc_lo, v10, v53
	s_and_b32 exec_lo, exec_lo, vcc_lo
	s_cbranch_execz .LBB153_412
; %bb.416:                              ;   in Loop: Header=BB153_414 Depth=2
	ds_store_b64 v3, v[32:33] offset:3072
	s_branch .LBB153_412
.LBB153_417:                            ;   in Loop: Header=BB153_414 Depth=2
	v_add_nc_u64_e32 v[8:9], s[40:41], v[8:9]
	v_add_nc_u64_e32 v[4:5], s[44:45], v[4:5]
	s_mov_b32 s19, 0
	s_delay_alu instid0(VALU_DEP_2)
	v_cmp_le_u64_e32 vcc_lo, s[10:11], v[8:9]
	s_or_not1_b32 s18, vcc_lo, exec_lo
	s_branch .LBB153_413
.LBB153_418:                            ;   in Loop: Header=BB153_31 Depth=1
	s_or_b32 exec_lo, exec_lo, s16
	s_delay_alu instid0(SALU_CYCLE_1) | instskip(SKIP_1) | instid1(SALU_CYCLE_1)
	s_and_not1_b32 s7, s7, exec_lo
	s_and_b32 s10, s17, exec_lo
	s_or_b32 s7, s7, s10
.LBB153_419:                            ;   in Loop: Header=BB153_31 Depth=1
	s_or_b32 exec_lo, exec_lo, s4
	s_mov_b32 s81, 0
	s_mov_b32 s83, -1
.LBB153_420:                            ;   in Loop: Header=BB153_31 Depth=1
	s_or_not1_b32 s4, s7, exec_lo
.LBB153_421:                            ;   in Loop: Header=BB153_31 Depth=1
	s_or_b32 exec_lo, exec_lo, s85
	s_mov_b32 s7, 0
	s_and_saveexec_b32 s18, s4
	s_cbranch_execz .LBB153_483
; %bb.422:                              ;   in Loop: Header=BB153_31 Depth=1
	v_mov_b64_e32 v[4:5], 1
	v_mov_b32_e32 v2, 1
	s_xor_b32 s10, s84, -1
	s_delay_alu instid0(SALU_CYCLE_1)
	s_and_saveexec_b32 s4, s10
	s_cbranch_execz .LBB153_431
; %bb.423:                              ;   in Loop: Header=BB153_31 Depth=1
	s_mov_b32 s7, exec_lo
	v_cmpx_ge_u64_e64 s[14:15], v[6:7]
	s_xor_b32 s7, exec_lo, s7
	s_cbranch_execz .LBB153_428
; %bb.424:                              ;   in Loop: Header=BB153_31 Depth=1
	ds_load_b64 v[4:5], v3 offset:5120
	s_lshl_b32 s10, 1, s103
	v_or_b32_e32 v55, s24, v55
	v_and_or_b32 v53, v53, s25, s10
	s_wait_dscnt 0x0
	v_cmp_ne_u64_e32 vcc_lo, 0, v[4:5]
	s_cbranch_vccnz .LBB153_428
; %bb.425:                              ;   in Loop: Header=BB153_31 Depth=1
	s_and_saveexec_b32 s10, s5
; %bb.426:                              ;   in Loop: Header=BB153_31 Depth=1
	v_mov_b64_e32 v[4:5], s[14:15]
	ds_store_b64 v3, v[4:5] offset:5128
; %bb.427:                              ;   in Loop: Header=BB153_31 Depth=1
	s_or_b32 exec_lo, exec_lo, s10
	s_wait_dscnt 0x0
	s_barrier_signal -1
	s_barrier_wait -1
.LBB153_428:                            ;   in Loop: Header=BB153_31 Depth=1
	s_or_saveexec_b32 s7, s7
	v_mov_b32_e32 v2, 5
	s_mov_b32 s10, 0
	s_xor_b32 exec_lo, exec_lo, s7
; %bb.429:                              ;   in Loop: Header=BB153_31 Depth=1
	v_sub_nc_u64_e64 v[6:7], v[6:7], s[14:15]
	v_mov_b32_e32 v2, 0
	s_mov_b32 s10, exec_lo
; %bb.430:                              ;   in Loop: Header=BB153_31 Depth=1
	s_or_b32 exec_lo, exec_lo, s7
	s_delay_alu instid0(VALU_DEP_2)
	v_mov_b64_e32 v[4:5], v[6:7]
	s_and_b32 s7, s10, exec_lo
.LBB153_431:                            ;   in Loop: Header=BB153_31 Depth=1
	s_or_b32 exec_lo, exec_lo, s4
	s_mov_b32 s4, -1
                                        ; implicit-def: $sgpr87
                                        ; implicit-def: $sgpr86
	s_and_saveexec_b32 s19, s7
	s_cbranch_execz .LBB153_482
; %bb.432:                              ;   in Loop: Header=BB153_31 Depth=1
	s_delay_alu instid0(VALU_DEP_1) | instskip(SKIP_3) | instid1(SALU_CYCLE_1)
	v_cmp_eq_u64_e32 vcc_lo, 1, v[4:5]
	s_cmp_eq_u64 s[12:13], 1
	s_mov_b32 s7, -1
	s_cselect_b32 s4, -1, 0
                                        ; implicit-def: $sgpr87
                                        ; implicit-def: $sgpr86
	s_and_b32 s84, s4, vcc_lo
	s_delay_alu instid0(SALU_CYCLE_1)
	s_and_saveexec_b32 s85, s84
	s_cbranch_execz .LBB153_470
; %bb.433:                              ;   in Loop: Header=BB153_31 Depth=1
	ds_load_b64 v[6:7], v3 offset:5120
	s_wait_dscnt 0x0
	s_barrier_signal -1
	s_barrier_wait -1
	v_readfirstlane_b32 s10, v6
	v_readfirstlane_b32 s11, v7
	s_and_saveexec_b32 s4, s6
; %bb.434:                              ;   in Loop: Header=BB153_31 Depth=1
	ds_store_b32 v50, v3
; %bb.435:                              ;   in Loop: Header=BB153_31 Depth=1
	s_or_b32 exec_lo, exec_lo, s4
	v_and_b32_e32 v53, s25, v53
	v_or_b32_e32 v55, s24, v55
	s_mov_b32 s86, -1
	s_mov_b32 s87, 0
	s_cmp_eq_u64 s[10:11], 0
	s_mov_b32 s7, 0
	s_mov_b32 s4, -1
	s_wait_dscnt 0x0
	s_barrier_signal -1
	s_barrier_wait -1
                                        ; implicit-def: $vgpr35
	s_cbranch_scc1 .LBB153_453
; %bb.436:                              ;   in Loop: Header=BB153_31 Depth=1
	s_add_nc_u64 s[14:15], s[10:11], s[64:65]
	s_delay_alu instid0(SALU_CYCLE_1) | instskip(NEXT) | instid1(SALU_CYCLE_1)
	s_and_b64 s[16:17], s[14:15], 0xffffffff00000000
	s_cmp_lg_u64 s[16:17], 0
	s_cbranch_scc0 .LBB153_440
; %bb.437:                              ;   in Loop: Header=BB153_31 Depth=1
	s_cvt_f32_u32 s4, s40
	s_sub_nc_u64 s[70:71], 0, s[40:41]
	s_delay_alu instid0(SALU_CYCLE_2) | instskip(NEXT) | instid1(SALU_CYCLE_3)
	s_fmamk_f32 s4, s102, 0x0, s4
	v_s_rcp_f32 s4, s4
	s_delay_alu instid0(TRANS32_DEP_1) | instskip(NEXT) | instid1(SALU_CYCLE_3)
	s_mul_f32 s4, s4, 0x5f7ffffc
	s_mul_f32 s7, s4, 0x2f800000
	s_delay_alu instid0(SALU_CYCLE_3) | instskip(NEXT) | instid1(SALU_CYCLE_3)
	s_trunc_f32 s7, s7
	s_fmamk_f32 s4, s7, 0xcf800000, s4
	s_cvt_u32_f32 s17, s7
	s_delay_alu instid0(SALU_CYCLE_2) | instskip(NEXT) | instid1(SALU_CYCLE_3)
	s_cvt_u32_f32 s16, s4
	s_mul_u64 s[88:89], s[70:71], s[16:17]
	s_delay_alu instid0(SALU_CYCLE_1)
	s_mul_hi_u32 s91, s16, s89
	s_mul_i32 s90, s16, s89
	s_mul_hi_u32 s28, s16, s88
	s_mul_i32 s7, s17, s88
	s_add_nc_u64 s[90:91], s[28:29], s[90:91]
	s_mul_hi_u32 s4, s17, s88
	s_mul_hi_u32 s72, s17, s89
	s_add_co_u32 s7, s90, s7
	s_add_co_ci_u32 s28, s91, s4
	s_mul_i32 s88, s17, s89
	s_add_co_ci_u32 s89, s72, 0
	s_delay_alu instid0(SALU_CYCLE_1) | instskip(NEXT) | instid1(SALU_CYCLE_1)
	s_add_nc_u64 s[88:89], s[28:29], s[88:89]
	s_add_co_u32 s16, s16, s88
	s_cselect_b32 s4, -1, 0
	s_delay_alu instid0(SALU_CYCLE_1) | instskip(SKIP_1) | instid1(SALU_CYCLE_1)
	s_cmp_lg_u32 s4, 0
	s_add_co_ci_u32 s17, s17, s89
	s_mul_u64 s[70:71], s[70:71], s[16:17]
	s_delay_alu instid0(SALU_CYCLE_1)
	s_mul_hi_u32 s89, s16, s71
	s_mul_i32 s88, s16, s71
	s_mul_hi_u32 s28, s16, s70
	s_mul_i32 s7, s17, s70
	s_add_nc_u64 s[88:89], s[28:29], s[88:89]
	s_mul_hi_u32 s4, s17, s70
	s_mul_hi_u32 s72, s17, s71
	s_add_co_u32 s7, s88, s7
	s_add_co_ci_u32 s28, s89, s4
	s_mul_i32 s70, s17, s71
	s_add_co_ci_u32 s71, s72, 0
	s_delay_alu instid0(SALU_CYCLE_1) | instskip(NEXT) | instid1(SALU_CYCLE_1)
	s_add_nc_u64 s[70:71], s[28:29], s[70:71]
	s_add_co_u32 s4, s16, s70
	s_cselect_b32 s7, -1, 0
	s_mul_hi_u32 s28, s14, s4
	s_cmp_lg_u32 s7, 0
	s_mul_hi_u32 s7, s15, s4
	s_add_co_ci_u32 s70, s17, s71
	s_mul_i32 s4, s15, s4
	s_mul_hi_u32 s17, s14, s70
	s_mul_i32 s16, s14, s70
	s_mul_hi_u32 s71, s15, s70
	s_add_nc_u64 s[16:17], s[28:29], s[16:17]
	s_mul_i32 s70, s15, s70
	s_add_co_u32 s4, s16, s4
	s_add_co_ci_u32 s28, s17, s7
	s_add_co_ci_u32 s71, s71, 0
	s_delay_alu instid0(SALU_CYCLE_1) | instskip(NEXT) | instid1(SALU_CYCLE_1)
	s_add_nc_u64 s[16:17], s[28:29], s[70:71]
	s_and_b64 s[70:71], s[16:17], 0xffffffff00000000
	s_delay_alu instid0(SALU_CYCLE_1) | instskip(NEXT) | instid1(SALU_CYCLE_1)
	s_or_b32 s70, s70, s16
	s_mul_u64 s[16:17], s[40:41], s[70:71]
	s_delay_alu instid0(SALU_CYCLE_1) | instskip(SKIP_1) | instid1(SALU_CYCLE_1)
	s_sub_co_u32 s4, s14, s16
	s_cselect_b32 s7, -1, 0
	s_cmp_lg_u32 s7, 0
	s_sub_co_ci_u32 s7, s15, s17
	s_sub_co_u32 s16, s4, s40
	s_cselect_b32 s17, -1, 0
	s_delay_alu instid0(SALU_CYCLE_1) | instskip(SKIP_3) | instid1(SALU_CYCLE_1)
	s_cmp_lg_u32 s17, 0
	s_sub_co_ci_u32 s17, s7, 0
	s_sub_co_u32 s28, s16, s40
	s_cselect_b32 s70, -1, 0
	s_cmp_lg_u32 s70, 0
	s_sub_co_ci_u32 s70, s17, 0
	s_cmp_ge_u32 s16, s40
	s_cselect_b32 s71, -1, 0
	s_cmp_eq_u32 s17, 0
	s_cselect_b32 s71, s71, -1
	s_delay_alu instid0(SALU_CYCLE_1)
	s_cmp_lg_u32 s71, 0
	s_cselect_b32 s17, s70, s17
	s_cselect_b32 s16, s28, s16
	s_cmp_ge_u32 s4, s40
	s_cselect_b32 s28, -1, 0
	s_cmp_eq_u32 s7, 0
	s_cselect_b32 s28, s28, -1
	s_delay_alu instid0(SALU_CYCLE_1)
	s_cmp_lg_u32 s28, 0
	s_cselect_b32 s17, s17, s7
	s_cselect_b32 s16, s16, s4
	s_mov_b32 s4, 0
	s_branch .LBB153_441
.LBB153_438:                            ;   in Loop: Header=BB153_31 Depth=1
                                        ; implicit-def: $sgpr18_sgpr19
	s_and_not1_b32 vcc_lo, exec_lo, s4
	s_cbranch_vccz .LBB153_393
	s_branch .LBB153_394
.LBB153_439:                            ;   in Loop: Header=BB153_31 Depth=1
                                        ; implicit-def: $sgpr10_sgpr11
	s_branch .LBB153_409
.LBB153_440:                            ;   in Loop: Header=BB153_31 Depth=1
                                        ; implicit-def: $sgpr16_sgpr17
.LBB153_441:                            ;   in Loop: Header=BB153_31 Depth=1
	s_and_not1_b32 vcc_lo, exec_lo, s4
	s_cbranch_vccnz .LBB153_443
; %bb.442:                              ;   in Loop: Header=BB153_31 Depth=1
	v_cvt_f32_u32_e32 v6, s40
	s_sub_co_i32 s7, 0, s40
	s_delay_alu instid0(VALU_DEP_1) | instskip(SKIP_1) | instid1(TRANS32_DEP_1)
	v_rcp_iflag_f32_e32 v6, v6
	v_nop
	v_mul_f32_e32 v6, 0x4f7ffffe, v6
	s_delay_alu instid0(VALU_DEP_1) | instskip(NEXT) | instid1(VALU_DEP_1)
	v_cvt_u32_f32_e32 v6, v6
	v_readfirstlane_b32 s4, v6
	s_mul_i32 s7, s7, s4
	s_delay_alu instid0(SALU_CYCLE_1) | instskip(NEXT) | instid1(SALU_CYCLE_1)
	s_mul_hi_u32 s7, s4, s7
	s_add_co_i32 s4, s4, s7
	s_delay_alu instid0(SALU_CYCLE_1) | instskip(NEXT) | instid1(SALU_CYCLE_1)
	s_mul_hi_u32 s4, s14, s4
	s_mul_i32 s4, s4, s40
	s_delay_alu instid0(SALU_CYCLE_1) | instskip(NEXT) | instid1(SALU_CYCLE_1)
	s_sub_co_i32 s4, s14, s4
	s_sub_co_i32 s7, s4, s40
	s_cmp_ge_u32 s4, s40
	s_cselect_b32 s4, s7, s4
	s_delay_alu instid0(SALU_CYCLE_1) | instskip(SKIP_2) | instid1(SALU_CYCLE_1)
	s_sub_co_i32 s7, s4, s40
	s_cmp_ge_u32 s4, s40
	s_cselect_b32 s28, s7, s4
	s_mov_b64 s[16:17], s[28:29]
.LBB153_443:                            ;   in Loop: Header=BB153_31 Depth=1
	s_delay_alu instid0(SALU_CYCLE_1)
	s_sub_nc_u64 s[14:15], s[14:15], s[16:17]
	s_mov_b32 s4, 0
	s_mov_b32 s7, 0
	s_mov_b32 s16, exec_lo
                                        ; implicit-def: $vgpr35
	v_cmpx_gt_u64_e64 s[14:15], v[0:1]
	s_cbranch_execz .LBB153_452
; %bb.444:                              ;   in Loop: Header=BB153_31 Depth=1
	v_mov_b64_e32 v[6:7], v[0:1]
	v_mov_b32_e32 v8, v16
                                        ; implicit-def: $sgpr17
	s_branch .LBB153_447
.LBB153_445:                            ;   in Loop: Header=BB153_447 Depth=2
	s_or_b32 exec_lo, exec_lo, s28
	s_wait_dscnt 0x0
	s_barrier_signal -1
	s_barrier_wait -1
	ds_load_b64 v[34:35], v3 offset:3072
	s_mov_b32 s28, -1
	s_mov_b32 s70, -1
	s_wait_dscnt 0x0
	s_barrier_signal -1
	s_barrier_wait -1
	v_cmp_ne_u32_e32 vcc_lo, 0, v34
	s_cbranch_vccz .LBB153_450
.LBB153_446:                            ;   in Loop: Header=BB153_447 Depth=2
	s_and_b32 s28, exec_lo, s28
	s_delay_alu instid0(SALU_CYCLE_1) | instskip(SKIP_2) | instid1(SALU_CYCLE_1)
	s_or_b32 s7, s28, s7
	s_and_not1_b32 s17, s17, exec_lo
	s_and_b32 s28, s70, exec_lo
	s_or_b32 s17, s17, s28
	s_and_not1_b32 exec_lo, exec_lo, s7
	s_cbranch_execz .LBB153_451
.LBB153_447:                            ;   Parent Loop BB153_31 Depth=1
                                        ; =>  This Inner Loop Header: Depth=2
	s_mov_b32 s28, exec_lo
	s_delay_alu instid0(VALU_DEP_2)
	v_cmpx_gt_u64_e64 s[10:11], v[6:7]
	s_cbranch_execz .LBB153_445
; %bb.448:                              ;   in Loop: Header=BB153_447 Depth=2
	ds_load_b32 v33, v8
	s_wait_dscnt 0x0
	v_bitop3_b32 v9, v33, v55, 0x80000000 bitop3:0x48
	s_delay_alu instid0(VALU_DEP_1)
	v_cmp_eq_u32_e32 vcc_lo, v9, v53
	s_and_b32 exec_lo, exec_lo, vcc_lo
	s_cbranch_execz .LBB153_445
; %bb.449:                              ;   in Loop: Header=BB153_447 Depth=2
	ds_store_b64 v3, v[32:33] offset:3072
	s_branch .LBB153_445
.LBB153_450:                            ;   in Loop: Header=BB153_447 Depth=2
	v_add_nc_u64_e32 v[6:7], s[40:41], v[6:7]
	v_add_nc_u32_e32 v8, s101, v8
	s_mov_b32 s70, 0
	s_delay_alu instid0(VALU_DEP_2)
	v_cmp_le_u64_e32 vcc_lo, s[14:15], v[6:7]
	s_or_not1_b32 s28, vcc_lo, exec_lo
	s_branch .LBB153_446
.LBB153_451:                            ;   in Loop: Header=BB153_31 Depth=1
	s_or_b32 exec_lo, exec_lo, s7
	s_delay_alu instid0(SALU_CYCLE_1)
	s_and_b32 s7, s17, exec_lo
.LBB153_452:                            ;   in Loop: Header=BB153_31 Depth=1
	s_or_b32 exec_lo, exec_lo, s16
.LBB153_453:                            ;   in Loop: Header=BB153_31 Depth=1
	s_delay_alu instid0(SALU_CYCLE_1)
	s_and_b32 vcc_lo, exec_lo, s4
	s_cbranch_vccz .LBB153_469
; %bb.454:                              ;   in Loop: Header=BB153_31 Depth=1
	s_and_b64 s[10:11], s[66:67], 0xffffffff00000000
	s_delay_alu instid0(SALU_CYCLE_1)
	s_cmp_lg_u64 s[10:11], 0
	s_cbranch_scc0 .LBB153_456
; %bb.455:                              ;   in Loop: Header=BB153_31 Depth=1
	s_cvt_f32_u32 s4, s40
	s_sub_nc_u64 s[14:15], 0, s[40:41]
	s_delay_alu instid0(SALU_CYCLE_2) | instskip(NEXT) | instid1(SALU_CYCLE_3)
	s_fmamk_f32 s4, s102, 0x0, s4
	v_s_rcp_f32 s4, s4
	s_delay_alu instid0(TRANS32_DEP_1) | instskip(NEXT) | instid1(SALU_CYCLE_3)
	s_mul_f32 s4, s4, 0x5f7ffffc
	s_mul_f32 s10, s4, 0x2f800000
	s_delay_alu instid0(SALU_CYCLE_3) | instskip(NEXT) | instid1(SALU_CYCLE_3)
	s_trunc_f32 s10, s10
	s_fmamk_f32 s4, s10, 0xcf800000, s4
	s_cvt_u32_f32 s11, s10
	s_delay_alu instid0(SALU_CYCLE_2) | instskip(NEXT) | instid1(SALU_CYCLE_3)
	s_cvt_u32_f32 s10, s4
	s_mul_u64 s[16:17], s[14:15], s[10:11]
	s_delay_alu instid0(SALU_CYCLE_1)
	s_mul_hi_u32 s71, s10, s17
	s_mul_i32 s70, s10, s17
	s_mul_hi_u32 s28, s10, s16
	s_mul_i32 s72, s11, s16
	s_add_nc_u64 s[70:71], s[28:29], s[70:71]
	s_mul_hi_u32 s4, s11, s16
	s_mul_hi_u32 s73, s11, s17
	s_mul_i32 s16, s11, s17
	s_add_co_u32 s17, s70, s72
	s_add_co_ci_u32 s28, s71, s4
	s_add_co_ci_u32 s17, s73, 0
	s_delay_alu instid0(SALU_CYCLE_1) | instskip(NEXT) | instid1(SALU_CYCLE_1)
	s_add_nc_u64 s[16:17], s[28:29], s[16:17]
	s_add_co_u32 s10, s10, s16
	s_cselect_b32 s4, -1, 0
	s_delay_alu instid0(SALU_CYCLE_1) | instskip(SKIP_1) | instid1(SALU_CYCLE_1)
	s_cmp_lg_u32 s4, 0
	s_add_co_ci_u32 s11, s11, s17
	s_mul_u64 s[14:15], s[14:15], s[10:11]
	s_delay_alu instid0(SALU_CYCLE_1)
	s_mul_hi_u32 s17, s10, s15
	s_mul_i32 s16, s10, s15
	s_mul_hi_u32 s28, s10, s14
	s_mul_i32 s70, s11, s14
	s_add_nc_u64 s[16:17], s[28:29], s[16:17]
	s_mul_hi_u32 s4, s11, s14
	s_mul_hi_u32 s71, s11, s15
	s_mul_i32 s14, s11, s15
	s_add_co_u32 s15, s16, s70
	s_add_co_ci_u32 s28, s17, s4
	s_add_co_ci_u32 s15, s71, 0
	s_delay_alu instid0(SALU_CYCLE_1) | instskip(NEXT) | instid1(SALU_CYCLE_1)
	s_add_nc_u64 s[14:15], s[28:29], s[14:15]
	s_add_co_u32 s4, s10, s14
	s_cselect_b32 s10, -1, 0
	s_mul_hi_u32 s28, s66, s4
	s_cmp_lg_u32 s10, 0
	s_mul_hi_u32 s16, s67, s4
	s_add_co_ci_u32 s14, s11, s15
	s_mul_i32 s4, s67, s4
	s_mul_hi_u32 s11, s66, s14
	s_mul_i32 s10, s66, s14
	s_mul_hi_u32 s15, s67, s14
	s_add_nc_u64 s[10:11], s[28:29], s[10:11]
	s_mul_i32 s14, s67, s14
	s_add_co_u32 s4, s10, s4
	s_add_co_ci_u32 s28, s11, s16
	s_add_co_ci_u32 s15, s15, 0
	s_delay_alu instid0(SALU_CYCLE_1) | instskip(NEXT) | instid1(SALU_CYCLE_1)
	s_add_nc_u64 s[10:11], s[28:29], s[14:15]
	s_and_b64 s[14:15], s[10:11], 0xffffffff00000000
	s_delay_alu instid0(SALU_CYCLE_1) | instskip(NEXT) | instid1(SALU_CYCLE_1)
	s_or_b32 s14, s14, s10
	s_mul_u64 s[10:11], s[40:41], s[14:15]
	s_delay_alu instid0(SALU_CYCLE_1) | instskip(SKIP_1) | instid1(SALU_CYCLE_1)
	s_sub_co_u32 s4, s66, s10
	s_cselect_b32 s10, -1, 0
	s_cmp_lg_u32 s10, 0
	s_sub_co_ci_u32 s10, s67, s11
	s_sub_co_u32 s11, s4, s40
	s_cselect_b32 s14, -1, 0
	s_delay_alu instid0(SALU_CYCLE_1) | instskip(SKIP_3) | instid1(SALU_CYCLE_1)
	s_cmp_lg_u32 s14, 0
	s_sub_co_ci_u32 s14, s10, 0
	s_sub_co_u32 s15, s11, s40
	s_cselect_b32 s16, -1, 0
	s_cmp_lg_u32 s16, 0
	s_sub_co_ci_u32 s16, s14, 0
	s_cmp_ge_u32 s11, s40
	s_cselect_b32 s17, -1, 0
	s_cmp_eq_u32 s14, 0
	s_cselect_b32 s17, s17, -1
	s_delay_alu instid0(SALU_CYCLE_1)
	s_cmp_lg_u32 s17, 0
	s_cselect_b32 s14, s16, s14
	s_cselect_b32 s15, s15, s11
	s_cmp_ge_u32 s4, s40
	s_cselect_b32 s11, -1, 0
	s_cmp_eq_u32 s10, 0
	s_cselect_b32 s11, s11, -1
	s_delay_alu instid0(SALU_CYCLE_1)
	s_cmp_lg_u32 s11, 0
	s_cselect_b32 s11, s14, s10
	s_cselect_b32 s10, s15, s4
	s_mov_b32 s4, 0
	s_branch .LBB153_457
.LBB153_456:                            ;   in Loop: Header=BB153_31 Depth=1
	s_mov_b32 s4, -1
                                        ; implicit-def: $sgpr10_sgpr11
.LBB153_457:                            ;   in Loop: Header=BB153_31 Depth=1
	s_delay_alu instid0(SALU_CYCLE_1)
	s_and_not1_b32 vcc_lo, exec_lo, s4
	s_cbranch_vccnz .LBB153_459
; %bb.458:                              ;   in Loop: Header=BB153_31 Depth=1
	v_cvt_f32_u32_e32 v6, s40
	s_sub_co_i32 s10, 0, s40
	s_delay_alu instid0(VALU_DEP_1) | instskip(SKIP_1) | instid1(TRANS32_DEP_1)
	v_rcp_iflag_f32_e32 v6, v6
	v_nop
	v_mul_f32_e32 v6, 0x4f7ffffe, v6
	s_delay_alu instid0(VALU_DEP_1) | instskip(NEXT) | instid1(VALU_DEP_1)
	v_cvt_u32_f32_e32 v6, v6
	v_readfirstlane_b32 s4, v6
	s_mul_i32 s10, s10, s4
	s_delay_alu instid0(SALU_CYCLE_1) | instskip(NEXT) | instid1(SALU_CYCLE_1)
	s_mul_hi_u32 s10, s4, s10
	s_add_co_i32 s4, s4, s10
	s_delay_alu instid0(SALU_CYCLE_1) | instskip(NEXT) | instid1(SALU_CYCLE_1)
	s_mul_hi_u32 s4, s66, s4
	s_mul_i32 s4, s4, s40
	s_delay_alu instid0(SALU_CYCLE_1) | instskip(NEXT) | instid1(SALU_CYCLE_1)
	s_sub_co_i32 s4, s66, s4
	s_sub_co_i32 s10, s4, s40
	s_cmp_ge_u32 s4, s40
	s_cselect_b32 s4, s10, s4
	s_delay_alu instid0(SALU_CYCLE_1) | instskip(SKIP_2) | instid1(SALU_CYCLE_1)
	s_sub_co_i32 s10, s4, s40
	s_cmp_ge_u32 s4, s40
	s_cselect_b32 s28, s10, s4
	s_mov_b64 s[10:11], s[28:29]
.LBB153_459:                            ;   in Loop: Header=BB153_31 Depth=1
	s_delay_alu instid0(SALU_CYCLE_1)
	s_sub_nc_u64 s[10:11], s[66:67], s[10:11]
	s_mov_b32 s4, exec_lo
                                        ; implicit-def: $vgpr35
	v_cmpx_gt_u64_e64 s[10:11], v[0:1]
	s_cbranch_execz .LBB153_468
; %bb.460:                              ;   in Loop: Header=BB153_31 Depth=1
	v_mov_b64_e32 v[6:7], v[30:31]
	v_mov_b64_e32 v[8:9], v[0:1]
	s_mov_b32 s14, 0
                                        ; implicit-def: $sgpr15
	s_branch .LBB153_463
.LBB153_461:                            ;   in Loop: Header=BB153_463 Depth=2
	s_or_b32 exec_lo, exec_lo, s16
	s_wait_dscnt 0x0
	s_barrier_signal -1
	s_barrier_wait -1
	ds_load_b64 v[34:35], v3 offset:3072
	s_mov_b32 s16, -1
	s_mov_b32 s17, -1
	s_wait_dscnt 0x0
	s_barrier_signal -1
	s_barrier_wait -1
	v_cmp_eq_u32_e32 vcc_lo, 0, v34
	s_cbranch_vccnz .LBB153_466
.LBB153_462:                            ;   in Loop: Header=BB153_463 Depth=2
	s_and_b32 s16, exec_lo, s16
	s_delay_alu instid0(SALU_CYCLE_1) | instskip(SKIP_2) | instid1(SALU_CYCLE_1)
	s_or_b32 s14, s16, s14
	s_and_not1_b32 s15, s15, exec_lo
	s_and_b32 s16, s17, exec_lo
	s_or_b32 s15, s15, s16
	s_and_not1_b32 exec_lo, exec_lo, s14
	s_cbranch_execz .LBB153_467
.LBB153_463:                            ;   Parent Loop BB153_31 Depth=1
                                        ; =>  This Inner Loop Header: Depth=2
	s_mov_b32 s16, exec_lo
	s_delay_alu instid0(VALU_DEP_1)
	v_cmpx_gt_u64_e64 s[36:37], v[8:9]
	s_cbranch_execz .LBB153_461
; %bb.464:                              ;   in Loop: Header=BB153_463 Depth=2
	global_load_b32 v33, v[6:7], off
	s_wait_loadcnt 0x0
	v_bitop3_b32 v10, v33, v55, 0x80000000 bitop3:0x48
	s_delay_alu instid0(VALU_DEP_1)
	v_cmp_eq_u32_e32 vcc_lo, v10, v53
	s_and_b32 exec_lo, exec_lo, vcc_lo
	s_cbranch_execz .LBB153_461
; %bb.465:                              ;   in Loop: Header=BB153_463 Depth=2
	ds_store_b64 v3, v[32:33] offset:3072
	s_branch .LBB153_461
.LBB153_466:                            ;   in Loop: Header=BB153_463 Depth=2
	v_add_nc_u64_e32 v[8:9], s[40:41], v[8:9]
	v_add_nc_u64_e32 v[6:7], s[44:45], v[6:7]
	s_mov_b32 s17, 0
	s_delay_alu instid0(VALU_DEP_2)
	v_cmp_le_u64_e32 vcc_lo, s[10:11], v[8:9]
	s_or_not1_b32 s16, vcc_lo, exec_lo
	s_branch .LBB153_462
.LBB153_467:                            ;   in Loop: Header=BB153_31 Depth=1
	s_or_b32 exec_lo, exec_lo, s14
	s_delay_alu instid0(SALU_CYCLE_1) | instskip(SKIP_1) | instid1(SALU_CYCLE_1)
	s_and_not1_b32 s7, s7, exec_lo
	s_and_b32 s10, s15, exec_lo
	s_or_b32 s7, s7, s10
.LBB153_468:                            ;   in Loop: Header=BB153_31 Depth=1
	s_or_b32 exec_lo, exec_lo, s4
	s_mov_b32 s86, 0
	s_mov_b32 s87, -1
.LBB153_469:                            ;   in Loop: Header=BB153_31 Depth=1
	s_or_not1_b32 s7, s7, exec_lo
.LBB153_470:                            ;   in Loop: Header=BB153_31 Depth=1
	s_or_b32 exec_lo, exec_lo, s85
	s_mov_b32 s10, 0
	s_and_saveexec_b32 s4, s7
	s_cbranch_execz .LBB153_481
; %bb.471:                              ;   in Loop: Header=BB153_31 Depth=1
	v_mov_b64_e32 v[6:7], 1
	v_mov_b32_e32 v2, 1
	s_xor_b32 s10, s84, -1
	s_delay_alu instid0(SALU_CYCLE_1)
	s_and_saveexec_b32 s7, s10
	s_cbranch_execz .LBB153_480
; %bb.472:                              ;   in Loop: Header=BB153_31 Depth=1
	s_mov_b32 s10, exec_lo
	v_cmpx_ge_u64_e64 s[12:13], v[4:5]
	s_xor_b32 s10, exec_lo, s10
	s_cbranch_execz .LBB153_477
; %bb.473:                              ;   in Loop: Header=BB153_31 Depth=1
	ds_load_b64 v[6:7], v3 offset:5120
	v_and_b32_e32 v53, s25, v53
	v_or_b32_e32 v55, s24, v55
	s_wait_dscnt 0x0
	v_cmp_ne_u64_e32 vcc_lo, 0, v[6:7]
	s_cbranch_vccnz .LBB153_477
; %bb.474:                              ;   in Loop: Header=BB153_31 Depth=1
	s_and_saveexec_b32 s11, s5
; %bb.475:                              ;   in Loop: Header=BB153_31 Depth=1
	v_mov_b64_e32 v[6:7], s[12:13]
	ds_store_b64 v3, v[6:7] offset:5128
; %bb.476:                              ;   in Loop: Header=BB153_31 Depth=1
	s_or_b32 exec_lo, exec_lo, s11
	s_wait_dscnt 0x0
	s_barrier_signal -1
	s_barrier_wait -1
.LBB153_477:                            ;   in Loop: Header=BB153_31 Depth=1
	s_and_not1_saveexec_b32 s10, s10
; %bb.478:                              ;   in Loop: Header=BB153_31 Depth=1
	v_sub_nc_u64_e64 v[4:5], v[4:5], s[12:13]
; %bb.479:                              ;   in Loop: Header=BB153_31 Depth=1
	s_or_b32 exec_lo, exec_lo, s10
	s_delay_alu instid0(VALU_DEP_1)
	v_mov_b64_e32 v[6:7], v[4:5]
	v_mov_b32_e32 v2, 5
.LBB153_480:                            ;   in Loop: Header=BB153_31 Depth=1
	s_or_b32 exec_lo, exec_lo, s7
	s_delay_alu instid0(VALU_DEP_2)
	v_mov_b64_e32 v[4:5], v[6:7]
	s_mov_b32 s10, exec_lo
.LBB153_481:                            ;   in Loop: Header=BB153_31 Depth=1
	s_or_b32 exec_lo, exec_lo, s4
	s_delay_alu instid0(SALU_CYCLE_1)
	s_or_not1_b32 s4, s10, exec_lo
.LBB153_482:                            ;   in Loop: Header=BB153_31 Depth=1
	s_or_b32 exec_lo, exec_lo, s19
	s_delay_alu instid0(VALU_DEP_1)
	v_mov_b64_e32 v[6:7], v[4:5]
	s_and_not1_b32 s7, s83, exec_lo
	s_and_b32 s10, s87, exec_lo
	s_and_not1_b32 s11, s81, exec_lo
	s_and_b32 s12, s86, exec_lo
	s_or_b32 s83, s7, s10
	s_or_b32 s81, s11, s12
	s_and_b32 s7, s4, exec_lo
.LBB153_483:                            ;   in Loop: Header=BB153_31 Depth=1
	s_or_b32 exec_lo, exec_lo, s18
	s_delay_alu instid0(SALU_CYCLE_1)
	s_or_not1_b32 s4, s7, exec_lo
.LBB153_484:                            ;   in Loop: Header=BB153_31 Depth=1
	s_or_b32 exec_lo, exec_lo, s21
	v_mov_b64_e32 v[4:5], v[6:7]
	s_and_not1_b32 s7, s80, exec_lo
	s_and_b32 s10, s83, exec_lo
	s_and_not1_b32 s11, s23, exec_lo
	s_and_b32 s12, s81, exec_lo
	s_or_b32 s80, s7, s10
	s_or_b32 s23, s11, s12
	s_and_b32 s7, s4, exec_lo
.LBB153_485:                            ;   in Loop: Header=BB153_31 Depth=1
	s_or_b32 exec_lo, exec_lo, s20
	s_delay_alu instid0(SALU_CYCLE_1)
	s_or_not1_b32 s4, s7, exec_lo
.LBB153_486:                            ;   in Loop: Header=BB153_31 Depth=1
	s_or_b32 exec_lo, exec_lo, s9
	s_mov_b32 s7, s51
	s_mov_b32 s9, s27
	s_and_saveexec_b32 s10, s4
; %bb.487:                              ;   in Loop: Header=BB153_31 Depth=1
	v_cmp_ne_u32_e32 vcc_lo, 5, v2
	v_cmp_eq_u32_e64 s9, 5, v2
	s_and_not1_b32 s4, s27, exec_lo
	s_and_not1_b32 s7, s51, exec_lo
	s_and_b32 s11, vcc_lo, exec_lo
	s_and_b32 s12, s9, exec_lo
	s_or_b32 s9, s4, s11
	s_or_b32 s7, s7, s12
; %bb.488:                              ;   in Loop: Header=BB153_31 Depth=1
	s_or_b32 exec_lo, exec_lo, s10
	s_delay_alu instid0(SALU_CYCLE_1)
	s_and_not1_b32 s4, s82, exec_lo
	s_and_b32 s10, s80, exec_lo
	s_and_not1_b32 s11, s26, exec_lo
	s_and_b32 s12, s23, exec_lo
	s_or_b32 s82, s4, s10
	s_and_not1_b32 s4, s27, exec_lo
	s_and_b32 s9, s9, exec_lo
	s_and_not1_b32 s10, s51, exec_lo
	s_and_b32 s7, s7, exec_lo
	s_or_b32 s26, s11, s12
	s_or_b32 s27, s4, s9
	;; [unrolled: 1-line block ×3, first 2 shown]
.LBB153_489:                            ;   in Loop: Header=BB153_31 Depth=1
	s_or_b32 exec_lo, exec_lo, s22
	s_mov_b32 s80, 0
	s_mov_b32 s81, 0
	s_and_saveexec_b32 s4, s51
.LBB153_490:                            ;   in Loop: Header=BB153_31 Depth=1
	v_mov_b32_e32 v2, 0
	s_or_b32 s27, s27, exec_lo
.LBB153_491:                            ;   in Loop: Header=BB153_31 Depth=1
	s_or_b32 exec_lo, exec_lo, s4
	v_mov_b64_e32 v[36:37], v[4:5]
	s_and_not1_b32 s4, s59, exec_lo
	s_and_b32 s9, s82, exec_lo
	s_and_not1_b32 s10, s57, exec_lo
	s_and_b32 s11, s26, exec_lo
	s_or_b32 s59, s4, s9
	s_or_b32 s57, s10, s11
	s_and_not1_b32 s4, s50, exec_lo
	s_and_b32 s9, s81, exec_lo
	s_and_not1_b32 s8, s8, exec_lo
	s_and_b32 s10, s80, exec_lo
	s_mov_b32 s7, -1
	s_and_not1_b32 s58, s58, exec_lo
	s_or_b32 s50, s4, s9
	s_or_b32 s8, s8, s10
	s_and_saveexec_b32 s4, s27
	s_delay_alu instid0(SALU_CYCLE_1)
	s_xor_b32 s4, exec_lo, s4
	s_cbranch_execz .LBB153_30
; %bb.492:                              ;   in Loop: Header=BB153_31 Depth=1
	s_mov_b32 s9, -1
	s_mov_b32 s10, exec_lo
	v_cmpx_eq_u32_e32 0, v2
	s_cbranch_execz .LBB153_29
; %bb.493:                              ;   in Loop: Header=BB153_31 Depth=1
	s_xor_b32 s52, s52, 1
	s_add_co_i32 s11, s103, -2
	s_cmp_eq_u32 s103, 0
	s_mov_b32 s103, s11
	s_cselect_b32 s7, -1, 0
	s_xor_b32 s9, exec_lo, -1
	s_or_not1_b32 s7, s7, exec_lo
	s_branch .LBB153_29
.LBB153_494:
	s_or_b32 exec_lo, exec_lo, s104
	s_xor_b32 s6, s56, -1
	s_xor_b32 s8, s54, -1
	;; [unrolled: 1-line block ×3, first 2 shown]
	s_xor_b32 s10, vcc_hi, -1
	s_xor_b32 s4, s53, -1
	s_mov_b32 s7, 0
	s_and_saveexec_b32 s11, s10
	s_delay_alu instid0(SALU_CYCLE_1)
	s_xor_b32 s16, exec_lo, s11
	s_cbranch_execnz .LBB153_499
; %bb.495:
	s_and_not1_saveexec_b32 s0, s16
	s_cbranch_execnz .LBB153_518
.LBB153_496:
	s_or_b32 exec_lo, exec_lo, s0
	s_and_saveexec_b32 s0, s7
.LBB153_497:
	; divergent unreachable
.LBB153_498:
	s_endpgm
.LBB153_499:
	s_and_saveexec_b32 s10, s9
	s_delay_alu instid0(SALU_CYCLE_1)
	s_xor_b32 s17, exec_lo, s10
	s_cbranch_execz .LBB153_516
; %bb.500:
	s_and_saveexec_b32 s9, s8
	s_delay_alu instid0(SALU_CYCLE_1)
	s_xor_b32 s18, exec_lo, s9
	s_cbranch_execz .LBB153_514
; %bb.501:
	;; [unrolled: 5-line block ×3, first 2 shown]
	s_and_saveexec_b32 s6, s4
	s_delay_alu instid0(SALU_CYCLE_1)
	s_xor_b32 s4, exec_lo, s6
; %bb.503:
	v_xor_b32_e32 v35, 0x80000000, v53
; %bb.504:
	s_or_b32 exec_lo, exec_lo, s4
	s_and_saveexec_b32 s4, s5
; %bb.505:
	v_mov_b64_e32 v[2:3], 0
	v_mov_b32_e32 v4, 0
	ds_store_b64 v4, v[2:3] offset:5136
; %bb.506:
	s_or_b32 exec_lo, exec_lo, s4
	v_mov_b32_e32 v13, 0
	s_wait_dscnt 0x0
	s_barrier_signal -1
	s_barrier_wait -1
	s_and_saveexec_b32 s4, s3
	s_cbranch_execz .LBB153_508
; %bb.507:
	global_load_b32 v13, v[14:15], off
.LBB153_508:
	s_wait_xcnt 0x0
	s_or_b32 exec_lo, exec_lo, s4
	s_clause 0x1
	s_load_b64 s[6:7], s[0:1], 0x368
	s_load_b64 s[8:9], s[0:1], 0x510
	v_readlane_b32 s10, v62, 0
	v_readlane_b32 s11, v62, 1
	s_wait_xcnt 0x0
	s_add_nc_u64 s[0:1], s[36:37], 31
	s_mov_b64 s[4:5], 0xffffffffffffffe0
	v_readlane_b32 s14, v62, 6
	v_readlane_b32 s15, v62, 7
	s_mul_u64 s[12:13], s[10:11], s[42:43]
	s_and_b64 s[10:11], s[0:1], s[4:5]
	v_readlane_b32 s4, v62, 2
	v_readlane_b32 s5, v62, 3
	s_lshl_b64 s[0:1], s[12:13], 2
	v_readlane_b32 s12, v62, 4
	v_readlane_b32 s13, v62, 5
	v_cmp_gt_u64_e32 vcc_lo, s[10:11], v[0:1]
	s_mul_u64 s[4:5], s[4:5], s[48:49]
	s_delay_alu instid0(SALU_CYCLE_1)
	s_lshl_b64 s[4:5], s[4:5], 3
	s_add_nc_u64 s[0:1], s[12:13], s[0:1]
	s_lshl_b64 s[12:13], s[34:35], 2
	s_add_nc_u64 s[4:5], s[14:15], s[4:5]
	;; [unrolled: 2-line block ×3, first 2 shown]
	s_add_nc_u64 s[14:15], s[4:5], s[14:15]
	s_mov_b32 s0, -1
	s_mov_b32 s5, 0
	s_mov_b32 s1, 0
	s_and_saveexec_b32 s4, vcc_lo
	s_cbranch_execnz .LBB153_519
; %bb.509:
	s_or_b32 exec_lo, exec_lo, s4
	s_and_saveexec_b32 s4, s0
	s_cbranch_execnz .LBB153_534
.LBB153_510:
	s_or_b32 exec_lo, exec_lo, s4
	s_and_saveexec_b32 s0, s1
	s_delay_alu instid0(SALU_CYCLE_1)
	s_xor_b32 s0, exec_lo, s0
	s_cbranch_execnz .LBB153_557
.LBB153_511:
	s_or_b32 exec_lo, exec_lo, s0
	s_wait_kmcnt 0x0
	s_and_b32 s7, s5, exec_lo
.LBB153_512:
	s_and_not1_saveexec_b32 s0, s19
	s_cbranch_execnz .LBB153_559
.LBB153_513:
	s_or_b32 exec_lo, exec_lo, s0
	s_delay_alu instid0(SALU_CYCLE_1)
	s_and_b32 s7, s7, exec_lo
.LBB153_514:
	s_and_not1_saveexec_b32 s0, s18
	s_cbranch_execnz .LBB153_558
.LBB153_515:
	s_or_b32 exec_lo, exec_lo, s0
	s_delay_alu instid0(SALU_CYCLE_1)
	s_and_b32 s7, s7, exec_lo
.LBB153_516:
	s_and_not1_saveexec_b32 s0, s17
	s_cbranch_execnz .LBB153_553
.LBB153_517:
	s_or_b32 exec_lo, exec_lo, s0
	s_delay_alu instid0(SALU_CYCLE_1)
	s_and_b32 s7, s7, exec_lo
	s_and_not1_saveexec_b32 s0, s16
	s_cbranch_execz .LBB153_496
.LBB153_518:
	s_or_b32 s7, s7, exec_lo
	s_trap 2
	s_or_b32 exec_lo, exec_lo, s0
	s_and_saveexec_b32 s0, s7
	s_cbranch_execnz .LBB153_497
	s_branch .LBB153_498
.LBB153_519:
	v_add_nc_u64_e32 v[2:3], s[40:41], v[0:1]
	v_readlane_b32 s0, v62, 17
	v_readlane_b32 s1, v62, 18
	v_mov_b64_e32 v[10:11], v[0:1]
	v_xor_b32_e32 v18, 0x80000000, v35
	s_mov_b32 s20, 0
                                        ; implicit-def: $sgpr21
                                        ; implicit-def: $vgpr8_vgpr9
	v_mul_u64_e32 v[4:5], s[30:31], v[2:3]
	v_mov_b32_e32 v3, 0
	s_delay_alu instid0(VALU_DEP_2)
	v_lshl_add_u64 v[4:5], v[4:5], 2, s[0:1]
	s_branch .LBB153_521
.LBB153_520:                            ;   in Loop: Header=BB153_521 Depth=1
	s_or_b32 exec_lo, exec_lo, s23
	s_xor_b32 s0, s22, -1
	s_and_b32 s1, exec_lo, s1
	v_mov_b64_e32 v[10:11], v[6:7]
	v_mov_b32_e32 v13, v19
	s_or_b32 s20, s1, s20
	s_and_not1_b32 s1, s21, exec_lo
	s_and_b32 s0, s0, exec_lo
	s_delay_alu instid0(SALU_CYCLE_1)
	s_or_b32 s21, s1, s0
	s_and_not1_b32 exec_lo, exec_lo, s20
	s_cbranch_execz .LBB153_533
.LBB153_521:                            ; =>This Inner Loop Header: Depth=1
	v_add_nc_u64_e32 v[6:7], s[40:41], v[10:11]
	v_mov_b32_e32 v19, 0
	s_mov_b32 s1, exec_lo
	s_delay_alu instid0(VALU_DEP_2)
	v_cmpx_gt_u64_e64 s[36:37], v[6:7]
	s_cbranch_execz .LBB153_523
; %bb.522:                              ;   in Loop: Header=BB153_521 Depth=1
	global_load_b32 v19, v[4:5], off
.LBB153_523:                            ;   in Loop: Header=BB153_521 Depth=1
	s_wait_xcnt 0x0
	s_or_b32 exec_lo, exec_lo, s1
	s_wait_loadcnt 0x0
	v_xor_b32_e32 v2, 0x80000000, v13
	s_delay_alu instid0(VALU_DEP_1) | instskip(NEXT) | instid1(VALU_DEP_1)
	v_cmp_gt_u32_e64 s0, v2, v18
	v_cndmask_b32_e64 v16, 0, 1, s0
	v_cmp_lt_u32_e64 s0, v2, v18
	s_delay_alu instid0(VALU_DEP_1) | instskip(SKIP_1) | instid1(VALU_DEP_2)
	v_cndmask_b32_e64 v2, 0, 1, s0
	v_cmp_gt_u64_e64 s0, s[36:37], v[10:11]
	v_cndmask_b32_e64 v2, v2, v16, s97
	s_delay_alu instid0(VALU_DEP_1) | instskip(NEXT) | instid1(VALU_DEP_1)
	v_and_b32_e32 v2, 1, v2
	v_cmp_eq_u32_e64 s1, 1, v2
	s_and_b32 s22, s0, s1
	s_delay_alu instid0(SALU_CYCLE_1) | instskip(NEXT) | instid1(VALU_DEP_1)
	v_cndmask_b32_e64 v2, 0, 1, s22
	v_cmp_ne_u32_e64 s0, 0, v2
	s_cmp_lg_u32 s0, 0
	s_cselect_b32 s1, -1, 0
	s_delay_alu instid0(SALU_CYCLE_1) | instskip(NEXT) | instid1(SALU_CYCLE_1)
	s_and_b32 s1, s2, s1
	s_and_saveexec_b32 s23, s1
	s_cbranch_execz .LBB153_527
; %bb.524:                              ;   in Loop: Header=BB153_521 Depth=1
	s_mov_b32 s26, exec_lo
	s_bcnt1_i32_b32 s24, s0
	v_mbcnt_lo_u32_b32 v16, s26, 0
	s_mov_b32 s25, exec_lo
                                        ; implicit-def: $vgpr8_vgpr9
	s_delay_alu instid0(VALU_DEP_1)
	v_cmpx_eq_u32_e32 0, v16
	s_cbranch_execz .LBB153_526
; %bb.525:                              ;   in Loop: Header=BB153_521 Depth=1
	s_bcnt1_i32_b32 s1, s26
	s_delay_alu instid0(SALU_CYCLE_1) | instskip(NEXT) | instid1(SALU_CYCLE_1)
	s_mul_i32 s1, s24, s1
	v_mov_b32_e32 v2, s1
	s_wait_dscnt 0x0
	ds_add_rtn_u64 v[8:9], v3, v[2:3] offset:5136
.LBB153_526:                            ;   in Loop: Header=BB153_521 Depth=1
	s_or_b32 exec_lo, exec_lo, s25
	s_wait_dscnt 0x0
	v_readfirstlane_b32 s27, v9
	v_readfirstlane_b32 s26, v8
	s_delay_alu instid0(VALU_DEP_1)
	v_mad_nc_u64_u32 v[8:9], s24, v16, s[26:27]
.LBB153_527:                            ;   in Loop: Header=BB153_521 Depth=1
	s_or_b32 exec_lo, exec_lo, s23
	s_wait_dscnt 0x1
	ds_bpermute_b32 v8, v3, v8
	s_wait_dscnt 0x1
	ds_bpermute_b32 v9, v3, v9
	s_mov_b32 s1, -1
	s_mov_b32 s24, -1
	s_and_saveexec_b32 s23, s22
	s_cbranch_execz .LBB153_531
; %bb.528:                              ;   in Loop: Header=BB153_521 Depth=1
	v_and_b32_e32 v2, s0, v12
	s_mov_b32 s22, 0
	s_mov_b32 s24, exec_lo
	s_delay_alu instid0(VALU_DEP_1) | instskip(SKIP_1) | instid1(VALU_DEP_1)
	v_bcnt_u32_b32 v2, v2, 0
	s_wait_dscnt 0x0
	v_add_nc_u64_e32 v[16:17], v[8:9], v[2:3]
	s_delay_alu instid0(VALU_DEP_1)
	v_cmpx_gt_u64_e64 s[38:39], v[16:17]
	s_cbranch_execz .LBB153_530
; %bb.529:                              ;   in Loop: Header=BB153_521 Depth=1
	s_wait_kmcnt 0x0
	v_mul_u64_e32 v[20:21], s[6:7], v[16:17]
	v_mul_u64_e32 v[16:17], s[8:9], v[16:17]
	s_mov_b32 s22, exec_lo
	s_delay_alu instid0(VALU_DEP_2) | instskip(NEXT) | instid1(VALU_DEP_2)
	v_lshl_add_u64 v[20:21], v[20:21], 2, s[12:13]
	v_lshl_add_u64 v[16:17], v[16:17], 3, s[14:15]
	global_store_b32 v[20:21], v13, off
	global_store_b64 v[16:17], v[10:11], off
.LBB153_530:                            ;   in Loop: Header=BB153_521 Depth=1
	s_wait_xcnt 0x0
	s_or_b32 exec_lo, exec_lo, s24
	s_delay_alu instid0(SALU_CYCLE_1)
	s_or_not1_b32 s24, s22, exec_lo
.LBB153_531:                            ;   in Loop: Header=BB153_521 Depth=1
	s_or_b32 exec_lo, exec_lo, s23
	s_mov_b32 s22, -1
	s_and_saveexec_b32 s23, s24
	s_cbranch_execz .LBB153_520
; %bb.532:                              ;   in Loop: Header=BB153_521 Depth=1
	v_cmp_le_u64_e64 s0, s[10:11], v[6:7]
	v_add_nc_u64_e32 v[4:5], s[44:45], v[4:5]
	s_xor_b32 s22, exec_lo, -1
	s_or_not1_b32 s1, s0, exec_lo
	s_branch .LBB153_520
.LBB153_533:
	s_or_b32 exec_lo, exec_lo, s20
	s_delay_alu instid0(SALU_CYCLE_1)
	s_mov_b32 s1, exec_lo
	s_or_not1_b32 s0, s21, exec_lo
	s_or_b32 exec_lo, exec_lo, s4
	s_and_saveexec_b32 s4, s0
	s_cbranch_execz .LBB153_510
.LBB153_534:
	v_mov_b32_e32 v4, 0
	s_wait_storecnt 0x0
	s_wait_loadcnt_dscnt 0x0
	s_barrier_signal -1
	s_barrier_wait -1
	s_and_saveexec_b32 s0, s3
	s_cbranch_execz .LBB153_536
; %bb.535:
	global_load_b32 v4, v[14:15], off
.LBB153_536:
	s_wait_xcnt 0x0
	s_or_b32 exec_lo, exec_lo, s0
	s_mov_b32 s0, 0
	s_and_saveexec_b32 s3, vcc_lo
	s_cbranch_execz .LBB153_556
; %bb.537:
	v_add_nc_u64_e32 v[2:3], s[40:41], v[0:1]
	v_readlane_b32 s20, v62, 17
	v_readlane_b32 s21, v62, 18
	v_mov_b32_e32 v5, 0
	s_mov_b32 s5, 0
                                        ; implicit-def: $vgpr8_vgpr9
	v_mul_u64_e32 v[2:3], s[30:31], v[2:3]
	s_delay_alu instid0(VALU_DEP_1)
	v_lshl_add_u64 v[2:3], v[2:3], 2, s[20:21]
                                        ; implicit-def: $sgpr20
	s_branch .LBB153_540
.LBB153_538:                            ;   in Loop: Header=BB153_540 Depth=1
	s_or_b32 exec_lo, exec_lo, s23
	s_delay_alu instid0(SALU_CYCLE_1)
	s_or_not1_b32 s23, s21, exec_lo
	s_or_not1_b32 s22, s22, exec_lo
.LBB153_539:                            ;   in Loop: Header=BB153_540 Depth=1
	s_or_b32 exec_lo, exec_lo, s0
	s_xor_b32 s0, s23, -1
	s_and_b32 s21, exec_lo, s22
	v_mov_b64_e32 v[0:1], v[6:7]
	s_or_b32 s5, s21, s5
	v_mov_b32_e32 v4, v13
	s_and_not1_b32 s20, s20, exec_lo
	s_and_b32 s0, s0, exec_lo
	s_delay_alu instid0(SALU_CYCLE_1)
	s_or_b32 s20, s20, s0
	s_and_not1_b32 exec_lo, exec_lo, s5
	s_cbranch_execz .LBB153_554
.LBB153_540:                            ; =>This Inner Loop Header: Depth=1
	v_add_nc_u64_e32 v[6:7], s[40:41], v[0:1]
	v_mov_b32_e32 v13, 0
	s_mov_b32 s0, exec_lo
	s_delay_alu instid0(VALU_DEP_2)
	v_cmpx_gt_u64_e64 s[36:37], v[6:7]
	s_cbranch_execz .LBB153_542
; %bb.541:                              ;   in Loop: Header=BB153_540 Depth=1
	global_load_b32 v13, v[2:3], off
.LBB153_542:                            ;   in Loop: Header=BB153_540 Depth=1
	s_wait_xcnt 0x0
	s_or_b32 exec_lo, exec_lo, s0
	v_cmp_gt_u64_e32 vcc_lo, s[36:37], v[0:1]
	s_wait_loadcnt 0x0
	v_cmp_eq_u32_e64 s0, v4, v35
	s_and_b32 s21, vcc_lo, s0
	s_delay_alu instid0(SALU_CYCLE_1) | instskip(NEXT) | instid1(VALU_DEP_1)
	v_cndmask_b32_e64 v4, 0, 1, s21
	v_cmp_ne_u32_e32 vcc_lo, 0, v4
	s_cmp_lg_u32 vcc_lo, 0
	s_cselect_b32 s0, -1, 0
	s_delay_alu instid0(SALU_CYCLE_1) | instskip(NEXT) | instid1(SALU_CYCLE_1)
	s_and_b32 s0, s2, s0
	s_and_saveexec_b32 s22, s0
	s_cbranch_execz .LBB153_546
; %bb.543:                              ;   in Loop: Header=BB153_540 Depth=1
	s_mov_b32 s25, exec_lo
	s_bcnt1_i32_b32 s23, vcc_lo
	v_mbcnt_lo_u32_b32 v10, s25, 0
	s_mov_b32 s24, exec_lo
                                        ; implicit-def: $vgpr8_vgpr9
	s_delay_alu instid0(VALU_DEP_1)
	v_cmpx_eq_u32_e32 0, v10
; %bb.544:                              ;   in Loop: Header=BB153_540 Depth=1
	s_bcnt1_i32_b32 s0, s25
	s_delay_alu instid0(SALU_CYCLE_1) | instskip(NEXT) | instid1(SALU_CYCLE_1)
	s_mul_i32 s0, s23, s0
	v_mov_b32_e32 v4, s0
	ds_add_rtn_u64 v[8:9], v5, v[4:5] offset:5136
; %bb.545:                              ;   in Loop: Header=BB153_540 Depth=1
	s_or_b32 exec_lo, exec_lo, s24
	s_wait_dscnt 0x0
	v_readfirstlane_b32 s25, v9
	v_readfirstlane_b32 s24, v8
	s_delay_alu instid0(VALU_DEP_1)
	v_mad_nc_u64_u32 v[8:9], s23, v10, s[24:25]
.LBB153_546:                            ;   in Loop: Header=BB153_540 Depth=1
	s_or_b32 exec_lo, exec_lo, s22
	ds_bpermute_b32 v8, v5, v8
	ds_bpermute_b32 v9, v5, v9
	s_cmp_eq_u32 vcc_lo, 0
	s_mov_b32 s22, -1
	s_cselect_b32 s23, -1, 0
	s_wait_dscnt 0x0
	v_cmp_gt_u64_e64 s0, s[38:39], v[8:9]
	s_or_b32 s24, s23, s0
	s_mov_b32 s23, -1
	s_and_saveexec_b32 s0, s24
	s_cbranch_execz .LBB153_539
; %bb.547:                              ;   in Loop: Header=BB153_540 Depth=1
	v_and_b32_e32 v4, vcc_lo, v12
	v_sub_nc_u64_e32 v[10:11], s[38:39], v[8:9]
	s_mov_b32 s24, -1
	s_delay_alu instid0(VALU_DEP_2) | instskip(NEXT) | instid1(VALU_DEP_1)
	v_bcnt_u32_b32 v4, v4, 0
	v_bcnt_u32_b32 v4, 0, v4
	s_delay_alu instid0(VALU_DEP_1)
	v_cmp_gt_u64_e32 vcc_lo, v[10:11], v[4:5]
	s_and_b32 s25, s21, vcc_lo
	s_mov_b32 s21, -1
	s_and_saveexec_b32 s23, s25
	s_cbranch_execz .LBB153_551
; %bb.548:                              ;   in Loop: Header=BB153_540 Depth=1
	v_add_nc_u64_e32 v[10:11], v[8:9], v[4:5]
	s_mov_b32 s24, 0
	s_mov_b32 s21, exec_lo
	s_delay_alu instid0(VALU_DEP_1)
	v_cmpx_gt_u64_e64 s[38:39], v[10:11]
	s_cbranch_execz .LBB153_550
; %bb.549:                              ;   in Loop: Header=BB153_540 Depth=1
	s_wait_kmcnt 0x0
	v_mul_u64_e32 v[14:15], s[6:7], v[10:11]
	v_mul_u64_e32 v[10:11], s[8:9], v[10:11]
	s_mov_b32 s24, exec_lo
	s_delay_alu instid0(VALU_DEP_2) | instskip(NEXT) | instid1(VALU_DEP_2)
	v_lshl_add_u64 v[14:15], v[14:15], 2, s[12:13]
	v_lshl_add_u64 v[10:11], v[10:11], 3, s[14:15]
	global_store_b32 v[14:15], v35, off
	global_store_b64 v[10:11], v[0:1], off
.LBB153_550:                            ;   in Loop: Header=BB153_540 Depth=1
	s_wait_xcnt 0x0
	s_or_b32 exec_lo, exec_lo, s21
	s_delay_alu instid0(SALU_CYCLE_1)
	s_xor_b32 s21, exec_lo, -1
	s_or_not1_b32 s24, s24, exec_lo
.LBB153_551:                            ;   in Loop: Header=BB153_540 Depth=1
	s_or_b32 exec_lo, exec_lo, s23
	s_and_saveexec_b32 s23, s24
	s_cbranch_execz .LBB153_538
; %bb.552:                              ;   in Loop: Header=BB153_540 Depth=1
	v_cmp_le_u64_e32 vcc_lo, s[10:11], v[6:7]
	v_add_nc_u64_e32 v[2:3], s[44:45], v[2:3]
	s_or_b32 s21, s21, exec_lo
	s_or_not1_b32 s22, vcc_lo, exec_lo
	s_branch .LBB153_538
.LBB153_553:
	s_or_b32 s7, s7, exec_lo
	s_trap 2
	s_branch .LBB153_517
.LBB153_554:
	s_or_b32 exec_lo, exec_lo, s5
	s_mov_b32 s0, 0
	s_and_saveexec_b32 s2, s20
	s_delay_alu instid0(SALU_CYCLE_1)
	s_xor_b32 s2, exec_lo, s2
	s_cbranch_execnz .LBB153_560
.LBB153_555:
	s_or_b32 exec_lo, exec_lo, s2
	s_delay_alu instid0(SALU_CYCLE_1)
	s_and_b32 s0, s0, exec_lo
.LBB153_556:
	s_or_b32 exec_lo, exec_lo, s3
	s_delay_alu instid0(SALU_CYCLE_1) | instskip(SKIP_3) | instid1(SALU_CYCLE_1)
	s_and_b32 s5, s0, exec_lo
	s_and_not1_b32 s1, s1, exec_lo
	s_or_b32 exec_lo, exec_lo, s4
	s_and_saveexec_b32 s0, s1
	s_xor_b32 s0, exec_lo, s0
	s_cbranch_execz .LBB153_511
.LBB153_557:
	s_or_b32 s5, s5, exec_lo
	s_trap 2
	s_branch .LBB153_511
.LBB153_558:
	s_or_b32 s7, s7, exec_lo
	s_trap 2
	s_branch .LBB153_515
.LBB153_559:
	s_or_b32 s7, s7, exec_lo
	s_trap 2
	s_branch .LBB153_513
.LBB153_560:
	s_mov_b32 s0, exec_lo
	s_trap 2
	s_branch .LBB153_555
	.section	.rodata,"a",@progbits
	.p2align	6, 0x0
	.amdhsa_kernel _ZN2at6native6sbtopk10gatherTopKIimLin1ELb0EEEvNS_4cuda6detail10TensorInfoIKT_T0_EES8_S8_bS8_S8_NS5_IS6_S8_EES8_NS5_IlS8_EES8_PS6_
		.amdhsa_group_segment_fixed_size 5152
		.amdhsa_private_segment_fixed_size 0
		.amdhsa_kernarg_size 1568
		.amdhsa_user_sgpr_count 2
		.amdhsa_user_sgpr_dispatch_ptr 0
		.amdhsa_user_sgpr_queue_ptr 0
		.amdhsa_user_sgpr_kernarg_segment_ptr 1
		.amdhsa_user_sgpr_dispatch_id 0
		.amdhsa_user_sgpr_kernarg_preload_length 0
		.amdhsa_user_sgpr_kernarg_preload_offset 0
		.amdhsa_user_sgpr_private_segment_size 0
		.amdhsa_wavefront_size32 1
		.amdhsa_uses_dynamic_stack 0
		.amdhsa_enable_private_segment 0
		.amdhsa_system_sgpr_workgroup_id_x 1
		.amdhsa_system_sgpr_workgroup_id_y 1
		.amdhsa_system_sgpr_workgroup_id_z 1
		.amdhsa_system_sgpr_workgroup_info 0
		.amdhsa_system_vgpr_workitem_id 0
		.amdhsa_next_free_vgpr 63
		.amdhsa_next_free_sgpr 105
		.amdhsa_named_barrier_count 0
		.amdhsa_reserve_vcc 1
		.amdhsa_float_round_mode_32 0
		.amdhsa_float_round_mode_16_64 0
		.amdhsa_float_denorm_mode_32 3
		.amdhsa_float_denorm_mode_16_64 3
		.amdhsa_fp16_overflow 0
		.amdhsa_memory_ordered 1
		.amdhsa_forward_progress 1
		.amdhsa_inst_pref_size 209
		.amdhsa_round_robin_scheduling 0
		.amdhsa_exception_fp_ieee_invalid_op 0
		.amdhsa_exception_fp_denorm_src 0
		.amdhsa_exception_fp_ieee_div_zero 0
		.amdhsa_exception_fp_ieee_overflow 0
		.amdhsa_exception_fp_ieee_underflow 0
		.amdhsa_exception_fp_ieee_inexact 0
		.amdhsa_exception_int_div_zero 0
	.end_amdhsa_kernel
	.section	.text._ZN2at6native6sbtopk10gatherTopKIimLin1ELb0EEEvNS_4cuda6detail10TensorInfoIKT_T0_EES8_S8_bS8_S8_NS5_IS6_S8_EES8_NS5_IlS8_EES8_PS6_,"axG",@progbits,_ZN2at6native6sbtopk10gatherTopKIimLin1ELb0EEEvNS_4cuda6detail10TensorInfoIKT_T0_EES8_S8_bS8_S8_NS5_IS6_S8_EES8_NS5_IlS8_EES8_PS6_,comdat
.Lfunc_end153:
	.size	_ZN2at6native6sbtopk10gatherTopKIimLin1ELb0EEEvNS_4cuda6detail10TensorInfoIKT_T0_EES8_S8_bS8_S8_NS5_IS6_S8_EES8_NS5_IlS8_EES8_PS6_, .Lfunc_end153-_ZN2at6native6sbtopk10gatherTopKIimLin1ELb0EEEvNS_4cuda6detail10TensorInfoIKT_T0_EES8_S8_bS8_S8_NS5_IS6_S8_EES8_NS5_IlS8_EES8_PS6_
                                        ; -- End function
	.set _ZN2at6native6sbtopk10gatherTopKIimLin1ELb0EEEvNS_4cuda6detail10TensorInfoIKT_T0_EES8_S8_bS8_S8_NS5_IS6_S8_EES8_NS5_IlS8_EES8_PS6_.num_vgpr, 63
	.set _ZN2at6native6sbtopk10gatherTopKIimLin1ELb0EEEvNS_4cuda6detail10TensorInfoIKT_T0_EES8_S8_bS8_S8_NS5_IS6_S8_EES8_NS5_IlS8_EES8_PS6_.num_agpr, 0
	.set _ZN2at6native6sbtopk10gatherTopKIimLin1ELb0EEEvNS_4cuda6detail10TensorInfoIKT_T0_EES8_S8_bS8_S8_NS5_IS6_S8_EES8_NS5_IlS8_EES8_PS6_.numbered_sgpr, 105
	.set _ZN2at6native6sbtopk10gatherTopKIimLin1ELb0EEEvNS_4cuda6detail10TensorInfoIKT_T0_EES8_S8_bS8_S8_NS5_IS6_S8_EES8_NS5_IlS8_EES8_PS6_.num_named_barrier, 0
	.set _ZN2at6native6sbtopk10gatherTopKIimLin1ELb0EEEvNS_4cuda6detail10TensorInfoIKT_T0_EES8_S8_bS8_S8_NS5_IS6_S8_EES8_NS5_IlS8_EES8_PS6_.private_seg_size, 0
	.set _ZN2at6native6sbtopk10gatherTopKIimLin1ELb0EEEvNS_4cuda6detail10TensorInfoIKT_T0_EES8_S8_bS8_S8_NS5_IS6_S8_EES8_NS5_IlS8_EES8_PS6_.uses_vcc, 1
	.set _ZN2at6native6sbtopk10gatherTopKIimLin1ELb0EEEvNS_4cuda6detail10TensorInfoIKT_T0_EES8_S8_bS8_S8_NS5_IS6_S8_EES8_NS5_IlS8_EES8_PS6_.uses_flat_scratch, 0
	.set _ZN2at6native6sbtopk10gatherTopKIimLin1ELb0EEEvNS_4cuda6detail10TensorInfoIKT_T0_EES8_S8_bS8_S8_NS5_IS6_S8_EES8_NS5_IlS8_EES8_PS6_.has_dyn_sized_stack, 0
	.set _ZN2at6native6sbtopk10gatherTopKIimLin1ELb0EEEvNS_4cuda6detail10TensorInfoIKT_T0_EES8_S8_bS8_S8_NS5_IS6_S8_EES8_NS5_IlS8_EES8_PS6_.has_recursion, 0
	.set _ZN2at6native6sbtopk10gatherTopKIimLin1ELb0EEEvNS_4cuda6detail10TensorInfoIKT_T0_EES8_S8_bS8_S8_NS5_IS6_S8_EES8_NS5_IlS8_EES8_PS6_.has_indirect_call, 0
	.section	.AMDGPU.csdata,"",@progbits
; Kernel info:
; codeLenInByte = 26676
; TotalNumSgprs: 107
; NumVgprs: 63
; ScratchSize: 0
; MemoryBound: 0
; FloatMode: 240
; IeeeMode: 1
; LDSByteSize: 5152 bytes/workgroup (compile time only)
; SGPRBlocks: 0
; VGPRBlocks: 3
; NumSGPRsForWavesPerEU: 107
; NumVGPRsForWavesPerEU: 63
; NamedBarCnt: 0
; Occupancy: 16
; WaveLimiterHint : 1
; COMPUTE_PGM_RSRC2:SCRATCH_EN: 0
; COMPUTE_PGM_RSRC2:USER_SGPR: 2
; COMPUTE_PGM_RSRC2:TRAP_HANDLER: 0
; COMPUTE_PGM_RSRC2:TGID_X_EN: 1
; COMPUTE_PGM_RSRC2:TGID_Y_EN: 1
; COMPUTE_PGM_RSRC2:TGID_Z_EN: 1
; COMPUTE_PGM_RSRC2:TIDIG_COMP_CNT: 0
	.section	.text._ZN2at6native6mbtopk23computeBlockDigitCountsIlmmLi1EEEvNS_4cuda6detail10TensorInfoIKT_T0_EEjPjjS8_iijT1_PSB_Ps,"axG",@progbits,_ZN2at6native6mbtopk23computeBlockDigitCountsIlmmLi1EEEvNS_4cuda6detail10TensorInfoIKT_T0_EEjPjjS8_iijT1_PSB_Ps,comdat
	.protected	_ZN2at6native6mbtopk23computeBlockDigitCountsIlmmLi1EEEvNS_4cuda6detail10TensorInfoIKT_T0_EEjPjjS8_iijT1_PSB_Ps ; -- Begin function _ZN2at6native6mbtopk23computeBlockDigitCountsIlmmLi1EEEvNS_4cuda6detail10TensorInfoIKT_T0_EEjPjjS8_iijT1_PSB_Ps
	.globl	_ZN2at6native6mbtopk23computeBlockDigitCountsIlmmLi1EEEvNS_4cuda6detail10TensorInfoIKT_T0_EEjPjjS8_iijT1_PSB_Ps
	.p2align	8
	.type	_ZN2at6native6mbtopk23computeBlockDigitCountsIlmmLi1EEEvNS_4cuda6detail10TensorInfoIKT_T0_EEjPjjS8_iijT1_PSB_Ps,@function
_ZN2at6native6mbtopk23computeBlockDigitCountsIlmmLi1EEEvNS_4cuda6detail10TensorInfoIKT_T0_EEjPjjS8_iijT1_PSB_Ps: ; @_ZN2at6native6mbtopk23computeBlockDigitCountsIlmmLi1EEEvNS_4cuda6detail10TensorInfoIKT_T0_EEjPjjS8_iijT1_PSB_Ps
; %bb.0:
	s_load_b96 s[8:10], s[0:1], 0x1c0
	s_bfe_u32 s2, ttmp6, 0x40010
	s_and_b32 s4, ttmp7, 0xffff
	s_add_co_i32 s5, s2, 1
	s_bfe_u32 s6, ttmp6, 0x40004
	s_mul_i32 s5, s4, s5
	s_load_b64 s[2:3], s[0:1], 0x1e8
	s_add_co_i32 s6, s6, s5
	s_bfe_u32 s7, ttmp6, 0x4000c
	s_bfe_u32 s12, ttmp6, 0x40014
	s_add_co_i32 s7, s7, 1
	s_and_b32 s11, ttmp6, 15
	s_mul_i32 s7, ttmp9, s7
	s_add_co_i32 s12, s12, 1
	s_add_co_i32 s11, s11, s7
	s_getreg_b32 s13, hwreg(HW_REG_IB_STS2, 6, 4)
	s_mov_b32 s15, 0
	s_wait_kmcnt 0x0
	s_cvt_f32_u32 s5, s10
	s_delay_alu instid0(SALU_CYCLE_3) | instskip(SKIP_1) | instid1(SALU_CYCLE_1)
	v_rcp_iflag_f32_e32 v1, s5
	s_lshr_b32 s5, ttmp7, 16
	s_mul_i32 s7, s5, s12
	s_bfe_u32 s12, ttmp6, 0x40008
	s_delay_alu instid0(SALU_CYCLE_1) | instskip(SKIP_1) | instid1(TRANS32_DEP_1)
	s_add_co_i32 s12, s12, s7
	v_nop
	v_readfirstlane_b32 s14, v1
	s_cmp_eq_u32 s13, 0
	s_cselect_b32 s5, s5, s12
	s_load_b32 s12, s[0:1], 0x1b0
	s_mul_f32 s7, s14, 0x4f7ffffe
	s_mul_i32 s3, s3, s5
	s_cselect_b32 s5, ttmp9, s11
	s_cselect_b32 s4, s4, s6
	s_cvt_u32_f32 s7, s7
	s_sub_co_i32 s6, 0, s10
	s_add_co_i32 s3, s3, s4
	s_delay_alu instid0(SALU_CYCLE_1) | instskip(SKIP_3) | instid1(SALU_CYCLE_1)
	s_mul_i32 s18, s3, s2
	s_mul_i32 s6, s6, s7
	s_add_co_i32 s18, s18, s5
	s_mul_hi_u32 s2, s7, s6
	s_add_co_i32 s7, s7, s2
	s_delay_alu instid0(SALU_CYCLE_1) | instskip(NEXT) | instid1(SALU_CYCLE_1)
	s_mul_hi_u32 s2, s18, s7
	s_mul_i32 s3, s2, s10
	s_add_co_i32 s4, s2, 1
	s_sub_co_i32 s3, s18, s3
	s_delay_alu instid0(SALU_CYCLE_1)
	s_sub_co_i32 s5, s3, s10
	s_cmp_ge_u32 s3, s10
	s_cselect_b32 s2, s4, s2
	s_cselect_b32 s3, s5, s3
	s_add_co_i32 s4, s2, 1
	s_cmp_ge_u32 s3, s10
	s_cselect_b32 s14, s4, s2
	s_wait_kmcnt 0x0
	s_cmp_ge_u32 s14, s12
	s_cbranch_scc1 .LBB154_21
; %bb.1:
	s_clause 0x1
	s_load_b64 s[2:3], s[0:1], 0x1e0
	s_load_b128 s[4:7], s[0:1], 0x1d0
	v_cmp_gt_u32_e32 vcc_lo, 0x100, v0
	v_lshlrev_b32_e32 v1, 2, v0
	s_and_saveexec_b32 s11, vcc_lo
; %bb.2:
	v_mov_b32_e32 v2, 0
	ds_store_b32 v1, v2
; %bb.3:
	s_or_b32 exec_lo, exec_lo, s11
	s_load_b32 s19, s[0:1], 0x1a0
	s_mul_i32 s11, s14, s10
	s_mov_b32 s17, 0
	s_sub_co_i32 s11, s18, s11
	s_wait_dscnt 0x0
	s_mul_i32 s12, s9, s11
	s_add_co_i32 s11, s11, 1
	s_lshl_b32 s20, s12, 8
	s_barrier_signal -1
	s_barrier_wait -1
	s_wait_kmcnt 0x0
	s_sub_co_i32 s16, s19, s20
	s_delay_alu instid0(SALU_CYCLE_1) | instskip(NEXT) | instid1(SALU_CYCLE_1)
	s_add_nc_u64 s[12:13], s[16:17], 0xff
	s_lshr_b64 s[12:13], s[12:13], 8
	s_cmp_lt_u32 s11, s10
	s_cselect_b32 s9, s9, s12
	s_delay_alu instid0(SALU_CYCLE_1)
	s_cmp_lt_i32 s9, 1
	s_cbranch_scc1 .LBB154_19
; %bb.4:
	s_clause 0x2
	s_load_b64 s[22:23], s[0:1], 0xd0
	s_load_b64 s[12:13], s[0:1], 0x1b8
	;; [unrolled: 1-line block ×3, first 2 shown]
	s_load_b64 s[10:11], s[6:7], s14 offset:0x0 scale_offset
	v_add_nc_u32_e32 v6, s20, v0
	s_wait_kmcnt 0x0
	s_mul_u64 s[0:1], s[22:23], s[14:15]
	s_delay_alu instid0(SALU_CYCLE_1)
	s_lshl_b64 s[6:7], s[0:1], 3
	s_and_b32 s1, s8, 0xff
	s_cmp_eq_u32 s9, 1
	s_add_nc_u64 s[6:7], s[24:25], s[6:7]
	s_cbranch_scc1 .LBB154_14
; %bb.5:
	v_dual_mov_b32 v3, 0 :: v_dual_mov_b32 v7, 1
	v_mov_b32_e32 v2, v6
	s_and_b32 s8, s9, 0x7ffffffe
	s_mov_b32 s14, 0
	s_branch .LBB154_7
.LBB154_6:                              ;   in Loop: Header=BB154_7 Depth=1
	s_or_b32 exec_lo, exec_lo, s15
	v_add_nc_u32_e32 v2, 0x200, v2
	s_add_co_i32 s14, s14, 2
	s_delay_alu instid0(SALU_CYCLE_1)
	s_cmp_eq_u32 s8, s14
	s_cbranch_scc1 .LBB154_13
.LBB154_7:                              ; =>This Inner Loop Header: Depth=1
	s_mov_b32 s15, exec_lo
	v_cmpx_gt_u32_e64 s19, v2
	s_cbranch_execz .LBB154_10
; %bb.8:                                ;   in Loop: Header=BB154_7 Depth=1
	v_mul_u64_e32 v[4:5], s[12:13], v[2:3]
	s_delay_alu instid0(VALU_DEP_1)
	v_lshl_add_u64 v[4:5], v[4:5], 3, s[6:7]
	global_load_b64 v[4:5], v[4:5], off
	s_wait_loadcnt 0x0
	s_wait_xcnt 0x0
	v_xor_b32_e32 v5, 0x80000000, v5
	v_xor_b32_e32 v10, s10, v4
	s_delay_alu instid0(VALU_DEP_2) | instskip(NEXT) | instid1(VALU_DEP_1)
	v_xor_b32_e32 v8, s11, v5
	v_and_b32_e32 v9, s5, v8
	s_delay_alu instid0(VALU_DEP_3) | instskip(NEXT) | instid1(VALU_DEP_1)
	v_and_b32_e32 v8, s4, v10
	v_cmp_eq_u64_e64 s0, 0, v[8:9]
	s_and_b32 exec_lo, exec_lo, s0
	s_cbranch_execz .LBB154_10
; %bb.9:                                ;   in Loop: Header=BB154_7 Depth=1
	v_lshrrev_b64 v[4:5], s1, v[4:5]
	s_delay_alu instid0(VALU_DEP_1) | instskip(NEXT) | instid1(VALU_DEP_1)
	v_and_b32_e32 v4, 0xff, v4
	v_lshlrev_b32_e32 v4, 2, v4
	ds_add_u32 v4, v7
.LBB154_10:                             ;   in Loop: Header=BB154_7 Depth=1
	s_or_b32 exec_lo, exec_lo, s15
	v_add_nc_u32_e32 v4, 0x100, v2
	s_mov_b32 s15, exec_lo
	s_delay_alu instid0(VALU_DEP_1)
	v_cmpx_gt_u32_e64 s19, v4
	s_cbranch_execz .LBB154_6
; %bb.11:                               ;   in Loop: Header=BB154_7 Depth=1
	v_mov_b32_e32 v5, v3
	s_delay_alu instid0(VALU_DEP_1) | instskip(NEXT) | instid1(VALU_DEP_1)
	v_mul_u64_e32 v[4:5], s[12:13], v[4:5]
	v_lshl_add_u64 v[4:5], v[4:5], 3, s[6:7]
	global_load_b64 v[4:5], v[4:5], off
	s_wait_loadcnt 0x0
	v_xor_b32_e32 v5, 0x80000000, v5
	v_xor_b32_e32 v10, s10, v4
	s_delay_alu instid0(VALU_DEP_2) | instskip(NEXT) | instid1(VALU_DEP_1)
	v_xor_b32_e32 v8, s11, v5
	v_and_b32_e32 v9, s5, v8
	s_delay_alu instid0(VALU_DEP_3) | instskip(NEXT) | instid1(VALU_DEP_1)
	v_and_b32_e32 v8, s4, v10
	v_cmp_eq_u64_e64 s0, 0, v[8:9]
	s_and_b32 exec_lo, exec_lo, s0
	s_cbranch_execz .LBB154_6
; %bb.12:                               ;   in Loop: Header=BB154_7 Depth=1
	v_lshrrev_b64 v[4:5], s1, v[4:5]
	s_delay_alu instid0(VALU_DEP_1) | instskip(NEXT) | instid1(VALU_DEP_1)
	v_and_b32_e32 v4, 0xff, v4
	v_lshlrev_b32_e32 v4, 2, v4
	ds_add_u32 v4, v7
	s_branch .LBB154_6
.LBB154_13:
	s_lshl_b32 s17, s8, 8
.LBB154_14:
	s_bitcmp0_b32 s9, 0
	s_cbranch_scc1 .LBB154_19
; %bb.15:
	v_add_nc_u32_e32 v2, s17, v6
	s_mov_b32 s8, exec_lo
	s_delay_alu instid0(VALU_DEP_1)
	v_cmpx_gt_u32_e64 s19, v2
	s_cbranch_execz .LBB154_18
; %bb.16:
	v_mov_b32_e32 v3, 0
	s_delay_alu instid0(VALU_DEP_1) | instskip(NEXT) | instid1(VALU_DEP_1)
	v_mul_u64_e32 v[2:3], s[12:13], v[2:3]
	v_lshl_add_u64 v[2:3], v[2:3], 3, s[6:7]
	global_load_b64 v[2:3], v[2:3], off
	s_wait_loadcnt 0x0
	v_xor_b32_e32 v3, 0x80000000, v3
	v_xor_b32_e32 v6, s10, v2
	s_delay_alu instid0(VALU_DEP_2) | instskip(NEXT) | instid1(VALU_DEP_1)
	v_xor_b32_e32 v4, s11, v3
	v_and_b32_e32 v5, s5, v4
	s_delay_alu instid0(VALU_DEP_3) | instskip(NEXT) | instid1(VALU_DEP_1)
	v_and_b32_e32 v4, s4, v6
	v_cmp_eq_u64_e64 s0, 0, v[4:5]
	s_and_b32 exec_lo, exec_lo, s0
	s_cbranch_execz .LBB154_18
; %bb.17:
	v_lshrrev_b64 v[2:3], s1, v[2:3]
	v_mov_b32_e32 v3, 1
	s_delay_alu instid0(VALU_DEP_2) | instskip(NEXT) | instid1(VALU_DEP_1)
	v_and_b32_e32 v2, 0xff, v2
	v_lshlrev_b32_e32 v2, 2, v2
	ds_add_u32 v2, v3
.LBB154_18:
	s_or_b32 exec_lo, exec_lo, s8
.LBB154_19:
	s_wait_dscnt 0x0
	s_barrier_signal -1
	s_barrier_wait -1
	s_and_saveexec_b32 s0, vcc_lo
	s_cbranch_execz .LBB154_21
; %bb.20:
	ds_load_b32 v1, v1
	v_lshl_or_b32 v0, s18, 8, v0
	s_wait_dscnt 0x0
	global_store_b16 v0, v1, s[2:3] scale_offset
.LBB154_21:
	s_endpgm
	.section	.rodata,"a",@progbits
	.p2align	6, 0x0
	.amdhsa_kernel _ZN2at6native6mbtopk23computeBlockDigitCountsIlmmLi1EEEvNS_4cuda6detail10TensorInfoIKT_T0_EEjPjjS8_iijT1_PSB_Ps
		.amdhsa_group_segment_fixed_size 1024
		.amdhsa_private_segment_fixed_size 0
		.amdhsa_kernarg_size 744
		.amdhsa_user_sgpr_count 2
		.amdhsa_user_sgpr_dispatch_ptr 0
		.amdhsa_user_sgpr_queue_ptr 0
		.amdhsa_user_sgpr_kernarg_segment_ptr 1
		.amdhsa_user_sgpr_dispatch_id 0
		.amdhsa_user_sgpr_kernarg_preload_length 0
		.amdhsa_user_sgpr_kernarg_preload_offset 0
		.amdhsa_user_sgpr_private_segment_size 0
		.amdhsa_wavefront_size32 1
		.amdhsa_uses_dynamic_stack 0
		.amdhsa_enable_private_segment 0
		.amdhsa_system_sgpr_workgroup_id_x 1
		.amdhsa_system_sgpr_workgroup_id_y 1
		.amdhsa_system_sgpr_workgroup_id_z 1
		.amdhsa_system_sgpr_workgroup_info 0
		.amdhsa_system_vgpr_workitem_id 0
		.amdhsa_next_free_vgpr 11
		.amdhsa_next_free_sgpr 26
		.amdhsa_named_barrier_count 0
		.amdhsa_reserve_vcc 1
		.amdhsa_float_round_mode_32 0
		.amdhsa_float_round_mode_16_64 0
		.amdhsa_float_denorm_mode_32 3
		.amdhsa_float_denorm_mode_16_64 3
		.amdhsa_fp16_overflow 0
		.amdhsa_memory_ordered 1
		.amdhsa_forward_progress 1
		.amdhsa_inst_pref_size 9
		.amdhsa_round_robin_scheduling 0
		.amdhsa_exception_fp_ieee_invalid_op 0
		.amdhsa_exception_fp_denorm_src 0
		.amdhsa_exception_fp_ieee_div_zero 0
		.amdhsa_exception_fp_ieee_overflow 0
		.amdhsa_exception_fp_ieee_underflow 0
		.amdhsa_exception_fp_ieee_inexact 0
		.amdhsa_exception_int_div_zero 0
	.end_amdhsa_kernel
	.section	.text._ZN2at6native6mbtopk23computeBlockDigitCountsIlmmLi1EEEvNS_4cuda6detail10TensorInfoIKT_T0_EEjPjjS8_iijT1_PSB_Ps,"axG",@progbits,_ZN2at6native6mbtopk23computeBlockDigitCountsIlmmLi1EEEvNS_4cuda6detail10TensorInfoIKT_T0_EEjPjjS8_iijT1_PSB_Ps,comdat
.Lfunc_end154:
	.size	_ZN2at6native6mbtopk23computeBlockDigitCountsIlmmLi1EEEvNS_4cuda6detail10TensorInfoIKT_T0_EEjPjjS8_iijT1_PSB_Ps, .Lfunc_end154-_ZN2at6native6mbtopk23computeBlockDigitCountsIlmmLi1EEEvNS_4cuda6detail10TensorInfoIKT_T0_EEjPjjS8_iijT1_PSB_Ps
                                        ; -- End function
	.set _ZN2at6native6mbtopk23computeBlockDigitCountsIlmmLi1EEEvNS_4cuda6detail10TensorInfoIKT_T0_EEjPjjS8_iijT1_PSB_Ps.num_vgpr, 11
	.set _ZN2at6native6mbtopk23computeBlockDigitCountsIlmmLi1EEEvNS_4cuda6detail10TensorInfoIKT_T0_EEjPjjS8_iijT1_PSB_Ps.num_agpr, 0
	.set _ZN2at6native6mbtopk23computeBlockDigitCountsIlmmLi1EEEvNS_4cuda6detail10TensorInfoIKT_T0_EEjPjjS8_iijT1_PSB_Ps.numbered_sgpr, 26
	.set _ZN2at6native6mbtopk23computeBlockDigitCountsIlmmLi1EEEvNS_4cuda6detail10TensorInfoIKT_T0_EEjPjjS8_iijT1_PSB_Ps.num_named_barrier, 0
	.set _ZN2at6native6mbtopk23computeBlockDigitCountsIlmmLi1EEEvNS_4cuda6detail10TensorInfoIKT_T0_EEjPjjS8_iijT1_PSB_Ps.private_seg_size, 0
	.set _ZN2at6native6mbtopk23computeBlockDigitCountsIlmmLi1EEEvNS_4cuda6detail10TensorInfoIKT_T0_EEjPjjS8_iijT1_PSB_Ps.uses_vcc, 1
	.set _ZN2at6native6mbtopk23computeBlockDigitCountsIlmmLi1EEEvNS_4cuda6detail10TensorInfoIKT_T0_EEjPjjS8_iijT1_PSB_Ps.uses_flat_scratch, 0
	.set _ZN2at6native6mbtopk23computeBlockDigitCountsIlmmLi1EEEvNS_4cuda6detail10TensorInfoIKT_T0_EEjPjjS8_iijT1_PSB_Ps.has_dyn_sized_stack, 0
	.set _ZN2at6native6mbtopk23computeBlockDigitCountsIlmmLi1EEEvNS_4cuda6detail10TensorInfoIKT_T0_EEjPjjS8_iijT1_PSB_Ps.has_recursion, 0
	.set _ZN2at6native6mbtopk23computeBlockDigitCountsIlmmLi1EEEvNS_4cuda6detail10TensorInfoIKT_T0_EEjPjjS8_iijT1_PSB_Ps.has_indirect_call, 0
	.section	.AMDGPU.csdata,"",@progbits
; Kernel info:
; codeLenInByte = 1056
; TotalNumSgprs: 28
; NumVgprs: 11
; ScratchSize: 0
; MemoryBound: 0
; FloatMode: 240
; IeeeMode: 1
; LDSByteSize: 1024 bytes/workgroup (compile time only)
; SGPRBlocks: 0
; VGPRBlocks: 0
; NumSGPRsForWavesPerEU: 28
; NumVGPRsForWavesPerEU: 11
; NamedBarCnt: 0
; Occupancy: 16
; WaveLimiterHint : 1
; COMPUTE_PGM_RSRC2:SCRATCH_EN: 0
; COMPUTE_PGM_RSRC2:USER_SGPR: 2
; COMPUTE_PGM_RSRC2:TRAP_HANDLER: 0
; COMPUTE_PGM_RSRC2:TGID_X_EN: 1
; COMPUTE_PGM_RSRC2:TGID_Y_EN: 1
; COMPUTE_PGM_RSRC2:TGID_Z_EN: 1
; COMPUTE_PGM_RSRC2:TIDIG_COMP_CNT: 0
	.section	.text._ZN2at6native6mbtopk10gatherTopKIlmLi1EEEvNS_4cuda6detail10TensorInfoIKT_T0_EES8_S8_bjS8_NS5_IS6_S8_EES8_NS5_IlS8_EES8_jjPS6_PjSD_j,"axG",@progbits,_ZN2at6native6mbtopk10gatherTopKIlmLi1EEEvNS_4cuda6detail10TensorInfoIKT_T0_EES8_S8_bjS8_NS5_IS6_S8_EES8_NS5_IlS8_EES8_jjPS6_PjSD_j,comdat
	.protected	_ZN2at6native6mbtopk10gatherTopKIlmLi1EEEvNS_4cuda6detail10TensorInfoIKT_T0_EES8_S8_bjS8_NS5_IS6_S8_EES8_NS5_IlS8_EES8_jjPS6_PjSD_j ; -- Begin function _ZN2at6native6mbtopk10gatherTopKIlmLi1EEEvNS_4cuda6detail10TensorInfoIKT_T0_EES8_S8_bjS8_NS5_IS6_S8_EES8_NS5_IlS8_EES8_jjPS6_PjSD_j
	.globl	_ZN2at6native6mbtopk10gatherTopKIlmLi1EEEvNS_4cuda6detail10TensorInfoIKT_T0_EES8_S8_bjS8_NS5_IS6_S8_EES8_NS5_IlS8_EES8_jjPS6_PjSD_j
	.p2align	8
	.type	_ZN2at6native6mbtopk10gatherTopKIlmLi1EEEvNS_4cuda6detail10TensorInfoIKT_T0_EES8_S8_bjS8_NS5_IS6_S8_EES8_NS5_IlS8_EES8_jjPS6_PjSD_j,@function
_ZN2at6native6mbtopk10gatherTopKIlmLi1EEEvNS_4cuda6detail10TensorInfoIKT_T0_EES8_S8_bjS8_NS5_IS6_S8_EES8_NS5_IlS8_EES8_jjPS6_PjSD_j: ; @_ZN2at6native6mbtopk10gatherTopKIlmLi1EEEvNS_4cuda6detail10TensorInfoIKT_T0_EES8_S8_bjS8_NS5_IS6_S8_EES8_NS5_IlS8_EES8_jjPS6_PjSD_j
; %bb.0:
	s_bfe_u32 s2, ttmp6, 0x40010
	s_and_b32 s4, ttmp7, 0xffff
	s_add_co_i32 s5, s2, 1
	s_clause 0x1
	s_load_b32 s6, s[0:1], 0x530
	s_load_b64 s[2:3], s[0:1], 0x538
	s_bfe_u32 s8, ttmp6, 0x4000c
	s_mul_i32 s5, s4, s5
	s_bfe_u32 s7, ttmp6, 0x40004
	s_add_co_i32 s8, s8, 1
	s_bfe_u32 s9, ttmp6, 0x40014
	s_add_co_i32 s7, s7, s5
	s_and_b32 s5, ttmp6, 15
	s_mul_i32 s8, ttmp9, s8
	s_lshr_b32 s10, ttmp7, 16
	s_add_co_i32 s9, s9, 1
	s_add_co_i32 s5, s5, s8
	s_mul_i32 s8, s10, s9
	s_bfe_u32 s9, ttmp6, 0x40008
	s_getreg_b32 s11, hwreg(HW_REG_IB_STS2, 6, 4)
	s_add_co_i32 s9, s9, s8
	s_cmp_eq_u32 s11, 0
	s_cselect_b32 s8, s10, s9
	s_cselect_b32 s4, s4, s7
	s_wait_kmcnt 0x0
	s_mul_i32 s3, s3, s8
	s_cselect_b32 s5, ttmp9, s5
	s_add_co_i32 s3, s3, s4
	s_delay_alu instid0(SALU_CYCLE_1) | instskip(NEXT) | instid1(SALU_CYCLE_1)
	s_mul_i32 s2, s3, s2
	s_add_co_i32 s2, s2, s5
	s_delay_alu instid0(SALU_CYCLE_1)
	s_cmp_ge_u32 s2, s6
	s_cbranch_scc1 .LBB155_42
; %bb.1:
	s_load_b64 s[16:17], s[0:1], 0x510
	s_wait_kmcnt 0x0
	s_cvt_f32_u32 s3, s17
	s_sub_co_i32 s4, 0, s17
	s_lshl_b32 s30, s16, 8
	s_delay_alu instid0(SALU_CYCLE_1) | instskip(SKIP_1) | instid1(TRANS32_DEP_1)
	v_rcp_iflag_f32_e32 v1, s3
	v_nop
	v_readfirstlane_b32 s3, v1
	s_mul_f32 s3, s3, 0x4f7ffffe
	s_delay_alu instid0(SALU_CYCLE_3) | instskip(NEXT) | instid1(SALU_CYCLE_3)
	s_cvt_u32_f32 s3, s3
	s_mul_i32 s4, s4, s3
	s_delay_alu instid0(SALU_CYCLE_1) | instskip(NEXT) | instid1(SALU_CYCLE_1)
	s_mul_hi_u32 s4, s3, s4
	s_add_co_i32 s3, s3, s4
	s_load_b128 s[4:7], s[0:1], 0x1a0
	s_mul_hi_u32 s3, s2, s3
	s_delay_alu instid0(SALU_CYCLE_1) | instskip(SKIP_2) | instid1(SALU_CYCLE_1)
	s_mul_i32 s8, s3, s17
	s_add_co_i32 s9, s3, 1
	s_sub_co_i32 s8, s2, s8
	s_sub_co_i32 s10, s8, s17
	s_cmp_ge_u32 s8, s17
	s_cselect_b32 s3, s9, s3
	s_cselect_b32 s8, s10, s8
	s_add_co_i32 s9, s3, 1
	s_cmp_ge_u32 s8, s17
	s_cselect_b32 s20, s9, s3
	s_delay_alu instid0(SALU_CYCLE_1) | instskip(NEXT) | instid1(SALU_CYCLE_1)
	s_mul_i32 s12, s20, s17
	s_sub_co_i32 s31, s2, s12
	s_delay_alu instid0(SALU_CYCLE_1) | instskip(NEXT) | instid1(SALU_CYCLE_1)
	s_add_co_i32 s2, s31, 1
	s_cmp_lt_u32 s2, s17
	s_cbranch_scc1 .LBB155_3
; %bb.2:
	s_mul_i32 s2, s31, s30
	s_mov_b32 s3, 0
	s_wait_kmcnt 0x0
	s_sub_nc_u64 s[8:9], s[4:5], s[2:3]
	s_delay_alu instid0(SALU_CYCLE_1) | instskip(NEXT) | instid1(SALU_CYCLE_1)
	s_add_nc_u64 s[8:9], s[8:9], 0xff
	s_ashr_i32 s2, s9, 31
	s_delay_alu instid0(SALU_CYCLE_1) | instskip(NEXT) | instid1(SALU_CYCLE_1)
	s_lshr_b32 s2, s2, 24
	s_add_nc_u64 s[2:3], s[8:9], s[2:3]
	s_delay_alu instid0(SALU_CYCLE_1) | instskip(NEXT) | instid1(SALU_CYCLE_1)
	s_lshr_b64 s[2:3], s[2:3], 8
	s_mov_b32 s16, s2
.LBB155_3:
	s_load_b128 s[8:11], s[0:1], 0x518
	v_cmp_ne_u32_e64 s2, 0, v0
	v_cmp_eq_u32_e64 s3, 0, v0
	s_mov_b32 s21, 0
	s_wait_kmcnt 0x0
	s_load_b64 s[18:19], s[8:9], s20 offset:0x0 scale_offset
	s_and_saveexec_b32 s28, s3
	s_cbranch_execz .LBB155_19
; %bb.4:
	s_load_b64 s[22:23], s[0:1], 0x528
	s_mov_b32 s13, s21
	s_delay_alu instid0(SALU_CYCLE_1)
	s_lshl_b64 s[24:25], s[12:13], 2
	s_cmp_lt_u32 s17, 4
	s_cbranch_scc1 .LBB155_16
; %bb.5:
	s_mov_b32 s29, 0
	s_wait_xcnt 0x0
	s_mov_b64 s[8:9], 0
	s_mov_b32 s33, 0
.LBB155_6:                              ; =>This Inner Loop Header: Depth=1
	s_add_nc_u64 s[26:27], s[10:11], s[24:25]
	s_cmp_ge_u32 s33, s31
	s_load_b128 s[12:15], s[26:27], 0x0
	s_wait_kmcnt 0x0
	s_add_nc_u64 s[26:27], s[22:23], s[24:25]
	s_cbranch_scc0 .LBB155_13
; %bb.7:                                ;   in Loop: Header=BB155_6 Depth=1
	s_add_co_i32 s34, s33, 1
	s_delay_alu instid0(SALU_CYCLE_1)
	s_cmp_ge_u32 s34, s31
	s_cbranch_scc0 .LBB155_14
.LBB155_8:                              ;   in Loop: Header=BB155_6 Depth=1
	s_add_co_i32 s34, s34, 1
	s_delay_alu instid0(SALU_CYCLE_1)
	s_cmp_ge_u32 s34, s31
	s_cbranch_scc0 .LBB155_15
.LBB155_9:                              ;   in Loop: Header=BB155_6 Depth=1
	s_add_co_i32 s34, s34, 1
	s_delay_alu instid0(SALU_CYCLE_1)
	s_cmp_ge_u32 s34, s31
	s_cbranch_scc1 .LBB155_11
.LBB155_10:                             ;   in Loop: Header=BB155_6 Depth=1
	s_load_b32 s26, s[26:27], 0xc
	s_add_co_i32 s9, s15, s9
	s_wait_kmcnt 0x0
	s_add_co_i32 s8, s26, s8
.LBB155_11:                             ;   in Loop: Header=BB155_6 Depth=1
	s_add_co_i32 s12, s12, s29
	s_add_nc_u64 s[10:11], s[10:11], 16
	s_add_co_i32 s12, s12, s13
	s_add_co_i32 s13, s34, 4
	;; [unrolled: 1-line block ×3, first 2 shown]
	s_add_nc_u64 s[22:23], s[22:23], 16
	s_add_co_i32 s29, s12, s15
	s_add_co_i32 s12, s34, 1
	s_cmp_ge_u32 s13, s17
	s_cbranch_scc1 .LBB155_17
; %bb.12:                               ;   in Loop: Header=BB155_6 Depth=1
	s_mov_b32 s33, s12
	s_branch .LBB155_6
.LBB155_13:                             ;   in Loop: Header=BB155_6 Depth=1
	s_load_b32 s34, s[26:27], 0x0
	s_add_co_i32 s9, s12, s9
	s_wait_kmcnt 0x0
	s_add_co_i32 s8, s34, s8
	s_add_co_i32 s34, s33, 1
	s_delay_alu instid0(SALU_CYCLE_1)
	s_cmp_ge_u32 s34, s31
	s_cbranch_scc1 .LBB155_8
.LBB155_14:                             ;   in Loop: Header=BB155_6 Depth=1
	s_load_b32 s35, s[26:27], 0x4
	s_add_co_i32 s9, s13, s9
	s_wait_kmcnt 0x0
	s_add_co_i32 s8, s35, s8
	s_add_co_i32 s34, s34, 1
	s_delay_alu instid0(SALU_CYCLE_1)
	s_cmp_ge_u32 s34, s31
	s_cbranch_scc1 .LBB155_9
.LBB155_15:                             ;   in Loop: Header=BB155_6 Depth=1
	s_load_b32 s35, s[26:27], 0x8
	s_add_co_i32 s9, s14, s9
	s_wait_kmcnt 0x0
	s_add_co_i32 s8, s35, s8
	s_add_co_i32 s34, s34, 1
	s_delay_alu instid0(SALU_CYCLE_1)
	s_cmp_ge_u32 s34, s31
	s_cbranch_scc0 .LBB155_10
	s_branch .LBB155_11
.LBB155_16:
	s_wait_xcnt 0x0
	s_mov_b64 s[8:9], 0
	s_add_nc_u64 s[10:11], s[10:11], s[24:25]
	s_wait_kmcnt 0x0
	s_add_nc_u64 s[12:13], s[22:23], s[24:25]
	s_mov_b32 s29, s21
	s_mov_b32 s14, s21
	s_delay_alu instid0(SALU_CYCLE_1)
	s_cmp_ge_u32 s14, s17
	s_cbranch_scc0 .LBB155_40
	s_branch .LBB155_18
.LBB155_17:
	s_add_co_i32 s14, s33, 4
	s_add_nc_u64 s[12:13], s[22:23], s[24:25]
	s_add_nc_u64 s[10:11], s[10:11], s[24:25]
	s_cmp_ge_u32 s14, s17
	s_cbranch_scc0 .LBB155_40
.LBB155_18:
	v_dual_mov_b32 v2, s8 :: v_dual_mov_b32 v3, s29
	v_dual_mov_b32 v4, s9 :: v_dual_mov_b32 v1, 0
	ds_store_b96 v1, v[2:4] offset:1056
.LBB155_19:
	s_or_b32 exec_lo, exec_lo, s28
	s_clause 0x1
	s_load_b64 s[24:25], s[0:1], 0x0
	s_load_b64 s[22:23], s[0:1], 0xd0
	s_wait_xcnt 0x0
	s_clause 0x3
	s_load_b128 s[8:11], s[0:1], 0x1b8
	s_load_b64 s[26:27], s[0:1], 0x290
	s_load_b128 s[12:15], s[0:1], 0x360
	s_load_b64 s[28:29], s[0:1], 0x438
	s_cmp_eq_u32 s16, 0
	s_wait_dscnt 0x0
	s_barrier_signal -1
	s_barrier_wait -1
	s_cbranch_scc1 .LBB155_42
; %bb.20:
	v_dual_mov_b32 v7, 0 :: v_dual_lshrrev_b32 v1, 3, v0
	s_wait_kmcnt 0x0
	s_mul_u64 s[34:35], s[22:23], s[20:21]
	v_dual_add_nc_u32 v8, -1, v0 :: v_dual_lshlrev_b32 v12, 5, v0
	ds_load_b96 v[2:4], v7 offset:1056
	s_clause 0x1
	s_load_b32 s17, s[0:1], 0x1b0
	s_load_b64 s[22:23], s[0:1], 0x508
	v_mad_u32 v6, s31, s30, v0
	v_dual_lshrrev_b32 v10, 3, v8 :: v_dual_bitop2_b32 v1, 28, v1 bitop3:0x40
	v_and_b32_e32 v9, 0xfc, v0
	v_mbcnt_lo_u32_b32 v5, -1, 0
	s_mul_u64 s[26:27], s[26:27], s[20:21]
	s_delay_alu instid0(VALU_DEP_3)
	v_and_b32_e32 v11, 0x1ffffffc, v10
	s_mul_u64 s[28:29], s[28:29], s[20:21]
	s_xor_b64 s[20:21], s[18:19], 0x8000000000000000
	s_wait_xcnt 0x0
	v_cmp_gt_u32_e64 s0, 32, v0
	s_lshl_b64 s[30:31], s[34:35], 3
	s_lshl_b64 s[26:27], s[26:27], 3
	;; [unrolled: 1-line block ×3, first 2 shown]
	v_lshl_add_u32 v10, v0, 2, v1
	v_lshl_add_u32 v11, v8, 2, v11
	v_dual_add_nc_u32 v15, -1, v5 :: v_dual_bitop2_b32 v13, 15, v5 bitop3:0x40
	v_bfe_i32 v14, v5, 4, 1
	s_wait_dscnt 0x0
	v_dual_add_nc_u32 v0, v2, v3 :: v_dual_add_nc_u32 v12, v9, v12
	s_wait_kmcnt 0x0
	s_bitcmp1_b32 s17, 0
	s_add_nc_u64 s[24:25], s[24:25], s[30:31]
	s_add_nc_u64 s[10:11], s[10:11], s[26:27]
	;; [unrolled: 1-line block ×3, first 2 shown]
	s_cselect_b32 s1, -1, 0
                                        ; implicit-def: $vgpr2_vgpr3
	s_branch .LBB155_23
.LBB155_21:                             ;   in Loop: Header=BB155_23 Depth=1
	s_wait_xcnt 0x0
	s_or_b32 exec_lo, exec_lo, s17
	v_add_nc_u32_e32 v0, v1, v0
.LBB155_22:                             ;   in Loop: Header=BB155_23 Depth=1
	v_add_nc_u32_e32 v4, v16, v4
	v_add_nc_u32_e32 v6, 0x100, v6
	s_add_co_i32 s16, s16, -1
	s_delay_alu instid0(SALU_CYCLE_1)
	s_cmp_lg_u32 s16, 0
	s_cbranch_scc0 .LBB155_42
.LBB155_23:                             ; =>This Inner Loop Header: Depth=1
	v_dual_mov_b32 v1, v7 :: v_dual_mov_b32 v8, v7
	s_mov_b32 s17, exec_lo
	v_cmpx_gt_u64_e64 s[4:5], v[6:7]
	s_cbranch_execz .LBB155_25
; %bb.24:                               ;   in Loop: Header=BB155_23 Depth=1
	v_mul_u64_e32 v[2:3], s[8:9], v[6:7]
	s_delay_alu instid0(VALU_DEP_1) | instskip(SKIP_4) | instid1(VALU_DEP_1)
	v_lshl_add_u64 v[2:3], v[2:3], 3, s[24:25]
	global_load_b64 v[2:3], v[2:3], off
	s_wait_loadcnt 0x0
	v_xor_b32_e32 v9, 0x80000000, v3
	v_mov_b32_e32 v8, v2
	v_cmp_lt_u64_e32 vcc_lo, s[20:21], v[8:9]
	v_cndmask_b32_e64 v1, 0, 1, vcc_lo
	v_cmp_gt_u64_e32 vcc_lo, s[20:21], v[8:9]
	v_cndmask_b32_e64 v8, 0, 1, vcc_lo
	v_cmp_eq_u64_e32 vcc_lo, s[18:19], v[2:3]
	s_delay_alu instid0(VALU_DEP_2) | instskip(SKIP_1) | instid1(VALU_DEP_2)
	v_cndmask_b32_e64 v1, v8, v1, s1
	v_cndmask_b32_e64 v8, 0, 1, vcc_lo
	v_and_b32_e32 v1, 1, v1
.LBB155_25:                             ;   in Loop: Header=BB155_23 Depth=1
	s_wait_xcnt 0x0
	s_or_b32 exec_lo, exec_lo, s17
	ds_store_b32 v10, v1
	s_wait_dscnt 0x0
	s_barrier_signal -1
	s_barrier_wait -1
	s_and_saveexec_b32 s17, s0
	s_cbranch_execz .LBB155_27
; %bb.26:                               ;   in Loop: Header=BB155_23 Depth=1
	ds_load_2addr_b32 v[16:17], v12 offset1:1
	ds_load_2addr_b32 v[18:19], v12 offset0:2 offset1:3
	ds_load_2addr_b32 v[20:21], v12 offset0:4 offset1:5
	ds_load_2addr_b32 v[22:23], v12 offset0:6 offset1:7
	v_cmp_ne_u32_e32 vcc_lo, 0, v13
	; wave barrier
	s_wait_dscnt 0x3
	v_add_nc_u32_e32 v9, v17, v16
	s_wait_dscnt 0x2
	s_delay_alu instid0(VALU_DEP_1) | instskip(SKIP_1) | instid1(VALU_DEP_1)
	v_add3_u32 v9, v9, v18, v19
	s_wait_dscnt 0x1
	v_add3_u32 v9, v9, v20, v21
	s_wait_dscnt 0x0
	s_delay_alu instid0(VALU_DEP_1) | instskip(NEXT) | instid1(VALU_DEP_1)
	v_add3_u32 v9, v9, v22, v23
	v_mov_b32_dpp v17, v9 row_shr:1 row_mask:0xf bank_mask:0xf
	s_delay_alu instid0(VALU_DEP_1) | instskip(SKIP_1) | instid1(VALU_DEP_2)
	v_cndmask_b32_e32 v17, 0, v17, vcc_lo
	v_cmp_lt_u32_e32 vcc_lo, 1, v13
	v_add_nc_u32_e32 v9, v17, v9
	s_delay_alu instid0(VALU_DEP_1) | instskip(NEXT) | instid1(VALU_DEP_1)
	v_mov_b32_dpp v17, v9 row_shr:2 row_mask:0xf bank_mask:0xf
	v_cndmask_b32_e32 v17, 0, v17, vcc_lo
	v_cmp_lt_u32_e32 vcc_lo, 3, v13
	s_delay_alu instid0(VALU_DEP_2) | instskip(NEXT) | instid1(VALU_DEP_1)
	v_add_nc_u32_e32 v9, v9, v17
	v_mov_b32_dpp v17, v9 row_shr:4 row_mask:0xf bank_mask:0xf
	s_delay_alu instid0(VALU_DEP_1) | instskip(SKIP_1) | instid1(VALU_DEP_2)
	v_cndmask_b32_e32 v17, 0, v17, vcc_lo
	v_cmp_lt_u32_e32 vcc_lo, 7, v13
	v_add_nc_u32_e32 v9, v9, v17
	s_delay_alu instid0(VALU_DEP_1) | instskip(NEXT) | instid1(VALU_DEP_1)
	v_mov_b32_dpp v17, v9 row_shr:8 row_mask:0xf bank_mask:0xf
	v_cndmask_b32_e32 v17, 0, v17, vcc_lo
	v_cmp_gt_i32_e32 vcc_lo, 0, v15
	s_delay_alu instid0(VALU_DEP_2) | instskip(SKIP_4) | instid1(VALU_DEP_1)
	v_add_nc_u32_e32 v9, v9, v17
	v_cndmask_b32_e32 v18, v15, v5, vcc_lo
	ds_swizzle_b32 v17, v9 offset:swizzle(BROADCAST,32,15)
	s_wait_dscnt 0x0
	v_dual_lshlrev_b32 v18, 2, v18 :: v_dual_bitop2_b32 v17, v14, v17 bitop3:0x40
	v_add_nc_u32_e32 v9, v9, v17
	ds_bpermute_b32 v9, v18, v9
	s_wait_dscnt 0x0
	v_add_nc_u32_e32 v9, v9, v16
	s_delay_alu instid0(VALU_DEP_1)
	v_cndmask_b32_e64 v9, v9, v1, s3
	ds_store_b32 v12, v9
	; wave barrier
	ds_load_2addr_b32 v[16:17], v12 offset0:1 offset1:2
	ds_load_2addr_b32 v[18:19], v12 offset0:3 offset1:4
	;; [unrolled: 1-line block ×3, first 2 shown]
	ds_load_b32 v22, v12 offset:28
	s_wait_dscnt 0x3
	v_add_nc_u32_e32 v9, v16, v9
	s_delay_alu instid0(VALU_DEP_1) | instskip(SKIP_1) | instid1(VALU_DEP_1)
	v_add_nc_u32_e32 v16, v17, v9
	s_wait_dscnt 0x2
	v_add_nc_u32_e32 v17, v18, v16
	s_delay_alu instid0(VALU_DEP_1) | instskip(SKIP_1) | instid1(VALU_DEP_1)
	v_add_nc_u32_e32 v18, v19, v17
	;; [unrolled: 4-line block ×3, first 2 shown]
	s_wait_dscnt 0x0
	v_add_nc_u32_e32 v21, v22, v20
	ds_store_2addr_b32 v12, v9, v16 offset0:1 offset1:2
	ds_store_2addr_b32 v12, v17, v18 offset0:3 offset1:4
	;; [unrolled: 1-line block ×3, first 2 shown]
	ds_store_b32 v12, v21 offset:28
.LBB155_27:                             ;   in Loop: Header=BB155_23 Depth=1
	s_or_b32 exec_lo, exec_lo, s17
	v_mov_b32_e32 v9, 0
	s_wait_dscnt 0x0
	s_barrier_signal -1
	s_barrier_wait -1
	s_and_saveexec_b32 s17, s2
; %bb.28:                               ;   in Loop: Header=BB155_23 Depth=1
	ds_load_b32 v9, v11
; %bb.29:                               ;   in Loop: Header=BB155_23 Depth=1
	s_or_b32 exec_lo, exec_lo, s17
	ds_load_b32 v16, v7 offset:1048
	s_mov_b32 s17, exec_lo
	s_wait_dscnt 0x0
	s_barrier_signal -1
	s_barrier_wait -1
	v_cmpx_ne_u32_e32 0, v1
	s_cbranch_execz .LBB155_31
; %bb.30:                               ;   in Loop: Header=BB155_23 Depth=1
	v_dual_mov_b32 v19, v7 :: v_dual_add_nc_u32 v18, v9, v4
	s_delay_alu instid0(VALU_DEP_1) | instskip(SKIP_1) | instid1(VALU_DEP_2)
	v_mul_u64_e32 v[20:21], s[12:13], v[18:19]
	v_mul_u64_e32 v[18:19], s[22:23], v[18:19]
	v_lshl_add_u64 v[20:21], v[20:21], 3, s[10:11]
	s_delay_alu instid0(VALU_DEP_2)
	v_lshl_add_u64 v[18:19], v[18:19], 3, s[14:15]
	global_store_b64 v[20:21], v[2:3], off
	global_store_b64 v[18:19], v[6:7], off
.LBB155_31:                             ;   in Loop: Header=BB155_23 Depth=1
	s_wait_xcnt 0x0
	s_or_b32 exec_lo, exec_lo, s17
	v_mov_b32_e32 v1, v7
	s_delay_alu instid0(VALU_DEP_1)
	v_cmp_le_u64_e32 vcc_lo, s[6:7], v[0:1]
	s_cbranch_vccnz .LBB155_22
; %bb.32:                               ;   in Loop: Header=BB155_23 Depth=1
	ds_store_b32 v10, v8
	s_wait_storecnt_dscnt 0x0
	s_barrier_signal -1
	s_barrier_wait -1
	s_and_saveexec_b32 s17, s0
	s_cbranch_execz .LBB155_34
; %bb.33:                               ;   in Loop: Header=BB155_23 Depth=1
	ds_load_2addr_b32 v[18:19], v12 offset1:1
	ds_load_2addr_b32 v[20:21], v12 offset0:2 offset1:3
	ds_load_2addr_b32 v[22:23], v12 offset0:4 offset1:5
	;; [unrolled: 1-line block ×3, first 2 shown]
	v_cmp_ne_u32_e32 vcc_lo, 0, v13
	; wave barrier
	s_wait_dscnt 0x3
	v_add_nc_u32_e32 v1, v19, v18
	s_wait_dscnt 0x2
	s_delay_alu instid0(VALU_DEP_1) | instskip(SKIP_1) | instid1(VALU_DEP_1)
	v_add3_u32 v1, v1, v20, v21
	s_wait_dscnt 0x1
	v_add3_u32 v1, v1, v22, v23
	s_wait_dscnt 0x0
	s_delay_alu instid0(VALU_DEP_1) | instskip(NEXT) | instid1(VALU_DEP_1)
	v_add3_u32 v1, v1, v24, v25
	v_mov_b32_dpp v9, v1 row_shr:1 row_mask:0xf bank_mask:0xf
	s_delay_alu instid0(VALU_DEP_1) | instskip(SKIP_1) | instid1(VALU_DEP_2)
	v_cndmask_b32_e32 v9, 0, v9, vcc_lo
	v_cmp_lt_u32_e32 vcc_lo, 1, v13
	v_add_nc_u32_e32 v1, v9, v1
	s_delay_alu instid0(VALU_DEP_1) | instskip(NEXT) | instid1(VALU_DEP_1)
	v_mov_b32_dpp v9, v1 row_shr:2 row_mask:0xf bank_mask:0xf
	v_cndmask_b32_e32 v9, 0, v9, vcc_lo
	v_cmp_lt_u32_e32 vcc_lo, 3, v13
	s_delay_alu instid0(VALU_DEP_2) | instskip(NEXT) | instid1(VALU_DEP_1)
	v_add_nc_u32_e32 v1, v1, v9
	v_mov_b32_dpp v9, v1 row_shr:4 row_mask:0xf bank_mask:0xf
	s_delay_alu instid0(VALU_DEP_1) | instskip(SKIP_1) | instid1(VALU_DEP_2)
	v_cndmask_b32_e32 v9, 0, v9, vcc_lo
	v_cmp_lt_u32_e32 vcc_lo, 7, v13
	v_add_nc_u32_e32 v1, v1, v9
	s_delay_alu instid0(VALU_DEP_1) | instskip(NEXT) | instid1(VALU_DEP_1)
	v_mov_b32_dpp v9, v1 row_shr:8 row_mask:0xf bank_mask:0xf
	v_cndmask_b32_e32 v9, 0, v9, vcc_lo
	v_cmp_gt_i32_e32 vcc_lo, 0, v15
	s_delay_alu instid0(VALU_DEP_2)
	v_add_nc_u32_e32 v1, v1, v9
	v_cndmask_b32_e32 v17, v15, v5, vcc_lo
	ds_swizzle_b32 v9, v1 offset:swizzle(BROADCAST,32,15)
	v_lshlrev_b32_e32 v17, 2, v17
	s_wait_dscnt 0x0
	v_and_b32_e32 v9, v14, v9
	s_delay_alu instid0(VALU_DEP_1) | instskip(SKIP_3) | instid1(VALU_DEP_1)
	v_add_nc_u32_e32 v1, v1, v9
	ds_bpermute_b32 v1, v17, v1
	s_wait_dscnt 0x0
	v_add_nc_u32_e32 v1, v1, v18
	v_cndmask_b32_e64 v1, v1, v8, s3
	ds_store_b32 v12, v1
	; wave barrier
	ds_load_2addr_b32 v[18:19], v12 offset0:1 offset1:2
	ds_load_2addr_b32 v[20:21], v12 offset0:3 offset1:4
	;; [unrolled: 1-line block ×3, first 2 shown]
	ds_load_b32 v9, v12 offset:28
	s_wait_dscnt 0x3
	v_add_nc_u32_e32 v1, v18, v1
	s_delay_alu instid0(VALU_DEP_1) | instskip(SKIP_1) | instid1(VALU_DEP_1)
	v_add_nc_u32_e32 v17, v19, v1
	s_wait_dscnt 0x2
	v_add_nc_u32_e32 v18, v20, v17
	s_delay_alu instid0(VALU_DEP_1) | instskip(SKIP_1) | instid1(VALU_DEP_1)
	v_add_nc_u32_e32 v19, v21, v18
	;; [unrolled: 4-line block ×3, first 2 shown]
	s_wait_dscnt 0x0
	v_add_nc_u32_e32 v9, v9, v21
	ds_store_2addr_b32 v12, v1, v17 offset0:1 offset1:2
	ds_store_2addr_b32 v12, v18, v19 offset0:3 offset1:4
	;; [unrolled: 1-line block ×3, first 2 shown]
	ds_store_b32 v12, v9 offset:28
.LBB155_34:                             ;   in Loop: Header=BB155_23 Depth=1
	s_or_b32 exec_lo, exec_lo, s17
	v_mov_b32_e32 v9, 0
	s_wait_dscnt 0x0
	s_barrier_signal -1
	s_barrier_wait -1
	s_and_saveexec_b32 s17, s2
; %bb.35:                               ;   in Loop: Header=BB155_23 Depth=1
	ds_load_b32 v9, v11
; %bb.36:                               ;   in Loop: Header=BB155_23 Depth=1
	s_or_b32 exec_lo, exec_lo, s17
	ds_load_b32 v1, v7 offset:1048
	s_mov_b32 s17, exec_lo
	s_wait_dscnt 0x0
	s_barrier_signal -1
	s_barrier_wait -1
	v_cmpx_ne_u32_e32 0, v8
	s_cbranch_execz .LBB155_21
; %bb.37:                               ;   in Loop: Header=BB155_23 Depth=1
	v_dual_mov_b32 v9, v7 :: v_dual_add_nc_u32 v8, v9, v0
	s_delay_alu instid0(VALU_DEP_1)
	v_cmp_gt_u64_e32 vcc_lo, s[6:7], v[8:9]
	s_and_b32 exec_lo, exec_lo, vcc_lo
	s_cbranch_execz .LBB155_21
; %bb.38:                               ;   in Loop: Header=BB155_23 Depth=1
	v_mul_u64_e32 v[18:19], s[12:13], v[8:9]
	v_mul_u64_e32 v[8:9], s[22:23], v[8:9]
	s_delay_alu instid0(VALU_DEP_2) | instskip(NEXT) | instid1(VALU_DEP_2)
	v_lshl_add_u64 v[18:19], v[18:19], 3, s[10:11]
	v_lshl_add_u64 v[8:9], v[8:9], 3, s[14:15]
	global_store_b64 v[18:19], v[2:3], off
	global_store_b64 v[8:9], v[6:7], off
	s_branch .LBB155_21
.LBB155_39:                             ;   in Loop: Header=BB155_40 Depth=1
	s_add_co_i32 s14, s14, 1
	s_wait_kmcnt 0x0
	s_add_co_i32 s29, s15, s29
	s_add_nc_u64 s[10:11], s[10:11], 4
	s_cmp_lt_u32 s14, s17
	s_add_nc_u64 s[12:13], s[12:13], 4
	s_cbranch_scc0 .LBB155_18
.LBB155_40:                             ; =>This Inner Loop Header: Depth=1
	s_load_b32 s15, s[10:11], 0x0
	s_cmp_ge_u32 s14, s31
	s_cbranch_scc1 .LBB155_39
; %bb.41:                               ;   in Loop: Header=BB155_40 Depth=1
	s_load_b32 s22, s[12:13], 0x0
	s_wait_kmcnt 0x0
	s_add_co_i32 s9, s15, s9
	s_add_co_i32 s8, s22, s8
	s_branch .LBB155_39
.LBB155_42:
	s_endpgm
	.section	.rodata,"a",@progbits
	.p2align	6, 0x0
	.amdhsa_kernel _ZN2at6native6mbtopk10gatherTopKIlmLi1EEEvNS_4cuda6detail10TensorInfoIKT_T0_EES8_S8_bjS8_NS5_IS6_S8_EES8_NS5_IlS8_EES8_jjPS6_PjSD_j
		.amdhsa_group_segment_fixed_size 1068
		.amdhsa_private_segment_fixed_size 0
		.amdhsa_kernarg_size 1592
		.amdhsa_user_sgpr_count 2
		.amdhsa_user_sgpr_dispatch_ptr 0
		.amdhsa_user_sgpr_queue_ptr 0
		.amdhsa_user_sgpr_kernarg_segment_ptr 1
		.amdhsa_user_sgpr_dispatch_id 0
		.amdhsa_user_sgpr_kernarg_preload_length 0
		.amdhsa_user_sgpr_kernarg_preload_offset 0
		.amdhsa_user_sgpr_private_segment_size 0
		.amdhsa_wavefront_size32 1
		.amdhsa_uses_dynamic_stack 0
		.amdhsa_enable_private_segment 0
		.amdhsa_system_sgpr_workgroup_id_x 1
		.amdhsa_system_sgpr_workgroup_id_y 1
		.amdhsa_system_sgpr_workgroup_id_z 1
		.amdhsa_system_sgpr_workgroup_info 0
		.amdhsa_system_vgpr_workitem_id 0
		.amdhsa_next_free_vgpr 26
		.amdhsa_next_free_sgpr 36
		.amdhsa_named_barrier_count 0
		.amdhsa_reserve_vcc 1
		.amdhsa_float_round_mode_32 0
		.amdhsa_float_round_mode_16_64 0
		.amdhsa_float_denorm_mode_32 3
		.amdhsa_float_denorm_mode_16_64 3
		.amdhsa_fp16_overflow 0
		.amdhsa_memory_ordered 1
		.amdhsa_forward_progress 1
		.amdhsa_inst_pref_size 20
		.amdhsa_round_robin_scheduling 0
		.amdhsa_exception_fp_ieee_invalid_op 0
		.amdhsa_exception_fp_denorm_src 0
		.amdhsa_exception_fp_ieee_div_zero 0
		.amdhsa_exception_fp_ieee_overflow 0
		.amdhsa_exception_fp_ieee_underflow 0
		.amdhsa_exception_fp_ieee_inexact 0
		.amdhsa_exception_int_div_zero 0
	.end_amdhsa_kernel
	.section	.text._ZN2at6native6mbtopk10gatherTopKIlmLi1EEEvNS_4cuda6detail10TensorInfoIKT_T0_EES8_S8_bjS8_NS5_IS6_S8_EES8_NS5_IlS8_EES8_jjPS6_PjSD_j,"axG",@progbits,_ZN2at6native6mbtopk10gatherTopKIlmLi1EEEvNS_4cuda6detail10TensorInfoIKT_T0_EES8_S8_bjS8_NS5_IS6_S8_EES8_NS5_IlS8_EES8_jjPS6_PjSD_j,comdat
.Lfunc_end155:
	.size	_ZN2at6native6mbtopk10gatherTopKIlmLi1EEEvNS_4cuda6detail10TensorInfoIKT_T0_EES8_S8_bjS8_NS5_IS6_S8_EES8_NS5_IlS8_EES8_jjPS6_PjSD_j, .Lfunc_end155-_ZN2at6native6mbtopk10gatherTopKIlmLi1EEEvNS_4cuda6detail10TensorInfoIKT_T0_EES8_S8_bjS8_NS5_IS6_S8_EES8_NS5_IlS8_EES8_jjPS6_PjSD_j
                                        ; -- End function
	.set _ZN2at6native6mbtopk10gatherTopKIlmLi1EEEvNS_4cuda6detail10TensorInfoIKT_T0_EES8_S8_bjS8_NS5_IS6_S8_EES8_NS5_IlS8_EES8_jjPS6_PjSD_j.num_vgpr, 26
	.set _ZN2at6native6mbtopk10gatherTopKIlmLi1EEEvNS_4cuda6detail10TensorInfoIKT_T0_EES8_S8_bjS8_NS5_IS6_S8_EES8_NS5_IlS8_EES8_jjPS6_PjSD_j.num_agpr, 0
	.set _ZN2at6native6mbtopk10gatherTopKIlmLi1EEEvNS_4cuda6detail10TensorInfoIKT_T0_EES8_S8_bjS8_NS5_IS6_S8_EES8_NS5_IlS8_EES8_jjPS6_PjSD_j.numbered_sgpr, 36
	.set _ZN2at6native6mbtopk10gatherTopKIlmLi1EEEvNS_4cuda6detail10TensorInfoIKT_T0_EES8_S8_bjS8_NS5_IS6_S8_EES8_NS5_IlS8_EES8_jjPS6_PjSD_j.num_named_barrier, 0
	.set _ZN2at6native6mbtopk10gatherTopKIlmLi1EEEvNS_4cuda6detail10TensorInfoIKT_T0_EES8_S8_bjS8_NS5_IS6_S8_EES8_NS5_IlS8_EES8_jjPS6_PjSD_j.private_seg_size, 0
	.set _ZN2at6native6mbtopk10gatherTopKIlmLi1EEEvNS_4cuda6detail10TensorInfoIKT_T0_EES8_S8_bjS8_NS5_IS6_S8_EES8_NS5_IlS8_EES8_jjPS6_PjSD_j.uses_vcc, 1
	.set _ZN2at6native6mbtopk10gatherTopKIlmLi1EEEvNS_4cuda6detail10TensorInfoIKT_T0_EES8_S8_bjS8_NS5_IS6_S8_EES8_NS5_IlS8_EES8_jjPS6_PjSD_j.uses_flat_scratch, 0
	.set _ZN2at6native6mbtopk10gatherTopKIlmLi1EEEvNS_4cuda6detail10TensorInfoIKT_T0_EES8_S8_bjS8_NS5_IS6_S8_EES8_NS5_IlS8_EES8_jjPS6_PjSD_j.has_dyn_sized_stack, 0
	.set _ZN2at6native6mbtopk10gatherTopKIlmLi1EEEvNS_4cuda6detail10TensorInfoIKT_T0_EES8_S8_bjS8_NS5_IS6_S8_EES8_NS5_IlS8_EES8_jjPS6_PjSD_j.has_recursion, 0
	.set _ZN2at6native6mbtopk10gatherTopKIlmLi1EEEvNS_4cuda6detail10TensorInfoIKT_T0_EES8_S8_bjS8_NS5_IS6_S8_EES8_NS5_IlS8_EES8_jjPS6_PjSD_j.has_indirect_call, 0
	.section	.AMDGPU.csdata,"",@progbits
; Kernel info:
; codeLenInByte = 2488
; TotalNumSgprs: 38
; NumVgprs: 26
; ScratchSize: 0
; MemoryBound: 0
; FloatMode: 240
; IeeeMode: 1
; LDSByteSize: 1068 bytes/workgroup (compile time only)
; SGPRBlocks: 0
; VGPRBlocks: 1
; NumSGPRsForWavesPerEU: 38
; NumVGPRsForWavesPerEU: 26
; NamedBarCnt: 0
; Occupancy: 16
; WaveLimiterHint : 1
; COMPUTE_PGM_RSRC2:SCRATCH_EN: 0
; COMPUTE_PGM_RSRC2:USER_SGPR: 2
; COMPUTE_PGM_RSRC2:TRAP_HANDLER: 0
; COMPUTE_PGM_RSRC2:TGID_X_EN: 1
; COMPUTE_PGM_RSRC2:TGID_Y_EN: 1
; COMPUTE_PGM_RSRC2:TGID_Z_EN: 1
; COMPUTE_PGM_RSRC2:TIDIG_COMP_CNT: 0
	.section	.text._ZN2at6native6sbtopk10gatherTopKIlmLi1ELb0EEEvNS_4cuda6detail10TensorInfoIKT_T0_EES8_S8_bS8_S8_NS5_IS6_S8_EES8_NS5_IlS8_EES8_PS6_,"axG",@progbits,_ZN2at6native6sbtopk10gatherTopKIlmLi1ELb0EEEvNS_4cuda6detail10TensorInfoIKT_T0_EES8_S8_bS8_S8_NS5_IS6_S8_EES8_NS5_IlS8_EES8_PS6_,comdat
	.protected	_ZN2at6native6sbtopk10gatherTopKIlmLi1ELb0EEEvNS_4cuda6detail10TensorInfoIKT_T0_EES8_S8_bS8_S8_NS5_IS6_S8_EES8_NS5_IlS8_EES8_PS6_ ; -- Begin function _ZN2at6native6sbtopk10gatherTopKIlmLi1ELb0EEEvNS_4cuda6detail10TensorInfoIKT_T0_EES8_S8_bS8_S8_NS5_IS6_S8_EES8_NS5_IlS8_EES8_PS6_
	.globl	_ZN2at6native6sbtopk10gatherTopKIlmLi1ELb0EEEvNS_4cuda6detail10TensorInfoIKT_T0_EES8_S8_bS8_S8_NS5_IS6_S8_EES8_NS5_IlS8_EES8_PS6_
	.p2align	8
	.type	_ZN2at6native6sbtopk10gatherTopKIlmLi1ELb0EEEvNS_4cuda6detail10TensorInfoIKT_T0_EES8_S8_bS8_S8_NS5_IS6_S8_EES8_NS5_IlS8_EES8_PS6_,@function
_ZN2at6native6sbtopk10gatherTopKIlmLi1ELb0EEEvNS_4cuda6detail10TensorInfoIKT_T0_EES8_S8_bS8_S8_NS5_IS6_S8_EES8_NS5_IlS8_EES8_PS6_: ; @_ZN2at6native6sbtopk10gatherTopKIlmLi1ELb0EEEvNS_4cuda6detail10TensorInfoIKT_T0_EES8_S8_bS8_S8_NS5_IS6_S8_EES8_NS5_IlS8_EES8_PS6_
; %bb.0:
	s_clause 0x1
	s_load_b128 s[36:39], s[0:1], 0x1b8
	s_load_b64 s[8:9], s[0:1], 0x520
	s_bfe_u32 s2, ttmp6, 0x40010
	s_and_b32 s3, ttmp7, 0xffff
	s_add_co_i32 s2, s2, 1
	s_bfe_u32 s5, ttmp6, 0x4000c
	s_mul_i32 s2, s3, s2
	s_bfe_u32 s4, ttmp6, 0x40004
	s_add_co_i32 s5, s5, 1
	s_bfe_u32 s6, ttmp6, 0x40014
	s_add_co_i32 s4, s4, s2
	s_and_b32 s2, ttmp6, 15
	s_mul_i32 s5, ttmp9, s5
	s_lshr_b32 s7, ttmp7, 16
	s_add_co_i32 s6, s6, 1
	s_add_co_i32 s2, s2, s5
	s_mul_i32 s5, s7, s6
	s_bfe_u32 s6, ttmp6, 0x40008
	s_getreg_b32 s10, hwreg(HW_REG_IB_STS2, 6, 4)
	s_add_co_i32 s6, s6, s5
	s_cmp_eq_u32 s10, 0
	s_mov_b32 s43, 0
	s_cselect_b32 s5, s7, s6
	s_cselect_b32 s3, s3, s4
	s_wait_kmcnt 0x0
	s_mul_i32 s5, s9, s5
	s_cselect_b32 s9, ttmp9, s2
	s_add_co_i32 s2, s5, s3
	s_delay_alu instid0(SALU_CYCLE_1) | instskip(NEXT) | instid1(SALU_CYCLE_1)
	s_mul_i32 s2, s2, s8
	s_add_co_i32 s42, s2, s9
	s_delay_alu instid0(SALU_CYCLE_1)
	v_cmp_le_u64_e64 s2, s[36:37], s[42:43]
	s_and_b32 vcc_lo, exec_lo, s2
	s_cbranch_vccnz .LBB156_467
; %bb.1:
	s_clause 0x2
	s_load_b128 s[28:31], s[0:1], 0x1a0
	s_load_b64 s[6:7], s[0:1], 0xd0
	s_load_b64 s[2:3], s[0:1], 0x0
	v_cmp_eq_u32_e64 s5, 0, v0
	s_add_nc_u64 s[10:11], s[0:1], 0x520
	s_and_saveexec_b32 s4, s5
	s_cbranch_execz .LBB156_3
; %bb.2:
	s_wait_kmcnt 0x0
	v_dual_mov_b32 v2, 0 :: v_dual_mov_b32 v4, s28
	s_delay_alu instid0(VALU_DEP_1)
	v_dual_mov_b32 v5, s29 :: v_dual_mov_b32 v3, v2
	ds_store_b32 v2, v2 offset:5144
	ds_store_b128 v2, v[2:5] offset:5120
.LBB156_3:
	s_or_b32 exec_lo, exec_lo, s4
	s_load_b64 s[12:13], s[0:1], 0x440
	v_dual_mov_b32 v21, 0 :: v_dual_lshlrev_b32 v22, 2, v0
                                        ; implicit-def: $vgpr66 : SGPR spill to VGPR lane
	v_mbcnt_lo_u32_b32 v17, -1, 0
	v_cmp_gt_u32_e32 vcc_lo, 32, v0
	s_delay_alu instid0(VALU_DEP_3) | instskip(SKIP_1) | instid1(VALU_DEP_4)
	v_dual_mov_b32 v1, v21 :: v_dual_lshlrev_b32 v46, 5, v0
	v_lshlrev_b32_e32 v47, 3, v0
	v_lshlrev_b64_e64 v[4:5], v17, -1
	s_mov_b32 s27, 0
	s_delay_alu instid0(VALU_DEP_3)
	v_or_b32_e32 v20, 24, v46
	v_mul_u64_e32 v[2:3], s[38:39], v[0:1]
	s_wait_kmcnt 0x0
	v_cmp_lt_u64_e64 s33, 0x180, s[28:29]
	v_mov_b64_e32 v[34:35], 0
	v_mov_b64_e32 v[38:39], s[30:31]
	v_mul_u64_e32 v[24:25], s[38:39], v[20:21]
	v_or_b32_e32 v20, 16, v46
	v_mov_b64_e32 v[6:7], 0
	v_mov_b64_e32 v[32:33], 0
	v_mov_b64_e32 v[36:37], 0
	v_writelane_b32 v66, s12, 0
	s_mov_b32 s35, s27
	v_dual_mov_b32 v23, v21 :: v_dual_add_nc_u32 v48, 0xc00, v47
	v_not_b32_e32 v16, v4
	v_writelane_b32 v66, s13, 1
	s_mul_u64 s[12:13], s[6:7], s[42:43]
	s_clause 0x1
	s_load_b64 s[6:7], s[0:1], 0x370
	s_load_b32 s4, s[0:1], 0x1b0
	s_lshl_b64 s[12:13], s[12:13], 3
	v_lshl_or_b32 v50, v17, 3, 0xc00
	s_add_nc_u64 s[40:41], s[2:3], s[12:13]
	v_cmp_gt_u64_e64 s3, s[28:29], v[0:1]
	v_cmp_eq_u32_e64 s2, 0, v17
	s_mov_b32 s86, 62
	s_mov_b32 s88, 0x4f800000
	;; [unrolled: 1-line block ×4, first 2 shown]
                                        ; implicit-def: $sgpr89
                                        ; implicit-def: $sgpr93
                                        ; implicit-def: $sgpr92
                                        ; implicit-def: $sgpr94
                                        ; implicit-def: $sgpr91
                                        ; implicit-def: $sgpr98
                                        ; implicit-def: $sgpr99
                                        ; implicit-def: $sgpr95
                                        ; implicit-def: $sgpr97
                                        ; implicit-def: $sgpr96
	v_lshl_add_u64 v[18:19], v[2:3], 3, s[40:41]
	v_lshlrev_b64_e32 v[30:31], 5, v[2:3]
	v_mov_b32_e32 v2, 1
	v_mul_u64_e32 v[26:27], s[38:39], v[20:21]
	s_wait_kmcnt 0x0
	v_writelane_b32 v66, s6, 2
	v_or_b32_e32 v20, 8, v46
	s_bitcmp1_b32 s4, 0
	s_cselect_b32 s4, -1, 0
	v_writelane_b32 v66, s7, 3
	s_clause 0x1
	s_load_b64 s[50:51], s[0:1], 0x298
	s_load_b64 s[6:7], s[0:1], 0x1c8
	s_wait_dscnt 0x0
	s_barrier_signal -1
	s_barrier_wait -1
	s_load_b32 s14, s[10:11], 0xc
	v_mul_u64_e32 v[28:29], s[38:39], v[20:21]
	s_xor_b32 s79, s4, -1
	s_wait_kmcnt 0x0
	v_writelane_b32 v66, s6, 4
	s_and_b32 s34, s14, 0xffff
	v_writelane_b32 v66, s7, 5
	v_cmp_gt_i32_e64 s7, 4, v17
	v_cmp_gt_u32_e64 s6, 2, v0
	s_add_nc_u64 s[52:53], s[34:35], -1
	s_delay_alu instid0(SALU_CYCLE_1)
	s_add_nc_u64 s[54:55], s[52:53], s[28:29]
	s_and_b32 s78, vcc_lo, s7
	s_bfe_u32 s7, s14, 0xb0005
	s_cmp_gt_u32 s34, 31
	s_cselect_b32 s80, -1, 0
	s_cmp_lt_u32 s9, s8
	s_cselect_b32 s26, 12, 18
	s_add_co_i32 s8, s7, -1
	s_bfe_u32 s81, s34, 0x30005
	s_and_b32 s8, s8, 0xffff
	s_add_nc_u64 s[60:61], s[10:11], s[26:27]
	s_cmp_gt_u32 s8, 6
	s_movk_i32 s8, 0x3e0
	s_cselect_b32 s82, -1, 0
	s_and_b32 s83, s7, 0x7f8
	v_and_or_b32 v49, v0, s8, 0xc00
	s_cmp_lg_u32 s81, 0
	s_mul_u64 s[8:9], s[38:39], s[34:35]
	s_cselect_b32 s84, -1, 0
	s_lshl_b64 s[56:57], s[38:39], 3
	s_lshl_b64 s[58:59], s[38:39], 5
	s_lshl_b32 s85, s34, 3
	s_lshl_b64 s[36:37], s[8:9], 3
	s_and_b64 s[62:63], s[28:29], 0xffffffff00000000
	s_branch .LBB156_6
.LBB156_4:                              ;   in Loop: Header=BB156_6 Depth=1
	s_or_b32 exec_lo, exec_lo, s10
	v_mov_b64_e32 v[38:39], v[40:41]
	s_and_not1_b32 s10, s96, exec_lo
	s_and_b32 s9, s9, exec_lo
	s_and_not1_b32 s97, s97, exec_lo
	s_or_b32 s96, s10, s9
	s_and_not1_b32 s95, s95, exec_lo
	s_and_not1_b32 s99, s99, exec_lo
	;; [unrolled: 1-line block ×3, first 2 shown]
	s_or_not1_b32 s8, s8, exec_lo
.LBB156_5:                              ;   in Loop: Header=BB156_6 Depth=1
	s_or_b32 exec_lo, exec_lo, s7
	s_delay_alu instid0(SALU_CYCLE_1) | instskip(NEXT) | instid1(SALU_CYCLE_1)
	s_and_b32 s7, exec_lo, s8
	s_or_b32 s87, s7, s87
	s_and_not1_b32 s7, s91, exec_lo
	s_and_b32 s8, s96, exec_lo
	s_and_not1_b32 s9, s94, exec_lo
	s_or_b32 s91, s7, s8
	s_and_b32 s7, s97, exec_lo
	s_and_not1_b32 s8, s92, exec_lo
	s_and_b32 s10, s95, exec_lo
	s_or_b32 s94, s9, s7
	s_or_b32 s92, s8, s10
	s_and_not1_b32 s7, s93, exec_lo
	s_and_b32 s8, s99, exec_lo
	s_and_not1_b32 s9, s89, exec_lo
	s_and_b32 s10, s98, exec_lo
	s_or_b32 s93, s7, s8
	s_or_b32 s89, s9, s10
	s_and_not1_b32 exec_lo, exec_lo, s87
	s_cbranch_execz .LBB156_463
.LBB156_6:                              ; =>This Loop Header: Depth=1
                                        ;     Child Loop BB156_12 Depth 2
                                        ;     Child Loop BB156_25 Depth 2
	;; [unrolled: 1-line block ×24, first 2 shown]
	ds_load_b128 v[8:11], v21 offset:5120
	s_wait_dscnt 0x0
	v_readfirstlane_b32 s65, v9
	v_readfirstlane_b32 s64, v8
	s_cmp_lg_u64 s[64:65], 0
	s_cbranch_scc1 .LBB156_33
; %bb.7:                                ;   in Loop: Header=BB156_6 Depth=1
	s_and_b32 vcc_lo, exec_lo, s33
	s_cbranch_vccz .LBB156_20
; %bb.8:                                ;   in Loop: Header=BB156_6 Depth=1
	v_cmp_gt_u64_e32 vcc_lo, 0x181, v[10:11]
	s_mov_b32 s9, 0
	s_mov_b32 s7, 0
	s_cbranch_vccz .LBB156_21
; %bb.9:                                ;   in Loop: Header=BB156_6 Depth=1
	s_and_saveexec_b32 s10, s3
	s_cbranch_execz .LBB156_87
; %bb.10:                               ;   in Loop: Header=BB156_6 Depth=1
	global_load_u16 v3, v21, s[60:61]
	global_load_b64 v[4:5], v[18:19], off
	v_mov_b64_e32 v[12:13], v[0:1]
	s_mov_b32 s11, 0
	s_wait_loadcnt 0x1
	v_and_b32_e32 v20, 0xffff, v3
	s_delay_alu instid0(VALU_DEP_1) | instskip(SKIP_1) | instid1(VALU_DEP_1)
	v_mul_u64_e32 v[8:9], s[56:57], v[20:21]
	v_add_nc_u32_e32 v3, v0, v20
	v_mad_nc_u64_u32 v[10:11], s56, v3, s[40:41]
	s_delay_alu instid0(VALU_DEP_1)
	v_mad_u32 v11, s57, v3, v11
	s_branch .LBB156_12
.LBB156_11:                             ;   in Loop: Header=BB156_12 Depth=2
	s_or_b32 exec_lo, exec_lo, s8
	v_add_nc_u64_e32 v[10:11], v[10:11], v[8:9]
	v_mov_b64_e32 v[4:5], v[14:15]
	s_and_not1_b32 exec_lo, exec_lo, s11
	s_cbranch_execz .LBB156_87
.LBB156_12:                             ;   Parent Loop BB156_6 Depth=1
                                        ; =>  This Inner Loop Header: Depth=2
	v_add_nc_u64_e32 v[12:13], v[12:13], v[20:21]
	v_mov_b64_e32 v[14:15], 0
	s_mov_b32 s8, exec_lo
	s_delay_alu instid0(VALU_DEP_2)
	v_cmp_le_u64_e32 vcc_lo, s[28:29], v[12:13]
	s_wait_xcnt 0x0
	v_cmpx_gt_u64_e64 s[28:29], v[12:13]
	s_cbranch_execz .LBB156_14
; %bb.13:                               ;   in Loop: Header=BB156_12 Depth=2
	global_load_b64 v[14:15], v[10:11], off
.LBB156_14:                             ;   in Loop: Header=BB156_12 Depth=2
	s_wait_xcnt 0x0
	s_or_b32 exec_lo, exec_lo, s8
	s_wait_loadcnt_dscnt 0x0
	v_xor_b32_e32 v3, 0x80000000, v5
	v_and_b32_e32 v40, v4, v36
	s_delay_alu instid0(VALU_DEP_2) | instskip(NEXT) | instid1(VALU_DEP_1)
	v_dual_mov_b32 v3, 0 :: v_dual_bitop2_b32 v41, v3, v37 bitop3:0x40
	v_cmp_eq_u64_e64 s7, v[40:41], v[32:33]
	s_cmp_lg_u32 s7, 0
	s_cselect_b32 s8, -1, 0
	s_delay_alu instid0(SALU_CYCLE_1) | instskip(NEXT) | instid1(SALU_CYCLE_1)
	s_and_b32 s8, s2, s8
	s_and_saveexec_b32 s12, s8
	s_cbranch_execz .LBB156_18
; %bb.15:                               ;   in Loop: Header=BB156_12 Depth=2
	s_mov_b32 s15, exec_lo
	s_bcnt1_i32_b32 s13, s7
	v_mbcnt_lo_u32_b32 v3, s15, 0
	s_mov_b32 s14, exec_lo
                                        ; implicit-def: $vgpr40
	s_delay_alu instid0(VALU_DEP_1)
	v_cmpx_eq_u32_e32 0, v3
; %bb.16:                               ;   in Loop: Header=BB156_12 Depth=2
	s_bcnt1_i32_b32 s8, s15
	s_delay_alu instid0(SALU_CYCLE_1) | instskip(NEXT) | instid1(SALU_CYCLE_1)
	s_mul_i32 s8, s13, s8
	v_mov_b32_e32 v40, s8
	ds_add_rtn_u32 v40, v21, v40 offset:5144
; %bb.17:                               ;   in Loop: Header=BB156_12 Depth=2
	s_or_b32 exec_lo, exec_lo, s14
	s_wait_dscnt 0x0
	v_readfirstlane_b32 s8, v40
	s_delay_alu instid0(VALU_DEP_1)
	v_mad_u32_u24 v3, s13, v3, s8
.LBB156_18:                             ;   in Loop: Header=BB156_12 Depth=2
	s_or_b32 exec_lo, exec_lo, s12
	ds_bpermute_b32 v3, v21, v3
	s_and_b32 s8, exec_lo, vcc_lo
	s_delay_alu instid0(SALU_CYCLE_1)
	s_or_b32 s11, s8, s11
	s_and_saveexec_b32 s8, s7
	s_cbranch_execz .LBB156_11
; %bb.19:                               ;   in Loop: Header=BB156_12 Depth=2
	v_and_b32_e32 v40, s7, v16
	s_delay_alu instid0(VALU_DEP_1) | instskip(NEXT) | instid1(VALU_DEP_1)
	v_bcnt_u32_b32 v40, v40, 0
	v_lshlrev_b32_e32 v40, 3, v40
	s_wait_dscnt 0x0
	s_delay_alu instid0(VALU_DEP_1)
	v_lshl_add_u32 v3, v3, 3, v40
	ds_store_b64 v3, v[4:5]
	s_branch .LBB156_11
.LBB156_20:                             ;   in Loop: Header=BB156_6 Depth=1
	s_mov_b32 s9, -1
	s_mov_b32 s7, 0
.LBB156_21:                             ;   in Loop: Header=BB156_6 Depth=1
	s_and_b32 vcc_lo, exec_lo, s9
	s_cbranch_vccz .LBB156_31
.LBB156_22:                             ;   in Loop: Header=BB156_6 Depth=1
	s_and_saveexec_b32 s7, s3
	s_cbranch_execz .LBB156_28
; %bb.23:                               ;   in Loop: Header=BB156_6 Depth=1
	global_load_u16 v3, v21, s[60:61]
	global_load_b64 v[4:5], v[18:19], off
	s_mov_b32 s8, exec_lo
	s_wait_loadcnt 0x1
	v_and_b32_e32 v8, 0xffff, v3
	v_mov_b32_e32 v3, v0
	s_delay_alu instid0(VALU_DEP_2) | instskip(SKIP_1) | instid1(VALU_DEP_1)
	v_add_nc_u32_e32 v20, v8, v0
	s_wait_xcnt 0x0
	v_cmpx_gt_u64_e64 s[28:29], v[20:21]
	s_cbranch_execz .LBB156_27
; %bb.24:                               ;   in Loop: Header=BB156_6 Depth=1
	v_mov_b32_e32 v9, v21
	v_mad_nc_u64_u32 v[12:13], s56, v20, s[40:41]
	v_mov_b64_e32 v[14:15], v[20:21]
	v_mov_b64_e32 v[42:43], v[0:1]
	s_mov_b32 s9, 0
	v_mul_u64_e32 v[10:11], s[56:57], v[8:9]
	s_delay_alu instid0(VALU_DEP_4)
	v_mad_u32 v13, s57, v20, v13
.LBB156_25:                             ;   Parent Loop BB156_6 Depth=1
                                        ; =>  This Inner Loop Header: Depth=2
	global_load_b64 v[40:41], v[12:13], off
	v_mov_b64_e32 v[44:45], v[14:15]
	v_lshlrev_b32_e32 v3, 3, v42
	s_wait_xcnt 0x0
	v_add_nc_u64_e32 v[12:13], v[12:13], v[10:11]
	s_wait_loadcnt 0x1
	ds_store_b64 v3, v[4:5]
	v_add_nc_u64_e32 v[14:15], v[44:45], v[8:9]
	v_mov_b64_e32 v[42:43], v[44:45]
	s_delay_alu instid0(VALU_DEP_2)
	v_cmp_le_u64_e32 vcc_lo, s[28:29], v[14:15]
	s_or_b32 s9, vcc_lo, s9
	s_wait_loadcnt 0x0
	v_mov_b64_e32 v[4:5], v[40:41]
	s_and_not1_b32 exec_lo, exec_lo, s9
	s_cbranch_execnz .LBB156_25
; %bb.26:                               ;   in Loop: Header=BB156_6 Depth=1
	s_or_b32 exec_lo, exec_lo, s9
	v_mov_b64_e32 v[4:5], v[40:41]
	v_sub_nc_u32_e32 v3, v14, v8
.LBB156_27:                             ;   in Loop: Header=BB156_6 Depth=1
	s_or_b32 exec_lo, exec_lo, s8
	s_delay_alu instid0(VALU_DEP_1)
	v_lshlrev_b32_e32 v3, 3, v3
	s_wait_loadcnt 0x0
	ds_store_b64 v3, v[4:5]
.LBB156_28:                             ;   in Loop: Header=BB156_6 Depth=1
	s_or_b32 exec_lo, exec_lo, s7
	s_wait_dscnt 0x0
	s_barrier_signal -1
	s_barrier_wait -1
	s_and_saveexec_b32 s7, s5
; %bb.29:                               ;   in Loop: Header=BB156_6 Depth=1
	v_mov_b64_e32 v[4:5], s[28:29]
	ds_store_b64 v21, v[4:5] offset:5120
; %bb.30:                               ;   in Loop: Header=BB156_6 Depth=1
	s_or_b32 exec_lo, exec_lo, s7
	s_mov_b32 s7, -1
	s_wait_dscnt 0x0
	s_barrier_signal -1
	s_barrier_wait -1
.LBB156_31:                             ;   in Loop: Header=BB156_6 Depth=1
	s_and_b32 vcc_lo, exec_lo, s7
	s_mov_b64 s[64:65], 0
	s_cbranch_vccz .LBB156_33
; %bb.32:                               ;   in Loop: Header=BB156_6 Depth=1
	ds_load_b64 v[4:5], v21 offset:5120
	s_wait_dscnt 0x0
	v_readfirstlane_b32 s64, v4
	v_readfirstlane_b32 s65, v5
.LBB156_33:                             ;   in Loop: Header=BB156_6 Depth=1
	s_delay_alu instid0(VALU_DEP_2)
	s_cmp_lt_i32 s64, 1
	s_mov_b32 s7, -1
                                        ; implicit-def: $vgpr14_vgpr15
                                        ; implicit-def: $vgpr10_vgpr11
	s_cbranch_scc1 .LBB156_43
; %bb.34:                               ;   in Loop: Header=BB156_6 Depth=1
	s_and_b32 vcc_lo, exec_lo, s7
	s_cbranch_vccnz .LBB156_57
.LBB156_35:                             ;   in Loop: Header=BB156_6 Depth=1
	s_lshl_b32 s7, s90, 7
	s_and_saveexec_b32 s8, s2
	s_cbranch_execz .LBB156_37
.LBB156_36:                             ;   in Loop: Header=BB156_6 Depth=1
	v_lshl_add_u32 v3, s7, 3, v49
	ds_store_b128 v3, v[8:11]
	ds_store_b128 v3, v[12:15] offset:16
.LBB156_37:                             ;   in Loop: Header=BB156_6 Depth=1
	s_or_b32 exec_lo, exec_lo, s8
	s_wait_dscnt 0x0
	s_barrier_signal -1
	s_barrier_wait -1
	s_and_saveexec_b32 s8, s78
	s_cbranch_execz .LBB156_71
; %bb.38:                               ;   in Loop: Header=BB156_6 Depth=1
	v_mov_b64_e32 v[4:5], 0
	s_and_not1_b32 vcc_lo, exec_lo, s80
	s_cbranch_vccnz .LBB156_70
; %bb.39:                               ;   in Loop: Header=BB156_6 Depth=1
	v_mov_b64_e32 v[4:5], 0
	s_and_not1_b32 vcc_lo, exec_lo, s82
	s_cbranch_vccnz .LBB156_67
; %bb.40:                               ;   in Loop: Header=BB156_6 Depth=1
	v_lshl_add_u32 v3, s90, 10, v50
	s_mov_b32 s9, 0
.LBB156_41:                             ;   Parent Loop BB156_6 Depth=1
                                        ; =>  This Inner Loop Header: Depth=2
	ds_load_2addr_b64 v[8:11], v3 offset1:4
	ds_load_2addr_b64 v[12:15], v3 offset0:8 offset1:12
	s_add_co_i32 s9, s9, 8
	s_delay_alu instid0(SALU_CYCLE_1) | instskip(SKIP_2) | instid1(VALU_DEP_1)
	s_cmp_eq_u32 s83, s9
	s_wait_dscnt 0x1
	v_add_nc_u64_e32 v[4:5], v[8:9], v[4:5]
	v_add_nc_u64_e32 v[4:5], v[10:11], v[4:5]
	ds_load_2addr_b64 v[8:11], v3 offset0:16 offset1:20
	s_wait_dscnt 0x1
	v_add_nc_u64_e32 v[4:5], v[12:13], v[4:5]
	s_delay_alu instid0(VALU_DEP_1) | instskip(SKIP_4) | instid1(VALU_DEP_1)
	v_add_nc_u64_e32 v[4:5], v[14:15], v[4:5]
	ds_load_2addr_b64 v[12:15], v3 offset0:24 offset1:28
	v_add_nc_u32_e32 v3, 0x100, v3
	s_wait_dscnt 0x1
	v_add_nc_u64_e32 v[4:5], v[8:9], v[4:5]
	v_add_nc_u64_e32 v[4:5], v[10:11], v[4:5]
	s_wait_dscnt 0x0
	s_delay_alu instid0(VALU_DEP_1) | instskip(NEXT) | instid1(VALU_DEP_1)
	v_add_nc_u64_e32 v[4:5], v[12:13], v[4:5]
	v_add_nc_u64_e32 v[4:5], v[14:15], v[4:5]
	s_cbranch_scc0 .LBB156_41
; %bb.42:                               ;   in Loop: Header=BB156_6 Depth=1
	s_mov_b32 s9, s83
	s_and_not1_b32 vcc_lo, exec_lo, s84
	s_cbranch_vccz .LBB156_68
	s_branch .LBB156_70
.LBB156_43:                             ;   in Loop: Header=BB156_6 Depth=1
	global_load_u16 v3, v21, s[60:61]
	s_mov_b32 s67, s27
	s_wait_loadcnt 0x0
	v_readfirstlane_b32 s7, v3
	s_and_b32 s7, 0xffff, s7
	s_delay_alu instid0(SALU_CYCLE_1)
	s_lshl_b32 s66, s7, 2
	s_cmp_lg_u64 s[62:63], 0
	s_cbranch_scc0 .LBB156_66
; %bb.44:                               ;   in Loop: Header=BB156_6 Depth=1
	s_cvt_f32_u32 s7, s66
	s_sub_nc_u64 s[10:11], 0, s[66:67]
	s_delay_alu instid0(SALU_CYCLE_2) | instskip(NEXT) | instid1(SALU_CYCLE_3)
	s_fmamk_f32 s7, s88, 0x0, s7
	v_s_rcp_f32 s7, s7
	s_delay_alu instid0(TRANS32_DEP_1) | instskip(NEXT) | instid1(SALU_CYCLE_3)
	s_mul_f32 s7, s7, 0x5f7ffffc
	s_mul_f32 s8, s7, 0x2f800000
	s_delay_alu instid0(SALU_CYCLE_3) | instskip(NEXT) | instid1(SALU_CYCLE_3)
	s_trunc_f32 s8, s8
	s_fmamk_f32 s7, s8, 0xcf800000, s7
	s_cvt_u32_f32 s9, s8
	s_delay_alu instid0(SALU_CYCLE_2) | instskip(NEXT) | instid1(SALU_CYCLE_3)
	s_cvt_u32_f32 s8, s7
	s_mul_u64 s[12:13], s[10:11], s[8:9]
	s_delay_alu instid0(SALU_CYCLE_1)
	s_mul_hi_u32 s15, s8, s13
	s_mul_i32 s14, s8, s13
	s_mul_hi_u32 s26, s8, s12
	s_mul_i32 s16, s9, s12
	s_add_nc_u64 s[14:15], s[26:27], s[14:15]
	s_mul_hi_u32 s7, s9, s12
	s_mul_hi_u32 s17, s9, s13
	s_mul_i32 s12, s9, s13
	s_add_co_u32 s13, s14, s16
	s_add_co_ci_u32 s26, s15, s7
	s_add_co_ci_u32 s13, s17, 0
	s_delay_alu instid0(SALU_CYCLE_1) | instskip(NEXT) | instid1(SALU_CYCLE_1)
	s_add_nc_u64 s[12:13], s[26:27], s[12:13]
	s_add_co_u32 s8, s8, s12
	s_cselect_b32 s7, -1, 0
	s_delay_alu instid0(SALU_CYCLE_1) | instskip(SKIP_1) | instid1(SALU_CYCLE_1)
	s_cmp_lg_u32 s7, 0
	s_add_co_ci_u32 s9, s9, s13
	s_mul_u64 s[10:11], s[10:11], s[8:9]
	s_delay_alu instid0(SALU_CYCLE_1)
	s_mul_hi_u32 s13, s8, s11
	s_mul_i32 s12, s8, s11
	s_mul_hi_u32 s26, s8, s10
	s_mul_i32 s14, s9, s10
	s_add_nc_u64 s[12:13], s[26:27], s[12:13]
	s_mul_hi_u32 s7, s9, s10
	s_mul_hi_u32 s15, s9, s11
	s_mul_i32 s10, s9, s11
	s_add_co_u32 s11, s12, s14
	s_add_co_ci_u32 s26, s13, s7
	s_add_co_ci_u32 s11, s15, 0
	s_delay_alu instid0(SALU_CYCLE_1) | instskip(NEXT) | instid1(SALU_CYCLE_1)
	s_add_nc_u64 s[10:11], s[26:27], s[10:11]
	s_add_co_u32 s7, s8, s10
	s_cselect_b32 s8, -1, 0
	s_mul_hi_u32 s26, s28, s7
	s_cmp_lg_u32 s8, 0
	s_mul_hi_u32 s12, s29, s7
	s_add_co_ci_u32 s10, s9, s11
	s_mul_i32 s7, s29, s7
	s_mul_hi_u32 s9, s28, s10
	s_mul_i32 s8, s28, s10
	s_mul_hi_u32 s11, s29, s10
	s_add_nc_u64 s[8:9], s[26:27], s[8:9]
	s_mul_i32 s10, s29, s10
	s_add_co_u32 s7, s8, s7
	s_add_co_ci_u32 s26, s9, s12
	s_add_co_ci_u32 s11, s11, 0
	s_delay_alu instid0(SALU_CYCLE_1) | instskip(NEXT) | instid1(SALU_CYCLE_1)
	s_add_nc_u64 s[8:9], s[26:27], s[10:11]
	s_and_b64 s[10:11], s[8:9], 0xffffffff00000000
	s_delay_alu instid0(SALU_CYCLE_1) | instskip(NEXT) | instid1(SALU_CYCLE_1)
	s_or_b32 s10, s10, s8
	s_mul_u64 s[8:9], s[66:67], s[10:11]
	s_delay_alu instid0(SALU_CYCLE_1) | instskip(SKIP_1) | instid1(SALU_CYCLE_1)
	s_sub_co_u32 s7, s28, s8
	s_cselect_b32 s8, -1, 0
	s_cmp_lg_u32 s8, 0
	s_sub_co_ci_u32 s8, s29, s9
	s_sub_co_u32 s9, s7, s66
	s_cselect_b32 s10, -1, 0
	s_delay_alu instid0(SALU_CYCLE_1) | instskip(SKIP_3) | instid1(SALU_CYCLE_1)
	s_cmp_lg_u32 s10, 0
	s_sub_co_ci_u32 s10, s8, 0
	s_sub_co_u32 s11, s9, s66
	s_cselect_b32 s12, -1, 0
	s_cmp_lg_u32 s12, 0
	s_sub_co_ci_u32 s12, s10, 0
	s_cmp_ge_u32 s9, s66
	s_cselect_b32 s13, -1, 0
	s_cmp_eq_u32 s10, 0
	s_cselect_b32 s13, s13, -1
	s_delay_alu instid0(SALU_CYCLE_1)
	s_cmp_lg_u32 s13, 0
	s_cselect_b32 s10, s12, s10
	s_cselect_b32 s11, s11, s9
	s_cmp_ge_u32 s7, s66
	s_cselect_b32 s9, -1, 0
	s_cmp_eq_u32 s8, 0
	s_cselect_b32 s9, s9, -1
	s_delay_alu instid0(SALU_CYCLE_1)
	s_cmp_lg_u32 s9, 0
	s_cselect_b32 s9, s10, s8
	s_cselect_b32 s8, s11, s7
	s_cbranch_execnz .LBB156_46
.LBB156_45:                             ;   in Loop: Header=BB156_6 Depth=1
	v_cvt_f32_u32_e32 v4, s66
	s_sub_co_i32 s8, 0, s66
	s_delay_alu instid0(VALU_DEP_1) | instskip(SKIP_1) | instid1(TRANS32_DEP_1)
	v_rcp_iflag_f32_e32 v4, v4
	v_nop
	v_mul_f32_e32 v4, 0x4f7ffffe, v4
	s_delay_alu instid0(VALU_DEP_1) | instskip(NEXT) | instid1(VALU_DEP_1)
	v_cvt_u32_f32_e32 v4, v4
	v_readfirstlane_b32 s7, v4
	s_mul_i32 s8, s8, s7
	s_delay_alu instid0(SALU_CYCLE_1) | instskip(NEXT) | instid1(SALU_CYCLE_1)
	s_mul_hi_u32 s8, s7, s8
	s_add_co_i32 s7, s7, s8
	s_delay_alu instid0(SALU_CYCLE_1) | instskip(NEXT) | instid1(SALU_CYCLE_1)
	s_mul_hi_u32 s7, s28, s7
	s_mul_i32 s7, s7, s66
	s_delay_alu instid0(SALU_CYCLE_1) | instskip(NEXT) | instid1(SALU_CYCLE_1)
	s_sub_co_i32 s7, s28, s7
	s_sub_co_i32 s8, s7, s66
	s_cmp_ge_u32 s7, s66
	s_cselect_b32 s7, s8, s7
	s_delay_alu instid0(SALU_CYCLE_1) | instskip(SKIP_2) | instid1(SALU_CYCLE_1)
	s_sub_co_i32 s8, s7, s66
	s_cmp_ge_u32 s7, s66
	s_cselect_b32 s26, s8, s7
	s_mov_b64 s[8:9], s[26:27]
.LBB156_46:                             ;   in Loop: Header=BB156_6 Depth=1
	v_mov_b64_e32 v[8:9], 0
	v_mov_b64_e32 v[10:11], 0
	;; [unrolled: 1-line block ×4, first 2 shown]
	v_and_b32_e32 v4, 0xffff, v3
	v_mov_b32_e32 v5, v21
	s_sub_nc_u64 s[68:69], s[28:29], s[8:9]
	s_mov_b32 s100, exec_lo
	v_cmpx_gt_u64_e64 s[68:69], v[22:23]
	s_cbranch_execz .LBB156_50
; %bb.47:                               ;   in Loop: Header=BB156_6 Depth=1
	v_mul_u64_e32 v[40:41], s[58:59], v[4:5]
	v_mov_b64_e32 v[42:43], s[40:41]
	v_mov_b64_e32 v[44:45], v[22:23]
	s_mov_b64 s[70:71], 0
	s_mov_b32 s101, 0
	s_mov_b64 s[72:73], 0
	s_mov_b64 s[74:75], 0
	;; [unrolled: 1-line block ×3, first 2 shown]
.LBB156_48:                             ;   Parent Loop BB156_6 Depth=1
                                        ; =>  This Inner Loop Header: Depth=2
	v_add_nc_u64_e32 v[8:9], v[42:43], v[30:31]
	v_add_nc_u64_e32 v[10:11], v[42:43], v[28:29]
	;; [unrolled: 1-line block ×6, first 2 shown]
	s_clause 0x3
	global_load_b64 v[14:15], v[8:9], off
	global_load_b64 v[12:13], v[10:11], off
	;; [unrolled: 1-line block ×4, first 2 shown]
	s_wait_xcnt 0x1
	v_dual_mov_b32 v57, v21 :: v_dual_mov_b32 v53, v21
	s_wait_xcnt 0x0
	v_mov_b32_e32 v55, v21
	v_cmp_le_u64_e32 vcc_lo, s[68:69], v[44:45]
	s_wait_loadcnt 0x3
	v_xor_b32_e32 v15, 0x80000000, v15
	s_wait_loadcnt 0x2
	v_xor_b32_e32 v13, 0x80000000, v13
	;; [unrolled: 2-line block ×3, first 2 shown]
	v_and_b32_e32 v58, v14, v36
	s_wait_loadcnt 0x0
	v_xor_b32_e32 v9, 0x80000000, v9
	v_and_b32_e32 v59, v15, v37
	v_lshrrev_b64 v[14:15], s86, v[14:15]
	v_and_b32_e32 v60, v12, v36
	v_and_b32_e32 v61, v13, v37
	v_lshrrev_b64 v[12:13], s86, v[12:13]
	v_and_b32_e32 v62, v10, v36
	;; [unrolled: 3-line block ×4, first 2 shown]
	v_and_b32_e32 v52, 3, v12
	v_cmp_eq_u64_e64 s7, v[58:59], v[32:33]
	v_and_b32_e32 v54, 3, v10
	v_cmp_eq_u64_e64 s8, v[60:61], v[32:33]
	v_cmp_eq_u64_e64 s11, 0, v[20:21]
	v_and_b32_e32 v56, 3, v8
	v_cmp_eq_u64_e64 s12, 0, v[52:53]
	v_cmp_eq_u64_e64 s9, v[62:63], v[32:33]
	;; [unrolled: 1-line block ×5, first 2 shown]
	s_and_b32 s11, s7, s11
	v_cmp_eq_u64_e64 s15, 1, v[20:21]
	v_cndmask_b32_e64 v3, 0, 1, s11
	s_and_b32 s11, s8, s12
	v_cmp_eq_u64_e64 s16, 1, v[52:53]
	v_cndmask_b32_e64 v8, 0, 1, s11
	s_and_b32 s11, s9, s13
	v_cmp_eq_u64_e64 s17, 1, v[54:55]
	v_cndmask_b32_e64 v9, 0, 1, s11
	s_and_b32 s11, s10, s14
	v_cmp_eq_u64_e64 s18, 1, v[56:57]
	v_cndmask_b32_e64 v10, 0, 1, s11
	s_and_b32 s11, s7, s15
	v_cmp_eq_u64_e64 s19, 2, v[20:21]
	v_cmp_eq_u64_e64 s23, 3, v[20:21]
	v_cndmask_b32_e64 v11, 0, 1, s11
	s_and_b32 s11, s8, s16
	v_cmp_eq_u64_e64 s24, 3, v[52:53]
	v_cndmask_b32_e64 v12, 0, 1, s11
	s_and_b32 s11, s9, s17
	v_cmp_eq_u64_e64 s20, 2, v[52:53]
	v_cmp_eq_u64_e64 s25, 3, v[54:55]
	v_cndmask_b32_e64 v13, 0, 1, s11
	s_and_b32 s11, s10, s18
	v_cmp_eq_u64_e64 s21, 2, v[54:55]
	v_cmp_eq_u64_e64 s26, 3, v[56:57]
	v_cndmask_b32_e64 v14, 0, 1, s11
	s_and_b32 s11, s7, s19
	s_and_b32 s7, s7, s23
	v_cmp_eq_u64_e64 s22, 2, v[56:57]
	v_cndmask_b32_e64 v53, 0, 1, s7
	s_and_b32 s7, s8, s24
	v_cndmask_b32_e64 v15, 0, 1, s11
	s_and_b32 s11, s8, s20
	;; [unrolled: 2-line block ×6, first 2 shown]
	v_cndmask_b32_e64 v56, 0, 1, s7
	v_cmp_ne_u32_e64 s7, 0, v3
	v_cmp_ne_u32_e64 s8, 0, v8
	v_cndmask_b32_e64 v52, 0, 1, s11
	v_cmp_ne_u32_e64 s9, 0, v9
	v_cmp_ne_u32_e64 s11, 0, v11
	;; [unrolled: 1-line block ×7, first 2 shown]
	s_bcnt1_i32_b32 s7, s7
	s_bcnt1_i32_b32 s8, s8
	v_cmp_ne_u32_e64 s14, 0, v14
	v_cmp_ne_u32_e64 s17, 0, v51
	;; [unrolled: 1-line block ×4, first 2 shown]
	s_bcnt1_i32_b32 s9, s9
	s_bcnt1_i32_b32 s11, s11
	;; [unrolled: 1-line block ×3, first 2 shown]
	s_add_co_i32 s7, s8, s7
	v_cmp_ne_u32_e64 s18, 0, v52
	v_cmp_ne_u32_e64 s21, 0, v55
	s_bcnt1_i32_b32 s10, s10
	s_bcnt1_i32_b32 s13, s13
	;; [unrolled: 1-line block ×4, first 2 shown]
	s_add_co_i32 s8, s12, s11
	s_add_co_i32 s7, s7, s9
	v_cmp_ne_u32_e64 s22, 0, v56
	s_bcnt1_i32_b32 s14, s14
	s_bcnt1_i32_b32 s17, s17
	;; [unrolled: 1-line block ×4, first 2 shown]
	s_add_co_i32 s11, s16, s15
	s_add_co_i32 s8, s8, s13
	;; [unrolled: 1-line block ×3, first 2 shown]
	s_bcnt1_i32_b32 s18, s18
	s_bcnt1_i32_b32 s21, s21
	s_add_co_i32 s12, s20, s19
	s_add_co_i32 s9, s11, s17
	s_add_nc_u64 s[76:77], s[76:77], s[26:27]
	s_add_co_i32 s26, s8, s14
	s_bcnt1_i32_b32 s22, s22
	s_add_co_i32 s11, s12, s21
	s_add_nc_u64 s[74:75], s[74:75], s[26:27]
	s_add_co_i32 s26, s9, s18
	v_mov_b64_e32 v[8:9], s[76:77]
	s_add_nc_u64 s[72:73], s[72:73], s[26:27]
	s_add_co_i32 s26, s11, s22
	v_mov_b64_e32 v[10:11], s[74:75]
	s_add_nc_u64 s[70:71], s[70:71], s[26:27]
	v_mov_b64_e32 v[12:13], s[72:73]
	v_mov_b64_e32 v[14:15], s[70:71]
	s_or_b32 s101, vcc_lo, s101
	s_delay_alu instid0(SALU_CYCLE_1)
	s_and_not1_b32 exec_lo, exec_lo, s101
	s_cbranch_execnz .LBB156_48
; %bb.49:                               ;   in Loop: Header=BB156_6 Depth=1
	s_or_b32 exec_lo, exec_lo, s101
.LBB156_50:                             ;   in Loop: Header=BB156_6 Depth=1
	s_delay_alu instid0(SALU_CYCLE_1) | instskip(SKIP_2) | instid1(VALU_DEP_1)
	s_or_b32 exec_lo, exec_lo, s100
	v_add_nc_u64_e32 v[40:41], s[68:69], v[0:1]
	s_mov_b32 s10, exec_lo
	v_cmpx_gt_u64_e64 s[28:29], v[40:41]
	s_cbranch_execz .LBB156_56
; %bb.51:                               ;   in Loop: Header=BB156_6 Depth=1
	v_mul_u64_e32 v[42:43], s[38:39], v[40:41]
	s_mov_b32 s11, 0
	s_delay_alu instid0(VALU_DEP_1)
	v_lshl_add_u64 v[42:43], v[42:43], 3, s[40:41]
	global_load_b64 v[44:45], v[42:43], off
	s_branch .LBB156_53
.LBB156_52:                             ;   in Loop: Header=BB156_53 Depth=2
	s_wait_xcnt 0x0
	s_or_b32 exec_lo, exec_lo, s8
	s_wait_loadcnt 0x0
	v_xor_b32_e32 v45, 0x80000000, v45
	s_and_b32 s9, exec_lo, vcc_lo
	s_delay_alu instid0(SALU_CYCLE_1) | instskip(NEXT) | instid1(VALU_DEP_1)
	s_or_b32 s11, s9, s11
	v_lshrrev_b64 v[52:53], s86, v[44:45]
	v_and_b32_e32 v44, v44, v36
	v_and_b32_e32 v45, v45, v37
	s_delay_alu instid0(VALU_DEP_1) | instskip(NEXT) | instid1(VALU_DEP_4)
	v_cmp_eq_u64_e64 s7, v[44:45], v[32:33]
	v_and_b32_e32 v20, 3, v52
	v_mov_b64_e32 v[44:45], v[42:43]
	s_delay_alu instid0(VALU_DEP_2)
	v_cmp_eq_u64_e64 s8, 0, v[20:21]
	v_cmp_eq_u64_e32 vcc_lo, 1, v[20:21]
	v_cmp_eq_u64_e64 s9, 2, v[20:21]
	s_and_b32 s8, s7, s8
	s_and_b32 s12, s7, vcc_lo
	v_cndmask_b32_e64 v3, 0, 1, s8
	v_cmp_eq_u64_e64 s8, 3, v[20:21]
	v_cndmask_b32_e64 v20, 0, 1, s12
	s_and_b32 s9, s7, s9
	v_cmp_ne_u32_e32 vcc_lo, 0, v3
	v_cndmask_b32_e64 v3, 0, 1, s9
	s_delay_alu instid0(VALU_DEP_3) | instskip(SKIP_1) | instid1(SALU_CYCLE_1)
	v_cmp_ne_u32_e64 s9, 0, v20
	s_and_b32 s7, s7, s8
	v_cndmask_b32_e64 v20, 0, 1, s7
	s_bcnt1_i32_b32 s26, vcc_lo
	v_cmp_ne_u32_e32 vcc_lo, 0, v3
	v_add_nc_u64_e32 v[8:9], s[26:27], v[8:9]
	s_bcnt1_i32_b32 s26, s9
	v_cmp_ne_u32_e64 s7, 0, v20
	v_add_nc_u64_e32 v[10:11], s[26:27], v[10:11]
	s_bcnt1_i32_b32 s26, vcc_lo
	s_delay_alu instid0(SALU_CYCLE_1) | instskip(SKIP_1) | instid1(SALU_CYCLE_1)
	v_add_nc_u64_e32 v[12:13], s[26:27], v[12:13]
	s_bcnt1_i32_b32 s26, s7
	v_add_nc_u64_e32 v[14:15], s[26:27], v[14:15]
	s_and_not1_b32 exec_lo, exec_lo, s11
	s_cbranch_execz .LBB156_55
.LBB156_53:                             ;   Parent Loop BB156_6 Depth=1
                                        ; =>  This Inner Loop Header: Depth=2
	v_add_nc_u64_e32 v[40:41], v[40:41], v[4:5]
	s_wait_xcnt 0x0
	v_mov_b64_e32 v[42:43], 0
	s_mov_b32 s8, exec_lo
	s_delay_alu instid0(VALU_DEP_2)
	v_cmp_le_u64_e32 vcc_lo, s[28:29], v[40:41]
	v_cmpx_gt_u64_e64 s[28:29], v[40:41]
	s_cbranch_execz .LBB156_52
; %bb.54:                               ;   in Loop: Header=BB156_53 Depth=2
	v_mul_u64_e32 v[42:43], s[38:39], v[40:41]
	s_delay_alu instid0(VALU_DEP_1)
	v_lshl_add_u64 v[42:43], v[42:43], 3, s[40:41]
	global_load_b64 v[42:43], v[42:43], off
	s_branch .LBB156_52
.LBB156_55:                             ;   in Loop: Header=BB156_6 Depth=1
	s_or_b32 exec_lo, exec_lo, s11
.LBB156_56:                             ;   in Loop: Header=BB156_6 Depth=1
	s_delay_alu instid0(SALU_CYCLE_1)
	s_or_b32 exec_lo, exec_lo, s10
	s_branch .LBB156_35
.LBB156_57:                             ;   in Loop: Header=BB156_6 Depth=1
	global_load_u16 v3, v21, s[60:61]
	v_mov_b32_e32 v5, v21
	s_mov_b32 s69, s27
	v_mov_b64_e32 v[10:11], 0
	v_mov_b64_e32 v[12:13], 0
	;; [unrolled: 1-line block ×3, first 2 shown]
	s_wait_loadcnt 0x0
	v_readfirstlane_b32 s7, v3
	s_and_b32 s100, 0xffff, s7
	s_delay_alu instid0(SALU_CYCLE_1) | instskip(NEXT) | instid1(SALU_CYCLE_1)
	s_lshl_b32 s66, s100, 2
	s_cvt_f32_u32 s7, s66
	s_sub_co_i32 s8, 0, s66
	s_delay_alu instid0(SALU_CYCLE_2) | instskip(SKIP_1) | instid1(TRANS32_DEP_1)
	v_rcp_iflag_f32_e32 v4, s7
	v_nop
	v_readfirstlane_b32 s7, v4
	v_and_b32_e32 v4, 0xffff, v3
	s_mul_f32 s7, s7, 0x4f7ffffe
	s_delay_alu instid0(SALU_CYCLE_3) | instskip(NEXT) | instid1(SALU_CYCLE_3)
	s_cvt_u32_f32 s7, s7
	s_mul_i32 s8, s8, s7
	s_delay_alu instid0(SALU_CYCLE_1) | instskip(NEXT) | instid1(SALU_CYCLE_1)
	s_mul_hi_u32 s8, s7, s8
	s_add_co_i32 s7, s7, s8
	s_delay_alu instid0(SALU_CYCLE_1) | instskip(NEXT) | instid1(SALU_CYCLE_1)
	s_mul_hi_u32 s7, s64, s7
	s_mul_i32 s8, s7, s66
	s_add_co_i32 s9, s7, 1
	s_sub_co_i32 s8, s64, s8
	s_delay_alu instid0(SALU_CYCLE_1)
	s_sub_co_i32 s10, s8, s66
	s_cmp_ge_u32 s8, s66
	s_cselect_b32 s7, s9, s7
	s_cselect_b32 s8, s10, s8
	s_add_co_i32 s9, s7, 1
	s_cmp_ge_u32 s8, s66
	s_cselect_b32 s68, s9, s7
	s_delay_alu instid0(SALU_CYCLE_1) | instskip(SKIP_1) | instid1(VALU_DEP_1)
	v_mul_u64_e32 v[8:9], s[68:69], v[4:5]
	s_mov_b32 s69, exec_lo
	v_lshlrev_b64_e32 v[40:41], 2, v[8:9]
	v_mov_b64_e32 v[8:9], 0
	s_delay_alu instid0(VALU_DEP_2)
	v_cmpx_gt_u64_e64 v[40:41], v[22:23]
	s_cbranch_execz .LBB156_61
; %bb.58:                               ;   in Loop: Header=BB156_6 Depth=1
	v_mov_b64_e32 v[42:43], v[22:23]
	v_mov_b32_e32 v3, v46
	s_mov_b32 s67, s27
	s_lshl_b32 s101, s100, 5
	s_mov_b64 s[70:71], 0
	s_mov_b32 s102, 0
	s_mov_b64 s[72:73], 0
	s_mov_b64 s[74:75], 0
	;; [unrolled: 1-line block ×3, first 2 shown]
.LBB156_59:                             ;   Parent Loop BB156_6 Depth=1
                                        ; =>  This Inner Loop Header: Depth=2
	ds_load_b128 v[12:15], v3
	ds_load_b128 v[8:11], v3 offset:16
	v_dual_mov_b32 v45, v21 :: v_dual_mov_b32 v53, v21
	v_dual_mov_b32 v55, v21 :: v_dual_add_nc_u32 v3, s101, v3
	v_add_nc_u64_e32 v[42:43], s[66:67], v[42:43]
	s_delay_alu instid0(VALU_DEP_1)
	v_cmp_ge_u64_e32 vcc_lo, v[42:43], v[40:41]
	s_wait_dscnt 0x1
	v_xor_b32_e32 v13, 0x80000000, v13
	v_xor_b32_e32 v15, 0x80000000, v15
	s_wait_dscnt 0x0
	v_xor_b32_e32 v9, 0x80000000, v9
	v_and_b32_e32 v56, v12, v36
	v_xor_b32_e32 v11, 0x80000000, v11
	v_and_b32_e32 v57, v13, v37
	v_lshrrev_b64 v[12:13], s86, v[12:13]
	v_and_b32_e32 v58, v14, v36
	v_and_b32_e32 v59, v15, v37
	v_lshrrev_b64 v[14:15], s86, v[14:15]
	v_and_b32_e32 v60, v8, v36
	;; [unrolled: 3-line block ×4, first 2 shown]
	v_and_b32_e32 v44, 3, v14
	v_cmp_eq_u64_e64 s7, v[56:57], v[32:33]
	v_and_b32_e32 v52, 3, v8
	v_cmp_eq_u64_e64 s8, v[58:59], v[32:33]
	v_cmp_eq_u64_e64 s11, 0, v[20:21]
	v_and_b32_e32 v54, 3, v10
	v_cmp_eq_u64_e64 s12, 0, v[44:45]
	v_cmp_eq_u64_e64 s9, v[60:61], v[32:33]
	;; [unrolled: 1-line block ×5, first 2 shown]
	s_and_b32 s11, s7, s11
	v_cmp_eq_u64_e64 s15, 1, v[20:21]
	v_cndmask_b32_e64 v8, 0, 1, s11
	s_and_b32 s11, s8, s12
	v_cmp_eq_u64_e64 s16, 1, v[44:45]
	v_cndmask_b32_e64 v9, 0, 1, s11
	;; [unrolled: 3-line block ×4, first 2 shown]
	s_and_b32 s11, s7, s15
	v_cmp_eq_u64_e64 s19, 2, v[20:21]
	v_cmp_eq_u64_e64 s23, 3, v[20:21]
	v_cndmask_b32_e64 v12, 0, 1, s11
	s_and_b32 s11, s8, s16
	v_cmp_eq_u64_e64 s24, 3, v[44:45]
	v_cndmask_b32_e64 v13, 0, 1, s11
	s_and_b32 s11, s9, s17
	v_cmp_eq_u64_e64 s20, 2, v[44:45]
	v_cmp_eq_u64_e64 s25, 3, v[52:53]
	v_cndmask_b32_e64 v14, 0, 1, s11
	s_and_b32 s11, s10, s18
	v_cmp_eq_u64_e64 s21, 2, v[52:53]
	v_cmp_eq_u64_e64 s26, 3, v[54:55]
	v_cndmask_b32_e64 v15, 0, 1, s11
	s_and_b32 s11, s7, s19
	s_and_b32 s7, s7, s23
	v_cmp_eq_u64_e64 s22, 2, v[54:55]
	v_cndmask_b32_e64 v52, 0, 1, s7
	s_and_b32 s7, s8, s24
	v_cndmask_b32_e64 v20, 0, 1, s11
	s_and_b32 s11, s8, s20
	;; [unrolled: 2-line block ×6, first 2 shown]
	v_cndmask_b32_e64 v55, 0, 1, s7
	v_cmp_ne_u32_e64 s7, 0, v8
	v_cmp_ne_u32_e64 s8, 0, v9
	v_cndmask_b32_e64 v51, 0, 1, s11
	v_cmp_ne_u32_e64 s9, 0, v10
	v_cmp_ne_u32_e64 s11, 0, v12
	v_cmp_ne_u32_e64 s12, 0, v13
	v_cmp_ne_u32_e64 s10, 0, v11
	v_cmp_ne_u32_e64 s13, 0, v14
	v_cmp_ne_u32_e64 s15, 0, v20
	v_cmp_ne_u32_e64 s16, 0, v44
	s_bcnt1_i32_b32 s7, s7
	s_bcnt1_i32_b32 s8, s8
	v_cmp_ne_u32_e64 s14, 0, v15
	v_cmp_ne_u32_e64 s17, 0, v45
	;; [unrolled: 1-line block ×4, first 2 shown]
	s_bcnt1_i32_b32 s9, s9
	s_bcnt1_i32_b32 s11, s11
	;; [unrolled: 1-line block ×3, first 2 shown]
	s_add_co_i32 s7, s8, s7
	v_cmp_ne_u32_e64 s18, 0, v51
	v_cmp_ne_u32_e64 s21, 0, v54
	s_bcnt1_i32_b32 s10, s10
	s_bcnt1_i32_b32 s13, s13
	;; [unrolled: 1-line block ×4, first 2 shown]
	s_add_co_i32 s8, s12, s11
	s_add_co_i32 s7, s7, s9
	v_cmp_ne_u32_e64 s22, 0, v55
	s_bcnt1_i32_b32 s14, s14
	s_bcnt1_i32_b32 s17, s17
	;; [unrolled: 1-line block ×4, first 2 shown]
	s_add_co_i32 s11, s16, s15
	s_add_co_i32 s8, s8, s13
	;; [unrolled: 1-line block ×3, first 2 shown]
	s_bcnt1_i32_b32 s18, s18
	s_bcnt1_i32_b32 s21, s21
	s_add_co_i32 s12, s20, s19
	s_add_co_i32 s9, s11, s17
	s_add_nc_u64 s[76:77], s[76:77], s[26:27]
	s_add_co_i32 s26, s8, s14
	s_bcnt1_i32_b32 s22, s22
	s_add_co_i32 s11, s12, s21
	s_add_nc_u64 s[74:75], s[74:75], s[26:27]
	s_add_co_i32 s26, s9, s18
	v_mov_b64_e32 v[8:9], s[76:77]
	s_add_nc_u64 s[72:73], s[72:73], s[26:27]
	s_add_co_i32 s26, s11, s22
	v_mov_b64_e32 v[10:11], s[74:75]
	s_add_nc_u64 s[70:71], s[70:71], s[26:27]
	v_mov_b64_e32 v[12:13], s[72:73]
	v_mov_b64_e32 v[14:15], s[70:71]
	s_or_b32 s102, vcc_lo, s102
	s_delay_alu instid0(SALU_CYCLE_1)
	s_and_not1_b32 exec_lo, exec_lo, s102
	s_cbranch_execnz .LBB156_59
; %bb.60:                               ;   in Loop: Header=BB156_6 Depth=1
	s_or_b32 exec_lo, exec_lo, s102
.LBB156_61:                             ;   in Loop: Header=BB156_6 Depth=1
	s_delay_alu instid0(SALU_CYCLE_1) | instskip(SKIP_3) | instid1(VALU_DEP_1)
	s_or_b32 exec_lo, exec_lo, s69
	v_add_nc_u64_e32 v[40:41], v[40:41], v[0:1]
	s_and_b64 s[12:13], s[64:65], 0x7fffffff
	s_mov_b32 s14, exec_lo
	v_cmpx_gt_u64_e64 s[12:13], v[40:41]
	s_cbranch_execz .LBB156_65
; %bb.62:                               ;   in Loop: Header=BB156_6 Depth=1
	s_mul_i32 s7, s68, s100
	s_lshl_b32 s16, s100, 3
	v_lshl_add_u32 v3, s7, 5, v47
	s_mov_b32 s15, 0
.LBB156_63:                             ;   Parent Loop BB156_6 Depth=1
                                        ; =>  This Inner Loop Header: Depth=2
	ds_load_b64 v[42:43], v3
	v_add_nc_u64_e32 v[40:41], v[40:41], v[4:5]
	v_add_nc_u32_e32 v3, s16, v3
	s_delay_alu instid0(VALU_DEP_2) | instskip(SKIP_3) | instid1(VALU_DEP_2)
	v_cmp_le_u64_e32 vcc_lo, s[12:13], v[40:41]
	s_wait_dscnt 0x0
	v_xor_b32_e32 v43, 0x80000000, v43
	v_and_b32_e32 v44, v42, v36
	v_lshrrev_b64 v[52:53], s86, v[42:43]
	v_and_b32_e32 v45, v43, v37
	s_delay_alu instid0(VALU_DEP_1) | instskip(NEXT) | instid1(VALU_DEP_3)
	v_cmp_eq_u64_e64 s7, v[44:45], v[32:33]
	v_and_b32_e32 v20, 3, v52
	s_delay_alu instid0(VALU_DEP_1) | instskip(SKIP_4) | instid1(SALU_CYCLE_1)
	v_cmp_eq_u64_e64 s8, 0, v[20:21]
	v_cmp_eq_u64_e64 s9, 1, v[20:21]
	;; [unrolled: 1-line block ×4, first 2 shown]
	s_and_b32 s8, s7, s8
	v_cndmask_b32_e64 v20, 0, 1, s8
	s_and_b32 s8, s7, s9
	s_delay_alu instid0(SALU_CYCLE_1)
	v_cndmask_b32_e64 v42, 0, 1, s8
	s_and_b32 s8, s7, s10
	s_and_b32 s7, s7, s11
	v_cndmask_b32_e64 v43, 0, 1, s8
	v_cndmask_b32_e64 v44, 0, 1, s7
	v_cmp_ne_u32_e64 s7, 0, v20
	v_cmp_ne_u32_e64 s8, 0, v42
	s_delay_alu instid0(VALU_DEP_4) | instskip(NEXT) | instid1(VALU_DEP_4)
	v_cmp_ne_u32_e64 s9, 0, v43
	v_cmp_ne_u32_e64 s10, 0, v44
	s_bcnt1_i32_b32 s26, s7
	s_delay_alu instid0(SALU_CYCLE_1) | instskip(SKIP_1) | instid1(SALU_CYCLE_1)
	v_add_nc_u64_e32 v[8:9], s[26:27], v[8:9]
	s_bcnt1_i32_b32 s26, s8
	v_add_nc_u64_e32 v[10:11], s[26:27], v[10:11]
	s_bcnt1_i32_b32 s26, s9
	s_delay_alu instid0(SALU_CYCLE_1)
	v_add_nc_u64_e32 v[12:13], s[26:27], v[12:13]
	s_bcnt1_i32_b32 s26, s10
	s_or_b32 s15, vcc_lo, s15
	v_add_nc_u64_e32 v[14:15], s[26:27], v[14:15]
	s_and_not1_b32 exec_lo, exec_lo, s15
	s_cbranch_execnz .LBB156_63
; %bb.64:                               ;   in Loop: Header=BB156_6 Depth=1
	s_or_b32 exec_lo, exec_lo, s15
.LBB156_65:                             ;   in Loop: Header=BB156_6 Depth=1
	s_delay_alu instid0(SALU_CYCLE_1)
	s_or_b32 exec_lo, exec_lo, s14
	s_lshl_b32 s7, s90, 7
	s_and_saveexec_b32 s8, s2
	s_cbranch_execnz .LBB156_36
	s_branch .LBB156_37
.LBB156_66:                             ;   in Loop: Header=BB156_6 Depth=1
                                        ; implicit-def: $sgpr8_sgpr9
	s_branch .LBB156_45
.LBB156_67:                             ;   in Loop: Header=BB156_6 Depth=1
	s_mov_b32 s9, 0
	s_and_not1_b32 vcc_lo, exec_lo, s84
	s_cbranch_vccnz .LBB156_70
.LBB156_68:                             ;   in Loop: Header=BB156_6 Depth=1
	s_lshl_b32 s10, s90, 10
	s_lshl_b32 s9, s9, 5
	s_delay_alu instid0(SALU_CYCLE_1)
	v_add3_u32 v3, s10, s9, v50
	s_mov_b32 s9, s81
.LBB156_69:                             ;   Parent Loop BB156_6 Depth=1
                                        ; =>  This Inner Loop Header: Depth=2
	ds_load_b64 v[8:9], v3
	v_add_nc_u32_e32 v3, 32, v3
	s_add_co_i32 s9, s9, -1
	s_delay_alu instid0(SALU_CYCLE_1)
	s_cmp_lg_u32 s9, 0
	s_wait_dscnt 0x0
	v_add_nc_u64_e32 v[4:5], v[8:9], v[4:5]
	s_cbranch_scc1 .LBB156_69
.LBB156_70:                             ;   in Loop: Header=BB156_6 Depth=1
	v_add_lshl_u32 v3, s7, v17, 3
	ds_store_b64 v3, v[4:5] offset:3072
.LBB156_71:                             ;   in Loop: Header=BB156_6 Depth=1
	s_or_b32 exec_lo, exec_lo, s8
	s_lshl_b32 s7, s7, 3
	s_wait_dscnt 0x0
	v_mov_b32_e32 v3, s7
	s_barrier_signal -1
	s_barrier_wait -1
	v_cmp_eq_u64_e64 s7, 1, v[38:39]
	ds_load_b128 v[8:11], v3 offset:3072
	ds_load_b128 v[12:15], v3 offset:3088
	s_lshl_b64 s[12:13], 3, s86
	s_mov_b32 s69, -1
	s_not_b64 s[14:15], s[12:13]
	s_mov_b32 s64, 0
	s_and_not1_b32 vcc_lo, exec_lo, s79
	s_mov_b32 s66, 0
	s_mov_b32 s65, 0
                                        ; implicit-def: $sgpr67
                                        ; implicit-def: $sgpr68
                                        ; implicit-def: $vgpr40_vgpr41
                                        ; implicit-def: $vgpr20
	s_wait_dscnt 0x1
	v_readfirstlane_b32 s11, v9
	v_readfirstlane_b32 s10, v8
	v_readfirstlane_b32 s17, v11
	v_readfirstlane_b32 s16, v10
	s_wait_dscnt 0x0
	v_readfirstlane_b32 s19, v13
	v_readfirstlane_b32 s18, v12
	;; [unrolled: 1-line block ×4, first 2 shown]
                                        ; implicit-def: $vgpr14_vgpr15
                                        ; implicit-def: $vgpr12_vgpr13
                                        ; implicit-def: $vgpr10_vgpr11
	s_cbranch_vccnz .LBB156_266
; %bb.72:                               ;   in Loop: Header=BB156_6 Depth=1
	v_mov_b64_e32 v[14:15], v[32:33]
	v_mov_b64_e32 v[12:13], v[36:37]
	;; [unrolled: 1-line block ×3, first 2 shown]
	s_cmp_eq_u64 s[10:11], 1
                                        ; implicit-def: $sgpr68
                                        ; implicit-def: $sgpr67
	s_cselect_b32 s8, -1, 0
	s_delay_alu instid0(SALU_CYCLE_1)
	s_and_b32 s71, s8, s7
	s_mov_b32 s8, -1
	s_and_saveexec_b32 s65, s71
	s_cbranch_execz .LBB156_107
; %bb.73:                               ;   in Loop: Header=BB156_6 Depth=1
	ds_load_b64 v[4:5], v21 offset:5120
	s_wait_dscnt 0x0
	s_barrier_signal -1
	s_barrier_wait -1
	v_readfirstlane_b32 s8, v4
	v_readfirstlane_b32 s9, v5
	s_and_saveexec_b32 s22, s6
; %bb.74:                               ;   in Loop: Header=BB156_6 Depth=1
	ds_store_b64 v48, v[34:35]
; %bb.75:                               ;   in Loop: Header=BB156_6 Depth=1
	s_or_b32 exec_lo, exec_lo, s22
	v_and_b32_e32 v15, s15, v33
	v_and_b32_e32 v14, s14, v32
	v_or_b32_e32 v13, s13, v37
	v_or_b32_e32 v12, s12, v36
	s_mov_b32 s67, -1
	s_mov_b32 s68, 0
	s_cmp_eq_u64 s[8:9], 0
	s_mov_b32 s24, 0
	s_mov_b32 s25, -1
	s_wait_dscnt 0x0
	s_barrier_signal -1
	s_barrier_wait -1
                                        ; implicit-def: $vgpr10_vgpr11
	s_cbranch_scc1 .LBB156_92
; %bb.76:                               ;   in Loop: Header=BB156_6 Depth=1
	s_add_nc_u64 s[22:23], s[8:9], s[52:53]
	s_delay_alu instid0(SALU_CYCLE_1) | instskip(NEXT) | instid1(SALU_CYCLE_1)
	s_and_b64 s[24:25], s[22:23], 0xffffffff00000000
	s_cmp_lg_u64 s[24:25], 0
	s_cbranch_scc0 .LBB156_133
; %bb.77:                               ;   in Loop: Header=BB156_6 Depth=1
	s_cvt_f32_u32 s24, s34
	s_sub_nc_u64 s[44:45], 0, s[34:35]
	s_delay_alu instid0(SALU_CYCLE_2) | instskip(NEXT) | instid1(SALU_CYCLE_3)
	s_fmamk_f32 s24, s88, 0x0, s24
	v_s_rcp_f32 s24, s24
	s_delay_alu instid0(TRANS32_DEP_1) | instskip(NEXT) | instid1(SALU_CYCLE_3)
	s_mul_f32 s24, s24, 0x5f7ffffc
	s_mul_f32 s25, s24, 0x2f800000
	s_delay_alu instid0(SALU_CYCLE_3) | instskip(NEXT) | instid1(SALU_CYCLE_3)
	s_trunc_f32 s25, s25
	s_fmamk_f32 s24, s25, 0xcf800000, s24
	s_cvt_u32_f32 s25, s25
	s_delay_alu instid0(SALU_CYCLE_2) | instskip(NEXT) | instid1(SALU_CYCLE_3)
	s_cvt_u32_f32 s24, s24
	s_mul_u64 s[46:47], s[44:45], s[24:25]
	s_delay_alu instid0(SALU_CYCLE_1)
	s_mul_hi_u32 s73, s24, s47
	s_mul_i32 s72, s24, s47
	s_mul_hi_u32 s26, s24, s46
	s_mul_i32 s49, s25, s46
	s_add_nc_u64 s[72:73], s[26:27], s[72:73]
	s_mul_hi_u32 s48, s25, s46
	s_mul_hi_u32 s66, s25, s47
	s_add_co_u32 s26, s72, s49
	s_add_co_ci_u32 s26, s73, s48
	s_mul_i32 s46, s25, s47
	s_add_co_ci_u32 s47, s66, 0
	s_delay_alu instid0(SALU_CYCLE_1) | instskip(NEXT) | instid1(SALU_CYCLE_1)
	s_add_nc_u64 s[46:47], s[26:27], s[46:47]
	s_add_co_u32 s24, s24, s46
	s_cselect_b32 s26, -1, 0
	s_delay_alu instid0(SALU_CYCLE_1) | instskip(SKIP_1) | instid1(SALU_CYCLE_1)
	s_cmp_lg_u32 s26, 0
	s_add_co_ci_u32 s25, s25, s47
	s_mul_u64 s[44:45], s[44:45], s[24:25]
	s_delay_alu instid0(SALU_CYCLE_1)
	s_mul_hi_u32 s47, s24, s45
	s_mul_i32 s46, s24, s45
	s_mul_hi_u32 s26, s24, s44
	s_mul_i32 s49, s25, s44
	s_add_nc_u64 s[46:47], s[26:27], s[46:47]
	s_mul_hi_u32 s48, s25, s44
	s_mul_hi_u32 s66, s25, s45
	s_add_co_u32 s26, s46, s49
	s_add_co_ci_u32 s26, s47, s48
	s_mul_i32 s44, s25, s45
	s_add_co_ci_u32 s45, s66, 0
	s_delay_alu instid0(SALU_CYCLE_1) | instskip(NEXT) | instid1(SALU_CYCLE_1)
	s_add_nc_u64 s[44:45], s[26:27], s[44:45]
	s_add_co_u32 s24, s24, s44
	s_cselect_b32 s44, -1, 0
	s_mul_hi_u32 s26, s22, s24
	s_cmp_lg_u32 s44, 0
	s_mul_hi_u32 s46, s23, s24
	s_add_co_ci_u32 s44, s25, s45
	s_mul_i32 s45, s23, s24
	s_mul_hi_u32 s25, s22, s44
	s_mul_i32 s24, s22, s44
	s_mul_hi_u32 s47, s23, s44
	s_add_nc_u64 s[24:25], s[26:27], s[24:25]
	s_mul_i32 s44, s23, s44
	s_add_co_u32 s24, s24, s45
	s_add_co_ci_u32 s26, s25, s46
	s_add_co_ci_u32 s45, s47, 0
	s_delay_alu instid0(SALU_CYCLE_1) | instskip(NEXT) | instid1(SALU_CYCLE_1)
	s_add_nc_u64 s[24:25], s[26:27], s[44:45]
	s_and_b64 s[44:45], s[24:25], 0xffffffff00000000
	s_delay_alu instid0(SALU_CYCLE_1) | instskip(NEXT) | instid1(SALU_CYCLE_1)
	s_or_b32 s44, s44, s24
	s_mul_u64 s[24:25], s[34:35], s[44:45]
	s_delay_alu instid0(SALU_CYCLE_1) | instskip(SKIP_1) | instid1(SALU_CYCLE_1)
	s_sub_co_u32 s24, s22, s24
	s_cselect_b32 s26, -1, 0
	s_cmp_lg_u32 s26, 0
	s_sub_co_ci_u32 s25, s23, s25
	s_sub_co_u32 s26, s24, s34
	s_cselect_b32 s44, -1, 0
	s_delay_alu instid0(SALU_CYCLE_1) | instskip(SKIP_3) | instid1(SALU_CYCLE_1)
	s_cmp_lg_u32 s44, 0
	s_sub_co_ci_u32 s44, s25, 0
	s_sub_co_u32 s45, s26, s34
	s_cselect_b32 s46, -1, 0
	s_cmp_lg_u32 s46, 0
	s_sub_co_ci_u32 s46, s44, 0
	s_cmp_ge_u32 s26, s34
	s_cselect_b32 s47, -1, 0
	s_cmp_eq_u32 s44, 0
	s_cselect_b32 s47, s47, -1
	s_delay_alu instid0(SALU_CYCLE_1)
	s_cmp_lg_u32 s47, 0
	s_cselect_b32 s44, s46, s44
	s_cselect_b32 s26, s45, s26
	s_cmp_ge_u32 s24, s34
	s_cselect_b32 s45, -1, 0
	s_cmp_eq_u32 s25, 0
	s_cselect_b32 s45, s45, -1
	s_delay_alu instid0(SALU_CYCLE_1)
	s_cmp_lg_u32 s45, 0
	s_cselect_b32 s25, s44, s25
	s_cselect_b32 s24, s26, s24
	s_cbranch_execnz .LBB156_79
.LBB156_78:                             ;   in Loop: Header=BB156_6 Depth=1
	v_cvt_f32_u32_e32 v3, s34
	s_sub_co_i32 s25, 0, s34
	s_delay_alu instid0(VALU_DEP_1) | instskip(SKIP_1) | instid1(TRANS32_DEP_1)
	v_rcp_iflag_f32_e32 v3, v3
	v_nop
	v_mul_f32_e32 v3, 0x4f7ffffe, v3
	s_delay_alu instid0(VALU_DEP_1) | instskip(NEXT) | instid1(VALU_DEP_1)
	v_cvt_u32_f32_e32 v3, v3
	v_readfirstlane_b32 s24, v3
	s_mul_i32 s25, s25, s24
	s_delay_alu instid0(SALU_CYCLE_1) | instskip(NEXT) | instid1(SALU_CYCLE_1)
	s_mul_hi_u32 s25, s24, s25
	s_add_co_i32 s24, s24, s25
	s_delay_alu instid0(SALU_CYCLE_1) | instskip(NEXT) | instid1(SALU_CYCLE_1)
	s_mul_hi_u32 s24, s22, s24
	s_mul_i32 s24, s24, s34
	s_delay_alu instid0(SALU_CYCLE_1) | instskip(NEXT) | instid1(SALU_CYCLE_1)
	s_sub_co_i32 s24, s22, s24
	s_sub_co_i32 s25, s24, s34
	s_cmp_ge_u32 s24, s34
	s_cselect_b32 s24, s25, s24
	s_delay_alu instid0(SALU_CYCLE_1) | instskip(SKIP_2) | instid1(SALU_CYCLE_1)
	s_sub_co_i32 s25, s24, s34
	s_cmp_ge_u32 s24, s34
	s_cselect_b32 s26, s25, s24
	s_mov_b64 s[24:25], s[26:27]
.LBB156_79:                             ;   in Loop: Header=BB156_6 Depth=1
	s_delay_alu instid0(SALU_CYCLE_1)
	s_sub_nc_u64 s[22:23], s[22:23], s[24:25]
	s_mov_b32 s25, 0
	s_mov_b32 s24, 0
	s_mov_b32 s26, exec_lo
                                        ; implicit-def: $vgpr10_vgpr11
	v_cmpx_gt_u64_e64 s[22:23], v[0:1]
	s_cbranch_execz .LBB156_91
; %bb.80:                               ;   in Loop: Header=BB156_6 Depth=1
	v_mov_b64_e32 v[40:41], v[0:1]
	v_mov_b32_e32 v20, v47
                                        ; implicit-def: $sgpr66
	s_branch .LBB156_83
.LBB156_81:                             ;   in Loop: Header=BB156_83 Depth=2
	s_or_b32 exec_lo, exec_lo, s69
	s_wait_dscnt 0x0
	s_barrier_signal -1
	s_barrier_wait -1
	ds_load_b128 v[8:11], v21 offset:3072
	s_mov_b32 s69, -1
	s_mov_b32 s70, -1
	s_wait_dscnt 0x0
	s_barrier_signal -1
	s_barrier_wait -1
	v_cmp_ne_u64_e32 vcc_lo, 0, v[8:9]
	s_cbranch_vccz .LBB156_86
.LBB156_82:                             ;   in Loop: Header=BB156_83 Depth=2
	s_and_b32 s44, exec_lo, s69
	s_delay_alu instid0(SALU_CYCLE_1) | instskip(SKIP_2) | instid1(SALU_CYCLE_1)
	s_or_b32 s24, s44, s24
	s_and_not1_b32 s44, s66, exec_lo
	s_and_b32 s45, s70, exec_lo
	s_or_b32 s66, s44, s45
	s_and_not1_b32 exec_lo, exec_lo, s24
	s_cbranch_execz .LBB156_90
.LBB156_83:                             ;   Parent Loop BB156_6 Depth=1
                                        ; =>  This Inner Loop Header: Depth=2
	s_mov_b32 s69, exec_lo
	s_delay_alu instid0(VALU_DEP_2)
	v_cmpx_gt_u64_e64 s[8:9], v[40:41]
	s_cbranch_execz .LBB156_81
; %bb.84:                               ;   in Loop: Header=BB156_83 Depth=2
	ds_load_b64 v[4:5], v20
	s_wait_dscnt 0x0
	v_xor_b32_e32 v3, 0x80000000, v5
	v_and_b32_e32 v8, v4, v12
	s_delay_alu instid0(VALU_DEP_2) | instskip(NEXT) | instid1(VALU_DEP_1)
	v_and_b32_e32 v9, v3, v13
	v_cmp_eq_u64_e32 vcc_lo, v[8:9], v[14:15]
	s_and_b32 exec_lo, exec_lo, vcc_lo
	s_cbranch_execz .LBB156_81
; %bb.85:                               ;   in Loop: Header=BB156_83 Depth=2
	v_mov_b32_e32 v3, v21
	ds_store_b128 v21, v[2:5] offset:3072
	s_branch .LBB156_81
.LBB156_86:                             ;   in Loop: Header=BB156_83 Depth=2
	v_add_nc_u64_e32 v[40:41], s[34:35], v[40:41]
	v_add_nc_u32_e32 v20, s85, v20
	s_mov_b32 s70, 0
	s_delay_alu instid0(VALU_DEP_2)
	v_cmp_le_u64_e32 vcc_lo, s[22:23], v[40:41]
	s_or_not1_b32 s69, vcc_lo, exec_lo
	s_branch .LBB156_82
.LBB156_87:                             ;   in Loop: Header=BB156_6 Depth=1
	s_or_b32 exec_lo, exec_lo, s10
	s_wait_dscnt 0x0
	s_barrier_signal -1
	s_barrier_wait -1
	s_and_saveexec_b32 s7, s5
	s_cbranch_execz .LBB156_89
; %bb.88:                               ;   in Loop: Header=BB156_6 Depth=1
	ds_load_b32 v4, v21 offset:5144
	s_wait_dscnt 0x0
	v_ashrrev_i32_e32 v5, 31, v4
	ds_store_b64 v21, v[4:5] offset:5120
.LBB156_89:                             ;   in Loop: Header=BB156_6 Depth=1
	s_or_b32 exec_lo, exec_lo, s7
	s_wait_dscnt 0x0
	s_barrier_signal -1
	s_mov_b32 s7, -1
	s_barrier_wait -1
	s_and_b32 vcc_lo, exec_lo, s9
	s_cbranch_vccnz .LBB156_22
	s_branch .LBB156_31
.LBB156_90:                             ;   in Loop: Header=BB156_6 Depth=1
	s_or_b32 exec_lo, exec_lo, s24
	s_delay_alu instid0(SALU_CYCLE_1)
	s_and_b32 s24, s66, exec_lo
.LBB156_91:                             ;   in Loop: Header=BB156_6 Depth=1
	s_or_b32 exec_lo, exec_lo, s26
.LBB156_92:                             ;   in Loop: Header=BB156_6 Depth=1
	s_delay_alu instid0(SALU_CYCLE_1)
	s_and_b32 vcc_lo, exec_lo, s25
	s_cbranch_vccz .LBB156_106
; %bb.93:                               ;   in Loop: Header=BB156_6 Depth=1
	s_and_b64 s[8:9], s[54:55], 0xffffffff00000000
	s_delay_alu instid0(SALU_CYCLE_1)
	s_cmp_lg_u64 s[8:9], 0
	s_cbranch_scc0 .LBB156_134
; %bb.94:                               ;   in Loop: Header=BB156_6 Depth=1
	s_cvt_f32_u32 s8, s34
	s_sub_nc_u64 s[22:23], 0, s[34:35]
	s_delay_alu instid0(SALU_CYCLE_2) | instskip(NEXT) | instid1(SALU_CYCLE_3)
	s_fmamk_f32 s8, s88, 0x0, s8
	v_s_rcp_f32 s8, s8
	s_delay_alu instid0(TRANS32_DEP_1) | instskip(NEXT) | instid1(SALU_CYCLE_3)
	s_mul_f32 s8, s8, 0x5f7ffffc
	s_mul_f32 s9, s8, 0x2f800000
	s_delay_alu instid0(SALU_CYCLE_3) | instskip(NEXT) | instid1(SALU_CYCLE_3)
	s_trunc_f32 s9, s9
	s_fmamk_f32 s8, s9, 0xcf800000, s8
	s_cvt_u32_f32 s9, s9
	s_delay_alu instid0(SALU_CYCLE_2) | instskip(NEXT) | instid1(SALU_CYCLE_3)
	s_cvt_u32_f32 s8, s8
	s_mul_u64 s[44:45], s[22:23], s[8:9]
	s_delay_alu instid0(SALU_CYCLE_1)
	s_mul_hi_u32 s47, s8, s45
	s_mul_i32 s46, s8, s45
	s_mul_hi_u32 s26, s8, s44
	s_mul_i32 s48, s9, s44
	s_add_nc_u64 s[46:47], s[26:27], s[46:47]
	s_mul_hi_u32 s25, s9, s44
	s_mul_hi_u32 s49, s9, s45
	s_add_co_u32 s26, s46, s48
	s_add_co_ci_u32 s26, s47, s25
	s_mul_i32 s44, s9, s45
	s_add_co_ci_u32 s45, s49, 0
	s_delay_alu instid0(SALU_CYCLE_1) | instskip(NEXT) | instid1(SALU_CYCLE_1)
	s_add_nc_u64 s[44:45], s[26:27], s[44:45]
	s_add_co_u32 s8, s8, s44
	s_cselect_b32 s25, -1, 0
	s_delay_alu instid0(SALU_CYCLE_1) | instskip(SKIP_1) | instid1(SALU_CYCLE_1)
	s_cmp_lg_u32 s25, 0
	s_add_co_ci_u32 s9, s9, s45
	s_mul_u64 s[22:23], s[22:23], s[8:9]
	s_delay_alu instid0(SALU_CYCLE_1)
	s_mul_hi_u32 s45, s8, s23
	s_mul_i32 s44, s8, s23
	s_mul_hi_u32 s26, s8, s22
	s_mul_i32 s46, s9, s22
	s_add_nc_u64 s[44:45], s[26:27], s[44:45]
	s_mul_hi_u32 s25, s9, s22
	s_mul_hi_u32 s47, s9, s23
	s_mul_i32 s22, s9, s23
	s_add_co_u32 s23, s44, s46
	s_add_co_ci_u32 s26, s45, s25
	s_add_co_ci_u32 s23, s47, 0
	s_delay_alu instid0(SALU_CYCLE_1) | instskip(NEXT) | instid1(SALU_CYCLE_1)
	s_add_nc_u64 s[22:23], s[26:27], s[22:23]
	s_add_co_u32 s8, s8, s22
	s_cselect_b32 s22, -1, 0
	s_mul_hi_u32 s26, s54, s8
	s_cmp_lg_u32 s22, 0
	s_mul_hi_u32 s25, s55, s8
	s_add_co_ci_u32 s22, s9, s23
	s_mul_i32 s23, s55, s8
	s_mul_hi_u32 s9, s54, s22
	s_mul_i32 s8, s54, s22
	s_mul_hi_u32 s44, s55, s22
	s_add_nc_u64 s[8:9], s[26:27], s[8:9]
	s_mul_i32 s22, s55, s22
	s_add_co_u32 s8, s8, s23
	s_add_co_ci_u32 s26, s9, s25
	s_add_co_ci_u32 s23, s44, 0
	s_delay_alu instid0(SALU_CYCLE_1) | instskip(NEXT) | instid1(SALU_CYCLE_1)
	s_add_nc_u64 s[8:9], s[26:27], s[22:23]
	s_and_b64 s[22:23], s[8:9], 0xffffffff00000000
	s_delay_alu instid0(SALU_CYCLE_1) | instskip(NEXT) | instid1(SALU_CYCLE_1)
	s_or_b32 s22, s22, s8
	s_mul_u64 s[8:9], s[34:35], s[22:23]
	s_delay_alu instid0(SALU_CYCLE_1) | instskip(SKIP_1) | instid1(SALU_CYCLE_1)
	s_sub_co_u32 s8, s54, s8
	s_cselect_b32 s22, -1, 0
	s_cmp_lg_u32 s22, 0
	s_sub_co_ci_u32 s9, s55, s9
	s_sub_co_u32 s22, s8, s34
	s_cselect_b32 s23, -1, 0
	s_delay_alu instid0(SALU_CYCLE_1) | instskip(SKIP_3) | instid1(SALU_CYCLE_1)
	s_cmp_lg_u32 s23, 0
	s_sub_co_ci_u32 s23, s9, 0
	s_sub_co_u32 s25, s22, s34
	s_cselect_b32 s26, -1, 0
	s_cmp_lg_u32 s26, 0
	s_sub_co_ci_u32 s26, s23, 0
	s_cmp_ge_u32 s22, s34
	s_cselect_b32 s44, -1, 0
	s_cmp_eq_u32 s23, 0
	s_cselect_b32 s44, s44, -1
	s_delay_alu instid0(SALU_CYCLE_1)
	s_cmp_lg_u32 s44, 0
	s_cselect_b32 s23, s26, s23
	s_cselect_b32 s22, s25, s22
	s_cmp_ge_u32 s8, s34
	s_cselect_b32 s25, -1, 0
	s_cmp_eq_u32 s9, 0
	s_cselect_b32 s25, s25, -1
	s_delay_alu instid0(SALU_CYCLE_1)
	s_cmp_lg_u32 s25, 0
	s_cselect_b32 s9, s23, s9
	s_cselect_b32 s8, s22, s8
	s_cbranch_execnz .LBB156_96
.LBB156_95:                             ;   in Loop: Header=BB156_6 Depth=1
	v_cvt_f32_u32_e32 v3, s34
	s_sub_co_i32 s9, 0, s34
	s_delay_alu instid0(VALU_DEP_1) | instskip(SKIP_1) | instid1(TRANS32_DEP_1)
	v_rcp_iflag_f32_e32 v3, v3
	v_nop
	v_mul_f32_e32 v3, 0x4f7ffffe, v3
	s_delay_alu instid0(VALU_DEP_1) | instskip(NEXT) | instid1(VALU_DEP_1)
	v_cvt_u32_f32_e32 v3, v3
	v_readfirstlane_b32 s8, v3
	s_mul_i32 s9, s9, s8
	s_delay_alu instid0(SALU_CYCLE_1) | instskip(NEXT) | instid1(SALU_CYCLE_1)
	s_mul_hi_u32 s9, s8, s9
	s_add_co_i32 s8, s8, s9
	s_delay_alu instid0(SALU_CYCLE_1) | instskip(NEXT) | instid1(SALU_CYCLE_1)
	s_mul_hi_u32 s8, s54, s8
	s_mul_i32 s8, s8, s34
	s_delay_alu instid0(SALU_CYCLE_1) | instskip(NEXT) | instid1(SALU_CYCLE_1)
	s_sub_co_i32 s8, s54, s8
	s_sub_co_i32 s9, s8, s34
	s_cmp_ge_u32 s8, s34
	s_cselect_b32 s8, s9, s8
	s_delay_alu instid0(SALU_CYCLE_1) | instskip(SKIP_2) | instid1(SALU_CYCLE_1)
	s_sub_co_i32 s9, s8, s34
	s_cmp_ge_u32 s8, s34
	s_cselect_b32 s26, s9, s8
	s_mov_b64 s[8:9], s[26:27]
.LBB156_96:                             ;   in Loop: Header=BB156_6 Depth=1
	s_delay_alu instid0(SALU_CYCLE_1)
	s_sub_nc_u64 s[8:9], s[54:55], s[8:9]
	s_mov_b32 s22, exec_lo
                                        ; implicit-def: $vgpr10_vgpr11
	v_nop
	v_cmpx_gt_u64_e64 s[8:9], v[0:1]
	s_cbranch_execz .LBB156_105
; %bb.97:                               ;   in Loop: Header=BB156_6 Depth=1
	v_mov_b64_e32 v[40:41], v[18:19]
	v_mov_b64_e32 v[42:43], v[0:1]
	s_mov_b32 s25, 0
                                        ; implicit-def: $sgpr23
	s_branch .LBB156_100
.LBB156_98:                             ;   in Loop: Header=BB156_100 Depth=2
	s_or_b32 exec_lo, exec_lo, s26
	s_wait_dscnt 0x0
	s_barrier_signal -1
	s_barrier_wait -1
	ds_load_b128 v[8:11], v21 offset:3072
	s_mov_b32 s26, -1
	s_mov_b32 s66, -1
	s_wait_dscnt 0x0
	s_barrier_signal -1
	s_barrier_wait -1
	v_cmp_ne_u64_e32 vcc_lo, 0, v[8:9]
	s_cbranch_vccz .LBB156_103
.LBB156_99:                             ;   in Loop: Header=BB156_100 Depth=2
	s_and_b32 s26, exec_lo, s26
	s_delay_alu instid0(SALU_CYCLE_1) | instskip(SKIP_2) | instid1(SALU_CYCLE_1)
	s_or_b32 s25, s26, s25
	s_and_not1_b32 s23, s23, exec_lo
	s_and_b32 s26, s66, exec_lo
	s_or_b32 s23, s23, s26
	s_and_not1_b32 exec_lo, exec_lo, s25
	s_cbranch_execz .LBB156_104
.LBB156_100:                            ;   Parent Loop BB156_6 Depth=1
                                        ; =>  This Inner Loop Header: Depth=2
	s_mov_b32 s26, exec_lo
	s_delay_alu instid0(VALU_DEP_1)
	v_cmpx_gt_u64_e64 s[28:29], v[42:43]
	s_cbranch_execz .LBB156_98
; %bb.101:                              ;   in Loop: Header=BB156_100 Depth=2
	global_load_b64 v[4:5], v[40:41], off
	s_wait_loadcnt 0x0
	v_xor_b32_e32 v3, 0x80000000, v5
	v_and_b32_e32 v8, v4, v12
	s_delay_alu instid0(VALU_DEP_2) | instskip(NEXT) | instid1(VALU_DEP_1)
	v_and_b32_e32 v9, v3, v13
	v_cmp_eq_u64_e32 vcc_lo, v[8:9], v[14:15]
	s_and_b32 exec_lo, exec_lo, vcc_lo
	s_cbranch_execz .LBB156_98
; %bb.102:                              ;   in Loop: Header=BB156_100 Depth=2
	v_mov_b32_e32 v3, v21
	ds_store_b128 v21, v[2:5] offset:3072
	s_branch .LBB156_98
.LBB156_103:                            ;   in Loop: Header=BB156_100 Depth=2
	v_add_nc_u64_e32 v[42:43], s[34:35], v[42:43]
	v_add_nc_u64_e32 v[40:41], s[36:37], v[40:41]
	s_mov_b32 s66, 0
	s_delay_alu instid0(VALU_DEP_2)
	v_cmp_le_u64_e32 vcc_lo, s[8:9], v[42:43]
	s_or_not1_b32 s26, vcc_lo, exec_lo
	s_branch .LBB156_99
.LBB156_104:                            ;   in Loop: Header=BB156_6 Depth=1
	s_or_b32 exec_lo, exec_lo, s25
	s_delay_alu instid0(SALU_CYCLE_1) | instskip(SKIP_1) | instid1(SALU_CYCLE_1)
	s_and_not1_b32 s8, s24, exec_lo
	s_and_b32 s9, s23, exec_lo
	s_or_b32 s24, s8, s9
.LBB156_105:                            ;   in Loop: Header=BB156_6 Depth=1
	s_or_b32 exec_lo, exec_lo, s22
	s_mov_b32 s67, 0
	s_mov_b32 s68, -1
.LBB156_106:                            ;   in Loop: Header=BB156_6 Depth=1
	s_or_not1_b32 s8, s24, exec_lo
.LBB156_107:                            ;   in Loop: Header=BB156_6 Depth=1
	s_or_b32 exec_lo, exec_lo, s65
	s_mov_b32 s69, 0
	s_mov_b32 s66, 0
	;; [unrolled: 1-line block ×3, first 2 shown]
                                        ; implicit-def: $vgpr40_vgpr41
                                        ; implicit-def: $vgpr20
	s_and_saveexec_b32 s70, s8
	s_cbranch_execz .LBB156_265
; %bb.108:                              ;   in Loop: Header=BB156_6 Depth=1
	v_mov_b64_e32 v[40:41], 1
	v_mov_b32_e32 v20, 1
	s_xor_b32 s22, s71, -1
	s_mov_b32 s9, 0
	s_and_saveexec_b32 s8, s22
	s_cbranch_execz .LBB156_117
; %bb.109:                              ;   in Loop: Header=BB156_6 Depth=1
	s_mov_b32 s9, exec_lo
	v_cmpx_ge_u64_e64 s[10:11], v[38:39]
	s_xor_b32 s9, exec_lo, s9
	s_cbranch_execz .LBB156_114
; %bb.110:                              ;   in Loop: Header=BB156_6 Depth=1
	ds_load_b64 v[4:5], v21 offset:5120
	v_and_b32_e32 v15, s15, v15
	v_and_b32_e32 v14, s14, v14
	v_or_b32_e32 v13, s13, v13
	v_or_b32_e32 v12, s12, v12
	s_wait_dscnt 0x0
	v_cmp_ne_u64_e32 vcc_lo, 0, v[4:5]
	s_cbranch_vccnz .LBB156_114
; %bb.111:                              ;   in Loop: Header=BB156_6 Depth=1
	s_and_saveexec_b32 s22, s5
; %bb.112:                              ;   in Loop: Header=BB156_6 Depth=1
	v_mov_b64_e32 v[4:5], s[10:11]
	ds_store_b64 v21, v[4:5] offset:5128
; %bb.113:                              ;   in Loop: Header=BB156_6 Depth=1
	s_or_b32 exec_lo, exec_lo, s22
	s_wait_dscnt 0x0
	s_barrier_signal -1
	s_barrier_wait -1
.LBB156_114:                            ;   in Loop: Header=BB156_6 Depth=1
	s_or_saveexec_b32 s9, s9
	v_mov_b64_e32 v[40:41], v[38:39]
	v_mov_b32_e32 v20, 8
	s_mov_b32 s22, 0
	s_xor_b32 exec_lo, exec_lo, s9
; %bb.115:                              ;   in Loop: Header=BB156_6 Depth=1
	v_sub_nc_u64_e64 v[40:41], v[38:39], s[10:11]
	v_mov_b32_e32 v20, 0
	s_mov_b32 s22, exec_lo
; %bb.116:                              ;   in Loop: Header=BB156_6 Depth=1
	s_or_b32 exec_lo, exec_lo, s9
	s_delay_alu instid0(SALU_CYCLE_1)
	s_and_b32 s9, s22, exec_lo
.LBB156_117:                            ;   in Loop: Header=BB156_6 Depth=1
	s_or_b32 exec_lo, exec_lo, s8
	s_mov_b32 s8, -1
                                        ; implicit-def: $sgpr66
                                        ; implicit-def: $sgpr71
	s_and_saveexec_b32 s22, s9
	s_delay_alu instid0(SALU_CYCLE_1)
	s_xor_b32 s65, exec_lo, s22
	s_cbranch_execz .LBB156_262
; %bb.118:                              ;   in Loop: Header=BB156_6 Depth=1
	v_cmp_eq_u64_e32 vcc_lo, 1, v[40:41]
	s_cmp_eq_u64 s[16:17], 1
                                        ; implicit-def: $sgpr71
                                        ; implicit-def: $sgpr66
	s_cselect_b32 s8, -1, 0
	s_delay_alu instid0(SALU_CYCLE_1)
	s_and_b32 s73, s8, vcc_lo
	s_mov_b32 s8, -1
	s_and_saveexec_b32 s72, s73
	s_cbranch_execz .LBB156_152
; %bb.119:                              ;   in Loop: Header=BB156_6 Depth=1
	ds_load_b64 v[4:5], v21 offset:5120
	s_wait_dscnt 0x0
	s_barrier_signal -1
	s_barrier_wait -1
	v_readfirstlane_b32 s8, v4
	v_readfirstlane_b32 s9, v5
	s_and_saveexec_b32 s22, s6
; %bb.120:                              ;   in Loop: Header=BB156_6 Depth=1
	ds_store_b64 v48, v[34:35]
; %bb.121:                              ;   in Loop: Header=BB156_6 Depth=1
	s_or_b32 exec_lo, exec_lo, s22
	v_and_b32_e32 v3, s15, v15
	v_and_b32_e32 v4, s14, v14
	s_lshl_b64 s[22:23], 1, s86
	v_or_b32_e32 v13, s13, v13
	v_or_b32_e32 v12, s12, v12
	;; [unrolled: 1-line block ×4, first 2 shown]
	s_mov_b32 s66, -1
	s_mov_b32 s71, 0
	s_cmp_eq_u64 s[8:9], 0
	s_mov_b32 s24, 0
	s_mov_b32 s25, -1
	s_wait_dscnt 0x0
	s_barrier_signal -1
	s_barrier_wait -1
                                        ; implicit-def: $vgpr10_vgpr11
	s_cbranch_scc1 .LBB156_137
; %bb.122:                              ;   in Loop: Header=BB156_6 Depth=1
	s_add_nc_u64 s[22:23], s[8:9], s[52:53]
	s_delay_alu instid0(SALU_CYCLE_1) | instskip(NEXT) | instid1(SALU_CYCLE_1)
	s_and_b64 s[24:25], s[22:23], 0xffffffff00000000
	s_cmp_lg_u64 s[24:25], 0
	s_cbranch_scc0 .LBB156_178
; %bb.123:                              ;   in Loop: Header=BB156_6 Depth=1
	s_cvt_f32_u32 s24, s34
	s_sub_nc_u64 s[44:45], 0, s[34:35]
	s_delay_alu instid0(SALU_CYCLE_2) | instskip(NEXT) | instid1(SALU_CYCLE_3)
	s_fmamk_f32 s24, s88, 0x0, s24
	v_s_rcp_f32 s24, s24
	s_delay_alu instid0(TRANS32_DEP_1) | instskip(NEXT) | instid1(SALU_CYCLE_3)
	s_mul_f32 s24, s24, 0x5f7ffffc
	s_mul_f32 s25, s24, 0x2f800000
	s_delay_alu instid0(SALU_CYCLE_3) | instskip(NEXT) | instid1(SALU_CYCLE_3)
	s_trunc_f32 s25, s25
	s_fmamk_f32 s24, s25, 0xcf800000, s24
	s_cvt_u32_f32 s25, s25
	s_delay_alu instid0(SALU_CYCLE_2) | instskip(NEXT) | instid1(SALU_CYCLE_3)
	s_cvt_u32_f32 s24, s24
	s_mul_u64 s[74:75], s[44:45], s[24:25]
	s_delay_alu instid0(SALU_CYCLE_1)
	s_mul_hi_u32 s77, s24, s75
	s_mul_i32 s76, s24, s75
	s_mul_hi_u32 s26, s24, s74
	s_mul_i32 s47, s25, s74
	s_add_nc_u64 s[76:77], s[26:27], s[76:77]
	s_mul_hi_u32 s46, s25, s74
	s_mul_hi_u32 s100, s25, s75
	s_add_co_u32 s26, s76, s47
	s_add_co_ci_u32 s26, s77, s46
	s_mul_i32 s74, s25, s75
	s_add_co_ci_u32 s75, s100, 0
	s_delay_alu instid0(SALU_CYCLE_1) | instskip(NEXT) | instid1(SALU_CYCLE_1)
	s_add_nc_u64 s[74:75], s[26:27], s[74:75]
	s_add_co_u32 s24, s24, s74
	s_cselect_b32 s26, -1, 0
	s_delay_alu instid0(SALU_CYCLE_1) | instskip(SKIP_1) | instid1(SALU_CYCLE_1)
	s_cmp_lg_u32 s26, 0
	s_add_co_ci_u32 s25, s25, s75
	s_mul_u64 s[44:45], s[44:45], s[24:25]
	s_delay_alu instid0(SALU_CYCLE_1)
	s_mul_hi_u32 s75, s24, s45
	s_mul_i32 s74, s24, s45
	s_mul_hi_u32 s26, s24, s44
	s_mul_i32 s47, s25, s44
	s_add_nc_u64 s[74:75], s[26:27], s[74:75]
	s_mul_hi_u32 s46, s25, s44
	s_mul_hi_u32 s76, s25, s45
	s_add_co_u32 s26, s74, s47
	s_add_co_ci_u32 s26, s75, s46
	s_mul_i32 s44, s25, s45
	s_add_co_ci_u32 s45, s76, 0
	s_delay_alu instid0(SALU_CYCLE_1) | instskip(NEXT) | instid1(SALU_CYCLE_1)
	s_add_nc_u64 s[44:45], s[26:27], s[44:45]
	s_add_co_u32 s24, s24, s44
	s_cselect_b32 s44, -1, 0
	s_mul_hi_u32 s26, s22, s24
	s_cmp_lg_u32 s44, 0
	s_mul_hi_u32 s46, s23, s24
	s_add_co_ci_u32 s44, s25, s45
	s_mul_i32 s45, s23, s24
	s_mul_hi_u32 s25, s22, s44
	s_mul_i32 s24, s22, s44
	s_mul_hi_u32 s47, s23, s44
	s_add_nc_u64 s[24:25], s[26:27], s[24:25]
	s_mul_i32 s44, s23, s44
	s_add_co_u32 s24, s24, s45
	s_add_co_ci_u32 s26, s25, s46
	s_add_co_ci_u32 s45, s47, 0
	s_delay_alu instid0(SALU_CYCLE_1) | instskip(NEXT) | instid1(SALU_CYCLE_1)
	s_add_nc_u64 s[24:25], s[26:27], s[44:45]
	s_and_b64 s[44:45], s[24:25], 0xffffffff00000000
	s_delay_alu instid0(SALU_CYCLE_1) | instskip(NEXT) | instid1(SALU_CYCLE_1)
	s_or_b32 s44, s44, s24
	s_mul_u64 s[24:25], s[34:35], s[44:45]
	s_delay_alu instid0(SALU_CYCLE_1) | instskip(SKIP_1) | instid1(SALU_CYCLE_1)
	s_sub_co_u32 s24, s22, s24
	s_cselect_b32 s26, -1, 0
	s_cmp_lg_u32 s26, 0
	s_sub_co_ci_u32 s25, s23, s25
	s_sub_co_u32 s26, s24, s34
	s_cselect_b32 s44, -1, 0
	s_delay_alu instid0(SALU_CYCLE_1) | instskip(SKIP_3) | instid1(SALU_CYCLE_1)
	s_cmp_lg_u32 s44, 0
	s_sub_co_ci_u32 s44, s25, 0
	s_sub_co_u32 s45, s26, s34
	s_cselect_b32 s46, -1, 0
	s_cmp_lg_u32 s46, 0
	s_sub_co_ci_u32 s46, s44, 0
	s_cmp_ge_u32 s26, s34
	s_cselect_b32 s47, -1, 0
	s_cmp_eq_u32 s44, 0
	s_cselect_b32 s47, s47, -1
	s_delay_alu instid0(SALU_CYCLE_1)
	s_cmp_lg_u32 s47, 0
	s_cselect_b32 s44, s46, s44
	s_cselect_b32 s26, s45, s26
	s_cmp_ge_u32 s24, s34
	s_cselect_b32 s45, -1, 0
	s_cmp_eq_u32 s25, 0
	s_cselect_b32 s45, s45, -1
	s_delay_alu instid0(SALU_CYCLE_1)
	s_cmp_lg_u32 s45, 0
	s_cselect_b32 s25, s44, s25
	s_cselect_b32 s24, s26, s24
	s_cbranch_execnz .LBB156_125
.LBB156_124:                            ;   in Loop: Header=BB156_6 Depth=1
	v_cvt_f32_u32_e32 v3, s34
	s_sub_co_i32 s25, 0, s34
	s_delay_alu instid0(VALU_DEP_1) | instskip(SKIP_1) | instid1(TRANS32_DEP_1)
	v_rcp_iflag_f32_e32 v3, v3
	v_nop
	v_mul_f32_e32 v3, 0x4f7ffffe, v3
	s_delay_alu instid0(VALU_DEP_1) | instskip(NEXT) | instid1(VALU_DEP_1)
	v_cvt_u32_f32_e32 v3, v3
	v_readfirstlane_b32 s24, v3
	s_mul_i32 s25, s25, s24
	s_delay_alu instid0(SALU_CYCLE_1) | instskip(NEXT) | instid1(SALU_CYCLE_1)
	s_mul_hi_u32 s25, s24, s25
	s_add_co_i32 s24, s24, s25
	s_delay_alu instid0(SALU_CYCLE_1) | instskip(NEXT) | instid1(SALU_CYCLE_1)
	s_mul_hi_u32 s24, s22, s24
	s_mul_i32 s24, s24, s34
	s_delay_alu instid0(SALU_CYCLE_1) | instskip(NEXT) | instid1(SALU_CYCLE_1)
	s_sub_co_i32 s24, s22, s24
	s_sub_co_i32 s25, s24, s34
	s_cmp_ge_u32 s24, s34
	s_cselect_b32 s24, s25, s24
	s_delay_alu instid0(SALU_CYCLE_1) | instskip(SKIP_2) | instid1(SALU_CYCLE_1)
	s_sub_co_i32 s25, s24, s34
	s_cmp_ge_u32 s24, s34
	s_cselect_b32 s26, s25, s24
	s_mov_b64 s[24:25], s[26:27]
.LBB156_125:                            ;   in Loop: Header=BB156_6 Depth=1
	s_delay_alu instid0(SALU_CYCLE_1)
	s_sub_nc_u64 s[22:23], s[22:23], s[24:25]
	s_mov_b32 s25, 0
	s_mov_b32 s24, 0
	s_mov_b32 s26, exec_lo
                                        ; implicit-def: $vgpr10_vgpr11
	v_cmpx_gt_u64_e64 s[22:23], v[0:1]
	s_cbranch_execz .LBB156_136
; %bb.126:                              ;   in Loop: Header=BB156_6 Depth=1
	v_mov_b64_e32 v[42:43], v[0:1]
	v_mov_b32_e32 v44, v47
                                        ; implicit-def: $sgpr74
	s_branch .LBB156_129
.LBB156_127:                            ;   in Loop: Header=BB156_129 Depth=2
	s_or_b32 exec_lo, exec_lo, s75
	s_wait_dscnt 0x0
	s_barrier_signal -1
	s_barrier_wait -1
	ds_load_b128 v[8:11], v21 offset:3072
	s_mov_b32 s75, -1
	s_mov_b32 s76, -1
	s_wait_dscnt 0x0
	s_barrier_signal -1
	s_barrier_wait -1
	v_cmp_ne_u64_e32 vcc_lo, 0, v[8:9]
	s_cbranch_vccz .LBB156_132
.LBB156_128:                            ;   in Loop: Header=BB156_129 Depth=2
	s_and_b32 s44, exec_lo, s75
	s_delay_alu instid0(SALU_CYCLE_1) | instskip(SKIP_2) | instid1(SALU_CYCLE_1)
	s_or_b32 s24, s44, s24
	s_and_not1_b32 s44, s74, exec_lo
	s_and_b32 s45, s76, exec_lo
	s_or_b32 s74, s44, s45
	s_and_not1_b32 exec_lo, exec_lo, s24
	s_cbranch_execz .LBB156_135
.LBB156_129:                            ;   Parent Loop BB156_6 Depth=1
                                        ; =>  This Inner Loop Header: Depth=2
	s_mov_b32 s75, exec_lo
	s_delay_alu instid0(VALU_DEP_2)
	v_cmpx_gt_u64_e64 s[8:9], v[42:43]
	s_cbranch_execz .LBB156_127
; %bb.130:                              ;   in Loop: Header=BB156_129 Depth=2
	ds_load_b64 v[4:5], v44
	s_wait_dscnt 0x0
	v_xor_b32_e32 v3, 0x80000000, v5
	v_and_b32_e32 v8, v4, v12
	s_delay_alu instid0(VALU_DEP_2) | instskip(NEXT) | instid1(VALU_DEP_1)
	v_and_b32_e32 v9, v3, v13
	v_cmp_eq_u64_e32 vcc_lo, v[8:9], v[14:15]
	s_and_b32 exec_lo, exec_lo, vcc_lo
	s_cbranch_execz .LBB156_127
; %bb.131:                              ;   in Loop: Header=BB156_129 Depth=2
	v_mov_b32_e32 v3, v21
	ds_store_b128 v21, v[2:5] offset:3072
	s_branch .LBB156_127
.LBB156_132:                            ;   in Loop: Header=BB156_129 Depth=2
	v_add_nc_u64_e32 v[42:43], s[34:35], v[42:43]
	v_add_nc_u32_e32 v44, s85, v44
	s_mov_b32 s76, 0
	s_delay_alu instid0(VALU_DEP_2)
	v_cmp_le_u64_e32 vcc_lo, s[22:23], v[42:43]
	s_or_not1_b32 s75, vcc_lo, exec_lo
	s_branch .LBB156_128
.LBB156_133:                            ;   in Loop: Header=BB156_6 Depth=1
                                        ; implicit-def: $sgpr24_sgpr25
	s_branch .LBB156_78
.LBB156_134:                            ;   in Loop: Header=BB156_6 Depth=1
                                        ; implicit-def: $sgpr8_sgpr9
	s_branch .LBB156_95
.LBB156_135:                            ;   in Loop: Header=BB156_6 Depth=1
	s_or_b32 exec_lo, exec_lo, s24
	s_delay_alu instid0(SALU_CYCLE_1)
	s_and_b32 s24, s74, exec_lo
.LBB156_136:                            ;   in Loop: Header=BB156_6 Depth=1
	s_or_b32 exec_lo, exec_lo, s26
.LBB156_137:                            ;   in Loop: Header=BB156_6 Depth=1
	s_delay_alu instid0(SALU_CYCLE_1)
	s_and_b32 vcc_lo, exec_lo, s25
	s_cbranch_vccz .LBB156_151
; %bb.138:                              ;   in Loop: Header=BB156_6 Depth=1
	s_and_b64 s[8:9], s[54:55], 0xffffffff00000000
	s_delay_alu instid0(SALU_CYCLE_1)
	s_cmp_lg_u64 s[8:9], 0
	s_cbranch_scc0 .LBB156_179
; %bb.139:                              ;   in Loop: Header=BB156_6 Depth=1
	s_cvt_f32_u32 s8, s34
	s_sub_nc_u64 s[22:23], 0, s[34:35]
	s_delay_alu instid0(SALU_CYCLE_2) | instskip(NEXT) | instid1(SALU_CYCLE_3)
	s_fmamk_f32 s8, s88, 0x0, s8
	v_s_rcp_f32 s8, s8
	s_delay_alu instid0(TRANS32_DEP_1) | instskip(NEXT) | instid1(SALU_CYCLE_3)
	s_mul_f32 s8, s8, 0x5f7ffffc
	s_mul_f32 s9, s8, 0x2f800000
	s_delay_alu instid0(SALU_CYCLE_3) | instskip(NEXT) | instid1(SALU_CYCLE_3)
	s_trunc_f32 s9, s9
	s_fmamk_f32 s8, s9, 0xcf800000, s8
	s_cvt_u32_f32 s9, s9
	s_delay_alu instid0(SALU_CYCLE_2) | instskip(NEXT) | instid1(SALU_CYCLE_3)
	s_cvt_u32_f32 s8, s8
	s_mul_u64 s[44:45], s[22:23], s[8:9]
	s_delay_alu instid0(SALU_CYCLE_1)
	s_mul_hi_u32 s75, s8, s45
	s_mul_i32 s74, s8, s45
	s_mul_hi_u32 s26, s8, s44
	s_mul_i32 s46, s9, s44
	s_add_nc_u64 s[74:75], s[26:27], s[74:75]
	s_mul_hi_u32 s25, s9, s44
	s_mul_hi_u32 s47, s9, s45
	s_add_co_u32 s26, s74, s46
	s_add_co_ci_u32 s26, s75, s25
	s_mul_i32 s44, s9, s45
	s_add_co_ci_u32 s45, s47, 0
	s_delay_alu instid0(SALU_CYCLE_1) | instskip(NEXT) | instid1(SALU_CYCLE_1)
	s_add_nc_u64 s[44:45], s[26:27], s[44:45]
	s_add_co_u32 s8, s8, s44
	s_cselect_b32 s25, -1, 0
	s_delay_alu instid0(SALU_CYCLE_1) | instskip(SKIP_1) | instid1(SALU_CYCLE_1)
	s_cmp_lg_u32 s25, 0
	s_add_co_ci_u32 s9, s9, s45
	s_mul_u64 s[22:23], s[22:23], s[8:9]
	s_delay_alu instid0(SALU_CYCLE_1)
	s_mul_hi_u32 s45, s8, s23
	s_mul_i32 s44, s8, s23
	s_mul_hi_u32 s26, s8, s22
	s_mul_i32 s46, s9, s22
	s_add_nc_u64 s[44:45], s[26:27], s[44:45]
	s_mul_hi_u32 s25, s9, s22
	s_mul_hi_u32 s47, s9, s23
	s_mul_i32 s22, s9, s23
	s_add_co_u32 s23, s44, s46
	s_add_co_ci_u32 s26, s45, s25
	s_add_co_ci_u32 s23, s47, 0
	s_delay_alu instid0(SALU_CYCLE_1) | instskip(NEXT) | instid1(SALU_CYCLE_1)
	s_add_nc_u64 s[22:23], s[26:27], s[22:23]
	s_add_co_u32 s8, s8, s22
	s_cselect_b32 s22, -1, 0
	s_mul_hi_u32 s26, s54, s8
	s_cmp_lg_u32 s22, 0
	s_mul_hi_u32 s25, s55, s8
	s_add_co_ci_u32 s22, s9, s23
	s_mul_i32 s23, s55, s8
	s_mul_hi_u32 s9, s54, s22
	s_mul_i32 s8, s54, s22
	s_mul_hi_u32 s44, s55, s22
	s_add_nc_u64 s[8:9], s[26:27], s[8:9]
	s_mul_i32 s22, s55, s22
	s_add_co_u32 s8, s8, s23
	s_add_co_ci_u32 s26, s9, s25
	s_add_co_ci_u32 s23, s44, 0
	s_delay_alu instid0(SALU_CYCLE_1) | instskip(NEXT) | instid1(SALU_CYCLE_1)
	s_add_nc_u64 s[8:9], s[26:27], s[22:23]
	s_and_b64 s[22:23], s[8:9], 0xffffffff00000000
	s_delay_alu instid0(SALU_CYCLE_1) | instskip(NEXT) | instid1(SALU_CYCLE_1)
	s_or_b32 s22, s22, s8
	s_mul_u64 s[8:9], s[34:35], s[22:23]
	s_delay_alu instid0(SALU_CYCLE_1) | instskip(SKIP_1) | instid1(SALU_CYCLE_1)
	s_sub_co_u32 s8, s54, s8
	s_cselect_b32 s22, -1, 0
	s_cmp_lg_u32 s22, 0
	s_sub_co_ci_u32 s9, s55, s9
	s_sub_co_u32 s22, s8, s34
	s_cselect_b32 s23, -1, 0
	s_delay_alu instid0(SALU_CYCLE_1) | instskip(SKIP_3) | instid1(SALU_CYCLE_1)
	s_cmp_lg_u32 s23, 0
	s_sub_co_ci_u32 s23, s9, 0
	s_sub_co_u32 s25, s22, s34
	s_cselect_b32 s26, -1, 0
	s_cmp_lg_u32 s26, 0
	s_sub_co_ci_u32 s26, s23, 0
	s_cmp_ge_u32 s22, s34
	s_cselect_b32 s44, -1, 0
	s_cmp_eq_u32 s23, 0
	s_cselect_b32 s44, s44, -1
	s_delay_alu instid0(SALU_CYCLE_1)
	s_cmp_lg_u32 s44, 0
	s_cselect_b32 s23, s26, s23
	s_cselect_b32 s22, s25, s22
	s_cmp_ge_u32 s8, s34
	s_cselect_b32 s25, -1, 0
	s_cmp_eq_u32 s9, 0
	s_cselect_b32 s25, s25, -1
	s_delay_alu instid0(SALU_CYCLE_1)
	s_cmp_lg_u32 s25, 0
	s_cselect_b32 s9, s23, s9
	s_cselect_b32 s8, s22, s8
	s_cbranch_execnz .LBB156_141
.LBB156_140:                            ;   in Loop: Header=BB156_6 Depth=1
	v_cvt_f32_u32_e32 v3, s34
	s_sub_co_i32 s9, 0, s34
	s_delay_alu instid0(VALU_DEP_1) | instskip(SKIP_1) | instid1(TRANS32_DEP_1)
	v_rcp_iflag_f32_e32 v3, v3
	v_nop
	v_mul_f32_e32 v3, 0x4f7ffffe, v3
	s_delay_alu instid0(VALU_DEP_1) | instskip(NEXT) | instid1(VALU_DEP_1)
	v_cvt_u32_f32_e32 v3, v3
	v_readfirstlane_b32 s8, v3
	s_mul_i32 s9, s9, s8
	s_delay_alu instid0(SALU_CYCLE_1) | instskip(NEXT) | instid1(SALU_CYCLE_1)
	s_mul_hi_u32 s9, s8, s9
	s_add_co_i32 s8, s8, s9
	s_delay_alu instid0(SALU_CYCLE_1) | instskip(NEXT) | instid1(SALU_CYCLE_1)
	s_mul_hi_u32 s8, s54, s8
	s_mul_i32 s8, s8, s34
	s_delay_alu instid0(SALU_CYCLE_1) | instskip(NEXT) | instid1(SALU_CYCLE_1)
	s_sub_co_i32 s8, s54, s8
	s_sub_co_i32 s9, s8, s34
	s_cmp_ge_u32 s8, s34
	s_cselect_b32 s8, s9, s8
	s_delay_alu instid0(SALU_CYCLE_1) | instskip(SKIP_2) | instid1(SALU_CYCLE_1)
	s_sub_co_i32 s9, s8, s34
	s_cmp_ge_u32 s8, s34
	s_cselect_b32 s26, s9, s8
	s_mov_b64 s[8:9], s[26:27]
.LBB156_141:                            ;   in Loop: Header=BB156_6 Depth=1
	s_delay_alu instid0(SALU_CYCLE_1)
	s_sub_nc_u64 s[8:9], s[54:55], s[8:9]
	s_mov_b32 s22, exec_lo
                                        ; implicit-def: $vgpr10_vgpr11
	v_nop
	v_cmpx_gt_u64_e64 s[8:9], v[0:1]
	s_cbranch_execz .LBB156_150
; %bb.142:                              ;   in Loop: Header=BB156_6 Depth=1
	v_mov_b64_e32 v[42:43], v[18:19]
	v_mov_b64_e32 v[44:45], v[0:1]
	s_mov_b32 s23, 0
                                        ; implicit-def: $sgpr25
	s_branch .LBB156_145
.LBB156_143:                            ;   in Loop: Header=BB156_145 Depth=2
	s_or_b32 exec_lo, exec_lo, s26
	s_wait_dscnt 0x0
	s_barrier_signal -1
	s_barrier_wait -1
	ds_load_b128 v[8:11], v21 offset:3072
	s_mov_b32 s26, -1
	s_mov_b32 s66, -1
	s_wait_dscnt 0x0
	s_barrier_signal -1
	s_barrier_wait -1
	v_cmp_eq_u64_e32 vcc_lo, 0, v[8:9]
	s_cbranch_vccnz .LBB156_148
.LBB156_144:                            ;   in Loop: Header=BB156_145 Depth=2
	s_and_b32 s26, exec_lo, s26
	s_delay_alu instid0(SALU_CYCLE_1) | instskip(SKIP_2) | instid1(SALU_CYCLE_1)
	s_or_b32 s23, s26, s23
	s_and_not1_b32 s25, s25, exec_lo
	s_and_b32 s26, s66, exec_lo
	s_or_b32 s25, s25, s26
	s_and_not1_b32 exec_lo, exec_lo, s23
	s_cbranch_execz .LBB156_149
.LBB156_145:                            ;   Parent Loop BB156_6 Depth=1
                                        ; =>  This Inner Loop Header: Depth=2
	s_mov_b32 s26, exec_lo
	s_delay_alu instid0(VALU_DEP_1)
	v_cmpx_gt_u64_e64 s[28:29], v[44:45]
	s_cbranch_execz .LBB156_143
; %bb.146:                              ;   in Loop: Header=BB156_145 Depth=2
	global_load_b64 v[4:5], v[42:43], off
	s_wait_loadcnt 0x0
	v_xor_b32_e32 v3, 0x80000000, v5
	v_and_b32_e32 v8, v4, v12
	s_delay_alu instid0(VALU_DEP_2) | instskip(NEXT) | instid1(VALU_DEP_1)
	v_and_b32_e32 v9, v3, v13
	v_cmp_eq_u64_e32 vcc_lo, v[8:9], v[14:15]
	s_and_b32 exec_lo, exec_lo, vcc_lo
	s_cbranch_execz .LBB156_143
; %bb.147:                              ;   in Loop: Header=BB156_145 Depth=2
	v_mov_b32_e32 v3, v21
	ds_store_b128 v21, v[2:5] offset:3072
	s_branch .LBB156_143
.LBB156_148:                            ;   in Loop: Header=BB156_145 Depth=2
	v_add_nc_u64_e32 v[44:45], s[34:35], v[44:45]
	v_add_nc_u64_e32 v[42:43], s[36:37], v[42:43]
	s_mov_b32 s66, 0
	s_delay_alu instid0(VALU_DEP_2)
	v_cmp_le_u64_e32 vcc_lo, s[8:9], v[44:45]
	s_or_not1_b32 s26, vcc_lo, exec_lo
	s_branch .LBB156_144
.LBB156_149:                            ;   in Loop: Header=BB156_6 Depth=1
	s_or_b32 exec_lo, exec_lo, s23
	s_delay_alu instid0(SALU_CYCLE_1) | instskip(SKIP_1) | instid1(SALU_CYCLE_1)
	s_and_not1_b32 s8, s24, exec_lo
	s_and_b32 s9, s25, exec_lo
	s_or_b32 s24, s8, s9
.LBB156_150:                            ;   in Loop: Header=BB156_6 Depth=1
	s_or_b32 exec_lo, exec_lo, s22
	s_mov_b32 s66, 0
	s_mov_b32 s71, -1
.LBB156_151:                            ;   in Loop: Header=BB156_6 Depth=1
	s_or_not1_b32 s8, s24, exec_lo
.LBB156_152:                            ;   in Loop: Header=BB156_6 Depth=1
	s_or_b32 exec_lo, exec_lo, s72
	s_mov_b32 s9, 0
	s_and_saveexec_b32 s72, s8
	s_cbranch_execz .LBB156_261
; %bb.153:                              ;   in Loop: Header=BB156_6 Depth=1
	v_mov_b64_e32 v[42:43], 1
	v_mov_b32_e32 v20, 1
	s_xor_b32 s22, s73, -1
	s_delay_alu instid0(SALU_CYCLE_1)
	s_and_saveexec_b32 s8, s22
	s_cbranch_execz .LBB156_162
; %bb.154:                              ;   in Loop: Header=BB156_6 Depth=1
	s_mov_b32 s9, exec_lo
	v_cmpx_ge_u64_e64 s[16:17], v[40:41]
	s_xor_b32 s9, exec_lo, s9
	s_cbranch_execz .LBB156_159
; %bb.155:                              ;   in Loop: Header=BB156_6 Depth=1
	ds_load_b64 v[4:5], v21 offset:5120
	v_and_b32_e32 v3, s15, v15
	v_and_b32_e32 v8, s14, v14
	s_lshl_b64 s[22:23], 1, s86
	v_or_b32_e32 v13, s13, v13
	v_or_b32_e32 v12, s12, v12
	;; [unrolled: 1-line block ×4, first 2 shown]
	s_wait_dscnt 0x0
	v_cmp_ne_u64_e32 vcc_lo, 0, v[4:5]
	s_cbranch_vccnz .LBB156_159
; %bb.156:                              ;   in Loop: Header=BB156_6 Depth=1
	s_and_saveexec_b32 s22, s5
; %bb.157:                              ;   in Loop: Header=BB156_6 Depth=1
	v_mov_b64_e32 v[4:5], s[16:17]
	ds_store_b64 v21, v[4:5] offset:5128
; %bb.158:                              ;   in Loop: Header=BB156_6 Depth=1
	s_or_b32 exec_lo, exec_lo, s22
	s_wait_dscnt 0x0
	s_barrier_signal -1
	s_barrier_wait -1
.LBB156_159:                            ;   in Loop: Header=BB156_6 Depth=1
	s_or_saveexec_b32 s9, s9
	v_mov_b32_e32 v20, 8
	s_mov_b32 s22, 0
	s_xor_b32 exec_lo, exec_lo, s9
; %bb.160:                              ;   in Loop: Header=BB156_6 Depth=1
	v_sub_nc_u64_e64 v[40:41], v[40:41], s[16:17]
	v_mov_b32_e32 v20, 0
	s_mov_b32 s22, exec_lo
; %bb.161:                              ;   in Loop: Header=BB156_6 Depth=1
	s_or_b32 exec_lo, exec_lo, s9
	s_delay_alu instid0(VALU_DEP_2)
	v_mov_b64_e32 v[42:43], v[40:41]
	s_and_b32 s9, s22, exec_lo
.LBB156_162:                            ;   in Loop: Header=BB156_6 Depth=1
	s_or_b32 exec_lo, exec_lo, s8
	s_mov_b32 s8, -1
                                        ; implicit-def: $sgpr74
                                        ; implicit-def: $sgpr75
	s_and_saveexec_b32 s73, s9
	s_cbranch_execz .LBB156_260
; %bb.163:                              ;   in Loop: Header=BB156_6 Depth=1
	s_delay_alu instid0(VALU_DEP_1) | instskip(SKIP_2) | instid1(SALU_CYCLE_1)
	v_cmp_eq_u64_e32 vcc_lo, 1, v[42:43]
	s_cmp_eq_u64 s[18:19], 1
                                        ; implicit-def: $sgpr75
                                        ; implicit-def: $sgpr74
	s_cselect_b32 s8, -1, 0
	s_and_b32 s77, s8, vcc_lo
	s_mov_b32 s8, -1
	s_and_saveexec_b32 s76, s77
	s_cbranch_execz .LBB156_197
; %bb.164:                              ;   in Loop: Header=BB156_6 Depth=1
	ds_load_b64 v[4:5], v21 offset:5120
	s_wait_dscnt 0x0
	s_barrier_signal -1
	s_barrier_wait -1
	v_readfirstlane_b32 s8, v4
	v_readfirstlane_b32 s9, v5
	s_and_saveexec_b32 s22, s6
; %bb.165:                              ;   in Loop: Header=BB156_6 Depth=1
	ds_store_b64 v48, v[34:35]
; %bb.166:                              ;   in Loop: Header=BB156_6 Depth=1
	s_or_b32 exec_lo, exec_lo, s22
	v_and_b32_e32 v3, s15, v15
	v_and_b32_e32 v4, s14, v14
	s_lshl_b64 s[22:23], 2, s86
	v_or_b32_e32 v13, s13, v13
	v_or_b32_e32 v12, s12, v12
	;; [unrolled: 1-line block ×4, first 2 shown]
	s_mov_b32 s74, -1
	s_mov_b32 s75, 0
	s_cmp_eq_u64 s[8:9], 0
	s_mov_b32 s24, 0
	s_mov_b32 s25, -1
	s_wait_dscnt 0x0
	s_barrier_signal -1
	s_barrier_wait -1
                                        ; implicit-def: $vgpr10_vgpr11
	s_cbranch_scc1 .LBB156_182
; %bb.167:                              ;   in Loop: Header=BB156_6 Depth=1
	s_add_nc_u64 s[22:23], s[8:9], s[52:53]
	s_delay_alu instid0(SALU_CYCLE_1) | instskip(NEXT) | instid1(SALU_CYCLE_1)
	s_and_b64 s[24:25], s[22:23], 0xffffffff00000000
	s_cmp_lg_u64 s[24:25], 0
	s_cbranch_scc0 .LBB156_214
; %bb.168:                              ;   in Loop: Header=BB156_6 Depth=1
	s_cvt_f32_u32 s24, s34
	s_sub_nc_u64 s[44:45], 0, s[34:35]
	s_delay_alu instid0(SALU_CYCLE_2) | instskip(NEXT) | instid1(SALU_CYCLE_3)
	s_fmamk_f32 s24, s88, 0x0, s24
	v_s_rcp_f32 s24, s24
	s_delay_alu instid0(TRANS32_DEP_1) | instskip(NEXT) | instid1(SALU_CYCLE_3)
	s_mul_f32 s24, s24, 0x5f7ffffc
	s_mul_f32 s25, s24, 0x2f800000
	s_delay_alu instid0(SALU_CYCLE_3) | instskip(NEXT) | instid1(SALU_CYCLE_3)
	s_trunc_f32 s25, s25
	s_fmamk_f32 s24, s25, 0xcf800000, s24
	s_cvt_u32_f32 s25, s25
	s_delay_alu instid0(SALU_CYCLE_2) | instskip(NEXT) | instid1(SALU_CYCLE_3)
	s_cvt_u32_f32 s24, s24
	s_mul_u64 s[100:101], s[44:45], s[24:25]
	s_delay_alu instid0(SALU_CYCLE_1)
	s_mul_hi_u32 s103, s24, s101
	s_mul_i32 s102, s24, s101
	s_mul_hi_u32 s26, s24, s100
	s_mul_i32 s47, s25, s100
	s_add_nc_u64 s[102:103], s[26:27], s[102:103]
	s_mul_hi_u32 s46, s25, s100
	s_mul_hi_u32 s104, s25, s101
	s_add_co_u32 s26, s102, s47
	s_add_co_ci_u32 s26, s103, s46
	s_mul_i32 s100, s25, s101
	s_add_co_ci_u32 s101, s104, 0
	s_delay_alu instid0(SALU_CYCLE_1) | instskip(NEXT) | instid1(SALU_CYCLE_1)
	s_add_nc_u64 s[100:101], s[26:27], s[100:101]
	s_add_co_u32 s24, s24, s100
	s_cselect_b32 s26, -1, 0
	s_delay_alu instid0(SALU_CYCLE_1) | instskip(SKIP_1) | instid1(SALU_CYCLE_1)
	s_cmp_lg_u32 s26, 0
	s_add_co_ci_u32 s25, s25, s101
	s_mul_u64 s[44:45], s[44:45], s[24:25]
	s_delay_alu instid0(SALU_CYCLE_1)
	s_mul_hi_u32 s101, s24, s45
	s_mul_i32 s100, s24, s45
	s_mul_hi_u32 s26, s24, s44
	s_mul_i32 s47, s25, s44
	s_add_nc_u64 s[100:101], s[26:27], s[100:101]
	s_mul_hi_u32 s46, s25, s44
	s_mul_hi_u32 s102, s25, s45
	s_add_co_u32 s26, s100, s47
	s_add_co_ci_u32 s26, s101, s46
	s_mul_i32 s44, s25, s45
	s_add_co_ci_u32 s45, s102, 0
	s_delay_alu instid0(SALU_CYCLE_1) | instskip(NEXT) | instid1(SALU_CYCLE_1)
	s_add_nc_u64 s[44:45], s[26:27], s[44:45]
	s_add_co_u32 s24, s24, s44
	s_cselect_b32 s44, -1, 0
	s_mul_hi_u32 s26, s22, s24
	s_cmp_lg_u32 s44, 0
	s_mul_hi_u32 s46, s23, s24
	s_add_co_ci_u32 s44, s25, s45
	s_mul_i32 s45, s23, s24
	s_mul_hi_u32 s25, s22, s44
	s_mul_i32 s24, s22, s44
	s_mul_hi_u32 s47, s23, s44
	s_add_nc_u64 s[24:25], s[26:27], s[24:25]
	s_mul_i32 s44, s23, s44
	s_add_co_u32 s24, s24, s45
	s_add_co_ci_u32 s26, s25, s46
	s_add_co_ci_u32 s45, s47, 0
	s_delay_alu instid0(SALU_CYCLE_1) | instskip(NEXT) | instid1(SALU_CYCLE_1)
	s_add_nc_u64 s[24:25], s[26:27], s[44:45]
	s_and_b64 s[44:45], s[24:25], 0xffffffff00000000
	s_delay_alu instid0(SALU_CYCLE_1) | instskip(NEXT) | instid1(SALU_CYCLE_1)
	s_or_b32 s44, s44, s24
	s_mul_u64 s[24:25], s[34:35], s[44:45]
	s_delay_alu instid0(SALU_CYCLE_1) | instskip(SKIP_1) | instid1(SALU_CYCLE_1)
	s_sub_co_u32 s24, s22, s24
	s_cselect_b32 s26, -1, 0
	s_cmp_lg_u32 s26, 0
	s_sub_co_ci_u32 s25, s23, s25
	s_sub_co_u32 s26, s24, s34
	s_cselect_b32 s44, -1, 0
	s_delay_alu instid0(SALU_CYCLE_1) | instskip(SKIP_3) | instid1(SALU_CYCLE_1)
	s_cmp_lg_u32 s44, 0
	s_sub_co_ci_u32 s44, s25, 0
	s_sub_co_u32 s45, s26, s34
	s_cselect_b32 s46, -1, 0
	s_cmp_lg_u32 s46, 0
	s_sub_co_ci_u32 s46, s44, 0
	s_cmp_ge_u32 s26, s34
	s_cselect_b32 s47, -1, 0
	s_cmp_eq_u32 s44, 0
	s_cselect_b32 s47, s47, -1
	s_delay_alu instid0(SALU_CYCLE_1)
	s_cmp_lg_u32 s47, 0
	s_cselect_b32 s44, s46, s44
	s_cselect_b32 s26, s45, s26
	s_cmp_ge_u32 s24, s34
	s_cselect_b32 s45, -1, 0
	s_cmp_eq_u32 s25, 0
	s_cselect_b32 s45, s45, -1
	s_delay_alu instid0(SALU_CYCLE_1)
	s_cmp_lg_u32 s45, 0
	s_cselect_b32 s25, s44, s25
	s_cselect_b32 s24, s26, s24
	s_cbranch_execnz .LBB156_170
.LBB156_169:                            ;   in Loop: Header=BB156_6 Depth=1
	v_cvt_f32_u32_e32 v3, s34
	s_sub_co_i32 s25, 0, s34
	s_delay_alu instid0(VALU_DEP_1) | instskip(SKIP_1) | instid1(TRANS32_DEP_1)
	v_rcp_iflag_f32_e32 v3, v3
	v_nop
	v_mul_f32_e32 v3, 0x4f7ffffe, v3
	s_delay_alu instid0(VALU_DEP_1) | instskip(NEXT) | instid1(VALU_DEP_1)
	v_cvt_u32_f32_e32 v3, v3
	v_readfirstlane_b32 s24, v3
	s_mul_i32 s25, s25, s24
	s_delay_alu instid0(SALU_CYCLE_1) | instskip(NEXT) | instid1(SALU_CYCLE_1)
	s_mul_hi_u32 s25, s24, s25
	s_add_co_i32 s24, s24, s25
	s_delay_alu instid0(SALU_CYCLE_1) | instskip(NEXT) | instid1(SALU_CYCLE_1)
	s_mul_hi_u32 s24, s22, s24
	s_mul_i32 s24, s24, s34
	s_delay_alu instid0(SALU_CYCLE_1) | instskip(NEXT) | instid1(SALU_CYCLE_1)
	s_sub_co_i32 s24, s22, s24
	s_sub_co_i32 s25, s24, s34
	s_cmp_ge_u32 s24, s34
	s_cselect_b32 s24, s25, s24
	s_delay_alu instid0(SALU_CYCLE_1) | instskip(SKIP_2) | instid1(SALU_CYCLE_1)
	s_sub_co_i32 s25, s24, s34
	s_cmp_ge_u32 s24, s34
	s_cselect_b32 s26, s25, s24
	s_mov_b64 s[24:25], s[26:27]
.LBB156_170:                            ;   in Loop: Header=BB156_6 Depth=1
	s_delay_alu instid0(SALU_CYCLE_1)
	s_sub_nc_u64 s[22:23], s[22:23], s[24:25]
	s_mov_b32 s25, 0
	s_mov_b32 s24, 0
	s_mov_b32 s26, exec_lo
                                        ; implicit-def: $vgpr10_vgpr11
	v_cmpx_gt_u64_e64 s[22:23], v[0:1]
	s_cbranch_execz .LBB156_181
; %bb.171:                              ;   in Loop: Header=BB156_6 Depth=1
	v_mov_b64_e32 v[40:41], v[0:1]
	v_mov_b32_e32 v44, v47
                                        ; implicit-def: $sgpr100
	s_branch .LBB156_174
.LBB156_172:                            ;   in Loop: Header=BB156_174 Depth=2
	s_or_b32 exec_lo, exec_lo, s101
	s_wait_dscnt 0x0
	s_barrier_signal -1
	s_barrier_wait -1
	ds_load_b128 v[8:11], v21 offset:3072
	s_mov_b32 s101, -1
	s_mov_b32 s102, -1
	s_wait_dscnt 0x0
	s_barrier_signal -1
	s_barrier_wait -1
	v_cmp_ne_u64_e32 vcc_lo, 0, v[8:9]
	s_cbranch_vccz .LBB156_177
.LBB156_173:                            ;   in Loop: Header=BB156_174 Depth=2
	s_and_b32 s44, exec_lo, s101
	s_delay_alu instid0(SALU_CYCLE_1) | instskip(SKIP_2) | instid1(SALU_CYCLE_1)
	s_or_b32 s24, s44, s24
	s_and_not1_b32 s44, s100, exec_lo
	s_and_b32 s45, s102, exec_lo
	s_or_b32 s100, s44, s45
	s_and_not1_b32 exec_lo, exec_lo, s24
	s_cbranch_execz .LBB156_180
.LBB156_174:                            ;   Parent Loop BB156_6 Depth=1
                                        ; =>  This Inner Loop Header: Depth=2
	s_mov_b32 s101, exec_lo
	s_delay_alu instid0(VALU_DEP_2)
	v_cmpx_gt_u64_e64 s[8:9], v[40:41]
	s_cbranch_execz .LBB156_172
; %bb.175:                              ;   in Loop: Header=BB156_174 Depth=2
	ds_load_b64 v[4:5], v44
	s_wait_dscnt 0x0
	v_xor_b32_e32 v3, 0x80000000, v5
	v_and_b32_e32 v8, v4, v12
	s_delay_alu instid0(VALU_DEP_2) | instskip(NEXT) | instid1(VALU_DEP_1)
	v_and_b32_e32 v9, v3, v13
	v_cmp_eq_u64_e32 vcc_lo, v[8:9], v[14:15]
	s_and_b32 exec_lo, exec_lo, vcc_lo
	s_cbranch_execz .LBB156_172
; %bb.176:                              ;   in Loop: Header=BB156_174 Depth=2
	v_mov_b32_e32 v3, v21
	ds_store_b128 v21, v[2:5] offset:3072
	s_branch .LBB156_172
.LBB156_177:                            ;   in Loop: Header=BB156_174 Depth=2
	v_add_nc_u64_e32 v[40:41], s[34:35], v[40:41]
	v_add_nc_u32_e32 v44, s85, v44
	s_mov_b32 s102, 0
	s_delay_alu instid0(VALU_DEP_2)
	v_cmp_le_u64_e32 vcc_lo, s[22:23], v[40:41]
	s_or_not1_b32 s101, vcc_lo, exec_lo
	s_branch .LBB156_173
.LBB156_178:                            ;   in Loop: Header=BB156_6 Depth=1
                                        ; implicit-def: $sgpr24_sgpr25
	s_branch .LBB156_124
.LBB156_179:                            ;   in Loop: Header=BB156_6 Depth=1
                                        ; implicit-def: $sgpr8_sgpr9
	s_branch .LBB156_140
.LBB156_180:                            ;   in Loop: Header=BB156_6 Depth=1
	s_or_b32 exec_lo, exec_lo, s24
	s_delay_alu instid0(SALU_CYCLE_1)
	s_and_b32 s24, s100, exec_lo
.LBB156_181:                            ;   in Loop: Header=BB156_6 Depth=1
	s_or_b32 exec_lo, exec_lo, s26
.LBB156_182:                            ;   in Loop: Header=BB156_6 Depth=1
	s_delay_alu instid0(SALU_CYCLE_1)
	s_and_b32 vcc_lo, exec_lo, s25
	s_cbranch_vccz .LBB156_196
; %bb.183:                              ;   in Loop: Header=BB156_6 Depth=1
	s_and_b64 s[8:9], s[54:55], 0xffffffff00000000
	s_delay_alu instid0(SALU_CYCLE_1)
	s_cmp_lg_u64 s[8:9], 0
	s_cbranch_scc0 .LBB156_215
; %bb.184:                              ;   in Loop: Header=BB156_6 Depth=1
	s_cvt_f32_u32 s8, s34
	s_sub_nc_u64 s[22:23], 0, s[34:35]
	s_delay_alu instid0(SALU_CYCLE_2) | instskip(NEXT) | instid1(SALU_CYCLE_3)
	s_fmamk_f32 s8, s88, 0x0, s8
	v_s_rcp_f32 s8, s8
	s_delay_alu instid0(TRANS32_DEP_1) | instskip(NEXT) | instid1(SALU_CYCLE_3)
	s_mul_f32 s8, s8, 0x5f7ffffc
	s_mul_f32 s9, s8, 0x2f800000
	s_delay_alu instid0(SALU_CYCLE_3) | instskip(NEXT) | instid1(SALU_CYCLE_3)
	s_trunc_f32 s9, s9
	s_fmamk_f32 s8, s9, 0xcf800000, s8
	s_cvt_u32_f32 s9, s9
	s_delay_alu instid0(SALU_CYCLE_2) | instskip(NEXT) | instid1(SALU_CYCLE_3)
	s_cvt_u32_f32 s8, s8
	s_mul_u64 s[44:45], s[22:23], s[8:9]
	s_delay_alu instid0(SALU_CYCLE_1)
	s_mul_hi_u32 s75, s8, s45
	s_mul_i32 s74, s8, s45
	s_mul_hi_u32 s26, s8, s44
	s_mul_i32 s46, s9, s44
	s_add_nc_u64 s[74:75], s[26:27], s[74:75]
	s_mul_hi_u32 s25, s9, s44
	s_mul_hi_u32 s47, s9, s45
	s_add_co_u32 s26, s74, s46
	s_add_co_ci_u32 s26, s75, s25
	s_mul_i32 s44, s9, s45
	s_add_co_ci_u32 s45, s47, 0
	s_delay_alu instid0(SALU_CYCLE_1) | instskip(NEXT) | instid1(SALU_CYCLE_1)
	s_add_nc_u64 s[44:45], s[26:27], s[44:45]
	s_add_co_u32 s8, s8, s44
	s_cselect_b32 s25, -1, 0
	s_delay_alu instid0(SALU_CYCLE_1) | instskip(SKIP_1) | instid1(SALU_CYCLE_1)
	s_cmp_lg_u32 s25, 0
	s_add_co_ci_u32 s9, s9, s45
	s_mul_u64 s[22:23], s[22:23], s[8:9]
	s_delay_alu instid0(SALU_CYCLE_1)
	s_mul_hi_u32 s45, s8, s23
	s_mul_i32 s44, s8, s23
	s_mul_hi_u32 s26, s8, s22
	s_mul_i32 s46, s9, s22
	s_add_nc_u64 s[44:45], s[26:27], s[44:45]
	s_mul_hi_u32 s25, s9, s22
	s_mul_hi_u32 s47, s9, s23
	s_mul_i32 s22, s9, s23
	s_add_co_u32 s23, s44, s46
	s_add_co_ci_u32 s26, s45, s25
	s_add_co_ci_u32 s23, s47, 0
	s_delay_alu instid0(SALU_CYCLE_1) | instskip(NEXT) | instid1(SALU_CYCLE_1)
	s_add_nc_u64 s[22:23], s[26:27], s[22:23]
	s_add_co_u32 s8, s8, s22
	s_cselect_b32 s22, -1, 0
	s_mul_hi_u32 s26, s54, s8
	s_cmp_lg_u32 s22, 0
	s_mul_hi_u32 s25, s55, s8
	s_add_co_ci_u32 s22, s9, s23
	s_mul_i32 s23, s55, s8
	s_mul_hi_u32 s9, s54, s22
	s_mul_i32 s8, s54, s22
	s_mul_hi_u32 s44, s55, s22
	s_add_nc_u64 s[8:9], s[26:27], s[8:9]
	s_mul_i32 s22, s55, s22
	s_add_co_u32 s8, s8, s23
	s_add_co_ci_u32 s26, s9, s25
	s_add_co_ci_u32 s23, s44, 0
	s_delay_alu instid0(SALU_CYCLE_1) | instskip(NEXT) | instid1(SALU_CYCLE_1)
	s_add_nc_u64 s[8:9], s[26:27], s[22:23]
	s_and_b64 s[22:23], s[8:9], 0xffffffff00000000
	s_delay_alu instid0(SALU_CYCLE_1) | instskip(NEXT) | instid1(SALU_CYCLE_1)
	s_or_b32 s22, s22, s8
	s_mul_u64 s[8:9], s[34:35], s[22:23]
	s_delay_alu instid0(SALU_CYCLE_1) | instskip(SKIP_1) | instid1(SALU_CYCLE_1)
	s_sub_co_u32 s8, s54, s8
	s_cselect_b32 s22, -1, 0
	s_cmp_lg_u32 s22, 0
	s_sub_co_ci_u32 s9, s55, s9
	s_sub_co_u32 s22, s8, s34
	s_cselect_b32 s23, -1, 0
	s_delay_alu instid0(SALU_CYCLE_1) | instskip(SKIP_3) | instid1(SALU_CYCLE_1)
	s_cmp_lg_u32 s23, 0
	s_sub_co_ci_u32 s23, s9, 0
	s_sub_co_u32 s25, s22, s34
	s_cselect_b32 s26, -1, 0
	s_cmp_lg_u32 s26, 0
	s_sub_co_ci_u32 s26, s23, 0
	s_cmp_ge_u32 s22, s34
	s_cselect_b32 s44, -1, 0
	s_cmp_eq_u32 s23, 0
	s_cselect_b32 s44, s44, -1
	s_delay_alu instid0(SALU_CYCLE_1)
	s_cmp_lg_u32 s44, 0
	s_cselect_b32 s23, s26, s23
	s_cselect_b32 s22, s25, s22
	s_cmp_ge_u32 s8, s34
	s_cselect_b32 s25, -1, 0
	s_cmp_eq_u32 s9, 0
	s_cselect_b32 s25, s25, -1
	s_delay_alu instid0(SALU_CYCLE_1)
	s_cmp_lg_u32 s25, 0
	s_cselect_b32 s9, s23, s9
	s_cselect_b32 s8, s22, s8
	s_cbranch_execnz .LBB156_186
.LBB156_185:                            ;   in Loop: Header=BB156_6 Depth=1
	v_cvt_f32_u32_e32 v3, s34
	s_sub_co_i32 s9, 0, s34
	s_delay_alu instid0(VALU_DEP_1) | instskip(SKIP_1) | instid1(TRANS32_DEP_1)
	v_rcp_iflag_f32_e32 v3, v3
	v_nop
	v_mul_f32_e32 v3, 0x4f7ffffe, v3
	s_delay_alu instid0(VALU_DEP_1) | instskip(NEXT) | instid1(VALU_DEP_1)
	v_cvt_u32_f32_e32 v3, v3
	v_readfirstlane_b32 s8, v3
	s_mul_i32 s9, s9, s8
	s_delay_alu instid0(SALU_CYCLE_1) | instskip(NEXT) | instid1(SALU_CYCLE_1)
	s_mul_hi_u32 s9, s8, s9
	s_add_co_i32 s8, s8, s9
	s_delay_alu instid0(SALU_CYCLE_1) | instskip(NEXT) | instid1(SALU_CYCLE_1)
	s_mul_hi_u32 s8, s54, s8
	s_mul_i32 s8, s8, s34
	s_delay_alu instid0(SALU_CYCLE_1) | instskip(NEXT) | instid1(SALU_CYCLE_1)
	s_sub_co_i32 s8, s54, s8
	s_sub_co_i32 s9, s8, s34
	s_cmp_ge_u32 s8, s34
	s_cselect_b32 s8, s9, s8
	s_delay_alu instid0(SALU_CYCLE_1) | instskip(SKIP_2) | instid1(SALU_CYCLE_1)
	s_sub_co_i32 s9, s8, s34
	s_cmp_ge_u32 s8, s34
	s_cselect_b32 s26, s9, s8
	s_mov_b64 s[8:9], s[26:27]
.LBB156_186:                            ;   in Loop: Header=BB156_6 Depth=1
	s_delay_alu instid0(SALU_CYCLE_1)
	s_sub_nc_u64 s[8:9], s[54:55], s[8:9]
	s_mov_b32 s22, exec_lo
                                        ; implicit-def: $vgpr10_vgpr11
	v_nop
	v_cmpx_gt_u64_e64 s[8:9], v[0:1]
	s_cbranch_execz .LBB156_195
; %bb.187:                              ;   in Loop: Header=BB156_6 Depth=1
	v_mov_b64_e32 v[40:41], v[18:19]
	v_mov_b64_e32 v[44:45], v[0:1]
	s_mov_b32 s23, 0
                                        ; implicit-def: $sgpr25
	s_branch .LBB156_190
.LBB156_188:                            ;   in Loop: Header=BB156_190 Depth=2
	s_or_b32 exec_lo, exec_lo, s26
	s_wait_dscnt 0x0
	s_barrier_signal -1
	s_barrier_wait -1
	ds_load_b128 v[8:11], v21 offset:3072
	s_mov_b32 s26, -1
	s_mov_b32 s74, -1
	s_wait_dscnt 0x0
	s_barrier_signal -1
	s_barrier_wait -1
	v_cmp_eq_u64_e32 vcc_lo, 0, v[8:9]
	s_cbranch_vccnz .LBB156_193
.LBB156_189:                            ;   in Loop: Header=BB156_190 Depth=2
	s_and_b32 s26, exec_lo, s26
	s_delay_alu instid0(SALU_CYCLE_1) | instskip(SKIP_2) | instid1(SALU_CYCLE_1)
	s_or_b32 s23, s26, s23
	s_and_not1_b32 s25, s25, exec_lo
	s_and_b32 s26, s74, exec_lo
	s_or_b32 s25, s25, s26
	s_and_not1_b32 exec_lo, exec_lo, s23
	s_cbranch_execz .LBB156_194
.LBB156_190:                            ;   Parent Loop BB156_6 Depth=1
                                        ; =>  This Inner Loop Header: Depth=2
	s_mov_b32 s26, exec_lo
	s_delay_alu instid0(VALU_DEP_1)
	v_cmpx_gt_u64_e64 s[28:29], v[44:45]
	s_cbranch_execz .LBB156_188
; %bb.191:                              ;   in Loop: Header=BB156_190 Depth=2
	global_load_b64 v[4:5], v[40:41], off
	s_wait_loadcnt 0x0
	v_xor_b32_e32 v3, 0x80000000, v5
	v_and_b32_e32 v8, v4, v12
	s_delay_alu instid0(VALU_DEP_2) | instskip(NEXT) | instid1(VALU_DEP_1)
	v_and_b32_e32 v9, v3, v13
	v_cmp_eq_u64_e32 vcc_lo, v[8:9], v[14:15]
	s_and_b32 exec_lo, exec_lo, vcc_lo
	s_cbranch_execz .LBB156_188
; %bb.192:                              ;   in Loop: Header=BB156_190 Depth=2
	v_mov_b32_e32 v3, v21
	ds_store_b128 v21, v[2:5] offset:3072
	s_branch .LBB156_188
.LBB156_193:                            ;   in Loop: Header=BB156_190 Depth=2
	v_add_nc_u64_e32 v[44:45], s[34:35], v[44:45]
	v_add_nc_u64_e32 v[40:41], s[36:37], v[40:41]
	s_mov_b32 s74, 0
	s_delay_alu instid0(VALU_DEP_2)
	v_cmp_le_u64_e32 vcc_lo, s[8:9], v[44:45]
	s_or_not1_b32 s26, vcc_lo, exec_lo
	s_branch .LBB156_189
.LBB156_194:                            ;   in Loop: Header=BB156_6 Depth=1
	s_or_b32 exec_lo, exec_lo, s23
	s_delay_alu instid0(SALU_CYCLE_1) | instskip(SKIP_1) | instid1(SALU_CYCLE_1)
	s_and_not1_b32 s8, s24, exec_lo
	s_and_b32 s9, s25, exec_lo
	s_or_b32 s24, s8, s9
.LBB156_195:                            ;   in Loop: Header=BB156_6 Depth=1
	s_or_b32 exec_lo, exec_lo, s22
	s_mov_b32 s74, 0
	s_mov_b32 s75, -1
.LBB156_196:                            ;   in Loop: Header=BB156_6 Depth=1
	s_or_not1_b32 s8, s24, exec_lo
.LBB156_197:                            ;   in Loop: Header=BB156_6 Depth=1
	s_or_b32 exec_lo, exec_lo, s76
	s_mov_b32 s9, 0
	s_and_saveexec_b32 s76, s8
	s_cbranch_execz .LBB156_259
; %bb.198:                              ;   in Loop: Header=BB156_6 Depth=1
	v_mov_b64_e32 v[40:41], 1
	v_mov_b32_e32 v20, 1
	s_xor_b32 s22, s77, -1
	s_delay_alu instid0(SALU_CYCLE_1)
	s_and_saveexec_b32 s8, s22
	s_cbranch_execz .LBB156_207
; %bb.199:                              ;   in Loop: Header=BB156_6 Depth=1
	s_mov_b32 s9, exec_lo
	v_cmpx_ge_u64_e64 s[18:19], v[42:43]
	s_xor_b32 s9, exec_lo, s9
	s_cbranch_execz .LBB156_204
; %bb.200:                              ;   in Loop: Header=BB156_6 Depth=1
	ds_load_b64 v[4:5], v21 offset:5120
	v_and_b32_e32 v3, s15, v15
	v_and_b32_e32 v8, s14, v14
	s_lshl_b64 s[22:23], 2, s86
	v_or_b32_e32 v13, s13, v13
	v_or_b32_e32 v12, s12, v12
	;; [unrolled: 1-line block ×4, first 2 shown]
	s_wait_dscnt 0x0
	v_cmp_ne_u64_e32 vcc_lo, 0, v[4:5]
	s_cbranch_vccnz .LBB156_204
; %bb.201:                              ;   in Loop: Header=BB156_6 Depth=1
	s_and_saveexec_b32 s22, s5
; %bb.202:                              ;   in Loop: Header=BB156_6 Depth=1
	v_mov_b64_e32 v[4:5], s[18:19]
	ds_store_b64 v21, v[4:5] offset:5128
; %bb.203:                              ;   in Loop: Header=BB156_6 Depth=1
	s_or_b32 exec_lo, exec_lo, s22
	s_wait_dscnt 0x0
	s_barrier_signal -1
	s_barrier_wait -1
.LBB156_204:                            ;   in Loop: Header=BB156_6 Depth=1
	s_or_saveexec_b32 s9, s9
	v_mov_b32_e32 v20, 8
	s_mov_b32 s22, 0
	s_xor_b32 exec_lo, exec_lo, s9
; %bb.205:                              ;   in Loop: Header=BB156_6 Depth=1
	v_sub_nc_u64_e64 v[42:43], v[42:43], s[18:19]
	v_mov_b32_e32 v20, 0
	s_mov_b32 s22, exec_lo
; %bb.206:                              ;   in Loop: Header=BB156_6 Depth=1
	s_or_b32 exec_lo, exec_lo, s9
	s_delay_alu instid0(VALU_DEP_2)
	v_mov_b64_e32 v[40:41], v[42:43]
	s_and_b32 s9, s22, exec_lo
.LBB156_207:                            ;   in Loop: Header=BB156_6 Depth=1
	s_or_b32 exec_lo, exec_lo, s8
	s_mov_b32 s8, -1
                                        ; implicit-def: $sgpr103
                                        ; implicit-def: $sgpr102
	s_and_saveexec_b32 s77, s9
	s_cbranch_execz .LBB156_258
; %bb.208:                              ;   in Loop: Header=BB156_6 Depth=1
	s_delay_alu instid0(VALU_DEP_1) | instskip(SKIP_3) | instid1(SALU_CYCLE_1)
	v_cmp_eq_u64_e32 vcc_lo, 1, v[40:41]
	s_cmp_eq_u64 s[20:21], 1
	s_mov_b32 s9, -1
	s_cselect_b32 s8, -1, 0
                                        ; implicit-def: $sgpr103
                                        ; implicit-def: $sgpr102
	s_and_b32 s100, s8, vcc_lo
	s_delay_alu instid0(SALU_CYCLE_1)
	s_and_saveexec_b32 s101, s100
	s_cbranch_execz .LBB156_246
; %bb.209:                              ;   in Loop: Header=BB156_6 Depth=1
	ds_load_b64 v[4:5], v21 offset:5120
	s_wait_dscnt 0x0
	s_barrier_signal -1
	s_barrier_wait -1
	v_readfirstlane_b32 s8, v4
	v_readfirstlane_b32 s9, v5
	s_and_saveexec_b32 s22, s6
; %bb.210:                              ;   in Loop: Header=BB156_6 Depth=1
	ds_store_b64 v48, v[34:35]
; %bb.211:                              ;   in Loop: Header=BB156_6 Depth=1
	s_or_b32 exec_lo, exec_lo, s22
	v_or_b32_e32 v15, s13, v15
	v_or_b32_e32 v14, s12, v14
	;; [unrolled: 1-line block ×4, first 2 shown]
	s_mov_b32 s102, -1
	s_mov_b32 s103, 0
	s_cmp_eq_u64 s[8:9], 0
	s_mov_b32 s24, 0
	s_mov_b32 s25, -1
	s_wait_dscnt 0x0
	s_barrier_signal -1
	s_barrier_wait -1
                                        ; implicit-def: $vgpr10_vgpr11
	s_cbranch_scc1 .LBB156_229
; %bb.212:                              ;   in Loop: Header=BB156_6 Depth=1
	s_add_nc_u64 s[22:23], s[8:9], s[52:53]
	s_delay_alu instid0(SALU_CYCLE_1) | instskip(NEXT) | instid1(SALU_CYCLE_1)
	s_and_b64 s[24:25], s[22:23], 0xffffffff00000000
	s_cmp_lg_u64 s[24:25], 0
	s_cbranch_scc0 .LBB156_216
; %bb.213:                              ;   in Loop: Header=BB156_6 Depth=1
	s_cvt_f32_u32 s24, s34
	s_sub_nc_u64 s[44:45], 0, s[34:35]
	s_delay_alu instid0(SALU_CYCLE_2) | instskip(NEXT) | instid1(SALU_CYCLE_3)
	s_fmamk_f32 s24, s88, 0x0, s24
	v_s_rcp_f32 s24, s24
	s_delay_alu instid0(TRANS32_DEP_1) | instskip(NEXT) | instid1(SALU_CYCLE_3)
	s_mul_f32 s24, s24, 0x5f7ffffc
	s_mul_f32 s25, s24, 0x2f800000
	s_delay_alu instid0(SALU_CYCLE_3) | instskip(NEXT) | instid1(SALU_CYCLE_3)
	s_trunc_f32 s25, s25
	s_fmamk_f32 s24, s25, 0xcf800000, s24
	s_cvt_u32_f32 s25, s25
	s_delay_alu instid0(SALU_CYCLE_2) | instskip(NEXT) | instid1(SALU_CYCLE_3)
	s_cvt_u32_f32 s24, s24
	s_mul_u64 vcc, s[44:45], s[24:25]
	s_delay_alu instid0(SALU_CYCLE_1)
	s_mul_hi_u32 s47, s24, vcc_hi
	s_mul_i32 s46, s24, vcc_hi
	s_mul_hi_u32 s26, s24, vcc_lo
	s_mul_i32 s48, s25, vcc_lo
	s_add_nc_u64 s[46:47], s[26:27], s[46:47]
	s_mul_hi_u32 s104, s25, vcc_lo
	s_mul_hi_u32 s49, s25, vcc_hi
	s_add_co_u32 s26, s46, s48
	s_add_co_ci_u32 s26, s47, s104
	s_mul_i32 vcc_lo, s25, vcc_hi
	s_add_co_ci_u32 vcc_hi, s49, 0
	s_delay_alu instid0(SALU_CYCLE_1) | instskip(NEXT) | instid1(SALU_CYCLE_1)
	s_add_nc_u64 s[46:47], s[26:27], vcc
	s_add_co_u32 s24, s24, s46
	s_cselect_b32 s26, -1, 0
	s_delay_alu instid0(SALU_CYCLE_1) | instskip(SKIP_1) | instid1(SALU_CYCLE_1)
	s_cmp_lg_u32 s26, 0
	s_add_co_ci_u32 s25, s25, s47
	s_mul_u64 s[44:45], s[44:45], s[24:25]
	s_delay_alu instid0(SALU_CYCLE_1)
	s_mul_hi_u32 s47, s24, s45
	s_mul_i32 s46, s24, s45
	s_mul_hi_u32 s26, s24, s44
	s_mul_i32 s49, s25, s44
	s_add_nc_u64 s[46:47], s[26:27], s[46:47]
	s_mul_hi_u32 s48, s25, s44
	s_mul_hi_u32 s104, s25, s45
	s_add_co_u32 s26, s46, s49
	s_add_co_ci_u32 s26, s47, s48
	s_mul_i32 s44, s25, s45
	s_add_co_ci_u32 s45, s104, 0
	s_delay_alu instid0(SALU_CYCLE_1) | instskip(NEXT) | instid1(SALU_CYCLE_1)
	s_add_nc_u64 s[44:45], s[26:27], s[44:45]
	s_add_co_u32 s24, s24, s44
	s_cselect_b32 s44, -1, 0
	s_mul_hi_u32 s26, s22, s24
	s_cmp_lg_u32 s44, 0
	s_mul_hi_u32 s46, s23, s24
	s_add_co_ci_u32 s44, s25, s45
	s_mul_i32 s45, s23, s24
	s_mul_hi_u32 s25, s22, s44
	s_mul_i32 s24, s22, s44
	s_mul_hi_u32 s47, s23, s44
	s_add_nc_u64 s[24:25], s[26:27], s[24:25]
	s_mul_i32 s44, s23, s44
	s_add_co_u32 s24, s24, s45
	s_add_co_ci_u32 s26, s25, s46
	s_add_co_ci_u32 s45, s47, 0
	s_delay_alu instid0(SALU_CYCLE_1) | instskip(NEXT) | instid1(SALU_CYCLE_1)
	s_add_nc_u64 s[24:25], s[26:27], s[44:45]
	s_and_b64 s[44:45], s[24:25], 0xffffffff00000000
	s_delay_alu instid0(SALU_CYCLE_1) | instskip(NEXT) | instid1(SALU_CYCLE_1)
	s_or_b32 s44, s44, s24
	s_mul_u64 s[24:25], s[34:35], s[44:45]
	s_delay_alu instid0(SALU_CYCLE_1) | instskip(SKIP_1) | instid1(SALU_CYCLE_1)
	s_sub_co_u32 s24, s22, s24
	s_cselect_b32 s26, -1, 0
	s_cmp_lg_u32 s26, 0
	s_sub_co_ci_u32 s25, s23, s25
	s_sub_co_u32 s26, s24, s34
	s_cselect_b32 s44, -1, 0
	s_delay_alu instid0(SALU_CYCLE_1) | instskip(SKIP_3) | instid1(SALU_CYCLE_1)
	s_cmp_lg_u32 s44, 0
	s_sub_co_ci_u32 s44, s25, 0
	s_sub_co_u32 s45, s26, s34
	s_cselect_b32 s46, -1, 0
	s_cmp_lg_u32 s46, 0
	s_sub_co_ci_u32 s46, s44, 0
	s_cmp_ge_u32 s26, s34
	s_cselect_b32 s47, -1, 0
	s_cmp_eq_u32 s44, 0
	s_cselect_b32 s47, s47, -1
	s_delay_alu instid0(SALU_CYCLE_1)
	s_cmp_lg_u32 s47, 0
	s_cselect_b32 s44, s46, s44
	s_cselect_b32 s26, s45, s26
	s_cmp_ge_u32 s24, s34
	s_cselect_b32 s45, -1, 0
	s_cmp_eq_u32 s25, 0
	s_cselect_b32 s45, s45, -1
	s_delay_alu instid0(SALU_CYCLE_1)
	s_cmp_lg_u32 s45, 0
	s_cselect_b32 s25, s44, s25
	s_cselect_b32 s24, s26, s24
	s_mov_b32 s26, 0
	s_branch .LBB156_217
.LBB156_214:                            ;   in Loop: Header=BB156_6 Depth=1
                                        ; implicit-def: $sgpr24_sgpr25
	s_branch .LBB156_169
.LBB156_215:                            ;   in Loop: Header=BB156_6 Depth=1
                                        ; implicit-def: $sgpr8_sgpr9
	s_branch .LBB156_185
.LBB156_216:                            ;   in Loop: Header=BB156_6 Depth=1
	s_mov_b32 s26, -1
                                        ; implicit-def: $sgpr24_sgpr25
.LBB156_217:                            ;   in Loop: Header=BB156_6 Depth=1
	s_delay_alu instid0(SALU_CYCLE_1)
	s_and_not1_b32 vcc_lo, exec_lo, s26
	s_cbranch_vccnz .LBB156_219
; %bb.218:                              ;   in Loop: Header=BB156_6 Depth=1
	v_cvt_f32_u32_e32 v3, s34
	s_sub_co_i32 s25, 0, s34
	s_delay_alu instid0(VALU_DEP_1) | instskip(SKIP_1) | instid1(TRANS32_DEP_1)
	v_rcp_iflag_f32_e32 v3, v3
	v_nop
	v_mul_f32_e32 v3, 0x4f7ffffe, v3
	s_delay_alu instid0(VALU_DEP_1) | instskip(NEXT) | instid1(VALU_DEP_1)
	v_cvt_u32_f32_e32 v3, v3
	v_readfirstlane_b32 s24, v3
	s_mul_i32 s25, s25, s24
	s_delay_alu instid0(SALU_CYCLE_1) | instskip(NEXT) | instid1(SALU_CYCLE_1)
	s_mul_hi_u32 s25, s24, s25
	s_add_co_i32 s24, s24, s25
	s_delay_alu instid0(SALU_CYCLE_1) | instskip(NEXT) | instid1(SALU_CYCLE_1)
	s_mul_hi_u32 s24, s22, s24
	s_mul_i32 s24, s24, s34
	s_delay_alu instid0(SALU_CYCLE_1) | instskip(NEXT) | instid1(SALU_CYCLE_1)
	s_sub_co_i32 s24, s22, s24
	s_sub_co_i32 s25, s24, s34
	s_cmp_ge_u32 s24, s34
	s_cselect_b32 s24, s25, s24
	s_delay_alu instid0(SALU_CYCLE_1) | instskip(SKIP_2) | instid1(SALU_CYCLE_1)
	s_sub_co_i32 s25, s24, s34
	s_cmp_ge_u32 s24, s34
	s_cselect_b32 s26, s25, s24
	s_mov_b64 s[24:25], s[26:27]
.LBB156_219:                            ;   in Loop: Header=BB156_6 Depth=1
	s_delay_alu instid0(SALU_CYCLE_1)
	s_sub_nc_u64 s[22:23], s[22:23], s[24:25]
	s_mov_b32 s25, 0
	s_mov_b32 s24, 0
	s_mov_b32 s26, exec_lo
                                        ; implicit-def: $vgpr10_vgpr11
	v_cmpx_gt_u64_e64 s[22:23], v[0:1]
	s_cbranch_execz .LBB156_228
; %bb.220:                              ;   in Loop: Header=BB156_6 Depth=1
	v_mov_b64_e32 v[42:43], v[0:1]
	v_mov_b32_e32 v44, v47
                                        ; implicit-def: $sgpr104
	s_branch .LBB156_223
.LBB156_221:                            ;   in Loop: Header=BB156_223 Depth=2
	s_or_b32 exec_lo, exec_lo, vcc_hi
	s_wait_dscnt 0x0
	s_barrier_signal -1
	s_barrier_wait -1
	ds_load_b128 v[8:11], v21 offset:3072
	s_mov_b32 vcc_hi, -1
	s_mov_b32 s44, -1
	s_wait_dscnt 0x0
	s_barrier_signal -1
	s_barrier_wait -1
	v_cmp_ne_u64_e32 vcc_lo, 0, v[8:9]
	s_cbranch_vccz .LBB156_226
.LBB156_222:                            ;   in Loop: Header=BB156_223 Depth=2
	s_and_b32 s45, exec_lo, vcc_hi
	s_delay_alu instid0(SALU_CYCLE_1) | instskip(SKIP_2) | instid1(SALU_CYCLE_1)
	s_or_b32 s24, s45, s24
	s_and_not1_b32 s45, s104, exec_lo
	s_and_b32 s44, s44, exec_lo
	s_or_b32 s104, s45, s44
	s_and_not1_b32 exec_lo, exec_lo, s24
	s_cbranch_execz .LBB156_227
.LBB156_223:                            ;   Parent Loop BB156_6 Depth=1
                                        ; =>  This Inner Loop Header: Depth=2
	s_mov_b32 vcc_hi, exec_lo
	s_delay_alu instid0(VALU_DEP_2)
	v_cmpx_gt_u64_e64 s[8:9], v[42:43]
	s_cbranch_execz .LBB156_221
; %bb.224:                              ;   in Loop: Header=BB156_223 Depth=2
	ds_load_b64 v[4:5], v44
	s_wait_dscnt 0x0
	v_xor_b32_e32 v3, 0x80000000, v5
	v_and_b32_e32 v8, v4, v12
	s_delay_alu instid0(VALU_DEP_2) | instskip(NEXT) | instid1(VALU_DEP_1)
	v_and_b32_e32 v9, v3, v13
	v_cmp_eq_u64_e32 vcc_lo, v[8:9], v[14:15]
	s_and_b32 exec_lo, exec_lo, vcc_lo
	s_cbranch_execz .LBB156_221
; %bb.225:                              ;   in Loop: Header=BB156_223 Depth=2
	v_mov_b32_e32 v3, v21
	ds_store_b128 v21, v[2:5] offset:3072
	s_branch .LBB156_221
.LBB156_226:                            ;   in Loop: Header=BB156_223 Depth=2
	v_add_nc_u64_e32 v[42:43], s[34:35], v[42:43]
	v_add_nc_u32_e32 v44, s85, v44
	s_mov_b32 s44, 0
	s_delay_alu instid0(VALU_DEP_2)
	v_cmp_le_u64_e32 vcc_lo, s[22:23], v[42:43]
	s_or_not1_b32 vcc_hi, vcc_lo, exec_lo
	s_branch .LBB156_222
.LBB156_227:                            ;   in Loop: Header=BB156_6 Depth=1
	s_or_b32 exec_lo, exec_lo, s24
	s_delay_alu instid0(SALU_CYCLE_1)
	s_and_b32 s24, s104, exec_lo
.LBB156_228:                            ;   in Loop: Header=BB156_6 Depth=1
	s_or_b32 exec_lo, exec_lo, s26
.LBB156_229:                            ;   in Loop: Header=BB156_6 Depth=1
	s_delay_alu instid0(SALU_CYCLE_1)
	s_and_b32 vcc_lo, exec_lo, s25
	s_cbranch_vccz .LBB156_245
; %bb.230:                              ;   in Loop: Header=BB156_6 Depth=1
	s_and_b64 s[8:9], s[54:55], 0xffffffff00000000
	s_delay_alu instid0(SALU_CYCLE_1)
	s_cmp_lg_u64 s[8:9], 0
	s_cbranch_scc0 .LBB156_232
; %bb.231:                              ;   in Loop: Header=BB156_6 Depth=1
	s_cvt_f32_u32 s8, s34
	s_sub_nc_u64 s[22:23], 0, s[34:35]
	s_delay_alu instid0(SALU_CYCLE_2) | instskip(NEXT) | instid1(SALU_CYCLE_3)
	s_fmamk_f32 s8, s88, 0x0, s8
	v_s_rcp_f32 s8, s8
	s_delay_alu instid0(TRANS32_DEP_1) | instskip(NEXT) | instid1(SALU_CYCLE_3)
	s_mul_f32 s8, s8, 0x5f7ffffc
	s_mul_f32 s9, s8, 0x2f800000
	s_delay_alu instid0(SALU_CYCLE_3) | instskip(NEXT) | instid1(SALU_CYCLE_3)
	s_trunc_f32 s9, s9
	s_fmamk_f32 s8, s9, 0xcf800000, s8
	s_cvt_u32_f32 s9, s9
	s_delay_alu instid0(SALU_CYCLE_2) | instskip(NEXT) | instid1(SALU_CYCLE_3)
	s_cvt_u32_f32 s8, s8
	s_mul_u64 s[44:45], s[22:23], s[8:9]
	s_delay_alu instid0(SALU_CYCLE_1)
	s_mul_hi_u32 s47, s8, s45
	s_mul_i32 s46, s8, s45
	s_mul_hi_u32 s26, s8, s44
	s_mul_i32 s48, s9, s44
	s_add_nc_u64 s[46:47], s[26:27], s[46:47]
	s_mul_hi_u32 s25, s9, s44
	s_mul_hi_u32 s49, s9, s45
	s_add_co_u32 s26, s46, s48
	s_add_co_ci_u32 s26, s47, s25
	s_mul_i32 s44, s9, s45
	s_add_co_ci_u32 s45, s49, 0
	s_delay_alu instid0(SALU_CYCLE_1) | instskip(NEXT) | instid1(SALU_CYCLE_1)
	s_add_nc_u64 s[44:45], s[26:27], s[44:45]
	s_add_co_u32 s8, s8, s44
	s_cselect_b32 s25, -1, 0
	s_delay_alu instid0(SALU_CYCLE_1) | instskip(SKIP_1) | instid1(SALU_CYCLE_1)
	s_cmp_lg_u32 s25, 0
	s_add_co_ci_u32 s9, s9, s45
	s_mul_u64 s[22:23], s[22:23], s[8:9]
	s_delay_alu instid0(SALU_CYCLE_1)
	s_mul_hi_u32 s45, s8, s23
	s_mul_i32 s44, s8, s23
	s_mul_hi_u32 s26, s8, s22
	s_mul_i32 s46, s9, s22
	s_add_nc_u64 s[44:45], s[26:27], s[44:45]
	s_mul_hi_u32 s25, s9, s22
	s_mul_hi_u32 s47, s9, s23
	s_mul_i32 s22, s9, s23
	s_add_co_u32 s23, s44, s46
	s_add_co_ci_u32 s26, s45, s25
	s_add_co_ci_u32 s23, s47, 0
	s_delay_alu instid0(SALU_CYCLE_1) | instskip(NEXT) | instid1(SALU_CYCLE_1)
	s_add_nc_u64 s[22:23], s[26:27], s[22:23]
	s_add_co_u32 s8, s8, s22
	s_cselect_b32 s22, -1, 0
	s_mul_hi_u32 s26, s54, s8
	s_cmp_lg_u32 s22, 0
	s_mul_hi_u32 s25, s55, s8
	s_add_co_ci_u32 s22, s9, s23
	s_mul_i32 s23, s55, s8
	s_mul_hi_u32 s9, s54, s22
	s_mul_i32 s8, s54, s22
	s_mul_hi_u32 s44, s55, s22
	s_add_nc_u64 s[8:9], s[26:27], s[8:9]
	s_mul_i32 s22, s55, s22
	s_add_co_u32 s8, s8, s23
	s_add_co_ci_u32 s26, s9, s25
	s_add_co_ci_u32 s23, s44, 0
	s_delay_alu instid0(SALU_CYCLE_1) | instskip(NEXT) | instid1(SALU_CYCLE_1)
	s_add_nc_u64 s[8:9], s[26:27], s[22:23]
	s_and_b64 s[22:23], s[8:9], 0xffffffff00000000
	s_delay_alu instid0(SALU_CYCLE_1) | instskip(NEXT) | instid1(SALU_CYCLE_1)
	s_or_b32 s22, s22, s8
	s_mul_u64 s[8:9], s[34:35], s[22:23]
	s_delay_alu instid0(SALU_CYCLE_1) | instskip(SKIP_1) | instid1(SALU_CYCLE_1)
	s_sub_co_u32 s8, s54, s8
	s_cselect_b32 s22, -1, 0
	s_cmp_lg_u32 s22, 0
	s_sub_co_ci_u32 s9, s55, s9
	s_sub_co_u32 s22, s8, s34
	s_cselect_b32 s23, -1, 0
	s_delay_alu instid0(SALU_CYCLE_1) | instskip(SKIP_3) | instid1(SALU_CYCLE_1)
	s_cmp_lg_u32 s23, 0
	s_sub_co_ci_u32 s23, s9, 0
	s_sub_co_u32 s25, s22, s34
	s_cselect_b32 s26, -1, 0
	s_cmp_lg_u32 s26, 0
	s_sub_co_ci_u32 s26, s23, 0
	s_cmp_ge_u32 s22, s34
	s_cselect_b32 s44, -1, 0
	s_cmp_eq_u32 s23, 0
	s_cselect_b32 s44, s44, -1
	s_delay_alu instid0(SALU_CYCLE_1)
	s_cmp_lg_u32 s44, 0
	s_cselect_b32 s23, s26, s23
	s_cselect_b32 s22, s25, s22
	s_cmp_ge_u32 s8, s34
	s_cselect_b32 s25, -1, 0
	s_cmp_eq_u32 s9, 0
	s_cselect_b32 s25, s25, -1
	s_delay_alu instid0(SALU_CYCLE_1)
	s_cmp_lg_u32 s25, 0
	s_cselect_b32 s9, s23, s9
	s_cselect_b32 s8, s22, s8
	s_mov_b32 s22, 0
	s_branch .LBB156_233
.LBB156_232:                            ;   in Loop: Header=BB156_6 Depth=1
	s_mov_b32 s22, -1
                                        ; implicit-def: $sgpr8_sgpr9
.LBB156_233:                            ;   in Loop: Header=BB156_6 Depth=1
	s_delay_alu instid0(SALU_CYCLE_1)
	s_and_not1_b32 vcc_lo, exec_lo, s22
	s_cbranch_vccnz .LBB156_235
; %bb.234:                              ;   in Loop: Header=BB156_6 Depth=1
	v_cvt_f32_u32_e32 v3, s34
	s_sub_co_i32 s9, 0, s34
	s_delay_alu instid0(VALU_DEP_1) | instskip(SKIP_1) | instid1(TRANS32_DEP_1)
	v_rcp_iflag_f32_e32 v3, v3
	v_nop
	v_mul_f32_e32 v3, 0x4f7ffffe, v3
	s_delay_alu instid0(VALU_DEP_1) | instskip(NEXT) | instid1(VALU_DEP_1)
	v_cvt_u32_f32_e32 v3, v3
	v_readfirstlane_b32 s8, v3
	s_mul_i32 s9, s9, s8
	s_delay_alu instid0(SALU_CYCLE_1) | instskip(NEXT) | instid1(SALU_CYCLE_1)
	s_mul_hi_u32 s9, s8, s9
	s_add_co_i32 s8, s8, s9
	s_delay_alu instid0(SALU_CYCLE_1) | instskip(NEXT) | instid1(SALU_CYCLE_1)
	s_mul_hi_u32 s8, s54, s8
	s_mul_i32 s8, s8, s34
	s_delay_alu instid0(SALU_CYCLE_1) | instskip(NEXT) | instid1(SALU_CYCLE_1)
	s_sub_co_i32 s8, s54, s8
	s_sub_co_i32 s9, s8, s34
	s_cmp_ge_u32 s8, s34
	s_cselect_b32 s8, s9, s8
	s_delay_alu instid0(SALU_CYCLE_1) | instskip(SKIP_2) | instid1(SALU_CYCLE_1)
	s_sub_co_i32 s9, s8, s34
	s_cmp_ge_u32 s8, s34
	s_cselect_b32 s26, s9, s8
	s_mov_b64 s[8:9], s[26:27]
.LBB156_235:                            ;   in Loop: Header=BB156_6 Depth=1
	s_delay_alu instid0(SALU_CYCLE_1)
	s_sub_nc_u64 s[8:9], s[54:55], s[8:9]
	s_mov_b32 s22, exec_lo
                                        ; implicit-def: $vgpr10_vgpr11
	v_nop
	v_cmpx_gt_u64_e64 s[8:9], v[0:1]
	s_cbranch_execz .LBB156_244
; %bb.236:                              ;   in Loop: Header=BB156_6 Depth=1
	v_mov_b64_e32 v[42:43], v[18:19]
	v_mov_b64_e32 v[44:45], v[0:1]
	s_mov_b32 s23, 0
                                        ; implicit-def: $sgpr25
	s_branch .LBB156_239
.LBB156_237:                            ;   in Loop: Header=BB156_239 Depth=2
	s_or_b32 exec_lo, exec_lo, s26
	s_wait_dscnt 0x0
	s_barrier_signal -1
	s_barrier_wait -1
	ds_load_b128 v[8:11], v21 offset:3072
	s_mov_b32 s26, -1
	s_mov_b32 s44, -1
	s_wait_dscnt 0x0
	s_barrier_signal -1
	s_barrier_wait -1
	v_cmp_eq_u64_e32 vcc_lo, 0, v[8:9]
	s_cbranch_vccnz .LBB156_242
.LBB156_238:                            ;   in Loop: Header=BB156_239 Depth=2
	s_and_b32 s26, exec_lo, s26
	s_delay_alu instid0(SALU_CYCLE_1) | instskip(SKIP_2) | instid1(SALU_CYCLE_1)
	s_or_b32 s23, s26, s23
	s_and_not1_b32 s25, s25, exec_lo
	s_and_b32 s26, s44, exec_lo
	s_or_b32 s25, s25, s26
	s_and_not1_b32 exec_lo, exec_lo, s23
	s_cbranch_execz .LBB156_243
.LBB156_239:                            ;   Parent Loop BB156_6 Depth=1
                                        ; =>  This Inner Loop Header: Depth=2
	s_mov_b32 s26, exec_lo
	s_delay_alu instid0(VALU_DEP_1)
	v_cmpx_gt_u64_e64 s[28:29], v[44:45]
	s_cbranch_execz .LBB156_237
; %bb.240:                              ;   in Loop: Header=BB156_239 Depth=2
	global_load_b64 v[4:5], v[42:43], off
	s_wait_loadcnt 0x0
	v_xor_b32_e32 v3, 0x80000000, v5
	v_and_b32_e32 v8, v4, v12
	s_delay_alu instid0(VALU_DEP_2) | instskip(NEXT) | instid1(VALU_DEP_1)
	v_and_b32_e32 v9, v3, v13
	v_cmp_eq_u64_e32 vcc_lo, v[8:9], v[14:15]
	s_and_b32 exec_lo, exec_lo, vcc_lo
	s_cbranch_execz .LBB156_237
; %bb.241:                              ;   in Loop: Header=BB156_239 Depth=2
	v_mov_b32_e32 v3, v21
	ds_store_b128 v21, v[2:5] offset:3072
	s_branch .LBB156_237
.LBB156_242:                            ;   in Loop: Header=BB156_239 Depth=2
	v_add_nc_u64_e32 v[44:45], s[34:35], v[44:45]
	v_add_nc_u64_e32 v[42:43], s[36:37], v[42:43]
	s_mov_b32 s44, 0
	s_delay_alu instid0(VALU_DEP_2)
	v_cmp_le_u64_e32 vcc_lo, s[8:9], v[44:45]
	s_or_not1_b32 s26, vcc_lo, exec_lo
	s_branch .LBB156_238
.LBB156_243:                            ;   in Loop: Header=BB156_6 Depth=1
	s_or_b32 exec_lo, exec_lo, s23
	s_delay_alu instid0(SALU_CYCLE_1) | instskip(SKIP_1) | instid1(SALU_CYCLE_1)
	s_and_not1_b32 s8, s24, exec_lo
	s_and_b32 s9, s25, exec_lo
	s_or_b32 s24, s8, s9
.LBB156_244:                            ;   in Loop: Header=BB156_6 Depth=1
	s_or_b32 exec_lo, exec_lo, s22
	s_mov_b32 s102, 0
	s_mov_b32 s103, -1
.LBB156_245:                            ;   in Loop: Header=BB156_6 Depth=1
	s_or_not1_b32 s9, s24, exec_lo
.LBB156_246:                            ;   in Loop: Header=BB156_6 Depth=1
	s_or_b32 exec_lo, exec_lo, s101
	s_mov_b32 s22, 0
	s_and_saveexec_b32 s8, s9
	s_cbranch_execz .LBB156_257
; %bb.247:                              ;   in Loop: Header=BB156_6 Depth=1
	v_mov_b64_e32 v[4:5], 1
	v_mov_b32_e32 v20, 1
	s_xor_b32 s22, s100, -1
	s_delay_alu instid0(SALU_CYCLE_1)
	s_and_saveexec_b32 s9, s22
	s_cbranch_execz .LBB156_256
; %bb.248:                              ;   in Loop: Header=BB156_6 Depth=1
	s_mov_b32 s22, exec_lo
	v_cmpx_ge_u64_e64 s[20:21], v[40:41]
	s_xor_b32 s22, exec_lo, s22
	s_cbranch_execz .LBB156_253
; %bb.249:                              ;   in Loop: Header=BB156_6 Depth=1
	ds_load_b64 v[4:5], v21 offset:5120
	v_or_b32_e32 v15, s13, v15
	v_or_b32_e32 v14, s12, v14
	;; [unrolled: 1-line block ×4, first 2 shown]
	s_wait_dscnt 0x0
	v_cmp_ne_u64_e32 vcc_lo, 0, v[4:5]
	s_cbranch_vccnz .LBB156_253
; %bb.250:                              ;   in Loop: Header=BB156_6 Depth=1
	s_and_saveexec_b32 s23, s5
; %bb.251:                              ;   in Loop: Header=BB156_6 Depth=1
	v_mov_b64_e32 v[4:5], s[20:21]
	ds_store_b64 v21, v[4:5] offset:5128
; %bb.252:                              ;   in Loop: Header=BB156_6 Depth=1
	s_or_b32 exec_lo, exec_lo, s23
	s_wait_dscnt 0x0
	s_barrier_signal -1
	s_barrier_wait -1
.LBB156_253:                            ;   in Loop: Header=BB156_6 Depth=1
	s_and_not1_saveexec_b32 s22, s22
; %bb.254:                              ;   in Loop: Header=BB156_6 Depth=1
	v_sub_nc_u64_e64 v[40:41], v[40:41], s[20:21]
; %bb.255:                              ;   in Loop: Header=BB156_6 Depth=1
	s_or_b32 exec_lo, exec_lo, s22
	s_delay_alu instid0(VALU_DEP_1)
	v_mov_b64_e32 v[4:5], v[40:41]
	v_mov_b32_e32 v20, 8
.LBB156_256:                            ;   in Loop: Header=BB156_6 Depth=1
	s_or_b32 exec_lo, exec_lo, s9
	s_delay_alu instid0(VALU_DEP_2)
	v_mov_b64_e32 v[40:41], v[4:5]
	s_mov_b32 s22, exec_lo
.LBB156_257:                            ;   in Loop: Header=BB156_6 Depth=1
	s_or_b32 exec_lo, exec_lo, s8
	s_delay_alu instid0(SALU_CYCLE_1)
	s_or_not1_b32 s8, s22, exec_lo
.LBB156_258:                            ;   in Loop: Header=BB156_6 Depth=1
	s_or_b32 exec_lo, exec_lo, s77
	s_delay_alu instid0(VALU_DEP_1)
	v_mov_b64_e32 v[42:43], v[40:41]
	s_and_not1_b32 s9, s75, exec_lo
	s_and_b32 s22, s103, exec_lo
	s_and_not1_b32 s23, s74, exec_lo
	s_and_b32 s24, s102, exec_lo
	s_or_b32 s75, s9, s22
	s_or_b32 s74, s23, s24
	s_and_b32 s9, s8, exec_lo
.LBB156_259:                            ;   in Loop: Header=BB156_6 Depth=1
	s_or_b32 exec_lo, exec_lo, s76
	s_delay_alu instid0(SALU_CYCLE_1)
	s_or_not1_b32 s8, s9, exec_lo
.LBB156_260:                            ;   in Loop: Header=BB156_6 Depth=1
	s_or_b32 exec_lo, exec_lo, s73
	v_mov_b64_e32 v[40:41], v[42:43]
	s_and_not1_b32 s9, s71, exec_lo
	s_and_b32 s22, s75, exec_lo
	s_and_not1_b32 s23, s66, exec_lo
	s_and_b32 s24, s74, exec_lo
	s_or_b32 s71, s9, s22
	s_or_b32 s66, s23, s24
	s_and_b32 s9, s8, exec_lo
.LBB156_261:                            ;   in Loop: Header=BB156_6 Depth=1
	s_or_b32 exec_lo, exec_lo, s72
	s_delay_alu instid0(SALU_CYCLE_1)
	s_or_not1_b32 s8, s9, exec_lo
.LBB156_262:                            ;   in Loop: Header=BB156_6 Depth=1
	s_or_b32 exec_lo, exec_lo, s65
	s_mov_b32 s9, 0
	s_mov_b32 s22, 0
	s_and_saveexec_b32 s23, s8
	s_delay_alu instid0(SALU_CYCLE_1)
	s_xor_b32 s23, exec_lo, s23
; %bb.263:                              ;   in Loop: Header=BB156_6 Depth=1
	v_cmp_ne_u32_e32 vcc_lo, 8, v20
	v_cmp_eq_u32_e64 s8, 8, v20
	s_and_b32 s22, vcc_lo, exec_lo
	s_and_b32 s9, s8, exec_lo
; %bb.264:                              ;   in Loop: Header=BB156_6 Depth=1
	s_or_b32 exec_lo, exec_lo, s23
	s_delay_alu instid0(SALU_CYCLE_1)
	s_and_not1_b32 s8, s68, exec_lo
	s_and_b32 s23, s71, exec_lo
	s_and_not1_b32 s24, s67, exec_lo
	s_and_b32 s25, s66, exec_lo
	s_or_b32 s68, s8, s23
	s_or_b32 s67, s24, s25
	s_and_b32 s65, s22, exec_lo
	s_and_b32 s66, s9, exec_lo
.LBB156_265:                            ;   in Loop: Header=BB156_6 Depth=1
	s_or_b32 exec_lo, exec_lo, s70
.LBB156_266:                            ;   in Loop: Header=BB156_6 Depth=1
	s_delay_alu instid0(SALU_CYCLE_1)
	s_and_b32 vcc_lo, exec_lo, s69
	s_cbranch_vccz .LBB156_282
; %bb.267:                              ;   in Loop: Header=BB156_6 Depth=1
	s_cmp_eq_u64 s[20:21], 1
                                        ; implicit-def: $sgpr69
                                        ; implicit-def: $sgpr64
	s_cselect_b32 s8, -1, 0
	s_delay_alu instid0(SALU_CYCLE_1)
	s_and_b32 s7, s8, s7
	s_mov_b32 s8, -1
	s_and_saveexec_b32 s67, s7
	s_cbranch_execz .LBB156_300
; %bb.268:                              ;   in Loop: Header=BB156_6 Depth=1
	ds_load_b64 v[4:5], v21 offset:5120
	s_wait_dscnt 0x0
	s_barrier_signal -1
	s_barrier_wait -1
	v_readfirstlane_b32 s8, v4
	v_readfirstlane_b32 s9, v5
	s_and_saveexec_b32 s22, s6
; %bb.269:                              ;   in Loop: Header=BB156_6 Depth=1
	ds_store_b64 v48, v[34:35]
; %bb.270:                              ;   in Loop: Header=BB156_6 Depth=1
	s_or_b32 exec_lo, exec_lo, s22
	v_or_b32_e32 v33, s13, v33
	v_or_b32_e32 v32, s12, v32
	;; [unrolled: 1-line block ×4, first 2 shown]
	s_mov_b32 s64, -1
	s_mov_b32 s69, 0
	s_cmp_eq_u64 s[8:9], 0
	s_mov_b32 s24, 0
	s_mov_b32 s25, -1
	s_wait_dscnt 0x0
	s_barrier_signal -1
	s_barrier_wait -1
                                        ; implicit-def: $vgpr6_vgpr7
	s_cbranch_scc1 .LBB156_285
; %bb.271:                              ;   in Loop: Header=BB156_6 Depth=1
	s_add_nc_u64 s[22:23], s[8:9], s[52:53]
	s_delay_alu instid0(SALU_CYCLE_1) | instskip(NEXT) | instid1(SALU_CYCLE_1)
	s_and_b64 s[24:25], s[22:23], 0xffffffff00000000
	s_cmp_lg_u64 s[24:25], 0
	s_cbranch_scc0 .LBB156_326
; %bb.272:                              ;   in Loop: Header=BB156_6 Depth=1
	s_cvt_f32_u32 s24, s34
	s_sub_nc_u64 s[44:45], 0, s[34:35]
	s_delay_alu instid0(SALU_CYCLE_2) | instskip(NEXT) | instid1(SALU_CYCLE_3)
	s_fmamk_f32 s24, s88, 0x0, s24
	v_s_rcp_f32 s24, s24
	s_delay_alu instid0(TRANS32_DEP_1) | instskip(NEXT) | instid1(SALU_CYCLE_3)
	s_mul_f32 s24, s24, 0x5f7ffffc
	s_mul_f32 s25, s24, 0x2f800000
	s_delay_alu instid0(SALU_CYCLE_3) | instskip(NEXT) | instid1(SALU_CYCLE_3)
	s_trunc_f32 s25, s25
	s_fmamk_f32 s24, s25, 0xcf800000, s24
	s_cvt_u32_f32 s25, s25
	s_delay_alu instid0(SALU_CYCLE_2) | instskip(NEXT) | instid1(SALU_CYCLE_3)
	s_cvt_u32_f32 s24, s24
	s_mul_u64 s[70:71], s[44:45], s[24:25]
	s_delay_alu instid0(SALU_CYCLE_1)
	s_mul_hi_u32 s73, s24, s71
	s_mul_i32 s72, s24, s71
	s_mul_hi_u32 s26, s24, s70
	s_mul_i32 s47, s25, s70
	s_add_nc_u64 s[72:73], s[26:27], s[72:73]
	s_mul_hi_u32 s46, s25, s70
	s_mul_hi_u32 s68, s25, s71
	s_add_co_u32 s26, s72, s47
	s_add_co_ci_u32 s26, s73, s46
	s_mul_i32 s70, s25, s71
	s_add_co_ci_u32 s71, s68, 0
	s_delay_alu instid0(SALU_CYCLE_1) | instskip(NEXT) | instid1(SALU_CYCLE_1)
	s_add_nc_u64 s[70:71], s[26:27], s[70:71]
	s_add_co_u32 s24, s24, s70
	s_cselect_b32 s26, -1, 0
	s_delay_alu instid0(SALU_CYCLE_1) | instskip(SKIP_1) | instid1(SALU_CYCLE_1)
	s_cmp_lg_u32 s26, 0
	s_add_co_ci_u32 s25, s25, s71
	s_mul_u64 s[44:45], s[44:45], s[24:25]
	s_delay_alu instid0(SALU_CYCLE_1)
	s_mul_hi_u32 s71, s24, s45
	s_mul_i32 s70, s24, s45
	s_mul_hi_u32 s26, s24, s44
	s_mul_i32 s47, s25, s44
	s_add_nc_u64 s[70:71], s[26:27], s[70:71]
	s_mul_hi_u32 s46, s25, s44
	s_mul_hi_u32 s68, s25, s45
	s_add_co_u32 s26, s70, s47
	s_add_co_ci_u32 s26, s71, s46
	s_mul_i32 s44, s25, s45
	s_add_co_ci_u32 s45, s68, 0
	s_delay_alu instid0(SALU_CYCLE_1) | instskip(NEXT) | instid1(SALU_CYCLE_1)
	s_add_nc_u64 s[44:45], s[26:27], s[44:45]
	s_add_co_u32 s24, s24, s44
	s_cselect_b32 s44, -1, 0
	s_mul_hi_u32 s26, s22, s24
	s_cmp_lg_u32 s44, 0
	s_mul_hi_u32 s46, s23, s24
	s_add_co_ci_u32 s44, s25, s45
	s_mul_i32 s45, s23, s24
	s_mul_hi_u32 s25, s22, s44
	s_mul_i32 s24, s22, s44
	s_mul_hi_u32 s47, s23, s44
	s_add_nc_u64 s[24:25], s[26:27], s[24:25]
	s_mul_i32 s44, s23, s44
	s_add_co_u32 s24, s24, s45
	s_add_co_ci_u32 s26, s25, s46
	s_add_co_ci_u32 s45, s47, 0
	s_delay_alu instid0(SALU_CYCLE_1) | instskip(NEXT) | instid1(SALU_CYCLE_1)
	s_add_nc_u64 s[24:25], s[26:27], s[44:45]
	s_and_b64 s[44:45], s[24:25], 0xffffffff00000000
	s_delay_alu instid0(SALU_CYCLE_1) | instskip(NEXT) | instid1(SALU_CYCLE_1)
	s_or_b32 s44, s44, s24
	s_mul_u64 s[24:25], s[34:35], s[44:45]
	s_delay_alu instid0(SALU_CYCLE_1) | instskip(SKIP_1) | instid1(SALU_CYCLE_1)
	s_sub_co_u32 s24, s22, s24
	s_cselect_b32 s26, -1, 0
	s_cmp_lg_u32 s26, 0
	s_sub_co_ci_u32 s25, s23, s25
	s_sub_co_u32 s26, s24, s34
	s_cselect_b32 s44, -1, 0
	s_delay_alu instid0(SALU_CYCLE_1) | instskip(SKIP_3) | instid1(SALU_CYCLE_1)
	s_cmp_lg_u32 s44, 0
	s_sub_co_ci_u32 s44, s25, 0
	s_sub_co_u32 s45, s26, s34
	s_cselect_b32 s46, -1, 0
	s_cmp_lg_u32 s46, 0
	s_sub_co_ci_u32 s46, s44, 0
	s_cmp_ge_u32 s26, s34
	s_cselect_b32 s47, -1, 0
	s_cmp_eq_u32 s44, 0
	s_cselect_b32 s47, s47, -1
	s_delay_alu instid0(SALU_CYCLE_1)
	s_cmp_lg_u32 s47, 0
	s_cselect_b32 s44, s46, s44
	s_cselect_b32 s26, s45, s26
	s_cmp_ge_u32 s24, s34
	s_cselect_b32 s45, -1, 0
	s_cmp_eq_u32 s25, 0
	s_cselect_b32 s45, s45, -1
	s_delay_alu instid0(SALU_CYCLE_1)
	s_cmp_lg_u32 s45, 0
	s_cselect_b32 s25, s44, s25
	s_cselect_b32 s24, s26, s24
	s_cbranch_execnz .LBB156_274
.LBB156_273:                            ;   in Loop: Header=BB156_6 Depth=1
	v_cvt_f32_u32_e32 v3, s34
	s_sub_co_i32 s25, 0, s34
	s_delay_alu instid0(VALU_DEP_1) | instskip(SKIP_1) | instid1(TRANS32_DEP_1)
	v_rcp_iflag_f32_e32 v3, v3
	v_nop
	v_mul_f32_e32 v3, 0x4f7ffffe, v3
	s_delay_alu instid0(VALU_DEP_1) | instskip(NEXT) | instid1(VALU_DEP_1)
	v_cvt_u32_f32_e32 v3, v3
	v_readfirstlane_b32 s24, v3
	s_mul_i32 s25, s25, s24
	s_delay_alu instid0(SALU_CYCLE_1) | instskip(NEXT) | instid1(SALU_CYCLE_1)
	s_mul_hi_u32 s25, s24, s25
	s_add_co_i32 s24, s24, s25
	s_delay_alu instid0(SALU_CYCLE_1) | instskip(NEXT) | instid1(SALU_CYCLE_1)
	s_mul_hi_u32 s24, s22, s24
	s_mul_i32 s24, s24, s34
	s_delay_alu instid0(SALU_CYCLE_1) | instskip(NEXT) | instid1(SALU_CYCLE_1)
	s_sub_co_i32 s24, s22, s24
	s_sub_co_i32 s25, s24, s34
	s_cmp_ge_u32 s24, s34
	s_cselect_b32 s24, s25, s24
	s_delay_alu instid0(SALU_CYCLE_1) | instskip(SKIP_2) | instid1(SALU_CYCLE_1)
	s_sub_co_i32 s25, s24, s34
	s_cmp_ge_u32 s24, s34
	s_cselect_b32 s26, s25, s24
	s_mov_b64 s[24:25], s[26:27]
.LBB156_274:                            ;   in Loop: Header=BB156_6 Depth=1
	s_delay_alu instid0(SALU_CYCLE_1)
	s_sub_nc_u64 s[22:23], s[22:23], s[24:25]
	s_mov_b32 s25, 0
	s_mov_b32 s24, 0
	s_mov_b32 s26, exec_lo
                                        ; implicit-def: $vgpr6_vgpr7
	v_cmpx_gt_u64_e64 s[22:23], v[0:1]
	s_cbranch_execz .LBB156_284
; %bb.275:                              ;   in Loop: Header=BB156_6 Depth=1
	v_mov_b64_e32 v[8:9], v[0:1]
	v_mov_b32_e32 v10, v47
                                        ; implicit-def: $sgpr68
	s_branch .LBB156_278
.LBB156_276:                            ;   in Loop: Header=BB156_278 Depth=2
	s_or_b32 exec_lo, exec_lo, s70
	s_wait_dscnt 0x0
	s_barrier_signal -1
	s_barrier_wait -1
	ds_load_b128 v[4:7], v21 offset:3072
	s_mov_b32 s44, -1
	s_mov_b32 s45, -1
	s_wait_dscnt 0x0
	s_barrier_signal -1
	s_barrier_wait -1
	v_cmp_ne_u64_e32 vcc_lo, 0, v[4:5]
	s_cbranch_vccz .LBB156_281
.LBB156_277:                            ;   in Loop: Header=BB156_278 Depth=2
	s_and_b32 s44, exec_lo, s44
	s_delay_alu instid0(SALU_CYCLE_1) | instskip(SKIP_2) | instid1(SALU_CYCLE_1)
	s_or_b32 s24, s44, s24
	s_and_not1_b32 s44, s68, exec_lo
	s_and_b32 s45, s45, exec_lo
	s_or_b32 s68, s44, s45
	s_and_not1_b32 exec_lo, exec_lo, s24
	s_cbranch_execz .LBB156_283
.LBB156_278:                            ;   Parent Loop BB156_6 Depth=1
                                        ; =>  This Inner Loop Header: Depth=2
	s_mov_b32 s70, exec_lo
	s_delay_alu instid0(VALU_DEP_2)
	v_cmpx_gt_u64_e64 s[8:9], v[8:9]
	s_cbranch_execz .LBB156_276
; %bb.279:                              ;   in Loop: Header=BB156_278 Depth=2
	ds_load_b64 v[4:5], v10
	s_wait_dscnt 0x0
	v_xor_b32_e32 v3, 0x80000000, v5
	v_and_b32_e32 v6, v4, v36
	s_delay_alu instid0(VALU_DEP_2) | instskip(NEXT) | instid1(VALU_DEP_1)
	v_and_b32_e32 v7, v3, v37
	v_cmp_eq_u64_e32 vcc_lo, v[6:7], v[32:33]
	s_and_b32 exec_lo, exec_lo, vcc_lo
	s_cbranch_execz .LBB156_276
; %bb.280:                              ;   in Loop: Header=BB156_278 Depth=2
	v_mov_b32_e32 v3, v21
	ds_store_b128 v21, v[2:5] offset:3072
	s_branch .LBB156_276
.LBB156_281:                            ;   in Loop: Header=BB156_278 Depth=2
	v_add_nc_u64_e32 v[8:9], s[34:35], v[8:9]
	v_add_nc_u32_e32 v10, s85, v10
	s_mov_b32 s45, 0
	s_delay_alu instid0(VALU_DEP_2)
	v_cmp_le_u64_e32 vcc_lo, s[22:23], v[8:9]
	s_or_not1_b32 s44, vcc_lo, exec_lo
	s_branch .LBB156_277
.LBB156_282:                            ;   in Loop: Header=BB156_6 Depth=1
	v_mov_b64_e32 v[32:33], v[14:15]
	v_mov_b64_e32 v[36:37], v[12:13]
	;; [unrolled: 1-line block ×3, first 2 shown]
	s_mov_b32 s69, 0
	s_and_saveexec_b32 s7, s66
	s_cbranch_execnz .LBB156_459
	s_branch .LBB156_460
.LBB156_283:                            ;   in Loop: Header=BB156_6 Depth=1
	s_or_b32 exec_lo, exec_lo, s24
	s_delay_alu instid0(SALU_CYCLE_1)
	s_and_b32 s24, s68, exec_lo
.LBB156_284:                            ;   in Loop: Header=BB156_6 Depth=1
	s_or_b32 exec_lo, exec_lo, s26
.LBB156_285:                            ;   in Loop: Header=BB156_6 Depth=1
	s_delay_alu instid0(SALU_CYCLE_1)
	s_and_b32 vcc_lo, exec_lo, s25
	s_cbranch_vccz .LBB156_299
; %bb.286:                              ;   in Loop: Header=BB156_6 Depth=1
	s_and_b64 s[8:9], s[54:55], 0xffffffff00000000
	s_delay_alu instid0(SALU_CYCLE_1)
	s_cmp_lg_u64 s[8:9], 0
	s_cbranch_scc0 .LBB156_327
; %bb.287:                              ;   in Loop: Header=BB156_6 Depth=1
	s_cvt_f32_u32 s8, s34
	s_sub_nc_u64 s[22:23], 0, s[34:35]
	s_delay_alu instid0(SALU_CYCLE_2) | instskip(NEXT) | instid1(SALU_CYCLE_3)
	s_fmamk_f32 s8, s88, 0x0, s8
	v_s_rcp_f32 s8, s8
	s_delay_alu instid0(TRANS32_DEP_1) | instskip(NEXT) | instid1(SALU_CYCLE_3)
	s_mul_f32 s8, s8, 0x5f7ffffc
	s_mul_f32 s9, s8, 0x2f800000
	s_delay_alu instid0(SALU_CYCLE_3) | instskip(NEXT) | instid1(SALU_CYCLE_3)
	s_trunc_f32 s9, s9
	s_fmamk_f32 s8, s9, 0xcf800000, s8
	s_cvt_u32_f32 s9, s9
	s_delay_alu instid0(SALU_CYCLE_2) | instskip(NEXT) | instid1(SALU_CYCLE_3)
	s_cvt_u32_f32 s8, s8
	s_mul_u64 s[44:45], s[22:23], s[8:9]
	s_delay_alu instid0(SALU_CYCLE_1)
	s_mul_hi_u32 s69, s8, s45
	s_mul_i32 s68, s8, s45
	s_mul_hi_u32 s26, s8, s44
	s_mul_i32 s46, s9, s44
	s_add_nc_u64 s[68:69], s[26:27], s[68:69]
	s_mul_hi_u32 s25, s9, s44
	s_mul_hi_u32 s47, s9, s45
	s_add_co_u32 s26, s68, s46
	s_add_co_ci_u32 s26, s69, s25
	s_mul_i32 s44, s9, s45
	s_add_co_ci_u32 s45, s47, 0
	s_delay_alu instid0(SALU_CYCLE_1) | instskip(NEXT) | instid1(SALU_CYCLE_1)
	s_add_nc_u64 s[44:45], s[26:27], s[44:45]
	s_add_co_u32 s8, s8, s44
	s_cselect_b32 s25, -1, 0
	s_delay_alu instid0(SALU_CYCLE_1) | instskip(SKIP_1) | instid1(SALU_CYCLE_1)
	s_cmp_lg_u32 s25, 0
	s_add_co_ci_u32 s9, s9, s45
	s_mul_u64 s[22:23], s[22:23], s[8:9]
	s_delay_alu instid0(SALU_CYCLE_1)
	s_mul_hi_u32 s45, s8, s23
	s_mul_i32 s44, s8, s23
	s_mul_hi_u32 s26, s8, s22
	s_mul_i32 s46, s9, s22
	s_add_nc_u64 s[44:45], s[26:27], s[44:45]
	s_mul_hi_u32 s25, s9, s22
	s_mul_hi_u32 s47, s9, s23
	s_mul_i32 s22, s9, s23
	s_add_co_u32 s23, s44, s46
	s_add_co_ci_u32 s26, s45, s25
	s_add_co_ci_u32 s23, s47, 0
	s_delay_alu instid0(SALU_CYCLE_1) | instskip(NEXT) | instid1(SALU_CYCLE_1)
	s_add_nc_u64 s[22:23], s[26:27], s[22:23]
	s_add_co_u32 s8, s8, s22
	s_cselect_b32 s22, -1, 0
	s_mul_hi_u32 s26, s54, s8
	s_cmp_lg_u32 s22, 0
	s_mul_hi_u32 s25, s55, s8
	s_add_co_ci_u32 s22, s9, s23
	s_mul_i32 s23, s55, s8
	s_mul_hi_u32 s9, s54, s22
	s_mul_i32 s8, s54, s22
	s_mul_hi_u32 s44, s55, s22
	s_add_nc_u64 s[8:9], s[26:27], s[8:9]
	s_mul_i32 s22, s55, s22
	s_add_co_u32 s8, s8, s23
	s_add_co_ci_u32 s26, s9, s25
	s_add_co_ci_u32 s23, s44, 0
	s_delay_alu instid0(SALU_CYCLE_1) | instskip(NEXT) | instid1(SALU_CYCLE_1)
	s_add_nc_u64 s[8:9], s[26:27], s[22:23]
	s_and_b64 s[22:23], s[8:9], 0xffffffff00000000
	s_delay_alu instid0(SALU_CYCLE_1) | instskip(NEXT) | instid1(SALU_CYCLE_1)
	s_or_b32 s22, s22, s8
	s_mul_u64 s[8:9], s[34:35], s[22:23]
	s_delay_alu instid0(SALU_CYCLE_1) | instskip(SKIP_1) | instid1(SALU_CYCLE_1)
	s_sub_co_u32 s8, s54, s8
	s_cselect_b32 s22, -1, 0
	s_cmp_lg_u32 s22, 0
	s_sub_co_ci_u32 s9, s55, s9
	s_sub_co_u32 s22, s8, s34
	s_cselect_b32 s23, -1, 0
	s_delay_alu instid0(SALU_CYCLE_1) | instskip(SKIP_3) | instid1(SALU_CYCLE_1)
	s_cmp_lg_u32 s23, 0
	s_sub_co_ci_u32 s23, s9, 0
	s_sub_co_u32 s25, s22, s34
	s_cselect_b32 s26, -1, 0
	s_cmp_lg_u32 s26, 0
	s_sub_co_ci_u32 s26, s23, 0
	s_cmp_ge_u32 s22, s34
	s_cselect_b32 s44, -1, 0
	s_cmp_eq_u32 s23, 0
	s_cselect_b32 s44, s44, -1
	s_delay_alu instid0(SALU_CYCLE_1)
	s_cmp_lg_u32 s44, 0
	s_cselect_b32 s23, s26, s23
	s_cselect_b32 s22, s25, s22
	s_cmp_ge_u32 s8, s34
	s_cselect_b32 s25, -1, 0
	s_cmp_eq_u32 s9, 0
	s_cselect_b32 s25, s25, -1
	s_delay_alu instid0(SALU_CYCLE_1)
	s_cmp_lg_u32 s25, 0
	s_cselect_b32 s9, s23, s9
	s_cselect_b32 s8, s22, s8
	s_cbranch_execnz .LBB156_289
.LBB156_288:                            ;   in Loop: Header=BB156_6 Depth=1
	v_cvt_f32_u32_e32 v3, s34
	s_sub_co_i32 s9, 0, s34
	s_delay_alu instid0(VALU_DEP_1) | instskip(SKIP_1) | instid1(TRANS32_DEP_1)
	v_rcp_iflag_f32_e32 v3, v3
	v_nop
	v_mul_f32_e32 v3, 0x4f7ffffe, v3
	s_delay_alu instid0(VALU_DEP_1) | instskip(NEXT) | instid1(VALU_DEP_1)
	v_cvt_u32_f32_e32 v3, v3
	v_readfirstlane_b32 s8, v3
	s_mul_i32 s9, s9, s8
	s_delay_alu instid0(SALU_CYCLE_1) | instskip(NEXT) | instid1(SALU_CYCLE_1)
	s_mul_hi_u32 s9, s8, s9
	s_add_co_i32 s8, s8, s9
	s_delay_alu instid0(SALU_CYCLE_1) | instskip(NEXT) | instid1(SALU_CYCLE_1)
	s_mul_hi_u32 s8, s54, s8
	s_mul_i32 s8, s8, s34
	s_delay_alu instid0(SALU_CYCLE_1) | instskip(NEXT) | instid1(SALU_CYCLE_1)
	s_sub_co_i32 s8, s54, s8
	s_sub_co_i32 s9, s8, s34
	s_cmp_ge_u32 s8, s34
	s_cselect_b32 s8, s9, s8
	s_delay_alu instid0(SALU_CYCLE_1) | instskip(SKIP_2) | instid1(SALU_CYCLE_1)
	s_sub_co_i32 s9, s8, s34
	s_cmp_ge_u32 s8, s34
	s_cselect_b32 s26, s9, s8
	s_mov_b64 s[8:9], s[26:27]
.LBB156_289:                            ;   in Loop: Header=BB156_6 Depth=1
	s_delay_alu instid0(SALU_CYCLE_1)
	s_sub_nc_u64 s[8:9], s[54:55], s[8:9]
	s_mov_b32 s22, exec_lo
                                        ; implicit-def: $vgpr6_vgpr7
	v_nop
	v_cmpx_gt_u64_e64 s[8:9], v[0:1]
	s_cbranch_execz .LBB156_298
; %bb.290:                              ;   in Loop: Header=BB156_6 Depth=1
	v_mov_b64_e32 v[8:9], v[18:19]
	v_mov_b64_e32 v[10:11], v[0:1]
	s_mov_b32 s25, 0
                                        ; implicit-def: $sgpr23
	s_branch .LBB156_293
.LBB156_291:                            ;   in Loop: Header=BB156_293 Depth=2
	s_or_b32 exec_lo, exec_lo, s26
	s_wait_dscnt 0x0
	s_barrier_signal -1
	s_barrier_wait -1
	ds_load_b128 v[4:7], v21 offset:3072
	s_mov_b32 s26, -1
	s_mov_b32 s44, -1
	s_wait_dscnt 0x0
	s_barrier_signal -1
	s_barrier_wait -1
	v_cmp_ne_u64_e32 vcc_lo, 0, v[4:5]
	s_cbranch_vccz .LBB156_296
.LBB156_292:                            ;   in Loop: Header=BB156_293 Depth=2
	s_and_b32 s26, exec_lo, s26
	s_delay_alu instid0(SALU_CYCLE_1) | instskip(SKIP_2) | instid1(SALU_CYCLE_1)
	s_or_b32 s25, s26, s25
	s_and_not1_b32 s23, s23, exec_lo
	s_and_b32 s26, s44, exec_lo
	s_or_b32 s23, s23, s26
	s_and_not1_b32 exec_lo, exec_lo, s25
	s_cbranch_execz .LBB156_297
.LBB156_293:                            ;   Parent Loop BB156_6 Depth=1
                                        ; =>  This Inner Loop Header: Depth=2
	s_mov_b32 s26, exec_lo
	s_delay_alu instid0(VALU_DEP_1)
	v_cmpx_gt_u64_e64 s[28:29], v[10:11]
	s_cbranch_execz .LBB156_291
; %bb.294:                              ;   in Loop: Header=BB156_293 Depth=2
	global_load_b64 v[4:5], v[8:9], off
	s_wait_loadcnt 0x0
	v_xor_b32_e32 v3, 0x80000000, v5
	v_and_b32_e32 v6, v4, v36
	s_delay_alu instid0(VALU_DEP_2) | instskip(NEXT) | instid1(VALU_DEP_1)
	v_and_b32_e32 v7, v3, v37
	v_cmp_eq_u64_e32 vcc_lo, v[6:7], v[32:33]
	s_and_b32 exec_lo, exec_lo, vcc_lo
	s_cbranch_execz .LBB156_291
; %bb.295:                              ;   in Loop: Header=BB156_293 Depth=2
	v_mov_b32_e32 v3, v21
	ds_store_b128 v21, v[2:5] offset:3072
	s_branch .LBB156_291
.LBB156_296:                            ;   in Loop: Header=BB156_293 Depth=2
	v_add_nc_u64_e32 v[10:11], s[34:35], v[10:11]
	v_add_nc_u64_e32 v[8:9], s[36:37], v[8:9]
	s_mov_b32 s44, 0
	s_delay_alu instid0(VALU_DEP_2)
	v_cmp_le_u64_e32 vcc_lo, s[8:9], v[10:11]
	s_or_not1_b32 s26, vcc_lo, exec_lo
	s_branch .LBB156_292
.LBB156_297:                            ;   in Loop: Header=BB156_6 Depth=1
	s_or_b32 exec_lo, exec_lo, s25
	s_delay_alu instid0(SALU_CYCLE_1) | instskip(SKIP_1) | instid1(SALU_CYCLE_1)
	s_and_not1_b32 s8, s24, exec_lo
	s_and_b32 s9, s23, exec_lo
	s_or_b32 s24, s8, s9
.LBB156_298:                            ;   in Loop: Header=BB156_6 Depth=1
	s_or_b32 exec_lo, exec_lo, s22
	s_mov_b32 s64, 0
	s_mov_b32 s69, -1
.LBB156_299:                            ;   in Loop: Header=BB156_6 Depth=1
	s_or_not1_b32 s8, s24, exec_lo
.LBB156_300:                            ;   in Loop: Header=BB156_6 Depth=1
	s_or_b32 exec_lo, exec_lo, s67
                                        ; implicit-def: $vgpr40_vgpr41
                                        ; implicit-def: $vgpr20
	s_and_saveexec_b32 s24, s8
	s_cbranch_execz .LBB156_458
; %bb.301:                              ;   in Loop: Header=BB156_6 Depth=1
	v_mov_b64_e32 v[40:41], 1
	v_mov_b32_e32 v20, 1
	s_xor_b32 s8, s7, -1
	s_mov_b32 s9, 0
	s_and_saveexec_b32 s7, s8
	s_cbranch_execz .LBB156_310
; %bb.302:                              ;   in Loop: Header=BB156_6 Depth=1
	s_mov_b32 s8, exec_lo
	v_cmpx_ge_u64_e64 s[20:21], v[38:39]
	s_xor_b32 s8, exec_lo, s8
	s_cbranch_execz .LBB156_307
; %bb.303:                              ;   in Loop: Header=BB156_6 Depth=1
	ds_load_b64 v[4:5], v21 offset:5120
	v_or_b32_e32 v33, s13, v33
	v_or_b32_e32 v32, s12, v32
	;; [unrolled: 1-line block ×4, first 2 shown]
	s_wait_dscnt 0x0
	v_cmp_ne_u64_e32 vcc_lo, 0, v[4:5]
	s_cbranch_vccnz .LBB156_307
; %bb.304:                              ;   in Loop: Header=BB156_6 Depth=1
	s_and_saveexec_b32 s9, s5
; %bb.305:                              ;   in Loop: Header=BB156_6 Depth=1
	v_mov_b64_e32 v[4:5], s[20:21]
	ds_store_b64 v21, v[4:5] offset:5128
; %bb.306:                              ;   in Loop: Header=BB156_6 Depth=1
	s_or_b32 exec_lo, exec_lo, s9
	s_wait_dscnt 0x0
	s_barrier_signal -1
	s_barrier_wait -1
.LBB156_307:                            ;   in Loop: Header=BB156_6 Depth=1
	s_or_saveexec_b32 s8, s8
	v_mov_b32_e32 v20, 5
	s_mov_b32 s9, 0
	s_xor_b32 exec_lo, exec_lo, s8
; %bb.308:                              ;   in Loop: Header=BB156_6 Depth=1
	v_sub_nc_u64_e64 v[38:39], v[38:39], s[20:21]
	v_mov_b32_e32 v20, 0
	s_mov_b32 s9, exec_lo
; %bb.309:                              ;   in Loop: Header=BB156_6 Depth=1
	s_or_b32 exec_lo, exec_lo, s8
	s_delay_alu instid0(VALU_DEP_2)
	v_mov_b64_e32 v[40:41], v[38:39]
	s_and_b32 s9, s9, exec_lo
.LBB156_310:                            ;   in Loop: Header=BB156_6 Depth=1
	s_or_b32 exec_lo, exec_lo, s7
	s_mov_b32 s8, -1
                                        ; implicit-def: $sgpr25
                                        ; implicit-def: $sgpr67
	s_and_saveexec_b32 s7, s9
	s_delay_alu instid0(SALU_CYCLE_1)
	s_xor_b32 s7, exec_lo, s7
	s_cbranch_execz .LBB156_455
; %bb.311:                              ;   in Loop: Header=BB156_6 Depth=1
	v_cmp_eq_u64_e32 vcc_lo, 1, v[40:41]
	s_cmp_eq_u64 s[18:19], 1
                                        ; implicit-def: $sgpr67
                                        ; implicit-def: $sgpr25
	s_cselect_b32 s8, -1, 0
	s_delay_alu instid0(SALU_CYCLE_1)
	s_and_b32 s68, s8, vcc_lo
	s_mov_b32 s8, -1
	s_and_saveexec_b32 s70, s68
	s_cbranch_execz .LBB156_345
; %bb.312:                              ;   in Loop: Header=BB156_6 Depth=1
	ds_load_b64 v[4:5], v21 offset:5120
	s_wait_dscnt 0x0
	s_barrier_signal -1
	s_barrier_wait -1
	v_readfirstlane_b32 s8, v4
	v_readfirstlane_b32 s9, v5
	s_and_saveexec_b32 s20, s6
; %bb.313:                              ;   in Loop: Header=BB156_6 Depth=1
	ds_store_b64 v48, v[34:35]
; %bb.314:                              ;   in Loop: Header=BB156_6 Depth=1
	s_or_b32 exec_lo, exec_lo, s20
	v_and_b32_e32 v3, s15, v33
	v_and_b32_e32 v4, s14, v32
	s_lshl_b64 s[20:21], 2, s86
	v_or_b32_e32 v37, s13, v37
	v_or_b32_e32 v36, s12, v36
	;; [unrolled: 1-line block ×4, first 2 shown]
	s_mov_b32 s25, -1
	s_mov_b32 s67, 0
	s_cmp_eq_u64 s[8:9], 0
	s_mov_b32 s22, 0
	s_mov_b32 s23, -1
	s_wait_dscnt 0x0
	s_barrier_signal -1
	s_barrier_wait -1
                                        ; implicit-def: $vgpr6_vgpr7
	s_cbranch_scc1 .LBB156_330
; %bb.315:                              ;   in Loop: Header=BB156_6 Depth=1
	s_add_nc_u64 s[20:21], s[8:9], s[52:53]
	s_delay_alu instid0(SALU_CYCLE_1) | instskip(NEXT) | instid1(SALU_CYCLE_1)
	s_and_b64 s[22:23], s[20:21], 0xffffffff00000000
	s_cmp_lg_u64 s[22:23], 0
	s_cbranch_scc0 .LBB156_371
; %bb.316:                              ;   in Loop: Header=BB156_6 Depth=1
	s_cvt_f32_u32 s22, s34
	s_sub_nc_u64 s[44:45], 0, s[34:35]
	s_delay_alu instid0(SALU_CYCLE_2) | instskip(NEXT) | instid1(SALU_CYCLE_3)
	s_fmamk_f32 s22, s88, 0x0, s22
	v_s_rcp_f32 s22, s22
	s_delay_alu instid0(TRANS32_DEP_1) | instskip(NEXT) | instid1(SALU_CYCLE_3)
	s_mul_f32 s22, s22, 0x5f7ffffc
	s_mul_f32 s23, s22, 0x2f800000
	s_delay_alu instid0(SALU_CYCLE_3) | instskip(NEXT) | instid1(SALU_CYCLE_3)
	s_trunc_f32 s23, s23
	s_fmamk_f32 s22, s23, 0xcf800000, s22
	s_cvt_u32_f32 s23, s23
	s_delay_alu instid0(SALU_CYCLE_2) | instskip(NEXT) | instid1(SALU_CYCLE_3)
	s_cvt_u32_f32 s22, s22
	s_mul_u64 s[72:73], s[44:45], s[22:23]
	s_delay_alu instid0(SALU_CYCLE_1)
	s_mul_hi_u32 s75, s22, s73
	s_mul_i32 s74, s22, s73
	s_mul_hi_u32 s26, s22, s72
	s_mul_i32 s47, s23, s72
	s_add_nc_u64 s[74:75], s[26:27], s[74:75]
	s_mul_hi_u32 s46, s23, s72
	s_mul_hi_u32 s71, s23, s73
	s_add_co_u32 s26, s74, s47
	s_add_co_ci_u32 s26, s75, s46
	s_mul_i32 s72, s23, s73
	s_add_co_ci_u32 s73, s71, 0
	s_delay_alu instid0(SALU_CYCLE_1) | instskip(NEXT) | instid1(SALU_CYCLE_1)
	s_add_nc_u64 s[72:73], s[26:27], s[72:73]
	s_add_co_u32 s22, s22, s72
	s_cselect_b32 s26, -1, 0
	s_delay_alu instid0(SALU_CYCLE_1) | instskip(SKIP_1) | instid1(SALU_CYCLE_1)
	s_cmp_lg_u32 s26, 0
	s_add_co_ci_u32 s23, s23, s73
	s_mul_u64 s[44:45], s[44:45], s[22:23]
	s_delay_alu instid0(SALU_CYCLE_1)
	s_mul_hi_u32 s73, s22, s45
	s_mul_i32 s72, s22, s45
	s_mul_hi_u32 s26, s22, s44
	s_mul_i32 s47, s23, s44
	s_add_nc_u64 s[72:73], s[26:27], s[72:73]
	s_mul_hi_u32 s46, s23, s44
	s_mul_hi_u32 s71, s23, s45
	s_add_co_u32 s26, s72, s47
	s_add_co_ci_u32 s26, s73, s46
	s_mul_i32 s44, s23, s45
	s_add_co_ci_u32 s45, s71, 0
	s_delay_alu instid0(SALU_CYCLE_1) | instskip(NEXT) | instid1(SALU_CYCLE_1)
	s_add_nc_u64 s[44:45], s[26:27], s[44:45]
	s_add_co_u32 s22, s22, s44
	s_cselect_b32 s44, -1, 0
	s_mul_hi_u32 s26, s20, s22
	s_cmp_lg_u32 s44, 0
	s_mul_hi_u32 s46, s21, s22
	s_add_co_ci_u32 s44, s23, s45
	s_mul_i32 s45, s21, s22
	s_mul_hi_u32 s23, s20, s44
	s_mul_i32 s22, s20, s44
	s_mul_hi_u32 s47, s21, s44
	s_add_nc_u64 s[22:23], s[26:27], s[22:23]
	s_mul_i32 s44, s21, s44
	s_add_co_u32 s22, s22, s45
	s_add_co_ci_u32 s26, s23, s46
	s_add_co_ci_u32 s45, s47, 0
	s_delay_alu instid0(SALU_CYCLE_1) | instskip(NEXT) | instid1(SALU_CYCLE_1)
	s_add_nc_u64 s[22:23], s[26:27], s[44:45]
	s_and_b64 s[44:45], s[22:23], 0xffffffff00000000
	s_delay_alu instid0(SALU_CYCLE_1) | instskip(NEXT) | instid1(SALU_CYCLE_1)
	s_or_b32 s44, s44, s22
	s_mul_u64 s[22:23], s[34:35], s[44:45]
	s_delay_alu instid0(SALU_CYCLE_1) | instskip(SKIP_1) | instid1(SALU_CYCLE_1)
	s_sub_co_u32 s22, s20, s22
	s_cselect_b32 s26, -1, 0
	s_cmp_lg_u32 s26, 0
	s_sub_co_ci_u32 s23, s21, s23
	s_sub_co_u32 s26, s22, s34
	s_cselect_b32 s44, -1, 0
	s_delay_alu instid0(SALU_CYCLE_1) | instskip(SKIP_3) | instid1(SALU_CYCLE_1)
	s_cmp_lg_u32 s44, 0
	s_sub_co_ci_u32 s44, s23, 0
	s_sub_co_u32 s45, s26, s34
	s_cselect_b32 s46, -1, 0
	s_cmp_lg_u32 s46, 0
	s_sub_co_ci_u32 s46, s44, 0
	s_cmp_ge_u32 s26, s34
	s_cselect_b32 s47, -1, 0
	s_cmp_eq_u32 s44, 0
	s_cselect_b32 s47, s47, -1
	s_delay_alu instid0(SALU_CYCLE_1)
	s_cmp_lg_u32 s47, 0
	s_cselect_b32 s44, s46, s44
	s_cselect_b32 s26, s45, s26
	s_cmp_ge_u32 s22, s34
	s_cselect_b32 s45, -1, 0
	s_cmp_eq_u32 s23, 0
	s_cselect_b32 s45, s45, -1
	s_delay_alu instid0(SALU_CYCLE_1)
	s_cmp_lg_u32 s45, 0
	s_cselect_b32 s23, s44, s23
	s_cselect_b32 s22, s26, s22
	s_cbranch_execnz .LBB156_318
.LBB156_317:                            ;   in Loop: Header=BB156_6 Depth=1
	v_cvt_f32_u32_e32 v3, s34
	s_sub_co_i32 s23, 0, s34
	s_delay_alu instid0(VALU_DEP_1) | instskip(SKIP_1) | instid1(TRANS32_DEP_1)
	v_rcp_iflag_f32_e32 v3, v3
	v_nop
	v_mul_f32_e32 v3, 0x4f7ffffe, v3
	s_delay_alu instid0(VALU_DEP_1) | instskip(NEXT) | instid1(VALU_DEP_1)
	v_cvt_u32_f32_e32 v3, v3
	v_readfirstlane_b32 s22, v3
	s_mul_i32 s23, s23, s22
	s_delay_alu instid0(SALU_CYCLE_1) | instskip(NEXT) | instid1(SALU_CYCLE_1)
	s_mul_hi_u32 s23, s22, s23
	s_add_co_i32 s22, s22, s23
	s_delay_alu instid0(SALU_CYCLE_1) | instskip(NEXT) | instid1(SALU_CYCLE_1)
	s_mul_hi_u32 s22, s20, s22
	s_mul_i32 s22, s22, s34
	s_delay_alu instid0(SALU_CYCLE_1) | instskip(NEXT) | instid1(SALU_CYCLE_1)
	s_sub_co_i32 s22, s20, s22
	s_sub_co_i32 s23, s22, s34
	s_cmp_ge_u32 s22, s34
	s_cselect_b32 s22, s23, s22
	s_delay_alu instid0(SALU_CYCLE_1) | instskip(SKIP_2) | instid1(SALU_CYCLE_1)
	s_sub_co_i32 s23, s22, s34
	s_cmp_ge_u32 s22, s34
	s_cselect_b32 s26, s23, s22
	s_mov_b64 s[22:23], s[26:27]
.LBB156_318:                            ;   in Loop: Header=BB156_6 Depth=1
	s_delay_alu instid0(SALU_CYCLE_1)
	s_sub_nc_u64 s[20:21], s[20:21], s[22:23]
	s_mov_b32 s23, 0
	s_mov_b32 s22, 0
	s_mov_b32 s26, exec_lo
                                        ; implicit-def: $vgpr6_vgpr7
	v_cmpx_gt_u64_e64 s[20:21], v[0:1]
	s_cbranch_execz .LBB156_329
; %bb.319:                              ;   in Loop: Header=BB156_6 Depth=1
	v_mov_b64_e32 v[8:9], v[0:1]
	v_mov_b32_e32 v10, v47
                                        ; implicit-def: $sgpr71
	s_branch .LBB156_322
.LBB156_320:                            ;   in Loop: Header=BB156_322 Depth=2
	s_or_b32 exec_lo, exec_lo, s72
	s_wait_dscnt 0x0
	s_barrier_signal -1
	s_barrier_wait -1
	ds_load_b128 v[4:7], v21 offset:3072
	s_mov_b32 s44, -1
	s_mov_b32 s45, -1
	s_wait_dscnt 0x0
	s_barrier_signal -1
	s_barrier_wait -1
	v_cmp_ne_u64_e32 vcc_lo, 0, v[4:5]
	s_cbranch_vccz .LBB156_325
.LBB156_321:                            ;   in Loop: Header=BB156_322 Depth=2
	s_and_b32 s44, exec_lo, s44
	s_delay_alu instid0(SALU_CYCLE_1) | instskip(SKIP_2) | instid1(SALU_CYCLE_1)
	s_or_b32 s22, s44, s22
	s_and_not1_b32 s44, s71, exec_lo
	s_and_b32 s45, s45, exec_lo
	s_or_b32 s71, s44, s45
	s_and_not1_b32 exec_lo, exec_lo, s22
	s_cbranch_execz .LBB156_328
.LBB156_322:                            ;   Parent Loop BB156_6 Depth=1
                                        ; =>  This Inner Loop Header: Depth=2
	s_mov_b32 s72, exec_lo
	s_delay_alu instid0(VALU_DEP_2)
	v_cmpx_gt_u64_e64 s[8:9], v[8:9]
	s_cbranch_execz .LBB156_320
; %bb.323:                              ;   in Loop: Header=BB156_322 Depth=2
	ds_load_b64 v[4:5], v10
	s_wait_dscnt 0x0
	v_xor_b32_e32 v3, 0x80000000, v5
	v_and_b32_e32 v6, v4, v36
	s_delay_alu instid0(VALU_DEP_2) | instskip(NEXT) | instid1(VALU_DEP_1)
	v_and_b32_e32 v7, v3, v37
	v_cmp_eq_u64_e32 vcc_lo, v[6:7], v[32:33]
	s_and_b32 exec_lo, exec_lo, vcc_lo
	s_cbranch_execz .LBB156_320
; %bb.324:                              ;   in Loop: Header=BB156_322 Depth=2
	v_mov_b32_e32 v3, v21
	ds_store_b128 v21, v[2:5] offset:3072
	s_branch .LBB156_320
.LBB156_325:                            ;   in Loop: Header=BB156_322 Depth=2
	v_add_nc_u64_e32 v[8:9], s[34:35], v[8:9]
	v_add_nc_u32_e32 v10, s85, v10
	s_mov_b32 s45, 0
	s_delay_alu instid0(VALU_DEP_2)
	v_cmp_le_u64_e32 vcc_lo, s[20:21], v[8:9]
	s_or_not1_b32 s44, vcc_lo, exec_lo
	s_branch .LBB156_321
.LBB156_326:                            ;   in Loop: Header=BB156_6 Depth=1
                                        ; implicit-def: $sgpr24_sgpr25
	s_branch .LBB156_273
.LBB156_327:                            ;   in Loop: Header=BB156_6 Depth=1
                                        ; implicit-def: $sgpr8_sgpr9
	s_branch .LBB156_288
.LBB156_328:                            ;   in Loop: Header=BB156_6 Depth=1
	s_or_b32 exec_lo, exec_lo, s22
	s_delay_alu instid0(SALU_CYCLE_1)
	s_and_b32 s22, s71, exec_lo
.LBB156_329:                            ;   in Loop: Header=BB156_6 Depth=1
	s_or_b32 exec_lo, exec_lo, s26
.LBB156_330:                            ;   in Loop: Header=BB156_6 Depth=1
	s_delay_alu instid0(SALU_CYCLE_1)
	s_and_b32 vcc_lo, exec_lo, s23
	s_cbranch_vccz .LBB156_344
; %bb.331:                              ;   in Loop: Header=BB156_6 Depth=1
	s_and_b64 s[8:9], s[54:55], 0xffffffff00000000
	s_delay_alu instid0(SALU_CYCLE_1)
	s_cmp_lg_u64 s[8:9], 0
	s_cbranch_scc0 .LBB156_372
; %bb.332:                              ;   in Loop: Header=BB156_6 Depth=1
	s_cvt_f32_u32 s8, s34
	s_sub_nc_u64 s[20:21], 0, s[34:35]
	s_delay_alu instid0(SALU_CYCLE_2) | instskip(NEXT) | instid1(SALU_CYCLE_3)
	s_fmamk_f32 s8, s88, 0x0, s8
	v_s_rcp_f32 s8, s8
	s_delay_alu instid0(TRANS32_DEP_1) | instskip(NEXT) | instid1(SALU_CYCLE_3)
	s_mul_f32 s8, s8, 0x5f7ffffc
	s_mul_f32 s9, s8, 0x2f800000
	s_delay_alu instid0(SALU_CYCLE_3) | instskip(NEXT) | instid1(SALU_CYCLE_3)
	s_trunc_f32 s9, s9
	s_fmamk_f32 s8, s9, 0xcf800000, s8
	s_cvt_u32_f32 s9, s9
	s_delay_alu instid0(SALU_CYCLE_2) | instskip(NEXT) | instid1(SALU_CYCLE_3)
	s_cvt_u32_f32 s8, s8
	s_mul_u64 s[44:45], s[20:21], s[8:9]
	s_delay_alu instid0(SALU_CYCLE_1)
	s_mul_hi_u32 s73, s8, s45
	s_mul_i32 s72, s8, s45
	s_mul_hi_u32 s26, s8, s44
	s_mul_i32 s25, s9, s44
	s_add_nc_u64 s[72:73], s[26:27], s[72:73]
	s_mul_hi_u32 s23, s9, s44
	s_mul_hi_u32 s46, s9, s45
	s_add_co_u32 s25, s72, s25
	s_add_co_ci_u32 s26, s73, s23
	s_mul_i32 s44, s9, s45
	s_add_co_ci_u32 s45, s46, 0
	s_delay_alu instid0(SALU_CYCLE_1) | instskip(NEXT) | instid1(SALU_CYCLE_1)
	s_add_nc_u64 s[44:45], s[26:27], s[44:45]
	s_add_co_u32 s8, s8, s44
	s_cselect_b32 s23, -1, 0
	s_delay_alu instid0(SALU_CYCLE_1) | instskip(SKIP_1) | instid1(SALU_CYCLE_1)
	s_cmp_lg_u32 s23, 0
	s_add_co_ci_u32 s9, s9, s45
	s_mul_u64 s[20:21], s[20:21], s[8:9]
	s_delay_alu instid0(SALU_CYCLE_1)
	s_mul_hi_u32 s45, s8, s21
	s_mul_i32 s44, s8, s21
	s_mul_hi_u32 s26, s8, s20
	s_mul_i32 s25, s9, s20
	s_add_nc_u64 s[44:45], s[26:27], s[44:45]
	s_mul_hi_u32 s23, s9, s20
	s_mul_hi_u32 s46, s9, s21
	s_mul_i32 s20, s9, s21
	s_add_co_u32 s21, s44, s25
	s_add_co_ci_u32 s26, s45, s23
	s_add_co_ci_u32 s21, s46, 0
	s_delay_alu instid0(SALU_CYCLE_1) | instskip(NEXT) | instid1(SALU_CYCLE_1)
	s_add_nc_u64 s[20:21], s[26:27], s[20:21]
	s_add_co_u32 s8, s8, s20
	s_cselect_b32 s20, -1, 0
	s_mul_hi_u32 s26, s54, s8
	s_cmp_lg_u32 s20, 0
	s_mul_hi_u32 s23, s55, s8
	s_add_co_ci_u32 s20, s9, s21
	s_mul_i32 s21, s55, s8
	s_mul_hi_u32 s9, s54, s20
	s_mul_i32 s8, s54, s20
	s_mul_hi_u32 s25, s55, s20
	s_add_nc_u64 s[8:9], s[26:27], s[8:9]
	s_mul_i32 s20, s55, s20
	s_add_co_u32 s8, s8, s21
	s_add_co_ci_u32 s26, s9, s23
	s_add_co_ci_u32 s21, s25, 0
	s_delay_alu instid0(SALU_CYCLE_1) | instskip(NEXT) | instid1(SALU_CYCLE_1)
	s_add_nc_u64 s[8:9], s[26:27], s[20:21]
	s_and_b64 s[20:21], s[8:9], 0xffffffff00000000
	s_delay_alu instid0(SALU_CYCLE_1) | instskip(NEXT) | instid1(SALU_CYCLE_1)
	s_or_b32 s20, s20, s8
	s_mul_u64 s[8:9], s[34:35], s[20:21]
	s_delay_alu instid0(SALU_CYCLE_1) | instskip(SKIP_1) | instid1(SALU_CYCLE_1)
	s_sub_co_u32 s8, s54, s8
	s_cselect_b32 s20, -1, 0
	s_cmp_lg_u32 s20, 0
	s_sub_co_ci_u32 s9, s55, s9
	s_sub_co_u32 s20, s8, s34
	s_cselect_b32 s21, -1, 0
	s_delay_alu instid0(SALU_CYCLE_1) | instskip(SKIP_3) | instid1(SALU_CYCLE_1)
	s_cmp_lg_u32 s21, 0
	s_sub_co_ci_u32 s21, s9, 0
	s_sub_co_u32 s23, s20, s34
	s_cselect_b32 s25, -1, 0
	s_cmp_lg_u32 s25, 0
	s_sub_co_ci_u32 s25, s21, 0
	s_cmp_ge_u32 s20, s34
	s_cselect_b32 s26, -1, 0
	s_cmp_eq_u32 s21, 0
	s_cselect_b32 s26, s26, -1
	s_delay_alu instid0(SALU_CYCLE_1)
	s_cmp_lg_u32 s26, 0
	s_cselect_b32 s21, s25, s21
	s_cselect_b32 s20, s23, s20
	s_cmp_ge_u32 s8, s34
	s_cselect_b32 s23, -1, 0
	s_cmp_eq_u32 s9, 0
	s_cselect_b32 s23, s23, -1
	s_delay_alu instid0(SALU_CYCLE_1)
	s_cmp_lg_u32 s23, 0
	s_cselect_b32 s9, s21, s9
	s_cselect_b32 s8, s20, s8
	s_cbranch_execnz .LBB156_334
.LBB156_333:                            ;   in Loop: Header=BB156_6 Depth=1
	v_cvt_f32_u32_e32 v3, s34
	s_sub_co_i32 s9, 0, s34
	s_delay_alu instid0(VALU_DEP_1) | instskip(SKIP_1) | instid1(TRANS32_DEP_1)
	v_rcp_iflag_f32_e32 v3, v3
	v_nop
	v_mul_f32_e32 v3, 0x4f7ffffe, v3
	s_delay_alu instid0(VALU_DEP_1) | instskip(NEXT) | instid1(VALU_DEP_1)
	v_cvt_u32_f32_e32 v3, v3
	v_readfirstlane_b32 s8, v3
	s_mul_i32 s9, s9, s8
	s_delay_alu instid0(SALU_CYCLE_1) | instskip(NEXT) | instid1(SALU_CYCLE_1)
	s_mul_hi_u32 s9, s8, s9
	s_add_co_i32 s8, s8, s9
	s_delay_alu instid0(SALU_CYCLE_1) | instskip(NEXT) | instid1(SALU_CYCLE_1)
	s_mul_hi_u32 s8, s54, s8
	s_mul_i32 s8, s8, s34
	s_delay_alu instid0(SALU_CYCLE_1) | instskip(NEXT) | instid1(SALU_CYCLE_1)
	s_sub_co_i32 s8, s54, s8
	s_sub_co_i32 s9, s8, s34
	s_cmp_ge_u32 s8, s34
	s_cselect_b32 s8, s9, s8
	s_delay_alu instid0(SALU_CYCLE_1) | instskip(SKIP_2) | instid1(SALU_CYCLE_1)
	s_sub_co_i32 s9, s8, s34
	s_cmp_ge_u32 s8, s34
	s_cselect_b32 s26, s9, s8
	s_mov_b64 s[8:9], s[26:27]
.LBB156_334:                            ;   in Loop: Header=BB156_6 Depth=1
	s_delay_alu instid0(SALU_CYCLE_1)
	s_sub_nc_u64 s[8:9], s[54:55], s[8:9]
	s_mov_b32 s20, exec_lo
                                        ; implicit-def: $vgpr6_vgpr7
	v_nop
	v_cmpx_gt_u64_e64 s[8:9], v[0:1]
	s_cbranch_execz .LBB156_343
; %bb.335:                              ;   in Loop: Header=BB156_6 Depth=1
	v_mov_b64_e32 v[8:9], v[18:19]
	v_mov_b64_e32 v[10:11], v[0:1]
	s_mov_b32 s21, 0
                                        ; implicit-def: $sgpr23
	s_branch .LBB156_338
.LBB156_336:                            ;   in Loop: Header=BB156_338 Depth=2
	s_or_b32 exec_lo, exec_lo, s25
	s_wait_dscnt 0x0
	s_barrier_signal -1
	s_barrier_wait -1
	ds_load_b128 v[4:7], v21 offset:3072
	s_mov_b32 s25, -1
	s_mov_b32 s26, -1
	s_wait_dscnt 0x0
	s_barrier_signal -1
	s_barrier_wait -1
	v_cmp_eq_u64_e32 vcc_lo, 0, v[4:5]
	s_cbranch_vccnz .LBB156_341
.LBB156_337:                            ;   in Loop: Header=BB156_338 Depth=2
	s_and_b32 s25, exec_lo, s25
	s_delay_alu instid0(SALU_CYCLE_1) | instskip(SKIP_2) | instid1(SALU_CYCLE_1)
	s_or_b32 s21, s25, s21
	s_and_not1_b32 s23, s23, exec_lo
	s_and_b32 s25, s26, exec_lo
	s_or_b32 s23, s23, s25
	s_and_not1_b32 exec_lo, exec_lo, s21
	s_cbranch_execz .LBB156_342
.LBB156_338:                            ;   Parent Loop BB156_6 Depth=1
                                        ; =>  This Inner Loop Header: Depth=2
	s_mov_b32 s25, exec_lo
	s_delay_alu instid0(VALU_DEP_1)
	v_cmpx_gt_u64_e64 s[28:29], v[10:11]
	s_cbranch_execz .LBB156_336
; %bb.339:                              ;   in Loop: Header=BB156_338 Depth=2
	global_load_b64 v[4:5], v[8:9], off
	s_wait_loadcnt 0x0
	v_xor_b32_e32 v3, 0x80000000, v5
	v_and_b32_e32 v6, v4, v36
	s_delay_alu instid0(VALU_DEP_2) | instskip(NEXT) | instid1(VALU_DEP_1)
	v_and_b32_e32 v7, v3, v37
	v_cmp_eq_u64_e32 vcc_lo, v[6:7], v[32:33]
	s_and_b32 exec_lo, exec_lo, vcc_lo
	s_cbranch_execz .LBB156_336
; %bb.340:                              ;   in Loop: Header=BB156_338 Depth=2
	v_mov_b32_e32 v3, v21
	ds_store_b128 v21, v[2:5] offset:3072
	s_branch .LBB156_336
.LBB156_341:                            ;   in Loop: Header=BB156_338 Depth=2
	v_add_nc_u64_e32 v[10:11], s[34:35], v[10:11]
	v_add_nc_u64_e32 v[8:9], s[36:37], v[8:9]
	s_mov_b32 s26, 0
	s_delay_alu instid0(VALU_DEP_2)
	v_cmp_le_u64_e32 vcc_lo, s[8:9], v[10:11]
	s_or_not1_b32 s25, vcc_lo, exec_lo
	s_branch .LBB156_337
.LBB156_342:                            ;   in Loop: Header=BB156_6 Depth=1
	s_or_b32 exec_lo, exec_lo, s21
	s_delay_alu instid0(SALU_CYCLE_1) | instskip(SKIP_1) | instid1(SALU_CYCLE_1)
	s_and_not1_b32 s8, s22, exec_lo
	s_and_b32 s9, s23, exec_lo
	s_or_b32 s22, s8, s9
.LBB156_343:                            ;   in Loop: Header=BB156_6 Depth=1
	s_or_b32 exec_lo, exec_lo, s20
	s_mov_b32 s25, 0
	s_mov_b32 s67, -1
.LBB156_344:                            ;   in Loop: Header=BB156_6 Depth=1
	s_or_not1_b32 s8, s22, exec_lo
.LBB156_345:                            ;   in Loop: Header=BB156_6 Depth=1
	s_or_b32 exec_lo, exec_lo, s70
	s_mov_b32 s9, 0
	s_and_saveexec_b32 s22, s8
	s_cbranch_execz .LBB156_454
; %bb.346:                              ;   in Loop: Header=BB156_6 Depth=1
	v_mov_b64_e32 v[8:9], 1
	v_mov_b32_e32 v20, 1
	s_xor_b32 s20, s68, -1
	s_delay_alu instid0(SALU_CYCLE_1)
	s_and_saveexec_b32 s8, s20
	s_cbranch_execz .LBB156_355
; %bb.347:                              ;   in Loop: Header=BB156_6 Depth=1
	s_mov_b32 s9, exec_lo
	v_cmpx_ge_u64_e64 s[18:19], v[40:41]
	s_xor_b32 s9, exec_lo, s9
	s_cbranch_execz .LBB156_352
; %bb.348:                              ;   in Loop: Header=BB156_6 Depth=1
	ds_load_b64 v[4:5], v21 offset:5120
	v_and_b32_e32 v3, s15, v33
	v_and_b32_e32 v8, s14, v32
	s_lshl_b64 s[20:21], 2, s86
	v_or_b32_e32 v37, s13, v37
	v_or_b32_e32 v36, s12, v36
	v_or_b32_e32 v33, s21, v3
	v_or_b32_e32 v32, s20, v8
	s_wait_dscnt 0x0
	v_cmp_ne_u64_e32 vcc_lo, 0, v[4:5]
	s_cbranch_vccnz .LBB156_352
; %bb.349:                              ;   in Loop: Header=BB156_6 Depth=1
	s_and_saveexec_b32 s20, s5
; %bb.350:                              ;   in Loop: Header=BB156_6 Depth=1
	v_mov_b64_e32 v[4:5], s[18:19]
	ds_store_b64 v21, v[4:5] offset:5128
; %bb.351:                              ;   in Loop: Header=BB156_6 Depth=1
	s_or_b32 exec_lo, exec_lo, s20
	s_wait_dscnt 0x0
	s_barrier_signal -1
	s_barrier_wait -1
.LBB156_352:                            ;   in Loop: Header=BB156_6 Depth=1
	s_or_saveexec_b32 s9, s9
	v_mov_b32_e32 v20, 5
	s_mov_b32 s20, 0
	s_xor_b32 exec_lo, exec_lo, s9
; %bb.353:                              ;   in Loop: Header=BB156_6 Depth=1
	v_sub_nc_u64_e64 v[40:41], v[40:41], s[18:19]
	v_mov_b32_e32 v20, 0
	s_mov_b32 s20, exec_lo
; %bb.354:                              ;   in Loop: Header=BB156_6 Depth=1
	s_or_b32 exec_lo, exec_lo, s9
	s_delay_alu instid0(VALU_DEP_2)
	v_mov_b64_e32 v[8:9], v[40:41]
	s_and_b32 s9, s20, exec_lo
.LBB156_355:                            ;   in Loop: Header=BB156_6 Depth=1
	s_or_b32 exec_lo, exec_lo, s8
	s_mov_b32 s8, -1
                                        ; implicit-def: $sgpr68
                                        ; implicit-def: $sgpr70
	s_and_saveexec_b32 s23, s9
	s_cbranch_execz .LBB156_453
; %bb.356:                              ;   in Loop: Header=BB156_6 Depth=1
	s_delay_alu instid0(VALU_DEP_1) | instskip(SKIP_2) | instid1(SALU_CYCLE_1)
	v_cmp_eq_u64_e32 vcc_lo, 1, v[8:9]
	s_cmp_eq_u64 s[16:17], 1
                                        ; implicit-def: $sgpr70
                                        ; implicit-def: $sgpr68
	s_cselect_b32 s8, -1, 0
	s_and_b32 s71, s8, vcc_lo
	s_mov_b32 s8, -1
	s_and_saveexec_b32 s72, s71
	s_cbranch_execz .LBB156_390
; %bb.357:                              ;   in Loop: Header=BB156_6 Depth=1
	ds_load_b64 v[4:5], v21 offset:5120
	s_wait_dscnt 0x0
	s_barrier_signal -1
	s_barrier_wait -1
	v_readfirstlane_b32 s8, v4
	v_readfirstlane_b32 s9, v5
	s_and_saveexec_b32 s18, s6
; %bb.358:                              ;   in Loop: Header=BB156_6 Depth=1
	ds_store_b64 v48, v[34:35]
; %bb.359:                              ;   in Loop: Header=BB156_6 Depth=1
	s_or_b32 exec_lo, exec_lo, s18
	v_and_b32_e32 v3, s15, v33
	v_and_b32_e32 v4, s14, v32
	s_lshl_b64 s[18:19], 1, s86
	v_or_b32_e32 v37, s13, v37
	v_or_b32_e32 v36, s12, v36
	;; [unrolled: 1-line block ×4, first 2 shown]
	s_mov_b32 s68, -1
	s_mov_b32 s70, 0
	s_cmp_eq_u64 s[8:9], 0
	s_mov_b32 s20, 0
	s_mov_b32 s21, -1
	s_wait_dscnt 0x0
	s_barrier_signal -1
	s_barrier_wait -1
                                        ; implicit-def: $vgpr6_vgpr7
	s_cbranch_scc1 .LBB156_375
; %bb.360:                              ;   in Loop: Header=BB156_6 Depth=1
	s_add_nc_u64 s[18:19], s[8:9], s[52:53]
	s_delay_alu instid0(SALU_CYCLE_1) | instskip(NEXT) | instid1(SALU_CYCLE_1)
	s_and_b64 s[20:21], s[18:19], 0xffffffff00000000
	s_cmp_lg_u64 s[20:21], 0
	s_cbranch_scc0 .LBB156_407
; %bb.361:                              ;   in Loop: Header=BB156_6 Depth=1
	s_cvt_f32_u32 s20, s34
	s_sub_nc_u64 s[44:45], 0, s[34:35]
	s_delay_alu instid0(SALU_CYCLE_2) | instskip(NEXT) | instid1(SALU_CYCLE_3)
	s_fmamk_f32 s20, s88, 0x0, s20
	v_s_rcp_f32 s20, s20
	s_delay_alu instid0(TRANS32_DEP_1) | instskip(NEXT) | instid1(SALU_CYCLE_3)
	s_mul_f32 s20, s20, 0x5f7ffffc
	s_mul_f32 s21, s20, 0x2f800000
	s_delay_alu instid0(SALU_CYCLE_3) | instskip(NEXT) | instid1(SALU_CYCLE_3)
	s_trunc_f32 s21, s21
	s_fmamk_f32 s20, s21, 0xcf800000, s20
	s_cvt_u32_f32 s21, s21
	s_delay_alu instid0(SALU_CYCLE_2) | instskip(NEXT) | instid1(SALU_CYCLE_3)
	s_cvt_u32_f32 s20, s20
	s_mul_u64 s[74:75], s[44:45], s[20:21]
	s_delay_alu instid0(SALU_CYCLE_1)
	s_mul_hi_u32 s77, s20, s75
	s_mul_i32 s76, s20, s75
	s_mul_hi_u32 s26, s20, s74
	s_mul_i32 s47, s21, s74
	s_add_nc_u64 s[76:77], s[26:27], s[76:77]
	s_mul_hi_u32 s46, s21, s74
	s_mul_hi_u32 s73, s21, s75
	s_add_co_u32 s26, s76, s47
	s_add_co_ci_u32 s26, s77, s46
	s_mul_i32 s74, s21, s75
	s_add_co_ci_u32 s75, s73, 0
	s_delay_alu instid0(SALU_CYCLE_1) | instskip(NEXT) | instid1(SALU_CYCLE_1)
	s_add_nc_u64 s[74:75], s[26:27], s[74:75]
	s_add_co_u32 s20, s20, s74
	s_cselect_b32 s26, -1, 0
	s_delay_alu instid0(SALU_CYCLE_1) | instskip(SKIP_1) | instid1(SALU_CYCLE_1)
	s_cmp_lg_u32 s26, 0
	s_add_co_ci_u32 s21, s21, s75
	s_mul_u64 s[44:45], s[44:45], s[20:21]
	s_delay_alu instid0(SALU_CYCLE_1)
	s_mul_hi_u32 s75, s20, s45
	s_mul_i32 s74, s20, s45
	s_mul_hi_u32 s26, s20, s44
	s_mul_i32 s47, s21, s44
	s_add_nc_u64 s[74:75], s[26:27], s[74:75]
	s_mul_hi_u32 s46, s21, s44
	s_mul_hi_u32 s73, s21, s45
	s_add_co_u32 s26, s74, s47
	s_add_co_ci_u32 s26, s75, s46
	s_mul_i32 s44, s21, s45
	s_add_co_ci_u32 s45, s73, 0
	s_delay_alu instid0(SALU_CYCLE_1) | instskip(NEXT) | instid1(SALU_CYCLE_1)
	s_add_nc_u64 s[44:45], s[26:27], s[44:45]
	s_add_co_u32 s20, s20, s44
	s_cselect_b32 s44, -1, 0
	s_mul_hi_u32 s26, s18, s20
	s_cmp_lg_u32 s44, 0
	s_mul_hi_u32 s46, s19, s20
	s_add_co_ci_u32 s44, s21, s45
	s_mul_i32 s45, s19, s20
	s_mul_hi_u32 s21, s18, s44
	s_mul_i32 s20, s18, s44
	s_mul_hi_u32 s47, s19, s44
	s_add_nc_u64 s[20:21], s[26:27], s[20:21]
	s_mul_i32 s44, s19, s44
	s_add_co_u32 s20, s20, s45
	s_add_co_ci_u32 s26, s21, s46
	s_add_co_ci_u32 s45, s47, 0
	s_delay_alu instid0(SALU_CYCLE_1) | instskip(NEXT) | instid1(SALU_CYCLE_1)
	s_add_nc_u64 s[20:21], s[26:27], s[44:45]
	s_and_b64 s[44:45], s[20:21], 0xffffffff00000000
	s_delay_alu instid0(SALU_CYCLE_1) | instskip(NEXT) | instid1(SALU_CYCLE_1)
	s_or_b32 s44, s44, s20
	s_mul_u64 s[20:21], s[34:35], s[44:45]
	s_delay_alu instid0(SALU_CYCLE_1) | instskip(SKIP_1) | instid1(SALU_CYCLE_1)
	s_sub_co_u32 s20, s18, s20
	s_cselect_b32 s26, -1, 0
	s_cmp_lg_u32 s26, 0
	s_sub_co_ci_u32 s21, s19, s21
	s_sub_co_u32 s26, s20, s34
	s_cselect_b32 s44, -1, 0
	s_delay_alu instid0(SALU_CYCLE_1) | instskip(SKIP_3) | instid1(SALU_CYCLE_1)
	s_cmp_lg_u32 s44, 0
	s_sub_co_ci_u32 s44, s21, 0
	s_sub_co_u32 s45, s26, s34
	s_cselect_b32 s46, -1, 0
	s_cmp_lg_u32 s46, 0
	s_sub_co_ci_u32 s46, s44, 0
	s_cmp_ge_u32 s26, s34
	s_cselect_b32 s47, -1, 0
	s_cmp_eq_u32 s44, 0
	s_cselect_b32 s47, s47, -1
	s_delay_alu instid0(SALU_CYCLE_1)
	s_cmp_lg_u32 s47, 0
	s_cselect_b32 s44, s46, s44
	s_cselect_b32 s26, s45, s26
	s_cmp_ge_u32 s20, s34
	s_cselect_b32 s45, -1, 0
	s_cmp_eq_u32 s21, 0
	s_cselect_b32 s45, s45, -1
	s_delay_alu instid0(SALU_CYCLE_1)
	s_cmp_lg_u32 s45, 0
	s_cselect_b32 s21, s44, s21
	s_cselect_b32 s20, s26, s20
	s_cbranch_execnz .LBB156_363
.LBB156_362:                            ;   in Loop: Header=BB156_6 Depth=1
	v_cvt_f32_u32_e32 v3, s34
	s_sub_co_i32 s21, 0, s34
	s_delay_alu instid0(VALU_DEP_1) | instskip(SKIP_1) | instid1(TRANS32_DEP_1)
	v_rcp_iflag_f32_e32 v3, v3
	v_nop
	v_mul_f32_e32 v3, 0x4f7ffffe, v3
	s_delay_alu instid0(VALU_DEP_1) | instskip(NEXT) | instid1(VALU_DEP_1)
	v_cvt_u32_f32_e32 v3, v3
	v_readfirstlane_b32 s20, v3
	s_mul_i32 s21, s21, s20
	s_delay_alu instid0(SALU_CYCLE_1) | instskip(NEXT) | instid1(SALU_CYCLE_1)
	s_mul_hi_u32 s21, s20, s21
	s_add_co_i32 s20, s20, s21
	s_delay_alu instid0(SALU_CYCLE_1) | instskip(NEXT) | instid1(SALU_CYCLE_1)
	s_mul_hi_u32 s20, s18, s20
	s_mul_i32 s20, s20, s34
	s_delay_alu instid0(SALU_CYCLE_1) | instskip(NEXT) | instid1(SALU_CYCLE_1)
	s_sub_co_i32 s20, s18, s20
	s_sub_co_i32 s21, s20, s34
	s_cmp_ge_u32 s20, s34
	s_cselect_b32 s20, s21, s20
	s_delay_alu instid0(SALU_CYCLE_1) | instskip(SKIP_2) | instid1(SALU_CYCLE_1)
	s_sub_co_i32 s21, s20, s34
	s_cmp_ge_u32 s20, s34
	s_cselect_b32 s26, s21, s20
	s_mov_b64 s[20:21], s[26:27]
.LBB156_363:                            ;   in Loop: Header=BB156_6 Depth=1
	s_delay_alu instid0(SALU_CYCLE_1)
	s_sub_nc_u64 s[18:19], s[18:19], s[20:21]
	s_mov_b32 s21, 0
	s_mov_b32 s20, 0
	s_mov_b32 s26, exec_lo
                                        ; implicit-def: $vgpr6_vgpr7
	v_cmpx_gt_u64_e64 s[18:19], v[0:1]
	s_cbranch_execz .LBB156_374
; %bb.364:                              ;   in Loop: Header=BB156_6 Depth=1
	v_mov_b64_e32 v[10:11], v[0:1]
	v_mov_b32_e32 v12, v47
                                        ; implicit-def: $sgpr73
	s_branch .LBB156_367
.LBB156_365:                            ;   in Loop: Header=BB156_367 Depth=2
	s_or_b32 exec_lo, exec_lo, s74
	s_wait_dscnt 0x0
	s_barrier_signal -1
	s_barrier_wait -1
	ds_load_b128 v[4:7], v21 offset:3072
	s_mov_b32 s44, -1
	s_mov_b32 s45, -1
	s_wait_dscnt 0x0
	s_barrier_signal -1
	s_barrier_wait -1
	v_cmp_ne_u64_e32 vcc_lo, 0, v[4:5]
	s_cbranch_vccz .LBB156_370
.LBB156_366:                            ;   in Loop: Header=BB156_367 Depth=2
	s_and_b32 s44, exec_lo, s44
	s_delay_alu instid0(SALU_CYCLE_1) | instskip(SKIP_2) | instid1(SALU_CYCLE_1)
	s_or_b32 s20, s44, s20
	s_and_not1_b32 s44, s73, exec_lo
	s_and_b32 s45, s45, exec_lo
	s_or_b32 s73, s44, s45
	s_and_not1_b32 exec_lo, exec_lo, s20
	s_cbranch_execz .LBB156_373
.LBB156_367:                            ;   Parent Loop BB156_6 Depth=1
                                        ; =>  This Inner Loop Header: Depth=2
	s_mov_b32 s74, exec_lo
	s_delay_alu instid0(VALU_DEP_2)
	v_cmpx_gt_u64_e64 s[8:9], v[10:11]
	s_cbranch_execz .LBB156_365
; %bb.368:                              ;   in Loop: Header=BB156_367 Depth=2
	ds_load_b64 v[4:5], v12
	s_wait_dscnt 0x0
	v_xor_b32_e32 v3, 0x80000000, v5
	v_and_b32_e32 v6, v4, v36
	s_delay_alu instid0(VALU_DEP_2) | instskip(NEXT) | instid1(VALU_DEP_1)
	v_and_b32_e32 v7, v3, v37
	v_cmp_eq_u64_e32 vcc_lo, v[6:7], v[32:33]
	s_and_b32 exec_lo, exec_lo, vcc_lo
	s_cbranch_execz .LBB156_365
; %bb.369:                              ;   in Loop: Header=BB156_367 Depth=2
	v_mov_b32_e32 v3, v21
	ds_store_b128 v21, v[2:5] offset:3072
	s_branch .LBB156_365
.LBB156_370:                            ;   in Loop: Header=BB156_367 Depth=2
	v_add_nc_u64_e32 v[10:11], s[34:35], v[10:11]
	v_add_nc_u32_e32 v12, s85, v12
	s_mov_b32 s45, 0
	s_delay_alu instid0(VALU_DEP_2)
	v_cmp_le_u64_e32 vcc_lo, s[18:19], v[10:11]
	s_or_not1_b32 s44, vcc_lo, exec_lo
	s_branch .LBB156_366
.LBB156_371:                            ;   in Loop: Header=BB156_6 Depth=1
                                        ; implicit-def: $sgpr22_sgpr23
	s_branch .LBB156_317
.LBB156_372:                            ;   in Loop: Header=BB156_6 Depth=1
                                        ; implicit-def: $sgpr8_sgpr9
	s_branch .LBB156_333
.LBB156_373:                            ;   in Loop: Header=BB156_6 Depth=1
	s_or_b32 exec_lo, exec_lo, s20
	s_delay_alu instid0(SALU_CYCLE_1)
	s_and_b32 s20, s73, exec_lo
.LBB156_374:                            ;   in Loop: Header=BB156_6 Depth=1
	s_or_b32 exec_lo, exec_lo, s26
.LBB156_375:                            ;   in Loop: Header=BB156_6 Depth=1
	s_delay_alu instid0(SALU_CYCLE_1)
	s_and_b32 vcc_lo, exec_lo, s21
	s_cbranch_vccz .LBB156_389
; %bb.376:                              ;   in Loop: Header=BB156_6 Depth=1
	s_and_b64 s[8:9], s[54:55], 0xffffffff00000000
	s_delay_alu instid0(SALU_CYCLE_1)
	s_cmp_lg_u64 s[8:9], 0
	s_cbranch_scc0 .LBB156_408
; %bb.377:                              ;   in Loop: Header=BB156_6 Depth=1
	s_cvt_f32_u32 s8, s34
	s_sub_nc_u64 s[18:19], 0, s[34:35]
	s_delay_alu instid0(SALU_CYCLE_2) | instskip(NEXT) | instid1(SALU_CYCLE_3)
	s_fmamk_f32 s8, s88, 0x0, s8
	v_s_rcp_f32 s8, s8
	s_delay_alu instid0(TRANS32_DEP_1) | instskip(NEXT) | instid1(SALU_CYCLE_3)
	s_mul_f32 s8, s8, 0x5f7ffffc
	s_mul_f32 s9, s8, 0x2f800000
	s_delay_alu instid0(SALU_CYCLE_3) | instskip(NEXT) | instid1(SALU_CYCLE_3)
	s_trunc_f32 s9, s9
	s_fmamk_f32 s8, s9, 0xcf800000, s8
	s_cvt_u32_f32 s9, s9
	s_delay_alu instid0(SALU_CYCLE_2) | instskip(NEXT) | instid1(SALU_CYCLE_3)
	s_cvt_u32_f32 s8, s8
	s_mul_u64 s[44:45], s[18:19], s[8:9]
	s_delay_alu instid0(SALU_CYCLE_1)
	s_mul_hi_u32 s75, s8, s45
	s_mul_i32 s74, s8, s45
	s_mul_hi_u32 s26, s8, s44
	s_mul_i32 s46, s9, s44
	s_add_nc_u64 s[74:75], s[26:27], s[74:75]
	s_mul_hi_u32 s21, s9, s44
	s_mul_hi_u32 s47, s9, s45
	s_add_co_u32 s26, s74, s46
	s_add_co_ci_u32 s26, s75, s21
	s_mul_i32 s44, s9, s45
	s_add_co_ci_u32 s45, s47, 0
	s_delay_alu instid0(SALU_CYCLE_1) | instskip(NEXT) | instid1(SALU_CYCLE_1)
	s_add_nc_u64 s[44:45], s[26:27], s[44:45]
	s_add_co_u32 s8, s8, s44
	s_cselect_b32 s21, -1, 0
	s_delay_alu instid0(SALU_CYCLE_1) | instskip(SKIP_1) | instid1(SALU_CYCLE_1)
	s_cmp_lg_u32 s21, 0
	s_add_co_ci_u32 s9, s9, s45
	s_mul_u64 s[18:19], s[18:19], s[8:9]
	s_delay_alu instid0(SALU_CYCLE_1)
	s_mul_hi_u32 s45, s8, s19
	s_mul_i32 s44, s8, s19
	s_mul_hi_u32 s26, s8, s18
	s_mul_i32 s46, s9, s18
	s_add_nc_u64 s[44:45], s[26:27], s[44:45]
	s_mul_hi_u32 s21, s9, s18
	s_mul_hi_u32 s47, s9, s19
	s_mul_i32 s18, s9, s19
	s_add_co_u32 s19, s44, s46
	s_add_co_ci_u32 s26, s45, s21
	s_add_co_ci_u32 s19, s47, 0
	s_delay_alu instid0(SALU_CYCLE_1) | instskip(NEXT) | instid1(SALU_CYCLE_1)
	s_add_nc_u64 s[18:19], s[26:27], s[18:19]
	s_add_co_u32 s8, s8, s18
	s_cselect_b32 s18, -1, 0
	s_mul_hi_u32 s26, s54, s8
	s_cmp_lg_u32 s18, 0
	s_mul_hi_u32 s21, s55, s8
	s_add_co_ci_u32 s18, s9, s19
	s_mul_i32 s19, s55, s8
	s_mul_hi_u32 s9, s54, s18
	s_mul_i32 s8, s54, s18
	s_mul_hi_u32 s44, s55, s18
	s_add_nc_u64 s[8:9], s[26:27], s[8:9]
	s_mul_i32 s18, s55, s18
	s_add_co_u32 s8, s8, s19
	s_add_co_ci_u32 s26, s9, s21
	s_add_co_ci_u32 s19, s44, 0
	s_delay_alu instid0(SALU_CYCLE_1) | instskip(NEXT) | instid1(SALU_CYCLE_1)
	s_add_nc_u64 s[8:9], s[26:27], s[18:19]
	s_and_b64 s[18:19], s[8:9], 0xffffffff00000000
	s_delay_alu instid0(SALU_CYCLE_1) | instskip(NEXT) | instid1(SALU_CYCLE_1)
	s_or_b32 s18, s18, s8
	s_mul_u64 s[8:9], s[34:35], s[18:19]
	s_delay_alu instid0(SALU_CYCLE_1) | instskip(SKIP_1) | instid1(SALU_CYCLE_1)
	s_sub_co_u32 s8, s54, s8
	s_cselect_b32 s18, -1, 0
	s_cmp_lg_u32 s18, 0
	s_sub_co_ci_u32 s9, s55, s9
	s_sub_co_u32 s18, s8, s34
	s_cselect_b32 s19, -1, 0
	s_delay_alu instid0(SALU_CYCLE_1) | instskip(SKIP_3) | instid1(SALU_CYCLE_1)
	s_cmp_lg_u32 s19, 0
	s_sub_co_ci_u32 s19, s9, 0
	s_sub_co_u32 s21, s18, s34
	s_cselect_b32 s26, -1, 0
	s_cmp_lg_u32 s26, 0
	s_sub_co_ci_u32 s26, s19, 0
	s_cmp_ge_u32 s18, s34
	s_cselect_b32 s44, -1, 0
	s_cmp_eq_u32 s19, 0
	s_cselect_b32 s44, s44, -1
	s_delay_alu instid0(SALU_CYCLE_1)
	s_cmp_lg_u32 s44, 0
	s_cselect_b32 s19, s26, s19
	s_cselect_b32 s18, s21, s18
	s_cmp_ge_u32 s8, s34
	s_cselect_b32 s21, -1, 0
	s_cmp_eq_u32 s9, 0
	s_cselect_b32 s21, s21, -1
	s_delay_alu instid0(SALU_CYCLE_1)
	s_cmp_lg_u32 s21, 0
	s_cselect_b32 s9, s19, s9
	s_cselect_b32 s8, s18, s8
	s_cbranch_execnz .LBB156_379
.LBB156_378:                            ;   in Loop: Header=BB156_6 Depth=1
	v_cvt_f32_u32_e32 v3, s34
	s_sub_co_i32 s9, 0, s34
	s_delay_alu instid0(VALU_DEP_1) | instskip(SKIP_1) | instid1(TRANS32_DEP_1)
	v_rcp_iflag_f32_e32 v3, v3
	v_nop
	v_mul_f32_e32 v3, 0x4f7ffffe, v3
	s_delay_alu instid0(VALU_DEP_1) | instskip(NEXT) | instid1(VALU_DEP_1)
	v_cvt_u32_f32_e32 v3, v3
	v_readfirstlane_b32 s8, v3
	s_mul_i32 s9, s9, s8
	s_delay_alu instid0(SALU_CYCLE_1) | instskip(NEXT) | instid1(SALU_CYCLE_1)
	s_mul_hi_u32 s9, s8, s9
	s_add_co_i32 s8, s8, s9
	s_delay_alu instid0(SALU_CYCLE_1) | instskip(NEXT) | instid1(SALU_CYCLE_1)
	s_mul_hi_u32 s8, s54, s8
	s_mul_i32 s8, s8, s34
	s_delay_alu instid0(SALU_CYCLE_1) | instskip(NEXT) | instid1(SALU_CYCLE_1)
	s_sub_co_i32 s8, s54, s8
	s_sub_co_i32 s9, s8, s34
	s_cmp_ge_u32 s8, s34
	s_cselect_b32 s8, s9, s8
	s_delay_alu instid0(SALU_CYCLE_1) | instskip(SKIP_2) | instid1(SALU_CYCLE_1)
	s_sub_co_i32 s9, s8, s34
	s_cmp_ge_u32 s8, s34
	s_cselect_b32 s26, s9, s8
	s_mov_b64 s[8:9], s[26:27]
.LBB156_379:                            ;   in Loop: Header=BB156_6 Depth=1
	s_delay_alu instid0(SALU_CYCLE_1)
	s_sub_nc_u64 s[8:9], s[54:55], s[8:9]
	s_mov_b32 s18, exec_lo
                                        ; implicit-def: $vgpr6_vgpr7
	v_nop
	v_cmpx_gt_u64_e64 s[8:9], v[0:1]
	s_cbranch_execz .LBB156_388
; %bb.380:                              ;   in Loop: Header=BB156_6 Depth=1
	v_mov_b64_e32 v[10:11], v[18:19]
	v_mov_b64_e32 v[12:13], v[0:1]
	s_mov_b32 s19, 0
                                        ; implicit-def: $sgpr21
	s_branch .LBB156_383
.LBB156_381:                            ;   in Loop: Header=BB156_383 Depth=2
	s_or_b32 exec_lo, exec_lo, s26
	s_wait_dscnt 0x0
	s_barrier_signal -1
	s_barrier_wait -1
	ds_load_b128 v[4:7], v21 offset:3072
	s_mov_b32 s26, -1
	s_mov_b32 s44, -1
	s_wait_dscnt 0x0
	s_barrier_signal -1
	s_barrier_wait -1
	v_cmp_eq_u64_e32 vcc_lo, 0, v[4:5]
	s_cbranch_vccnz .LBB156_386
.LBB156_382:                            ;   in Loop: Header=BB156_383 Depth=2
	s_and_b32 s26, exec_lo, s26
	s_delay_alu instid0(SALU_CYCLE_1) | instskip(SKIP_2) | instid1(SALU_CYCLE_1)
	s_or_b32 s19, s26, s19
	s_and_not1_b32 s21, s21, exec_lo
	s_and_b32 s26, s44, exec_lo
	s_or_b32 s21, s21, s26
	s_and_not1_b32 exec_lo, exec_lo, s19
	s_cbranch_execz .LBB156_387
.LBB156_383:                            ;   Parent Loop BB156_6 Depth=1
                                        ; =>  This Inner Loop Header: Depth=2
	s_mov_b32 s26, exec_lo
	s_delay_alu instid0(VALU_DEP_1)
	v_cmpx_gt_u64_e64 s[28:29], v[12:13]
	s_cbranch_execz .LBB156_381
; %bb.384:                              ;   in Loop: Header=BB156_383 Depth=2
	global_load_b64 v[4:5], v[10:11], off
	s_wait_loadcnt 0x0
	v_xor_b32_e32 v3, 0x80000000, v5
	v_and_b32_e32 v6, v4, v36
	s_delay_alu instid0(VALU_DEP_2) | instskip(NEXT) | instid1(VALU_DEP_1)
	v_and_b32_e32 v7, v3, v37
	v_cmp_eq_u64_e32 vcc_lo, v[6:7], v[32:33]
	s_and_b32 exec_lo, exec_lo, vcc_lo
	s_cbranch_execz .LBB156_381
; %bb.385:                              ;   in Loop: Header=BB156_383 Depth=2
	v_mov_b32_e32 v3, v21
	ds_store_b128 v21, v[2:5] offset:3072
	s_branch .LBB156_381
.LBB156_386:                            ;   in Loop: Header=BB156_383 Depth=2
	v_add_nc_u64_e32 v[12:13], s[34:35], v[12:13]
	v_add_nc_u64_e32 v[10:11], s[36:37], v[10:11]
	s_mov_b32 s44, 0
	s_delay_alu instid0(VALU_DEP_2)
	v_cmp_le_u64_e32 vcc_lo, s[8:9], v[12:13]
	s_or_not1_b32 s26, vcc_lo, exec_lo
	s_branch .LBB156_382
.LBB156_387:                            ;   in Loop: Header=BB156_6 Depth=1
	s_or_b32 exec_lo, exec_lo, s19
	s_delay_alu instid0(SALU_CYCLE_1) | instskip(SKIP_1) | instid1(SALU_CYCLE_1)
	s_and_not1_b32 s8, s20, exec_lo
	s_and_b32 s9, s21, exec_lo
	s_or_b32 s20, s8, s9
.LBB156_388:                            ;   in Loop: Header=BB156_6 Depth=1
	s_or_b32 exec_lo, exec_lo, s18
	s_mov_b32 s68, 0
	s_mov_b32 s70, -1
.LBB156_389:                            ;   in Loop: Header=BB156_6 Depth=1
	s_or_not1_b32 s8, s20, exec_lo
.LBB156_390:                            ;   in Loop: Header=BB156_6 Depth=1
	s_or_b32 exec_lo, exec_lo, s72
	s_mov_b32 s9, 0
	s_and_saveexec_b32 s20, s8
	s_cbranch_execz .LBB156_452
; %bb.391:                              ;   in Loop: Header=BB156_6 Depth=1
	v_mov_b64_e32 v[10:11], 1
	v_mov_b32_e32 v20, 1
	s_xor_b32 s18, s71, -1
	s_delay_alu instid0(SALU_CYCLE_1)
	s_and_saveexec_b32 s8, s18
	s_cbranch_execz .LBB156_400
; %bb.392:                              ;   in Loop: Header=BB156_6 Depth=1
	s_mov_b32 s9, exec_lo
	v_cmpx_ge_u64_e64 s[16:17], v[8:9]
	s_xor_b32 s9, exec_lo, s9
	s_cbranch_execz .LBB156_397
; %bb.393:                              ;   in Loop: Header=BB156_6 Depth=1
	ds_load_b64 v[4:5], v21 offset:5120
	v_and_b32_e32 v3, s15, v33
	v_and_b32_e32 v10, s14, v32
	s_lshl_b64 s[18:19], 1, s86
	v_or_b32_e32 v37, s13, v37
	v_or_b32_e32 v36, s12, v36
	;; [unrolled: 1-line block ×4, first 2 shown]
	s_wait_dscnt 0x0
	v_cmp_ne_u64_e32 vcc_lo, 0, v[4:5]
	s_cbranch_vccnz .LBB156_397
; %bb.394:                              ;   in Loop: Header=BB156_6 Depth=1
	s_and_saveexec_b32 s18, s5
; %bb.395:                              ;   in Loop: Header=BB156_6 Depth=1
	v_mov_b64_e32 v[4:5], s[16:17]
	ds_store_b64 v21, v[4:5] offset:5128
; %bb.396:                              ;   in Loop: Header=BB156_6 Depth=1
	s_or_b32 exec_lo, exec_lo, s18
	s_wait_dscnt 0x0
	s_barrier_signal -1
	s_barrier_wait -1
.LBB156_397:                            ;   in Loop: Header=BB156_6 Depth=1
	s_or_saveexec_b32 s9, s9
	v_mov_b32_e32 v20, 5
	s_mov_b32 s18, 0
	s_xor_b32 exec_lo, exec_lo, s9
; %bb.398:                              ;   in Loop: Header=BB156_6 Depth=1
	v_sub_nc_u64_e64 v[8:9], v[8:9], s[16:17]
	v_mov_b32_e32 v20, 0
	s_mov_b32 s18, exec_lo
; %bb.399:                              ;   in Loop: Header=BB156_6 Depth=1
	s_or_b32 exec_lo, exec_lo, s9
	s_delay_alu instid0(VALU_DEP_2)
	v_mov_b64_e32 v[10:11], v[8:9]
	s_and_b32 s9, s18, exec_lo
.LBB156_400:                            ;   in Loop: Header=BB156_6 Depth=1
	s_or_b32 exec_lo, exec_lo, s8
	s_mov_b32 s8, -1
                                        ; implicit-def: $sgpr74
                                        ; implicit-def: $sgpr73
	s_and_saveexec_b32 s21, s9
	s_cbranch_execz .LBB156_451
; %bb.401:                              ;   in Loop: Header=BB156_6 Depth=1
	s_delay_alu instid0(VALU_DEP_1) | instskip(SKIP_3) | instid1(SALU_CYCLE_1)
	v_cmp_eq_u64_e32 vcc_lo, 1, v[10:11]
	s_cmp_eq_u64 s[10:11], 1
	s_mov_b32 s9, -1
	s_cselect_b32 s8, -1, 0
                                        ; implicit-def: $sgpr74
                                        ; implicit-def: $sgpr73
	s_and_b32 s71, s8, vcc_lo
	s_delay_alu instid0(SALU_CYCLE_1)
	s_and_saveexec_b32 s72, s71
	s_cbranch_execz .LBB156_439
; %bb.402:                              ;   in Loop: Header=BB156_6 Depth=1
	ds_load_b64 v[4:5], v21 offset:5120
	s_wait_dscnt 0x0
	s_barrier_signal -1
	s_barrier_wait -1
	v_readfirstlane_b32 s8, v4
	v_readfirstlane_b32 s9, v5
	s_and_saveexec_b32 s16, s6
; %bb.403:                              ;   in Loop: Header=BB156_6 Depth=1
	ds_store_b64 v48, v[34:35]
; %bb.404:                              ;   in Loop: Header=BB156_6 Depth=1
	s_or_b32 exec_lo, exec_lo, s16
	v_and_b32_e32 v33, s15, v33
	v_and_b32_e32 v32, s14, v32
	v_or_b32_e32 v37, s13, v37
	v_or_b32_e32 v36, s12, v36
	s_mov_b32 s73, -1
	s_mov_b32 s74, 0
	s_cmp_eq_u64 s[8:9], 0
	s_mov_b32 s18, 0
	s_mov_b32 s19, -1
	s_wait_dscnt 0x0
	s_barrier_signal -1
	s_barrier_wait -1
                                        ; implicit-def: $vgpr6_vgpr7
	s_cbranch_scc1 .LBB156_422
; %bb.405:                              ;   in Loop: Header=BB156_6 Depth=1
	s_add_nc_u64 s[16:17], s[8:9], s[52:53]
	s_delay_alu instid0(SALU_CYCLE_1) | instskip(NEXT) | instid1(SALU_CYCLE_1)
	s_and_b64 s[18:19], s[16:17], 0xffffffff00000000
	s_cmp_lg_u64 s[18:19], 0
	s_cbranch_scc0 .LBB156_409
; %bb.406:                              ;   in Loop: Header=BB156_6 Depth=1
	s_cvt_f32_u32 s18, s34
	s_sub_nc_u64 s[44:45], 0, s[34:35]
	s_delay_alu instid0(SALU_CYCLE_2) | instskip(NEXT) | instid1(SALU_CYCLE_3)
	s_fmamk_f32 s18, s88, 0x0, s18
	v_s_rcp_f32 s18, s18
	s_delay_alu instid0(TRANS32_DEP_1) | instskip(NEXT) | instid1(SALU_CYCLE_3)
	s_mul_f32 s18, s18, 0x5f7ffffc
	s_mul_f32 s19, s18, 0x2f800000
	s_delay_alu instid0(SALU_CYCLE_3) | instskip(NEXT) | instid1(SALU_CYCLE_3)
	s_trunc_f32 s19, s19
	s_fmamk_f32 s18, s19, 0xcf800000, s18
	s_cvt_u32_f32 s19, s19
	s_delay_alu instid0(SALU_CYCLE_2) | instskip(NEXT) | instid1(SALU_CYCLE_3)
	s_cvt_u32_f32 s18, s18
	s_mul_u64 s[76:77], s[44:45], s[18:19]
	s_delay_alu instid0(SALU_CYCLE_1)
	s_mul_hi_u32 s101, s18, s77
	s_mul_i32 s100, s18, s77
	s_mul_hi_u32 s26, s18, s76
	s_mul_i32 s47, s19, s76
	s_add_nc_u64 s[100:101], s[26:27], s[100:101]
	s_mul_hi_u32 s46, s19, s76
	s_mul_hi_u32 s75, s19, s77
	s_add_co_u32 s26, s100, s47
	s_add_co_ci_u32 s26, s101, s46
	s_mul_i32 s76, s19, s77
	s_add_co_ci_u32 s77, s75, 0
	s_delay_alu instid0(SALU_CYCLE_1) | instskip(NEXT) | instid1(SALU_CYCLE_1)
	s_add_nc_u64 s[76:77], s[26:27], s[76:77]
	s_add_co_u32 s18, s18, s76
	s_cselect_b32 s26, -1, 0
	s_delay_alu instid0(SALU_CYCLE_1) | instskip(SKIP_1) | instid1(SALU_CYCLE_1)
	s_cmp_lg_u32 s26, 0
	s_add_co_ci_u32 s19, s19, s77
	s_mul_u64 s[44:45], s[44:45], s[18:19]
	s_delay_alu instid0(SALU_CYCLE_1)
	s_mul_hi_u32 s77, s18, s45
	s_mul_i32 s76, s18, s45
	s_mul_hi_u32 s26, s18, s44
	s_mul_i32 s47, s19, s44
	s_add_nc_u64 s[76:77], s[26:27], s[76:77]
	s_mul_hi_u32 s46, s19, s44
	s_mul_hi_u32 s75, s19, s45
	s_add_co_u32 s26, s76, s47
	s_add_co_ci_u32 s26, s77, s46
	s_mul_i32 s44, s19, s45
	s_add_co_ci_u32 s45, s75, 0
	s_delay_alu instid0(SALU_CYCLE_1) | instskip(NEXT) | instid1(SALU_CYCLE_1)
	s_add_nc_u64 s[44:45], s[26:27], s[44:45]
	s_add_co_u32 s18, s18, s44
	s_cselect_b32 s44, -1, 0
	s_mul_hi_u32 s26, s16, s18
	s_cmp_lg_u32 s44, 0
	s_mul_hi_u32 s46, s17, s18
	s_add_co_ci_u32 s44, s19, s45
	s_mul_i32 s45, s17, s18
	s_mul_hi_u32 s19, s16, s44
	s_mul_i32 s18, s16, s44
	s_mul_hi_u32 s47, s17, s44
	s_add_nc_u64 s[18:19], s[26:27], s[18:19]
	s_mul_i32 s44, s17, s44
	s_add_co_u32 s18, s18, s45
	s_add_co_ci_u32 s26, s19, s46
	s_add_co_ci_u32 s45, s47, 0
	s_delay_alu instid0(SALU_CYCLE_1) | instskip(NEXT) | instid1(SALU_CYCLE_1)
	s_add_nc_u64 s[18:19], s[26:27], s[44:45]
	s_and_b64 s[44:45], s[18:19], 0xffffffff00000000
	s_delay_alu instid0(SALU_CYCLE_1) | instskip(NEXT) | instid1(SALU_CYCLE_1)
	s_or_b32 s44, s44, s18
	s_mul_u64 s[18:19], s[34:35], s[44:45]
	s_delay_alu instid0(SALU_CYCLE_1) | instskip(SKIP_1) | instid1(SALU_CYCLE_1)
	s_sub_co_u32 s18, s16, s18
	s_cselect_b32 s26, -1, 0
	s_cmp_lg_u32 s26, 0
	s_sub_co_ci_u32 s19, s17, s19
	s_sub_co_u32 s26, s18, s34
	s_cselect_b32 s44, -1, 0
	s_delay_alu instid0(SALU_CYCLE_1) | instskip(SKIP_3) | instid1(SALU_CYCLE_1)
	s_cmp_lg_u32 s44, 0
	s_sub_co_ci_u32 s44, s19, 0
	s_sub_co_u32 s45, s26, s34
	s_cselect_b32 s46, -1, 0
	s_cmp_lg_u32 s46, 0
	s_sub_co_ci_u32 s46, s44, 0
	s_cmp_ge_u32 s26, s34
	s_cselect_b32 s47, -1, 0
	s_cmp_eq_u32 s44, 0
	s_cselect_b32 s47, s47, -1
	s_delay_alu instid0(SALU_CYCLE_1)
	s_cmp_lg_u32 s47, 0
	s_cselect_b32 s44, s46, s44
	s_cselect_b32 s26, s45, s26
	s_cmp_ge_u32 s18, s34
	s_cselect_b32 s45, -1, 0
	s_cmp_eq_u32 s19, 0
	s_cselect_b32 s45, s45, -1
	s_delay_alu instid0(SALU_CYCLE_1)
	s_cmp_lg_u32 s45, 0
	s_cselect_b32 s19, s44, s19
	s_cselect_b32 s18, s26, s18
	s_mov_b32 s26, 0
	s_branch .LBB156_410
.LBB156_407:                            ;   in Loop: Header=BB156_6 Depth=1
                                        ; implicit-def: $sgpr20_sgpr21
	s_branch .LBB156_362
.LBB156_408:                            ;   in Loop: Header=BB156_6 Depth=1
                                        ; implicit-def: $sgpr8_sgpr9
	s_branch .LBB156_378
.LBB156_409:                            ;   in Loop: Header=BB156_6 Depth=1
	s_mov_b32 s26, -1
                                        ; implicit-def: $sgpr18_sgpr19
.LBB156_410:                            ;   in Loop: Header=BB156_6 Depth=1
	s_delay_alu instid0(SALU_CYCLE_1)
	s_and_not1_b32 vcc_lo, exec_lo, s26
	s_cbranch_vccnz .LBB156_412
; %bb.411:                              ;   in Loop: Header=BB156_6 Depth=1
	v_cvt_f32_u32_e32 v3, s34
	s_sub_co_i32 s19, 0, s34
	s_delay_alu instid0(VALU_DEP_1) | instskip(SKIP_1) | instid1(TRANS32_DEP_1)
	v_rcp_iflag_f32_e32 v3, v3
	v_nop
	v_mul_f32_e32 v3, 0x4f7ffffe, v3
	s_delay_alu instid0(VALU_DEP_1) | instskip(NEXT) | instid1(VALU_DEP_1)
	v_cvt_u32_f32_e32 v3, v3
	v_readfirstlane_b32 s18, v3
	s_mul_i32 s19, s19, s18
	s_delay_alu instid0(SALU_CYCLE_1) | instskip(NEXT) | instid1(SALU_CYCLE_1)
	s_mul_hi_u32 s19, s18, s19
	s_add_co_i32 s18, s18, s19
	s_delay_alu instid0(SALU_CYCLE_1) | instskip(NEXT) | instid1(SALU_CYCLE_1)
	s_mul_hi_u32 s18, s16, s18
	s_mul_i32 s18, s18, s34
	s_delay_alu instid0(SALU_CYCLE_1) | instskip(NEXT) | instid1(SALU_CYCLE_1)
	s_sub_co_i32 s18, s16, s18
	s_sub_co_i32 s19, s18, s34
	s_cmp_ge_u32 s18, s34
	s_cselect_b32 s18, s19, s18
	s_delay_alu instid0(SALU_CYCLE_1) | instskip(SKIP_2) | instid1(SALU_CYCLE_1)
	s_sub_co_i32 s19, s18, s34
	s_cmp_ge_u32 s18, s34
	s_cselect_b32 s26, s19, s18
	s_mov_b64 s[18:19], s[26:27]
.LBB156_412:                            ;   in Loop: Header=BB156_6 Depth=1
	s_delay_alu instid0(SALU_CYCLE_1)
	s_sub_nc_u64 s[16:17], s[16:17], s[18:19]
	s_mov_b32 s19, 0
	s_mov_b32 s18, 0
	s_mov_b32 s26, exec_lo
                                        ; implicit-def: $vgpr6_vgpr7
	v_cmpx_gt_u64_e64 s[16:17], v[0:1]
	s_cbranch_execz .LBB156_421
; %bb.413:                              ;   in Loop: Header=BB156_6 Depth=1
	v_mov_b64_e32 v[8:9], v[0:1]
	v_mov_b32_e32 v12, v47
                                        ; implicit-def: $sgpr75
	s_branch .LBB156_416
.LBB156_414:                            ;   in Loop: Header=BB156_416 Depth=2
	s_or_b32 exec_lo, exec_lo, s76
	s_wait_dscnt 0x0
	s_barrier_signal -1
	s_barrier_wait -1
	ds_load_b128 v[4:7], v21 offset:3072
	s_mov_b32 s44, -1
	s_mov_b32 s45, -1
	s_wait_dscnt 0x0
	s_barrier_signal -1
	s_barrier_wait -1
	v_cmp_ne_u64_e32 vcc_lo, 0, v[4:5]
	s_cbranch_vccz .LBB156_419
.LBB156_415:                            ;   in Loop: Header=BB156_416 Depth=2
	s_and_b32 s44, exec_lo, s44
	s_delay_alu instid0(SALU_CYCLE_1) | instskip(SKIP_2) | instid1(SALU_CYCLE_1)
	s_or_b32 s18, s44, s18
	s_and_not1_b32 s44, s75, exec_lo
	s_and_b32 s45, s45, exec_lo
	s_or_b32 s75, s44, s45
	s_and_not1_b32 exec_lo, exec_lo, s18
	s_cbranch_execz .LBB156_420
.LBB156_416:                            ;   Parent Loop BB156_6 Depth=1
                                        ; =>  This Inner Loop Header: Depth=2
	s_mov_b32 s76, exec_lo
	s_delay_alu instid0(VALU_DEP_2)
	v_cmpx_gt_u64_e64 s[8:9], v[8:9]
	s_cbranch_execz .LBB156_414
; %bb.417:                              ;   in Loop: Header=BB156_416 Depth=2
	ds_load_b64 v[4:5], v12
	s_wait_dscnt 0x0
	v_xor_b32_e32 v3, 0x80000000, v5
	v_and_b32_e32 v6, v4, v36
	s_delay_alu instid0(VALU_DEP_2) | instskip(NEXT) | instid1(VALU_DEP_1)
	v_and_b32_e32 v7, v3, v37
	v_cmp_eq_u64_e32 vcc_lo, v[6:7], v[32:33]
	s_and_b32 exec_lo, exec_lo, vcc_lo
	s_cbranch_execz .LBB156_414
; %bb.418:                              ;   in Loop: Header=BB156_416 Depth=2
	v_mov_b32_e32 v3, v21
	ds_store_b128 v21, v[2:5] offset:3072
	s_branch .LBB156_414
.LBB156_419:                            ;   in Loop: Header=BB156_416 Depth=2
	v_add_nc_u64_e32 v[8:9], s[34:35], v[8:9]
	v_add_nc_u32_e32 v12, s85, v12
	s_mov_b32 s45, 0
	s_delay_alu instid0(VALU_DEP_2)
	v_cmp_le_u64_e32 vcc_lo, s[16:17], v[8:9]
	s_or_not1_b32 s44, vcc_lo, exec_lo
	s_branch .LBB156_415
.LBB156_420:                            ;   in Loop: Header=BB156_6 Depth=1
	s_or_b32 exec_lo, exec_lo, s18
	s_delay_alu instid0(SALU_CYCLE_1)
	s_and_b32 s18, s75, exec_lo
.LBB156_421:                            ;   in Loop: Header=BB156_6 Depth=1
	s_or_b32 exec_lo, exec_lo, s26
.LBB156_422:                            ;   in Loop: Header=BB156_6 Depth=1
	s_delay_alu instid0(SALU_CYCLE_1)
	s_and_b32 vcc_lo, exec_lo, s19
	s_cbranch_vccz .LBB156_438
; %bb.423:                              ;   in Loop: Header=BB156_6 Depth=1
	s_and_b64 s[8:9], s[54:55], 0xffffffff00000000
	s_delay_alu instid0(SALU_CYCLE_1)
	s_cmp_lg_u64 s[8:9], 0
	s_cbranch_scc0 .LBB156_425
; %bb.424:                              ;   in Loop: Header=BB156_6 Depth=1
	s_cvt_f32_u32 s8, s34
	s_sub_nc_u64 s[16:17], 0, s[34:35]
	s_delay_alu instid0(SALU_CYCLE_2) | instskip(NEXT) | instid1(SALU_CYCLE_3)
	s_fmamk_f32 s8, s88, 0x0, s8
	v_s_rcp_f32 s8, s8
	s_delay_alu instid0(TRANS32_DEP_1) | instskip(NEXT) | instid1(SALU_CYCLE_3)
	s_mul_f32 s8, s8, 0x5f7ffffc
	s_mul_f32 s9, s8, 0x2f800000
	s_delay_alu instid0(SALU_CYCLE_3) | instskip(NEXT) | instid1(SALU_CYCLE_3)
	s_trunc_f32 s9, s9
	s_fmamk_f32 s8, s9, 0xcf800000, s8
	s_cvt_u32_f32 s9, s9
	s_delay_alu instid0(SALU_CYCLE_2) | instskip(NEXT) | instid1(SALU_CYCLE_3)
	s_cvt_u32_f32 s8, s8
	s_mul_u64 s[44:45], s[16:17], s[8:9]
	s_delay_alu instid0(SALU_CYCLE_1)
	s_mul_hi_u32 s75, s8, s45
	s_mul_i32 s74, s8, s45
	s_mul_hi_u32 s26, s8, s44
	s_mul_i32 s46, s9, s44
	s_add_nc_u64 s[74:75], s[26:27], s[74:75]
	s_mul_hi_u32 s19, s9, s44
	s_mul_hi_u32 s47, s9, s45
	s_add_co_u32 s26, s74, s46
	s_add_co_ci_u32 s26, s75, s19
	s_mul_i32 s44, s9, s45
	s_add_co_ci_u32 s45, s47, 0
	s_delay_alu instid0(SALU_CYCLE_1) | instskip(NEXT) | instid1(SALU_CYCLE_1)
	s_add_nc_u64 s[44:45], s[26:27], s[44:45]
	s_add_co_u32 s8, s8, s44
	s_cselect_b32 s19, -1, 0
	s_delay_alu instid0(SALU_CYCLE_1) | instskip(SKIP_1) | instid1(SALU_CYCLE_1)
	s_cmp_lg_u32 s19, 0
	s_add_co_ci_u32 s9, s9, s45
	s_mul_u64 s[16:17], s[16:17], s[8:9]
	s_delay_alu instid0(SALU_CYCLE_1)
	s_mul_hi_u32 s45, s8, s17
	s_mul_i32 s44, s8, s17
	s_mul_hi_u32 s26, s8, s16
	s_mul_i32 s46, s9, s16
	s_add_nc_u64 s[44:45], s[26:27], s[44:45]
	s_mul_hi_u32 s19, s9, s16
	s_mul_hi_u32 s47, s9, s17
	s_mul_i32 s16, s9, s17
	s_add_co_u32 s17, s44, s46
	s_add_co_ci_u32 s26, s45, s19
	s_add_co_ci_u32 s17, s47, 0
	s_delay_alu instid0(SALU_CYCLE_1) | instskip(NEXT) | instid1(SALU_CYCLE_1)
	s_add_nc_u64 s[16:17], s[26:27], s[16:17]
	s_add_co_u32 s8, s8, s16
	s_cselect_b32 s16, -1, 0
	s_mul_hi_u32 s26, s54, s8
	s_cmp_lg_u32 s16, 0
	s_mul_hi_u32 s19, s55, s8
	s_add_co_ci_u32 s16, s9, s17
	s_mul_i32 s17, s55, s8
	s_mul_hi_u32 s9, s54, s16
	s_mul_i32 s8, s54, s16
	s_mul_hi_u32 s44, s55, s16
	s_add_nc_u64 s[8:9], s[26:27], s[8:9]
	s_mul_i32 s16, s55, s16
	s_add_co_u32 s8, s8, s17
	s_add_co_ci_u32 s26, s9, s19
	s_add_co_ci_u32 s17, s44, 0
	s_delay_alu instid0(SALU_CYCLE_1) | instskip(NEXT) | instid1(SALU_CYCLE_1)
	s_add_nc_u64 s[8:9], s[26:27], s[16:17]
	s_and_b64 s[16:17], s[8:9], 0xffffffff00000000
	s_delay_alu instid0(SALU_CYCLE_1) | instskip(NEXT) | instid1(SALU_CYCLE_1)
	s_or_b32 s16, s16, s8
	s_mul_u64 s[8:9], s[34:35], s[16:17]
	s_delay_alu instid0(SALU_CYCLE_1) | instskip(SKIP_1) | instid1(SALU_CYCLE_1)
	s_sub_co_u32 s8, s54, s8
	s_cselect_b32 s16, -1, 0
	s_cmp_lg_u32 s16, 0
	s_sub_co_ci_u32 s9, s55, s9
	s_sub_co_u32 s16, s8, s34
	s_cselect_b32 s17, -1, 0
	s_delay_alu instid0(SALU_CYCLE_1) | instskip(SKIP_3) | instid1(SALU_CYCLE_1)
	s_cmp_lg_u32 s17, 0
	s_sub_co_ci_u32 s17, s9, 0
	s_sub_co_u32 s19, s16, s34
	s_cselect_b32 s26, -1, 0
	s_cmp_lg_u32 s26, 0
	s_sub_co_ci_u32 s26, s17, 0
	s_cmp_ge_u32 s16, s34
	s_cselect_b32 s44, -1, 0
	s_cmp_eq_u32 s17, 0
	s_cselect_b32 s44, s44, -1
	s_delay_alu instid0(SALU_CYCLE_1)
	s_cmp_lg_u32 s44, 0
	s_cselect_b32 s17, s26, s17
	s_cselect_b32 s16, s19, s16
	s_cmp_ge_u32 s8, s34
	s_cselect_b32 s19, -1, 0
	s_cmp_eq_u32 s9, 0
	s_cselect_b32 s19, s19, -1
	s_delay_alu instid0(SALU_CYCLE_1)
	s_cmp_lg_u32 s19, 0
	s_cselect_b32 s9, s17, s9
	s_cselect_b32 s8, s16, s8
	s_mov_b32 s16, 0
	s_branch .LBB156_426
.LBB156_425:                            ;   in Loop: Header=BB156_6 Depth=1
	s_mov_b32 s16, -1
                                        ; implicit-def: $sgpr8_sgpr9
.LBB156_426:                            ;   in Loop: Header=BB156_6 Depth=1
	s_delay_alu instid0(SALU_CYCLE_1)
	s_and_not1_b32 vcc_lo, exec_lo, s16
	s_cbranch_vccnz .LBB156_428
; %bb.427:                              ;   in Loop: Header=BB156_6 Depth=1
	v_cvt_f32_u32_e32 v3, s34
	s_sub_co_i32 s9, 0, s34
	s_delay_alu instid0(VALU_DEP_1) | instskip(SKIP_1) | instid1(TRANS32_DEP_1)
	v_rcp_iflag_f32_e32 v3, v3
	v_nop
	v_mul_f32_e32 v3, 0x4f7ffffe, v3
	s_delay_alu instid0(VALU_DEP_1) | instskip(NEXT) | instid1(VALU_DEP_1)
	v_cvt_u32_f32_e32 v3, v3
	v_readfirstlane_b32 s8, v3
	s_mul_i32 s9, s9, s8
	s_delay_alu instid0(SALU_CYCLE_1) | instskip(NEXT) | instid1(SALU_CYCLE_1)
	s_mul_hi_u32 s9, s8, s9
	s_add_co_i32 s8, s8, s9
	s_delay_alu instid0(SALU_CYCLE_1) | instskip(NEXT) | instid1(SALU_CYCLE_1)
	s_mul_hi_u32 s8, s54, s8
	s_mul_i32 s8, s8, s34
	s_delay_alu instid0(SALU_CYCLE_1) | instskip(NEXT) | instid1(SALU_CYCLE_1)
	s_sub_co_i32 s8, s54, s8
	s_sub_co_i32 s9, s8, s34
	s_cmp_ge_u32 s8, s34
	s_cselect_b32 s8, s9, s8
	s_delay_alu instid0(SALU_CYCLE_1) | instskip(SKIP_2) | instid1(SALU_CYCLE_1)
	s_sub_co_i32 s9, s8, s34
	s_cmp_ge_u32 s8, s34
	s_cselect_b32 s26, s9, s8
	s_mov_b64 s[8:9], s[26:27]
.LBB156_428:                            ;   in Loop: Header=BB156_6 Depth=1
	s_delay_alu instid0(SALU_CYCLE_1)
	s_sub_nc_u64 s[8:9], s[54:55], s[8:9]
	s_mov_b32 s16, exec_lo
                                        ; implicit-def: $vgpr6_vgpr7
	v_nop
	v_cmpx_gt_u64_e64 s[8:9], v[0:1]
	s_cbranch_execz .LBB156_437
; %bb.429:                              ;   in Loop: Header=BB156_6 Depth=1
	v_mov_b64_e32 v[8:9], v[18:19]
	v_mov_b64_e32 v[12:13], v[0:1]
	s_mov_b32 s17, 0
                                        ; implicit-def: $sgpr19
	s_branch .LBB156_432
.LBB156_430:                            ;   in Loop: Header=BB156_432 Depth=2
	s_or_b32 exec_lo, exec_lo, s26
	s_wait_dscnt 0x0
	s_barrier_signal -1
	s_barrier_wait -1
	ds_load_b128 v[4:7], v21 offset:3072
	s_mov_b32 s26, -1
	s_mov_b32 s44, -1
	s_wait_dscnt 0x0
	s_barrier_signal -1
	s_barrier_wait -1
	v_cmp_eq_u64_e32 vcc_lo, 0, v[4:5]
	s_cbranch_vccnz .LBB156_435
.LBB156_431:                            ;   in Loop: Header=BB156_432 Depth=2
	s_and_b32 s26, exec_lo, s26
	s_delay_alu instid0(SALU_CYCLE_1) | instskip(SKIP_2) | instid1(SALU_CYCLE_1)
	s_or_b32 s17, s26, s17
	s_and_not1_b32 s19, s19, exec_lo
	s_and_b32 s26, s44, exec_lo
	s_or_b32 s19, s19, s26
	s_and_not1_b32 exec_lo, exec_lo, s17
	s_cbranch_execz .LBB156_436
.LBB156_432:                            ;   Parent Loop BB156_6 Depth=1
                                        ; =>  This Inner Loop Header: Depth=2
	s_mov_b32 s26, exec_lo
	s_delay_alu instid0(VALU_DEP_1)
	v_cmpx_gt_u64_e64 s[28:29], v[12:13]
	s_cbranch_execz .LBB156_430
; %bb.433:                              ;   in Loop: Header=BB156_432 Depth=2
	global_load_b64 v[4:5], v[8:9], off
	s_wait_loadcnt 0x0
	v_xor_b32_e32 v3, 0x80000000, v5
	v_and_b32_e32 v6, v4, v36
	s_delay_alu instid0(VALU_DEP_2) | instskip(NEXT) | instid1(VALU_DEP_1)
	v_and_b32_e32 v7, v3, v37
	v_cmp_eq_u64_e32 vcc_lo, v[6:7], v[32:33]
	s_and_b32 exec_lo, exec_lo, vcc_lo
	s_cbranch_execz .LBB156_430
; %bb.434:                              ;   in Loop: Header=BB156_432 Depth=2
	v_mov_b32_e32 v3, v21
	ds_store_b128 v21, v[2:5] offset:3072
	s_branch .LBB156_430
.LBB156_435:                            ;   in Loop: Header=BB156_432 Depth=2
	v_add_nc_u64_e32 v[12:13], s[34:35], v[12:13]
	v_add_nc_u64_e32 v[8:9], s[36:37], v[8:9]
	s_mov_b32 s44, 0
	s_delay_alu instid0(VALU_DEP_2)
	v_cmp_le_u64_e32 vcc_lo, s[8:9], v[12:13]
	s_or_not1_b32 s26, vcc_lo, exec_lo
	s_branch .LBB156_431
.LBB156_436:                            ;   in Loop: Header=BB156_6 Depth=1
	s_or_b32 exec_lo, exec_lo, s17
	s_delay_alu instid0(SALU_CYCLE_1) | instskip(SKIP_1) | instid1(SALU_CYCLE_1)
	s_and_not1_b32 s8, s18, exec_lo
	s_and_b32 s9, s19, exec_lo
	s_or_b32 s18, s8, s9
.LBB156_437:                            ;   in Loop: Header=BB156_6 Depth=1
	s_or_b32 exec_lo, exec_lo, s16
	s_mov_b32 s73, 0
	s_mov_b32 s74, -1
.LBB156_438:                            ;   in Loop: Header=BB156_6 Depth=1
	s_or_not1_b32 s9, s18, exec_lo
.LBB156_439:                            ;   in Loop: Header=BB156_6 Depth=1
	s_or_b32 exec_lo, exec_lo, s72
	s_mov_b32 s16, 0
	s_and_saveexec_b32 s8, s9
	s_cbranch_execz .LBB156_450
; %bb.440:                              ;   in Loop: Header=BB156_6 Depth=1
	v_mov_b64_e32 v[4:5], 1
	v_mov_b32_e32 v20, 1
	s_xor_b32 s16, s71, -1
	s_delay_alu instid0(SALU_CYCLE_1)
	s_and_saveexec_b32 s9, s16
	s_cbranch_execz .LBB156_449
; %bb.441:                              ;   in Loop: Header=BB156_6 Depth=1
	s_mov_b32 s16, exec_lo
	v_cmpx_ge_u64_e64 s[10:11], v[10:11]
	s_xor_b32 s16, exec_lo, s16
	s_cbranch_execz .LBB156_446
; %bb.442:                              ;   in Loop: Header=BB156_6 Depth=1
	ds_load_b64 v[4:5], v21 offset:5120
	v_and_b32_e32 v33, s15, v33
	v_and_b32_e32 v32, s14, v32
	v_or_b32_e32 v37, s13, v37
	v_or_b32_e32 v36, s12, v36
	s_wait_dscnt 0x0
	v_cmp_ne_u64_e32 vcc_lo, 0, v[4:5]
	s_cbranch_vccnz .LBB156_446
; %bb.443:                              ;   in Loop: Header=BB156_6 Depth=1
	s_and_saveexec_b32 s12, s5
; %bb.444:                              ;   in Loop: Header=BB156_6 Depth=1
	v_mov_b64_e32 v[4:5], s[10:11]
	ds_store_b64 v21, v[4:5] offset:5128
; %bb.445:                              ;   in Loop: Header=BB156_6 Depth=1
	s_or_b32 exec_lo, exec_lo, s12
	s_wait_dscnt 0x0
	s_barrier_signal -1
	s_barrier_wait -1
.LBB156_446:                            ;   in Loop: Header=BB156_6 Depth=1
	s_and_not1_saveexec_b32 s12, s16
; %bb.447:                              ;   in Loop: Header=BB156_6 Depth=1
	v_sub_nc_u64_e64 v[10:11], v[10:11], s[10:11]
; %bb.448:                              ;   in Loop: Header=BB156_6 Depth=1
	s_or_b32 exec_lo, exec_lo, s12
	s_delay_alu instid0(VALU_DEP_1)
	v_mov_b64_e32 v[4:5], v[10:11]
	v_mov_b32_e32 v20, 5
.LBB156_449:                            ;   in Loop: Header=BB156_6 Depth=1
	s_or_b32 exec_lo, exec_lo, s9
	s_delay_alu instid0(VALU_DEP_2)
	v_mov_b64_e32 v[10:11], v[4:5]
	s_mov_b32 s16, exec_lo
.LBB156_450:                            ;   in Loop: Header=BB156_6 Depth=1
	s_or_b32 exec_lo, exec_lo, s8
	s_delay_alu instid0(SALU_CYCLE_1)
	s_or_not1_b32 s8, s16, exec_lo
.LBB156_451:                            ;   in Loop: Header=BB156_6 Depth=1
	s_or_b32 exec_lo, exec_lo, s21
	s_delay_alu instid0(VALU_DEP_1)
	v_mov_b64_e32 v[8:9], v[10:11]
	s_and_not1_b32 s9, s70, exec_lo
	s_and_b32 s10, s74, exec_lo
	s_and_not1_b32 s11, s68, exec_lo
	s_and_b32 s12, s73, exec_lo
	s_or_b32 s70, s9, s10
	s_or_b32 s68, s11, s12
	s_and_b32 s9, s8, exec_lo
.LBB156_452:                            ;   in Loop: Header=BB156_6 Depth=1
	s_or_b32 exec_lo, exec_lo, s20
	s_delay_alu instid0(SALU_CYCLE_1)
	s_or_not1_b32 s8, s9, exec_lo
.LBB156_453:                            ;   in Loop: Header=BB156_6 Depth=1
	s_or_b32 exec_lo, exec_lo, s23
	v_mov_b64_e32 v[40:41], v[8:9]
	s_and_not1_b32 s9, s67, exec_lo
	s_and_b32 s10, s70, exec_lo
	s_and_not1_b32 s11, s25, exec_lo
	s_and_b32 s12, s68, exec_lo
	s_or_b32 s67, s9, s10
	s_or_b32 s25, s11, s12
	s_and_b32 s9, s8, exec_lo
.LBB156_454:                            ;   in Loop: Header=BB156_6 Depth=1
	s_or_b32 exec_lo, exec_lo, s22
	s_delay_alu instid0(SALU_CYCLE_1)
	s_or_not1_b32 s8, s9, exec_lo
.LBB156_455:                            ;   in Loop: Header=BB156_6 Depth=1
	s_or_b32 exec_lo, exec_lo, s7
	s_mov_b32 s7, s66
	s_mov_b32 s9, s65
	s_and_saveexec_b32 s10, s8
; %bb.456:                              ;   in Loop: Header=BB156_6 Depth=1
	v_cmp_ne_u32_e32 vcc_lo, 5, v20
	v_cmp_eq_u32_e64 s7, 5, v20
	s_and_not1_b32 s8, s65, exec_lo
	s_and_not1_b32 s11, s66, exec_lo
	s_and_b32 s9, vcc_lo, exec_lo
	s_and_b32 s7, s7, exec_lo
	s_or_b32 s9, s8, s9
	s_or_b32 s7, s11, s7
; %bb.457:                              ;   in Loop: Header=BB156_6 Depth=1
	s_or_b32 exec_lo, exec_lo, s10
	s_delay_alu instid0(SALU_CYCLE_1)
	s_and_not1_b32 s8, s69, exec_lo
	s_and_b32 s10, s67, exec_lo
	s_and_not1_b32 s11, s64, exec_lo
	s_and_b32 s12, s25, exec_lo
	s_or_b32 s69, s8, s10
	s_and_not1_b32 s8, s65, exec_lo
	s_and_b32 s9, s9, exec_lo
	s_and_not1_b32 s10, s66, exec_lo
	s_and_b32 s7, s7, exec_lo
	s_or_b32 s64, s11, s12
	s_or_b32 s65, s8, s9
	;; [unrolled: 1-line block ×3, first 2 shown]
.LBB156_458:                            ;   in Loop: Header=BB156_6 Depth=1
	s_or_b32 exec_lo, exec_lo, s24
	s_mov_b32 s67, 0
	s_mov_b32 s68, 0
	s_and_saveexec_b32 s7, s66
.LBB156_459:                            ;   in Loop: Header=BB156_6 Depth=1
	v_mov_b32_e32 v20, 0
	s_or_b32 s65, s65, exec_lo
.LBB156_460:                            ;   in Loop: Header=BB156_6 Depth=1
	s_or_b32 exec_lo, exec_lo, s7
	v_mov_b64_e32 v[38:39], v[40:41]
	s_and_not1_b32 s7, s97, exec_lo
	s_and_b32 s9, s69, exec_lo
	s_and_not1_b32 s10, s95, exec_lo
	s_and_b32 s11, s64, exec_lo
	s_or_b32 s97, s7, s9
	s_or_b32 s95, s10, s11
	s_and_not1_b32 s7, s99, exec_lo
	s_and_b32 s9, s68, exec_lo
	s_and_not1_b32 s10, s98, exec_lo
	s_and_b32 s11, s67, exec_lo
	s_mov_b32 s8, -1
	s_and_not1_b32 s96, s96, exec_lo
	s_or_b32 s99, s7, s9
	s_or_b32 s98, s10, s11
	s_and_saveexec_b32 s7, s65
	s_delay_alu instid0(SALU_CYCLE_1)
	s_xor_b32 s7, exec_lo, s7
	s_cbranch_execz .LBB156_5
; %bb.461:                              ;   in Loop: Header=BB156_6 Depth=1
	s_mov_b32 s9, -1
	s_mov_b32 s10, exec_lo
	v_cmpx_eq_u32_e32 0, v20
	s_cbranch_execz .LBB156_4
; %bb.462:                              ;   in Loop: Header=BB156_6 Depth=1
	s_xor_b32 s90, s90, 1
	s_add_co_i32 s11, s86, -2
	s_cmp_eq_u32 s86, 0
	s_mov_b32 s86, s11
	s_cselect_b32 s8, -1, 0
	s_xor_b32 s9, exec_lo, -1
	s_or_not1_b32 s8, s8, exec_lo
	s_branch .LBB156_4
.LBB156_463:
	s_or_b32 exec_lo, exec_lo, s87
	s_xor_b32 s7, s94, -1
	s_xor_b32 s9, s92, -1
	;; [unrolled: 1-line block ×5, first 2 shown]
	s_mov_b32 s8, 0
	s_and_saveexec_b32 s12, s11
	s_delay_alu instid0(SALU_CYCLE_1)
	s_xor_b32 s16, exec_lo, s12
	s_cbranch_execnz .LBB156_468
; %bb.464:
	s_and_not1_saveexec_b32 s0, s16
	s_cbranch_execnz .LBB156_487
.LBB156_465:
	s_or_b32 exec_lo, exec_lo, s0
	s_and_saveexec_b32 s0, s8
.LBB156_466:
	; divergent unreachable
.LBB156_467:
	s_sendmsg sendmsg(MSG_DEALLOC_VGPRS)
	s_endpgm
.LBB156_468:
	s_and_saveexec_b32 s11, s10
	s_delay_alu instid0(SALU_CYCLE_1)
	s_xor_b32 s17, exec_lo, s11
	s_cbranch_execz .LBB156_485
; %bb.469:
	s_and_saveexec_b32 s10, s9
	s_delay_alu instid0(SALU_CYCLE_1)
	s_xor_b32 s18, exec_lo, s10
	s_cbranch_execz .LBB156_483
; %bb.470:
	;; [unrolled: 5-line block ×3, first 2 shown]
	s_and_saveexec_b32 s7, s6
	s_delay_alu instid0(SALU_CYCLE_1)
	s_xor_b32 s6, exec_lo, s7
; %bb.472:
	v_xor_b32_e32 v33, 0x80000000, v33
	s_delay_alu instid0(VALU_DEP_1)
	v_mov_b64_e32 v[6:7], v[32:33]
; %bb.473:
	s_or_b32 exec_lo, exec_lo, s6
	s_and_saveexec_b32 s6, s5
; %bb.474:
	v_mov_b64_e32 v[2:3], 0
	v_mov_b32_e32 v4, 0
	ds_store_b64 v4, v[2:3] offset:5136
; %bb.475:
	s_or_b32 exec_lo, exec_lo, s6
	v_mov_b64_e32 v[2:3], 0
	s_wait_dscnt 0x0
	s_barrier_signal -1
	s_barrier_wait -1
	s_and_saveexec_b32 s5, s3
	s_cbranch_execz .LBB156_477
; %bb.476:
	global_load_b64 v[2:3], v[18:19], off
.LBB156_477:
	s_wait_xcnt 0x0
	s_or_b32 exec_lo, exec_lo, s5
	v_readlane_b32 s12, v66, 0
	v_readlane_b32 s13, v66, 1
	s_clause 0x1
	s_load_b64 s[6:7], s[0:1], 0x368
	s_load_b64 s[8:9], s[0:1], 0x510
	s_wait_xcnt 0x0
	s_add_nc_u64 s[0:1], s[28:29], 31
	s_mov_b64 s[10:11], 0xffffffffffffffe0
	s_mov_b32 s5, 0
	s_mul_u64 s[12:13], s[12:13], s[42:43]
	s_and_b64 s[10:11], s[0:1], s[10:11]
	s_lshl_b64 s[14:15], s[12:13], 3
	v_readlane_b32 s12, v66, 4
	v_readlane_b32 s13, v66, 5
	s_mul_u64 s[0:1], s[50:51], s[42:43]
	v_cmp_gt_u64_e32 vcc_lo, s[10:11], v[0:1]
	s_lshl_b64 s[0:1], s[0:1], 3
	s_delay_alu instid0(SALU_CYCLE_1)
	s_add_nc_u64 s[12:13], s[12:13], s[0:1]
	v_readlane_b32 s0, v66, 2
	v_readlane_b32 s1, v66, 3
	s_add_nc_u64 s[14:15], s[0:1], s[14:15]
	s_mov_b32 s0, -1
	s_mov_b32 s1, 0
	s_and_saveexec_b32 s20, vcc_lo
	s_cbranch_execnz .LBB156_488
; %bb.478:
	s_or_b32 exec_lo, exec_lo, s20
	s_and_saveexec_b32 s4, s0
	s_cbranch_execnz .LBB156_503
.LBB156_479:
	s_or_b32 exec_lo, exec_lo, s4
	s_and_saveexec_b32 s0, s1
	s_delay_alu instid0(SALU_CYCLE_1)
	s_xor_b32 s0, exec_lo, s0
	s_cbranch_execnz .LBB156_526
.LBB156_480:
	s_or_b32 exec_lo, exec_lo, s0
	s_wait_kmcnt 0x0
	s_and_b32 s8, s5, exec_lo
.LBB156_481:
	s_and_not1_saveexec_b32 s0, s19
	s_cbranch_execnz .LBB156_528
.LBB156_482:
	s_or_b32 exec_lo, exec_lo, s0
	s_delay_alu instid0(SALU_CYCLE_1)
	s_and_b32 s8, s8, exec_lo
.LBB156_483:
	s_and_not1_saveexec_b32 s0, s18
	s_cbranch_execnz .LBB156_527
.LBB156_484:
	s_or_b32 exec_lo, exec_lo, s0
	s_delay_alu instid0(SALU_CYCLE_1)
	s_and_b32 s8, s8, exec_lo
.LBB156_485:
	s_and_not1_saveexec_b32 s0, s17
	s_cbranch_execnz .LBB156_522
.LBB156_486:
	s_or_b32 exec_lo, exec_lo, s0
	s_delay_alu instid0(SALU_CYCLE_1)
	s_and_b32 s8, s8, exec_lo
	s_and_not1_saveexec_b32 s0, s16
	s_cbranch_execz .LBB156_465
.LBB156_487:
	s_or_b32 s8, s8, exec_lo
	s_trap 2
	s_or_b32 exec_lo, exec_lo, s0
	s_and_saveexec_b32 s0, s8
	s_cbranch_execnz .LBB156_466
	s_branch .LBB156_467
.LBB156_488:
	v_add_nc_u64_e32 v[4:5], s[34:35], v[0:1]
	v_mov_b64_e32 v[22:23], v[0:1]
	s_mov_b32 s21, 0
                                        ; implicit-def: $sgpr22
                                        ; implicit-def: $vgpr20_vgpr21
	v_mov_b32_e32 v9, 0
	s_delay_alu instid0(VALU_DEP_3) | instskip(SKIP_2) | instid1(VALU_DEP_3)
	v_mul_u64_e32 v[10:11], s[38:39], v[4:5]
	v_xor_b32_e32 v5, 0x80000000, v7
	v_mov_b32_e32 v4, v6
	v_lshl_add_u64 v[10:11], v[10:11], 3, s[40:41]
	s_branch .LBB156_490
.LBB156_489:                            ;   in Loop: Header=BB156_490 Depth=1
	s_or_b32 exec_lo, exec_lo, s24
	s_xor_b32 s0, s23, -1
	s_and_b32 s1, exec_lo, s1
	v_mov_b64_e32 v[2:3], v[14:15]
	v_mov_b64_e32 v[22:23], v[12:13]
	s_or_b32 s21, s1, s21
	s_and_not1_b32 s1, s22, exec_lo
	s_and_b32 s0, s0, exec_lo
	s_delay_alu instid0(SALU_CYCLE_1)
	s_or_b32 s22, s1, s0
	s_and_not1_b32 exec_lo, exec_lo, s21
	s_cbranch_execz .LBB156_502
.LBB156_490:                            ; =>This Inner Loop Header: Depth=1
	v_add_nc_u64_e32 v[12:13], s[34:35], v[22:23]
	v_mov_b64_e32 v[14:15], 0
	s_mov_b32 s1, exec_lo
	s_delay_alu instid0(VALU_DEP_2)
	v_cmpx_gt_u64_e64 s[28:29], v[12:13]
	s_cbranch_execz .LBB156_492
; %bb.491:                              ;   in Loop: Header=BB156_490 Depth=1
	global_load_b64 v[14:15], v[10:11], off
.LBB156_492:                            ;   in Loop: Header=BB156_490 Depth=1
	s_wait_xcnt 0x0
	s_or_b32 exec_lo, exec_lo, s1
	s_wait_loadcnt 0x0
	v_xor_b32_e32 v25, 0x80000000, v3
	v_mov_b32_e32 v24, v2
	s_delay_alu instid0(VALU_DEP_1) | instskip(NEXT) | instid1(VALU_DEP_1)
	v_cmp_gt_u64_e64 s0, v[24:25], v[4:5]
	v_cndmask_b32_e64 v8, 0, 1, s0
	v_cmp_lt_u64_e64 s0, v[24:25], v[4:5]
	s_delay_alu instid0(VALU_DEP_1) | instskip(SKIP_1) | instid1(VALU_DEP_2)
	v_cndmask_b32_e64 v17, 0, 1, s0
	v_cmp_gt_u64_e64 s0, s[28:29], v[22:23]
	v_cndmask_b32_e64 v8, v17, v8, s4
	s_delay_alu instid0(VALU_DEP_1) | instskip(NEXT) | instid1(VALU_DEP_1)
	v_and_b32_e32 v8, 1, v8
	v_cmp_eq_u32_e64 s1, 1, v8
	s_and_b32 s23, s0, s1
	s_delay_alu instid0(SALU_CYCLE_1) | instskip(NEXT) | instid1(VALU_DEP_1)
	v_cndmask_b32_e64 v8, 0, 1, s23
	v_cmp_ne_u32_e64 s0, 0, v8
	s_cmp_lg_u32 s0, 0
	s_cselect_b32 s1, -1, 0
	s_delay_alu instid0(SALU_CYCLE_1) | instskip(NEXT) | instid1(SALU_CYCLE_1)
	s_and_b32 s1, s2, s1
	s_and_saveexec_b32 s24, s1
	s_cbranch_execz .LBB156_496
; %bb.493:                              ;   in Loop: Header=BB156_490 Depth=1
	s_mov_b32 s27, exec_lo
	s_bcnt1_i32_b32 s25, s0
	v_mbcnt_lo_u32_b32 v17, s27, 0
	s_mov_b32 s26, exec_lo
                                        ; implicit-def: $vgpr20_vgpr21
	s_delay_alu instid0(VALU_DEP_1)
	v_cmpx_eq_u32_e32 0, v17
	s_cbranch_execz .LBB156_495
; %bb.494:                              ;   in Loop: Header=BB156_490 Depth=1
	s_bcnt1_i32_b32 s1, s27
	s_delay_alu instid0(SALU_CYCLE_1) | instskip(NEXT) | instid1(SALU_CYCLE_1)
	s_mul_i32 s1, s25, s1
	v_mov_b32_e32 v8, s1
	s_wait_dscnt 0x0
	ds_add_rtn_u64 v[20:21], v9, v[8:9] offset:5136
.LBB156_495:                            ;   in Loop: Header=BB156_490 Depth=1
	s_or_b32 exec_lo, exec_lo, s26
	s_wait_dscnt 0x0
	v_readfirstlane_b32 s27, v21
	v_readfirstlane_b32 s26, v20
	s_delay_alu instid0(VALU_DEP_1)
	v_mad_nc_u64_u32 v[20:21], s25, v17, s[26:27]
.LBB156_496:                            ;   in Loop: Header=BB156_490 Depth=1
	s_or_b32 exec_lo, exec_lo, s24
	s_wait_dscnt 0x1
	ds_bpermute_b32 v20, v9, v20
	s_wait_dscnt 0x1
	ds_bpermute_b32 v21, v9, v21
	s_mov_b32 s1, -1
	s_mov_b32 s25, -1
	s_and_saveexec_b32 s24, s23
	s_cbranch_execz .LBB156_500
; %bb.497:                              ;   in Loop: Header=BB156_490 Depth=1
	v_and_b32_e32 v8, s0, v16
	s_mov_b32 s23, 0
	s_mov_b32 s25, exec_lo
	s_delay_alu instid0(VALU_DEP_1) | instskip(SKIP_1) | instid1(VALU_DEP_1)
	v_bcnt_u32_b32 v8, v8, 0
	s_wait_dscnt 0x0
	v_add_nc_u64_e32 v[24:25], v[20:21], v[8:9]
	s_delay_alu instid0(VALU_DEP_1)
	v_cmpx_gt_u64_e64 s[30:31], v[24:25]
	s_cbranch_execz .LBB156_499
; %bb.498:                              ;   in Loop: Header=BB156_490 Depth=1
	s_wait_kmcnt 0x0
	v_mul_u64_e32 v[26:27], s[6:7], v[24:25]
	v_mul_u64_e32 v[24:25], s[8:9], v[24:25]
	s_mov_b32 s23, exec_lo
	s_delay_alu instid0(VALU_DEP_2) | instskip(NEXT) | instid1(VALU_DEP_2)
	v_lshl_add_u64 v[26:27], v[26:27], 3, s[12:13]
	v_lshl_add_u64 v[24:25], v[24:25], 3, s[14:15]
	global_store_b64 v[26:27], v[2:3], off
	global_store_b64 v[24:25], v[22:23], off
.LBB156_499:                            ;   in Loop: Header=BB156_490 Depth=1
	s_wait_xcnt 0x0
	s_or_b32 exec_lo, exec_lo, s25
	s_delay_alu instid0(SALU_CYCLE_1)
	s_or_not1_b32 s25, s23, exec_lo
.LBB156_500:                            ;   in Loop: Header=BB156_490 Depth=1
	s_or_b32 exec_lo, exec_lo, s24
	s_mov_b32 s23, -1
	s_and_saveexec_b32 s24, s25
	s_cbranch_execz .LBB156_489
; %bb.501:                              ;   in Loop: Header=BB156_490 Depth=1
	v_cmp_le_u64_e64 s0, s[10:11], v[12:13]
	v_add_nc_u64_e32 v[10:11], s[36:37], v[10:11]
	s_xor_b32 s23, exec_lo, -1
	s_or_not1_b32 s1, s0, exec_lo
	s_branch .LBB156_489
.LBB156_502:
	s_or_b32 exec_lo, exec_lo, s21
	s_delay_alu instid0(SALU_CYCLE_1)
	s_mov_b32 s1, exec_lo
	s_or_not1_b32 s0, s22, exec_lo
	s_or_b32 exec_lo, exec_lo, s20
	s_and_saveexec_b32 s4, s0
	s_cbranch_execz .LBB156_479
.LBB156_503:
	v_mov_b64_e32 v[14:15], 0
	s_wait_storecnt 0x0
	s_wait_loadcnt_dscnt 0x0
	s_barrier_signal -1
	s_barrier_wait -1
	s_and_saveexec_b32 s0, s3
	s_cbranch_execz .LBB156_505
; %bb.504:
	global_load_b64 v[14:15], v[18:19], off
.LBB156_505:
	s_wait_xcnt 0x0
	s_or_b32 exec_lo, exec_lo, s0
	s_mov_b32 s0, 0
	s_and_saveexec_b32 s3, vcc_lo
	s_cbranch_execz .LBB156_525
; %bb.506:
	v_add_nc_u64_e32 v[2:3], s[34:35], v[0:1]
	v_mov_b32_e32 v5, 0
	s_mov_b32 s5, 0
                                        ; implicit-def: $sgpr20
                                        ; implicit-def: $vgpr12_vgpr13
	s_delay_alu instid0(VALU_DEP_2) | instskip(NEXT) | instid1(VALU_DEP_1)
	v_mul_u64_e32 v[2:3], s[38:39], v[2:3]
	v_lshl_add_u64 v[2:3], v[2:3], 3, s[40:41]
	s_branch .LBB156_509
.LBB156_507:                            ;   in Loop: Header=BB156_509 Depth=1
	s_or_b32 exec_lo, exec_lo, s23
	s_delay_alu instid0(SALU_CYCLE_1)
	s_or_not1_b32 s23, s21, exec_lo
	s_or_not1_b32 s22, s22, exec_lo
.LBB156_508:                            ;   in Loop: Header=BB156_509 Depth=1
	s_or_b32 exec_lo, exec_lo, s0
	s_xor_b32 s0, s23, -1
	s_and_b32 s21, exec_lo, s22
	v_mov_b64_e32 v[0:1], v[8:9]
	v_mov_b64_e32 v[14:15], v[10:11]
	s_or_b32 s5, s21, s5
	s_and_not1_b32 s20, s20, exec_lo
	s_and_b32 s0, s0, exec_lo
	s_delay_alu instid0(SALU_CYCLE_1)
	s_or_b32 s20, s20, s0
	s_and_not1_b32 exec_lo, exec_lo, s5
	s_cbranch_execz .LBB156_523
.LBB156_509:                            ; =>This Inner Loop Header: Depth=1
	v_add_nc_u64_e32 v[8:9], s[34:35], v[0:1]
	v_mov_b64_e32 v[10:11], 0
	s_mov_b32 s0, exec_lo
	s_delay_alu instid0(VALU_DEP_2)
	v_cmpx_gt_u64_e64 s[28:29], v[8:9]
	s_cbranch_execz .LBB156_511
; %bb.510:                              ;   in Loop: Header=BB156_509 Depth=1
	global_load_b64 v[10:11], v[2:3], off
.LBB156_511:                            ;   in Loop: Header=BB156_509 Depth=1
	s_wait_xcnt 0x0
	s_or_b32 exec_lo, exec_lo, s0
	v_cmp_gt_u64_e32 vcc_lo, s[28:29], v[0:1]
	s_wait_loadcnt 0x0
	v_cmp_eq_u64_e64 s0, v[14:15], v[6:7]
	s_and_b32 s21, vcc_lo, s0
	s_delay_alu instid0(SALU_CYCLE_1) | instskip(NEXT) | instid1(VALU_DEP_1)
	v_cndmask_b32_e64 v4, 0, 1, s21
	v_cmp_ne_u32_e32 vcc_lo, 0, v4
	s_cmp_lg_u32 vcc_lo, 0
	s_cselect_b32 s0, -1, 0
	s_delay_alu instid0(SALU_CYCLE_1) | instskip(NEXT) | instid1(SALU_CYCLE_1)
	s_and_b32 s0, s2, s0
	s_and_saveexec_b32 s22, s0
	s_cbranch_execz .LBB156_515
; %bb.512:                              ;   in Loop: Header=BB156_509 Depth=1
	s_mov_b32 s25, exec_lo
	s_bcnt1_i32_b32 s23, vcc_lo
	v_mbcnt_lo_u32_b32 v14, s25, 0
	s_mov_b32 s24, exec_lo
                                        ; implicit-def: $vgpr12_vgpr13
	s_delay_alu instid0(VALU_DEP_1)
	v_cmpx_eq_u32_e32 0, v14
; %bb.513:                              ;   in Loop: Header=BB156_509 Depth=1
	s_bcnt1_i32_b32 s0, s25
	s_delay_alu instid0(SALU_CYCLE_1) | instskip(NEXT) | instid1(SALU_CYCLE_1)
	s_mul_i32 s0, s23, s0
	v_mov_b32_e32 v4, s0
	ds_add_rtn_u64 v[12:13], v5, v[4:5] offset:5136
; %bb.514:                              ;   in Loop: Header=BB156_509 Depth=1
	s_or_b32 exec_lo, exec_lo, s24
	s_wait_dscnt 0x0
	v_readfirstlane_b32 s25, v13
	v_readfirstlane_b32 s24, v12
	s_delay_alu instid0(VALU_DEP_1)
	v_mad_nc_u64_u32 v[12:13], s23, v14, s[24:25]
.LBB156_515:                            ;   in Loop: Header=BB156_509 Depth=1
	s_or_b32 exec_lo, exec_lo, s22
	ds_bpermute_b32 v12, v5, v12
	ds_bpermute_b32 v13, v5, v13
	s_cmp_eq_u32 vcc_lo, 0
	s_mov_b32 s22, -1
	s_cselect_b32 s23, -1, 0
	s_wait_dscnt 0x0
	v_cmp_gt_u64_e64 s0, s[30:31], v[12:13]
	s_or_b32 s24, s23, s0
	s_mov_b32 s23, -1
	s_and_saveexec_b32 s0, s24
	s_cbranch_execz .LBB156_508
; %bb.516:                              ;   in Loop: Header=BB156_509 Depth=1
	v_and_b32_e32 v4, vcc_lo, v16
	v_sub_nc_u64_e32 v[14:15], s[30:31], v[12:13]
	s_mov_b32 s24, -1
	s_delay_alu instid0(VALU_DEP_2) | instskip(NEXT) | instid1(VALU_DEP_1)
	v_bcnt_u32_b32 v4, v4, 0
	v_bcnt_u32_b32 v4, 0, v4
	s_delay_alu instid0(VALU_DEP_1)
	v_cmp_gt_u64_e32 vcc_lo, v[14:15], v[4:5]
	s_and_b32 s25, s21, vcc_lo
	s_mov_b32 s21, -1
	s_and_saveexec_b32 s23, s25
	s_cbranch_execz .LBB156_520
; %bb.517:                              ;   in Loop: Header=BB156_509 Depth=1
	v_add_nc_u64_e32 v[14:15], v[12:13], v[4:5]
	s_mov_b32 s24, 0
	s_mov_b32 s21, exec_lo
	s_delay_alu instid0(VALU_DEP_1)
	v_cmpx_gt_u64_e64 s[30:31], v[14:15]
	s_cbranch_execz .LBB156_519
; %bb.518:                              ;   in Loop: Header=BB156_509 Depth=1
	s_wait_kmcnt 0x0
	v_mul_u64_e32 v[18:19], s[6:7], v[14:15]
	v_mul_u64_e32 v[14:15], s[8:9], v[14:15]
	s_mov_b32 s24, exec_lo
	s_delay_alu instid0(VALU_DEP_2) | instskip(NEXT) | instid1(VALU_DEP_2)
	v_lshl_add_u64 v[18:19], v[18:19], 3, s[12:13]
	v_lshl_add_u64 v[14:15], v[14:15], 3, s[14:15]
	global_store_b64 v[18:19], v[6:7], off
	global_store_b64 v[14:15], v[0:1], off
.LBB156_519:                            ;   in Loop: Header=BB156_509 Depth=1
	s_wait_xcnt 0x0
	s_or_b32 exec_lo, exec_lo, s21
	s_delay_alu instid0(SALU_CYCLE_1)
	s_xor_b32 s21, exec_lo, -1
	s_or_not1_b32 s24, s24, exec_lo
.LBB156_520:                            ;   in Loop: Header=BB156_509 Depth=1
	s_or_b32 exec_lo, exec_lo, s23
	s_and_saveexec_b32 s23, s24
	s_cbranch_execz .LBB156_507
; %bb.521:                              ;   in Loop: Header=BB156_509 Depth=1
	v_cmp_le_u64_e32 vcc_lo, s[10:11], v[8:9]
	v_add_nc_u64_e32 v[2:3], s[36:37], v[2:3]
	s_or_b32 s21, s21, exec_lo
	s_or_not1_b32 s22, vcc_lo, exec_lo
	s_branch .LBB156_507
.LBB156_522:
	s_or_b32 s8, s8, exec_lo
	s_trap 2
	s_branch .LBB156_486
.LBB156_523:
	s_or_b32 exec_lo, exec_lo, s5
	s_mov_b32 s0, 0
	s_and_saveexec_b32 s2, s20
	s_delay_alu instid0(SALU_CYCLE_1)
	s_xor_b32 s2, exec_lo, s2
	s_cbranch_execnz .LBB156_529
.LBB156_524:
	s_or_b32 exec_lo, exec_lo, s2
	s_delay_alu instid0(SALU_CYCLE_1)
	s_and_b32 s0, s0, exec_lo
.LBB156_525:
	s_or_b32 exec_lo, exec_lo, s3
	s_delay_alu instid0(SALU_CYCLE_1) | instskip(SKIP_3) | instid1(SALU_CYCLE_1)
	s_and_b32 s5, s0, exec_lo
	s_and_not1_b32 s1, s1, exec_lo
	s_or_b32 exec_lo, exec_lo, s4
	s_and_saveexec_b32 s0, s1
	s_xor_b32 s0, exec_lo, s0
	s_cbranch_execz .LBB156_480
.LBB156_526:
	s_or_b32 s5, s5, exec_lo
	s_trap 2
	s_branch .LBB156_480
.LBB156_527:
	s_or_b32 s8, s8, exec_lo
	s_trap 2
	s_branch .LBB156_484
.LBB156_528:
	s_or_b32 s8, s8, exec_lo
	s_trap 2
	s_branch .LBB156_482
.LBB156_529:
	s_mov_b32 s0, exec_lo
	s_trap 2
	s_branch .LBB156_524
	.section	.rodata,"a",@progbits
	.p2align	6, 0x0
	.amdhsa_kernel _ZN2at6native6sbtopk10gatherTopKIlmLi1ELb0EEEvNS_4cuda6detail10TensorInfoIKT_T0_EES8_S8_bS8_S8_NS5_IS6_S8_EES8_NS5_IlS8_EES8_PS6_
		.amdhsa_group_segment_fixed_size 5152
		.amdhsa_private_segment_fixed_size 0
		.amdhsa_kernarg_size 1568
		.amdhsa_user_sgpr_count 2
		.amdhsa_user_sgpr_dispatch_ptr 0
		.amdhsa_user_sgpr_queue_ptr 0
		.amdhsa_user_sgpr_kernarg_segment_ptr 1
		.amdhsa_user_sgpr_dispatch_id 0
		.amdhsa_user_sgpr_kernarg_preload_length 0
		.amdhsa_user_sgpr_kernarg_preload_offset 0
		.amdhsa_user_sgpr_private_segment_size 0
		.amdhsa_wavefront_size32 1
		.amdhsa_uses_dynamic_stack 0
		.amdhsa_enable_private_segment 0
		.amdhsa_system_sgpr_workgroup_id_x 1
		.amdhsa_system_sgpr_workgroup_id_y 1
		.amdhsa_system_sgpr_workgroup_id_z 1
		.amdhsa_system_sgpr_workgroup_info 0
		.amdhsa_system_vgpr_workitem_id 0
		.amdhsa_next_free_vgpr 67
		.amdhsa_next_free_sgpr 105
		.amdhsa_named_barrier_count 0
		.amdhsa_reserve_vcc 1
		.amdhsa_float_round_mode_32 0
		.amdhsa_float_round_mode_16_64 0
		.amdhsa_float_denorm_mode_32 3
		.amdhsa_float_denorm_mode_16_64 3
		.amdhsa_fp16_overflow 0
		.amdhsa_memory_ordered 1
		.amdhsa_forward_progress 1
		.amdhsa_inst_pref_size 189
		.amdhsa_round_robin_scheduling 0
		.amdhsa_exception_fp_ieee_invalid_op 0
		.amdhsa_exception_fp_denorm_src 0
		.amdhsa_exception_fp_ieee_div_zero 0
		.amdhsa_exception_fp_ieee_overflow 0
		.amdhsa_exception_fp_ieee_underflow 0
		.amdhsa_exception_fp_ieee_inexact 0
		.amdhsa_exception_int_div_zero 0
	.end_amdhsa_kernel
	.section	.text._ZN2at6native6sbtopk10gatherTopKIlmLi1ELb0EEEvNS_4cuda6detail10TensorInfoIKT_T0_EES8_S8_bS8_S8_NS5_IS6_S8_EES8_NS5_IlS8_EES8_PS6_,"axG",@progbits,_ZN2at6native6sbtopk10gatherTopKIlmLi1ELb0EEEvNS_4cuda6detail10TensorInfoIKT_T0_EES8_S8_bS8_S8_NS5_IS6_S8_EES8_NS5_IlS8_EES8_PS6_,comdat
.Lfunc_end156:
	.size	_ZN2at6native6sbtopk10gatherTopKIlmLi1ELb0EEEvNS_4cuda6detail10TensorInfoIKT_T0_EES8_S8_bS8_S8_NS5_IS6_S8_EES8_NS5_IlS8_EES8_PS6_, .Lfunc_end156-_ZN2at6native6sbtopk10gatherTopKIlmLi1ELb0EEEvNS_4cuda6detail10TensorInfoIKT_T0_EES8_S8_bS8_S8_NS5_IS6_S8_EES8_NS5_IlS8_EES8_PS6_
                                        ; -- End function
	.set _ZN2at6native6sbtopk10gatherTopKIlmLi1ELb0EEEvNS_4cuda6detail10TensorInfoIKT_T0_EES8_S8_bS8_S8_NS5_IS6_S8_EES8_NS5_IlS8_EES8_PS6_.num_vgpr, 67
	.set _ZN2at6native6sbtopk10gatherTopKIlmLi1ELb0EEEvNS_4cuda6detail10TensorInfoIKT_T0_EES8_S8_bS8_S8_NS5_IS6_S8_EES8_NS5_IlS8_EES8_PS6_.num_agpr, 0
	.set _ZN2at6native6sbtopk10gatherTopKIlmLi1ELb0EEEvNS_4cuda6detail10TensorInfoIKT_T0_EES8_S8_bS8_S8_NS5_IS6_S8_EES8_NS5_IlS8_EES8_PS6_.numbered_sgpr, 105
	.set _ZN2at6native6sbtopk10gatherTopKIlmLi1ELb0EEEvNS_4cuda6detail10TensorInfoIKT_T0_EES8_S8_bS8_S8_NS5_IS6_S8_EES8_NS5_IlS8_EES8_PS6_.num_named_barrier, 0
	.set _ZN2at6native6sbtopk10gatherTopKIlmLi1ELb0EEEvNS_4cuda6detail10TensorInfoIKT_T0_EES8_S8_bS8_S8_NS5_IS6_S8_EES8_NS5_IlS8_EES8_PS6_.private_seg_size, 0
	.set _ZN2at6native6sbtopk10gatherTopKIlmLi1ELb0EEEvNS_4cuda6detail10TensorInfoIKT_T0_EES8_S8_bS8_S8_NS5_IS6_S8_EES8_NS5_IlS8_EES8_PS6_.uses_vcc, 1
	.set _ZN2at6native6sbtopk10gatherTopKIlmLi1ELb0EEEvNS_4cuda6detail10TensorInfoIKT_T0_EES8_S8_bS8_S8_NS5_IS6_S8_EES8_NS5_IlS8_EES8_PS6_.uses_flat_scratch, 0
	.set _ZN2at6native6sbtopk10gatherTopKIlmLi1ELb0EEEvNS_4cuda6detail10TensorInfoIKT_T0_EES8_S8_bS8_S8_NS5_IS6_S8_EES8_NS5_IlS8_EES8_PS6_.has_dyn_sized_stack, 0
	.set _ZN2at6native6sbtopk10gatherTopKIlmLi1ELb0EEEvNS_4cuda6detail10TensorInfoIKT_T0_EES8_S8_bS8_S8_NS5_IS6_S8_EES8_NS5_IlS8_EES8_PS6_.has_recursion, 0
	.set _ZN2at6native6sbtopk10gatherTopKIlmLi1ELb0EEEvNS_4cuda6detail10TensorInfoIKT_T0_EES8_S8_bS8_S8_NS5_IS6_S8_EES8_NS5_IlS8_EES8_PS6_.has_indirect_call, 0
	.section	.AMDGPU.csdata,"",@progbits
; Kernel info:
; codeLenInByte = 24116
; TotalNumSgprs: 107
; NumVgprs: 67
; ScratchSize: 0
; MemoryBound: 0
; FloatMode: 240
; IeeeMode: 1
; LDSByteSize: 5152 bytes/workgroup (compile time only)
; SGPRBlocks: 0
; VGPRBlocks: 4
; NumSGPRsForWavesPerEU: 107
; NumVGPRsForWavesPerEU: 67
; NamedBarCnt: 0
; Occupancy: 12
; WaveLimiterHint : 1
; COMPUTE_PGM_RSRC2:SCRATCH_EN: 0
; COMPUTE_PGM_RSRC2:USER_SGPR: 2
; COMPUTE_PGM_RSRC2:TRAP_HANDLER: 0
; COMPUTE_PGM_RSRC2:TGID_X_EN: 1
; COMPUTE_PGM_RSRC2:TGID_Y_EN: 1
; COMPUTE_PGM_RSRC2:TGID_Z_EN: 1
; COMPUTE_PGM_RSRC2:TIDIG_COMP_CNT: 0
	.section	.text._ZN2at6native6mbtopk23computeBlockDigitCountsIlmmLi2EEEvNS_4cuda6detail10TensorInfoIKT_T0_EEjPjjS8_iijT1_PSB_Ps,"axG",@progbits,_ZN2at6native6mbtopk23computeBlockDigitCountsIlmmLi2EEEvNS_4cuda6detail10TensorInfoIKT_T0_EEjPjjS8_iijT1_PSB_Ps,comdat
	.protected	_ZN2at6native6mbtopk23computeBlockDigitCountsIlmmLi2EEEvNS_4cuda6detail10TensorInfoIKT_T0_EEjPjjS8_iijT1_PSB_Ps ; -- Begin function _ZN2at6native6mbtopk23computeBlockDigitCountsIlmmLi2EEEvNS_4cuda6detail10TensorInfoIKT_T0_EEjPjjS8_iijT1_PSB_Ps
	.globl	_ZN2at6native6mbtopk23computeBlockDigitCountsIlmmLi2EEEvNS_4cuda6detail10TensorInfoIKT_T0_EEjPjjS8_iijT1_PSB_Ps
	.p2align	8
	.type	_ZN2at6native6mbtopk23computeBlockDigitCountsIlmmLi2EEEvNS_4cuda6detail10TensorInfoIKT_T0_EEjPjjS8_iijT1_PSB_Ps,@function
_ZN2at6native6mbtopk23computeBlockDigitCountsIlmmLi2EEEvNS_4cuda6detail10TensorInfoIKT_T0_EEjPjjS8_iijT1_PSB_Ps: ; @_ZN2at6native6mbtopk23computeBlockDigitCountsIlmmLi2EEEvNS_4cuda6detail10TensorInfoIKT_T0_EEjPjjS8_iijT1_PSB_Ps
; %bb.0:
	s_load_b96 s[8:10], s[0:1], 0x1c0
	s_bfe_u32 s2, ttmp6, 0x40010
	s_and_b32 s4, ttmp7, 0xffff
	s_add_co_i32 s5, s2, 1
	s_bfe_u32 s6, ttmp6, 0x40004
	s_mul_i32 s5, s4, s5
	s_load_b64 s[2:3], s[0:1], 0x1e8
	s_add_co_i32 s6, s6, s5
	s_bfe_u32 s7, ttmp6, 0x4000c
	s_bfe_u32 s12, ttmp6, 0x40014
	s_add_co_i32 s7, s7, 1
	s_and_b32 s11, ttmp6, 15
	s_mul_i32 s7, ttmp9, s7
	s_add_co_i32 s12, s12, 1
	s_add_co_i32 s11, s11, s7
	s_getreg_b32 s13, hwreg(HW_REG_IB_STS2, 6, 4)
	s_mov_b32 s15, 0
	s_wait_kmcnt 0x0
	s_cvt_f32_u32 s5, s10
	s_delay_alu instid0(SALU_CYCLE_3) | instskip(SKIP_1) | instid1(SALU_CYCLE_1)
	v_rcp_iflag_f32_e32 v1, s5
	s_lshr_b32 s5, ttmp7, 16
	s_mul_i32 s7, s5, s12
	s_bfe_u32 s12, ttmp6, 0x40008
	s_delay_alu instid0(SALU_CYCLE_1) | instskip(SKIP_1) | instid1(TRANS32_DEP_1)
	s_add_co_i32 s12, s12, s7
	v_nop
	v_readfirstlane_b32 s14, v1
	s_cmp_eq_u32 s13, 0
	s_cselect_b32 s5, s5, s12
	s_load_b32 s12, s[0:1], 0x1b0
	s_mul_f32 s7, s14, 0x4f7ffffe
	s_mul_i32 s3, s3, s5
	s_cselect_b32 s5, ttmp9, s11
	s_cselect_b32 s4, s4, s6
	s_cvt_u32_f32 s7, s7
	s_sub_co_i32 s6, 0, s10
	s_add_co_i32 s3, s3, s4
	s_delay_alu instid0(SALU_CYCLE_1) | instskip(SKIP_3) | instid1(SALU_CYCLE_1)
	s_mul_i32 s22, s3, s2
	s_mul_i32 s6, s6, s7
	s_add_co_i32 s22, s22, s5
	s_mul_hi_u32 s2, s7, s6
	s_add_co_i32 s7, s7, s2
	s_delay_alu instid0(SALU_CYCLE_1) | instskip(NEXT) | instid1(SALU_CYCLE_1)
	s_mul_hi_u32 s2, s22, s7
	s_mul_i32 s3, s2, s10
	s_add_co_i32 s4, s2, 1
	s_sub_co_i32 s3, s22, s3
	s_delay_alu instid0(SALU_CYCLE_1)
	s_sub_co_i32 s5, s3, s10
	s_cmp_ge_u32 s3, s10
	s_cselect_b32 s2, s4, s2
	s_cselect_b32 s3, s5, s3
	s_add_co_i32 s4, s2, 1
	s_cmp_ge_u32 s3, s10
	s_cselect_b32 s14, s4, s2
	s_wait_kmcnt 0x0
	s_cmp_ge_u32 s14, s12
	s_cbranch_scc1 .LBB157_23
; %bb.1:
	s_clause 0x2
	s_load_b64 s[16:17], s[0:1], 0x10
	s_load_b128 s[4:7], s[0:1], 0x1d0
	s_load_b64 s[2:3], s[0:1], 0x1e0
	s_mov_b64 s[18:19], 0
	s_wait_kmcnt 0x0
	v_cmp_lt_u64_e64 s11, s[14:15], s[16:17]
	s_and_b32 vcc_lo, exec_lo, s11
	s_cbranch_vccnz .LBB157_3
; %bb.2:
	v_cvt_f32_u32_e32 v1, s16
	s_sub_co_i32 s12, 0, s16
	s_mov_b32 s19, 0
	s_delay_alu instid0(VALU_DEP_1) | instskip(SKIP_1) | instid1(TRANS32_DEP_1)
	v_rcp_iflag_f32_e32 v1, v1
	v_nop
	v_mul_f32_e32 v1, 0x4f7ffffe, v1
	s_delay_alu instid0(VALU_DEP_1) | instskip(NEXT) | instid1(VALU_DEP_1)
	v_cvt_u32_f32_e32 v1, v1
	v_readfirstlane_b32 s11, v1
	s_mul_i32 s12, s12, s11
	s_delay_alu instid0(SALU_CYCLE_1) | instskip(NEXT) | instid1(SALU_CYCLE_1)
	s_mul_hi_u32 s12, s11, s12
	s_add_co_i32 s11, s11, s12
	s_delay_alu instid0(SALU_CYCLE_1) | instskip(NEXT) | instid1(SALU_CYCLE_1)
	s_mul_hi_u32 s11, s14, s11
	s_mul_i32 s12, s11, s16
	s_add_co_i32 s13, s11, 1
	s_sub_co_i32 s12, s14, s12
	s_delay_alu instid0(SALU_CYCLE_1)
	s_sub_co_i32 s18, s12, s16
	s_cmp_ge_u32 s12, s16
	s_cselect_b32 s11, s13, s11
	s_cselect_b32 s12, s18, s12
	s_add_co_i32 s13, s11, 1
	s_cmp_ge_u32 s12, s16
	s_cselect_b32 s18, s13, s11
.LBB157_3:
	v_cmp_gt_u32_e32 vcc_lo, 0x100, v0
	v_lshlrev_b32_e32 v1, 2, v0
	s_and_saveexec_b32 s11, vcc_lo
; %bb.4:
	v_mov_b32_e32 v2, 0
	ds_store_b32 v1, v2
; %bb.5:
	s_or_b32 exec_lo, exec_lo, s11
	s_load_b32 s23, s[0:1], 0x1a0
	s_mul_i32 s11, s14, s10
	s_mov_b32 s21, 0
	s_sub_co_i32 s11, s22, s11
	s_wait_dscnt 0x0
	s_mul_i32 s12, s9, s11
	s_add_co_i32 s11, s11, 1
	s_lshl_b32 s24, s12, 8
	s_barrier_signal -1
	s_barrier_wait -1
	s_wait_kmcnt 0x0
	s_sub_co_i32 s20, s23, s24
	s_delay_alu instid0(SALU_CYCLE_1) | instskip(NEXT) | instid1(SALU_CYCLE_1)
	s_add_nc_u64 s[12:13], s[20:21], 0xff
	s_lshr_b64 s[12:13], s[12:13], 8
	s_cmp_lt_u32 s11, s10
	s_cselect_b32 s9, s9, s12
	s_delay_alu instid0(SALU_CYCLE_1)
	s_cmp_lt_i32 s9, 1
	s_cbranch_scc1 .LBB157_21
; %bb.6:
	s_clause 0x1
	s_load_b128 s[28:31], s[0:1], 0xd0
	s_load_b64 s[26:27], s[0:1], 0x0
	s_load_b64 s[10:11], s[6:7], s14 offset:0x0 scale_offset
	s_load_b64 s[12:13], s[0:1], 0x1b8
	s_wait_xcnt 0x0
	s_mul_u64 s[0:1], s[18:19], s[16:17]
	v_add_nc_u32_e32 v6, s24, v0
	s_sub_nc_u64 s[0:1], s[14:15], s[0:1]
	s_wait_kmcnt 0x0
	s_mul_u64 s[6:7], s[18:19], s[28:29]
	s_mul_u64 s[0:1], s[0:1], s[30:31]
	s_lshl_b64 s[6:7], s[6:7], 3
	s_lshl_b64 s[14:15], s[0:1], 3
	s_add_nc_u64 s[6:7], s[26:27], s[6:7]
	s_and_b32 s1, s8, 0xff
	s_cmp_eq_u32 s9, 1
	s_add_nc_u64 s[6:7], s[6:7], s[14:15]
	s_cbranch_scc1 .LBB157_16
; %bb.7:
	v_dual_mov_b32 v3, 0 :: v_dual_mov_b32 v7, 1
	v_mov_b32_e32 v2, v6
	s_and_b32 s8, s9, 0x7ffffffe
	s_mov_b32 s14, 0
	s_branch .LBB157_9
.LBB157_8:                              ;   in Loop: Header=BB157_9 Depth=1
	s_or_b32 exec_lo, exec_lo, s15
	v_add_nc_u32_e32 v2, 0x200, v2
	s_add_co_i32 s14, s14, 2
	s_delay_alu instid0(SALU_CYCLE_1)
	s_cmp_eq_u32 s8, s14
	s_cbranch_scc1 .LBB157_15
.LBB157_9:                              ; =>This Inner Loop Header: Depth=1
	s_mov_b32 s15, exec_lo
	v_cmpx_gt_u32_e64 s23, v2
	s_cbranch_execz .LBB157_12
; %bb.10:                               ;   in Loop: Header=BB157_9 Depth=1
	v_mul_u64_e32 v[4:5], s[12:13], v[2:3]
	s_delay_alu instid0(VALU_DEP_1)
	v_lshl_add_u64 v[4:5], v[4:5], 3, s[6:7]
	global_load_b64 v[4:5], v[4:5], off
	s_wait_loadcnt 0x0
	s_wait_xcnt 0x0
	v_xor_b32_e32 v5, 0x80000000, v5
	v_xor_b32_e32 v10, s10, v4
	s_delay_alu instid0(VALU_DEP_2) | instskip(NEXT) | instid1(VALU_DEP_1)
	v_xor_b32_e32 v8, s11, v5
	v_and_b32_e32 v9, s5, v8
	s_delay_alu instid0(VALU_DEP_3) | instskip(NEXT) | instid1(VALU_DEP_1)
	v_and_b32_e32 v8, s4, v10
	v_cmp_eq_u64_e64 s0, 0, v[8:9]
	s_and_b32 exec_lo, exec_lo, s0
	s_cbranch_execz .LBB157_12
; %bb.11:                               ;   in Loop: Header=BB157_9 Depth=1
	v_lshrrev_b64 v[4:5], s1, v[4:5]
	s_delay_alu instid0(VALU_DEP_1) | instskip(NEXT) | instid1(VALU_DEP_1)
	v_and_b32_e32 v4, 0xff, v4
	v_lshlrev_b32_e32 v4, 2, v4
	ds_add_u32 v4, v7
.LBB157_12:                             ;   in Loop: Header=BB157_9 Depth=1
	s_or_b32 exec_lo, exec_lo, s15
	v_add_nc_u32_e32 v4, 0x100, v2
	s_mov_b32 s15, exec_lo
	s_delay_alu instid0(VALU_DEP_1)
	v_cmpx_gt_u32_e64 s23, v4
	s_cbranch_execz .LBB157_8
; %bb.13:                               ;   in Loop: Header=BB157_9 Depth=1
	v_mov_b32_e32 v5, v3
	s_delay_alu instid0(VALU_DEP_1) | instskip(NEXT) | instid1(VALU_DEP_1)
	v_mul_u64_e32 v[4:5], s[12:13], v[4:5]
	v_lshl_add_u64 v[4:5], v[4:5], 3, s[6:7]
	global_load_b64 v[4:5], v[4:5], off
	s_wait_loadcnt 0x0
	v_xor_b32_e32 v5, 0x80000000, v5
	v_xor_b32_e32 v10, s10, v4
	s_delay_alu instid0(VALU_DEP_2) | instskip(NEXT) | instid1(VALU_DEP_1)
	v_xor_b32_e32 v8, s11, v5
	v_and_b32_e32 v9, s5, v8
	s_delay_alu instid0(VALU_DEP_3) | instskip(NEXT) | instid1(VALU_DEP_1)
	v_and_b32_e32 v8, s4, v10
	v_cmp_eq_u64_e64 s0, 0, v[8:9]
	s_and_b32 exec_lo, exec_lo, s0
	s_cbranch_execz .LBB157_8
; %bb.14:                               ;   in Loop: Header=BB157_9 Depth=1
	v_lshrrev_b64 v[4:5], s1, v[4:5]
	s_delay_alu instid0(VALU_DEP_1) | instskip(NEXT) | instid1(VALU_DEP_1)
	v_and_b32_e32 v4, 0xff, v4
	v_lshlrev_b32_e32 v4, 2, v4
	ds_add_u32 v4, v7
	s_branch .LBB157_8
.LBB157_15:
	s_lshl_b32 s21, s8, 8
.LBB157_16:
	s_bitcmp0_b32 s9, 0
	s_cbranch_scc1 .LBB157_21
; %bb.17:
	v_add_nc_u32_e32 v2, s21, v6
	s_mov_b32 s8, exec_lo
	s_delay_alu instid0(VALU_DEP_1)
	v_cmpx_gt_u32_e64 s23, v2
	s_cbranch_execz .LBB157_20
; %bb.18:
	v_mov_b32_e32 v3, 0
	s_delay_alu instid0(VALU_DEP_1) | instskip(NEXT) | instid1(VALU_DEP_1)
	v_mul_u64_e32 v[2:3], s[12:13], v[2:3]
	v_lshl_add_u64 v[2:3], v[2:3], 3, s[6:7]
	global_load_b64 v[2:3], v[2:3], off
	s_wait_loadcnt 0x0
	v_xor_b32_e32 v3, 0x80000000, v3
	v_xor_b32_e32 v6, s10, v2
	s_delay_alu instid0(VALU_DEP_2) | instskip(NEXT) | instid1(VALU_DEP_1)
	v_xor_b32_e32 v4, s11, v3
	v_and_b32_e32 v5, s5, v4
	s_delay_alu instid0(VALU_DEP_3) | instskip(NEXT) | instid1(VALU_DEP_1)
	v_and_b32_e32 v4, s4, v6
	v_cmp_eq_u64_e64 s0, 0, v[4:5]
	s_and_b32 exec_lo, exec_lo, s0
	s_cbranch_execz .LBB157_20
; %bb.19:
	v_lshrrev_b64 v[2:3], s1, v[2:3]
	v_mov_b32_e32 v3, 1
	s_delay_alu instid0(VALU_DEP_2) | instskip(NEXT) | instid1(VALU_DEP_1)
	v_and_b32_e32 v2, 0xff, v2
	v_lshlrev_b32_e32 v2, 2, v2
	ds_add_u32 v2, v3
.LBB157_20:
	s_or_b32 exec_lo, exec_lo, s8
.LBB157_21:
	s_wait_dscnt 0x0
	s_barrier_signal -1
	s_barrier_wait -1
	s_and_saveexec_b32 s0, vcc_lo
	s_cbranch_execz .LBB157_23
; %bb.22:
	ds_load_b32 v1, v1
	v_lshl_or_b32 v0, s22, 8, v0
	s_wait_dscnt 0x0
	global_store_b16 v0, v1, s[2:3] scale_offset
.LBB157_23:
	s_endpgm
	.section	.rodata,"a",@progbits
	.p2align	6, 0x0
	.amdhsa_kernel _ZN2at6native6mbtopk23computeBlockDigitCountsIlmmLi2EEEvNS_4cuda6detail10TensorInfoIKT_T0_EEjPjjS8_iijT1_PSB_Ps
		.amdhsa_group_segment_fixed_size 1024
		.amdhsa_private_segment_fixed_size 0
		.amdhsa_kernarg_size 744
		.amdhsa_user_sgpr_count 2
		.amdhsa_user_sgpr_dispatch_ptr 0
		.amdhsa_user_sgpr_queue_ptr 0
		.amdhsa_user_sgpr_kernarg_segment_ptr 1
		.amdhsa_user_sgpr_dispatch_id 0
		.amdhsa_user_sgpr_kernarg_preload_length 0
		.amdhsa_user_sgpr_kernarg_preload_offset 0
		.amdhsa_user_sgpr_private_segment_size 0
		.amdhsa_wavefront_size32 1
		.amdhsa_uses_dynamic_stack 0
		.amdhsa_enable_private_segment 0
		.amdhsa_system_sgpr_workgroup_id_x 1
		.amdhsa_system_sgpr_workgroup_id_y 1
		.amdhsa_system_sgpr_workgroup_id_z 1
		.amdhsa_system_sgpr_workgroup_info 0
		.amdhsa_system_vgpr_workitem_id 0
		.amdhsa_next_free_vgpr 11
		.amdhsa_next_free_sgpr 32
		.amdhsa_named_barrier_count 0
		.amdhsa_reserve_vcc 1
		.amdhsa_float_round_mode_32 0
		.amdhsa_float_round_mode_16_64 0
		.amdhsa_float_denorm_mode_32 3
		.amdhsa_float_denorm_mode_16_64 3
		.amdhsa_fp16_overflow 0
		.amdhsa_memory_ordered 1
		.amdhsa_forward_progress 1
		.amdhsa_inst_pref_size 10
		.amdhsa_round_robin_scheduling 0
		.amdhsa_exception_fp_ieee_invalid_op 0
		.amdhsa_exception_fp_denorm_src 0
		.amdhsa_exception_fp_ieee_div_zero 0
		.amdhsa_exception_fp_ieee_overflow 0
		.amdhsa_exception_fp_ieee_underflow 0
		.amdhsa_exception_fp_ieee_inexact 0
		.amdhsa_exception_int_div_zero 0
	.end_amdhsa_kernel
	.section	.text._ZN2at6native6mbtopk23computeBlockDigitCountsIlmmLi2EEEvNS_4cuda6detail10TensorInfoIKT_T0_EEjPjjS8_iijT1_PSB_Ps,"axG",@progbits,_ZN2at6native6mbtopk23computeBlockDigitCountsIlmmLi2EEEvNS_4cuda6detail10TensorInfoIKT_T0_EEjPjjS8_iijT1_PSB_Ps,comdat
.Lfunc_end157:
	.size	_ZN2at6native6mbtopk23computeBlockDigitCountsIlmmLi2EEEvNS_4cuda6detail10TensorInfoIKT_T0_EEjPjjS8_iijT1_PSB_Ps, .Lfunc_end157-_ZN2at6native6mbtopk23computeBlockDigitCountsIlmmLi2EEEvNS_4cuda6detail10TensorInfoIKT_T0_EEjPjjS8_iijT1_PSB_Ps
                                        ; -- End function
	.set _ZN2at6native6mbtopk23computeBlockDigitCountsIlmmLi2EEEvNS_4cuda6detail10TensorInfoIKT_T0_EEjPjjS8_iijT1_PSB_Ps.num_vgpr, 11
	.set _ZN2at6native6mbtopk23computeBlockDigitCountsIlmmLi2EEEvNS_4cuda6detail10TensorInfoIKT_T0_EEjPjjS8_iijT1_PSB_Ps.num_agpr, 0
	.set _ZN2at6native6mbtopk23computeBlockDigitCountsIlmmLi2EEEvNS_4cuda6detail10TensorInfoIKT_T0_EEjPjjS8_iijT1_PSB_Ps.numbered_sgpr, 32
	.set _ZN2at6native6mbtopk23computeBlockDigitCountsIlmmLi2EEEvNS_4cuda6detail10TensorInfoIKT_T0_EEjPjjS8_iijT1_PSB_Ps.num_named_barrier, 0
	.set _ZN2at6native6mbtopk23computeBlockDigitCountsIlmmLi2EEEvNS_4cuda6detail10TensorInfoIKT_T0_EEjPjjS8_iijT1_PSB_Ps.private_seg_size, 0
	.set _ZN2at6native6mbtopk23computeBlockDigitCountsIlmmLi2EEEvNS_4cuda6detail10TensorInfoIKT_T0_EEjPjjS8_iijT1_PSB_Ps.uses_vcc, 1
	.set _ZN2at6native6mbtopk23computeBlockDigitCountsIlmmLi2EEEvNS_4cuda6detail10TensorInfoIKT_T0_EEjPjjS8_iijT1_PSB_Ps.uses_flat_scratch, 0
	.set _ZN2at6native6mbtopk23computeBlockDigitCountsIlmmLi2EEEvNS_4cuda6detail10TensorInfoIKT_T0_EEjPjjS8_iijT1_PSB_Ps.has_dyn_sized_stack, 0
	.set _ZN2at6native6mbtopk23computeBlockDigitCountsIlmmLi2EEEvNS_4cuda6detail10TensorInfoIKT_T0_EEjPjjS8_iijT1_PSB_Ps.has_recursion, 0
	.set _ZN2at6native6mbtopk23computeBlockDigitCountsIlmmLi2EEEvNS_4cuda6detail10TensorInfoIKT_T0_EEjPjjS8_iijT1_PSB_Ps.has_indirect_call, 0
	.section	.AMDGPU.csdata,"",@progbits
; Kernel info:
; codeLenInByte = 1220
; TotalNumSgprs: 34
; NumVgprs: 11
; ScratchSize: 0
; MemoryBound: 0
; FloatMode: 240
; IeeeMode: 1
; LDSByteSize: 1024 bytes/workgroup (compile time only)
; SGPRBlocks: 0
; VGPRBlocks: 0
; NumSGPRsForWavesPerEU: 34
; NumVGPRsForWavesPerEU: 11
; NamedBarCnt: 0
; Occupancy: 16
; WaveLimiterHint : 1
; COMPUTE_PGM_RSRC2:SCRATCH_EN: 0
; COMPUTE_PGM_RSRC2:USER_SGPR: 2
; COMPUTE_PGM_RSRC2:TRAP_HANDLER: 0
; COMPUTE_PGM_RSRC2:TGID_X_EN: 1
; COMPUTE_PGM_RSRC2:TGID_Y_EN: 1
; COMPUTE_PGM_RSRC2:TGID_Z_EN: 1
; COMPUTE_PGM_RSRC2:TIDIG_COMP_CNT: 0
	.section	.text._ZN2at6native6mbtopk10gatherTopKIlmLi2EEEvNS_4cuda6detail10TensorInfoIKT_T0_EES8_S8_bjS8_NS5_IS6_S8_EES8_NS5_IlS8_EES8_jjPS6_PjSD_j,"axG",@progbits,_ZN2at6native6mbtopk10gatherTopKIlmLi2EEEvNS_4cuda6detail10TensorInfoIKT_T0_EES8_S8_bjS8_NS5_IS6_S8_EES8_NS5_IlS8_EES8_jjPS6_PjSD_j,comdat
	.protected	_ZN2at6native6mbtopk10gatherTopKIlmLi2EEEvNS_4cuda6detail10TensorInfoIKT_T0_EES8_S8_bjS8_NS5_IS6_S8_EES8_NS5_IlS8_EES8_jjPS6_PjSD_j ; -- Begin function _ZN2at6native6mbtopk10gatherTopKIlmLi2EEEvNS_4cuda6detail10TensorInfoIKT_T0_EES8_S8_bjS8_NS5_IS6_S8_EES8_NS5_IlS8_EES8_jjPS6_PjSD_j
	.globl	_ZN2at6native6mbtopk10gatherTopKIlmLi2EEEvNS_4cuda6detail10TensorInfoIKT_T0_EES8_S8_bjS8_NS5_IS6_S8_EES8_NS5_IlS8_EES8_jjPS6_PjSD_j
	.p2align	8
	.type	_ZN2at6native6mbtopk10gatherTopKIlmLi2EEEvNS_4cuda6detail10TensorInfoIKT_T0_EES8_S8_bjS8_NS5_IS6_S8_EES8_NS5_IlS8_EES8_jjPS6_PjSD_j,@function
_ZN2at6native6mbtopk10gatherTopKIlmLi2EEEvNS_4cuda6detail10TensorInfoIKT_T0_EES8_S8_bjS8_NS5_IS6_S8_EES8_NS5_IlS8_EES8_jjPS6_PjSD_j: ; @_ZN2at6native6mbtopk10gatherTopKIlmLi2EEEvNS_4cuda6detail10TensorInfoIKT_T0_EES8_S8_bjS8_NS5_IS6_S8_EES8_NS5_IlS8_EES8_jjPS6_PjSD_j
; %bb.0:
	s_bfe_u32 s2, ttmp6, 0x40010
	s_and_b32 s4, ttmp7, 0xffff
	s_add_co_i32 s5, s2, 1
	s_clause 0x1
	s_load_b32 s6, s[0:1], 0x530
	s_load_b64 s[2:3], s[0:1], 0x538
	s_bfe_u32 s8, ttmp6, 0x4000c
	s_mul_i32 s5, s4, s5
	s_bfe_u32 s7, ttmp6, 0x40004
	s_add_co_i32 s8, s8, 1
	s_bfe_u32 s9, ttmp6, 0x40014
	s_add_co_i32 s7, s7, s5
	s_and_b32 s5, ttmp6, 15
	s_mul_i32 s8, ttmp9, s8
	s_lshr_b32 s10, ttmp7, 16
	s_add_co_i32 s9, s9, 1
	s_add_co_i32 s5, s5, s8
	s_mul_i32 s8, s10, s9
	s_bfe_u32 s9, ttmp6, 0x40008
	s_getreg_b32 s11, hwreg(HW_REG_IB_STS2, 6, 4)
	s_add_co_i32 s9, s9, s8
	s_cmp_eq_u32 s11, 0
	s_cselect_b32 s8, s10, s9
	s_cselect_b32 s4, s4, s7
	s_wait_kmcnt 0x0
	s_mul_i32 s3, s3, s8
	s_cselect_b32 s5, ttmp9, s5
	s_add_co_i32 s3, s3, s4
	s_delay_alu instid0(SALU_CYCLE_1) | instskip(NEXT) | instid1(SALU_CYCLE_1)
	s_mul_i32 s2, s3, s2
	s_add_co_i32 s2, s2, s5
	s_delay_alu instid0(SALU_CYCLE_1)
	s_cmp_ge_u32 s2, s6
	s_cbranch_scc1 .LBB158_48
; %bb.1:
	s_load_b64 s[28:29], s[0:1], 0x510
	s_wait_kmcnt 0x0
	s_cvt_f32_u32 s3, s29
	s_sub_co_i32 s4, 0, s29
	s_lshl_b32 s33, s28, 8
	s_delay_alu instid0(SALU_CYCLE_1) | instskip(SKIP_1) | instid1(TRANS32_DEP_1)
	v_rcp_iflag_f32_e32 v1, s3
	v_nop
	v_readfirstlane_b32 s3, v1
	s_mul_f32 s3, s3, 0x4f7ffffe
	s_delay_alu instid0(SALU_CYCLE_3) | instskip(NEXT) | instid1(SALU_CYCLE_3)
	s_cvt_u32_f32 s3, s3
	s_mul_i32 s4, s4, s3
	s_delay_alu instid0(SALU_CYCLE_1) | instskip(NEXT) | instid1(SALU_CYCLE_1)
	s_mul_hi_u32 s4, s3, s4
	s_add_co_i32 s3, s3, s4
	s_clause 0x1
	s_load_b128 s[4:7], s[0:1], 0x1a0
	s_load_b64 s[36:37], s[0:1], 0x10
	s_mul_hi_u32 s3, s2, s3
	s_delay_alu instid0(SALU_CYCLE_1) | instskip(SKIP_2) | instid1(SALU_CYCLE_1)
	s_mul_i32 s8, s3, s29
	s_add_co_i32 s9, s3, 1
	s_sub_co_i32 s8, s2, s8
	s_sub_co_i32 s10, s8, s29
	s_cmp_ge_u32 s8, s29
	s_cselect_b32 s3, s9, s3
	s_cselect_b32 s8, s10, s8
	s_add_co_i32 s9, s3, 1
	s_cmp_ge_u32 s8, s29
	s_cselect_b32 s34, s9, s3
	s_delay_alu instid0(SALU_CYCLE_1) | instskip(NEXT) | instid1(SALU_CYCLE_1)
	s_mul_i32 s16, s34, s29
	s_sub_co_i32 s50, s2, s16
	s_delay_alu instid0(SALU_CYCLE_1) | instskip(NEXT) | instid1(SALU_CYCLE_1)
	s_add_co_i32 s2, s50, 1
	s_cmp_lt_u32 s2, s29
	s_cbranch_scc1 .LBB158_3
; %bb.2:
	s_mul_i32 s2, s50, s33
	s_mov_b32 s3, 0
	s_wait_kmcnt 0x0
	s_sub_nc_u64 s[8:9], s[4:5], s[2:3]
	s_delay_alu instid0(SALU_CYCLE_1) | instskip(NEXT) | instid1(SALU_CYCLE_1)
	s_add_nc_u64 s[8:9], s[8:9], 0xff
	s_ashr_i32 s2, s9, 31
	s_delay_alu instid0(SALU_CYCLE_1) | instskip(NEXT) | instid1(SALU_CYCLE_1)
	s_lshr_b32 s2, s2, 24
	s_add_nc_u64 s[2:3], s[8:9], s[2:3]
	s_delay_alu instid0(SALU_CYCLE_1) | instskip(NEXT) | instid1(SALU_CYCLE_1)
	s_lshr_b64 s[2:3], s[2:3], 8
	s_mov_b32 s28, s2
.LBB158_3:
	s_load_b64 s[40:41], s[0:1], 0x1d0
	s_mov_b32 s35, 0
	s_mov_b64 s[44:45], 0
	s_wait_kmcnt 0x0
	v_cmp_lt_u64_e64 s2, s[34:35], s[36:37]
	s_mov_b64 s[38:39], 0
	s_and_b32 vcc_lo, exec_lo, s2
	s_cbranch_vccz .LBB158_20
; %bb.4:
	s_load_b64 s[42:43], s[0:1], 0x378
	v_cmp_lt_u64_e64 s2, s[34:35], s[40:41]
	s_and_b32 vcc_lo, exec_lo, s2
	s_cbranch_vccz .LBB158_21
.LBB158_5:
	s_wait_kmcnt 0x0
	v_cmp_lt_u64_e64 s2, s[34:35], s[42:43]
	s_mov_b64 s[46:47], 0
	s_and_b32 vcc_lo, exec_lo, s2
	s_cbranch_vccnz .LBB158_7
.LBB158_6:
	v_cvt_f32_u32_e32 v1, s42
	s_sub_co_i32 s3, 0, s42
	s_mov_b32 s47, 0
	s_delay_alu instid0(VALU_DEP_1) | instskip(SKIP_1) | instid1(TRANS32_DEP_1)
	v_rcp_iflag_f32_e32 v1, v1
	v_nop
	v_mul_f32_e32 v1, 0x4f7ffffe, v1
	s_delay_alu instid0(VALU_DEP_1) | instskip(NEXT) | instid1(VALU_DEP_1)
	v_cvt_u32_f32_e32 v1, v1
	v_readfirstlane_b32 s2, v1
	s_mul_i32 s3, s3, s2
	s_delay_alu instid0(SALU_CYCLE_1) | instskip(NEXT) | instid1(SALU_CYCLE_1)
	s_mul_hi_u32 s3, s2, s3
	s_add_co_i32 s2, s2, s3
	s_delay_alu instid0(SALU_CYCLE_1) | instskip(NEXT) | instid1(SALU_CYCLE_1)
	s_mul_hi_u32 s2, s34, s2
	s_mul_i32 s3, s2, s42
	s_add_co_i32 s8, s2, 1
	s_sub_co_i32 s3, s34, s3
	s_delay_alu instid0(SALU_CYCLE_1)
	s_sub_co_i32 s9, s3, s42
	s_cmp_ge_u32 s3, s42
	s_cselect_b32 s2, s8, s2
	s_cselect_b32 s3, s9, s3
	s_add_co_i32 s8, s2, 1
	s_cmp_ge_u32 s3, s42
	s_cselect_b32 s46, s8, s2
.LBB158_7:
	s_load_b128 s[8:11], s[0:1], 0x518
	s_lshl_b64 s[2:3], s[34:35], 3
	s_mov_b32 s17, 0
	s_wait_kmcnt 0x0
	s_add_nc_u64 s[2:3], s[8:9], s[2:3]
	s_load_b64 s[30:31], s[2:3], 0x0
	s_wait_xcnt 0x0
	v_cmp_ne_u32_e64 s2, 0, v0
	v_cmp_eq_u32_e64 s3, 0, v0
	s_and_saveexec_b32 s24, s3
	s_cbranch_execz .LBB158_25
; %bb.8:
	s_load_b64 s[18:19], s[0:1], 0x528
	s_lshl_b64 s[20:21], s[16:17], 2
	s_cmp_lt_u32 s29, 4
	s_cbranch_scc1 .LBB158_22
; %bb.9:
	s_mov_b64 s[8:9], 0
	s_mov_b32 s16, 0
.LBB158_10:                             ; =>This Inner Loop Header: Depth=1
	s_add_nc_u64 s[22:23], s[10:11], s[20:21]
	s_cmp_ge_u32 s16, s50
	s_load_b128 s[12:15], s[22:23], 0x0
	s_wait_kmcnt 0x0
	s_add_nc_u64 s[22:23], s[18:19], s[20:21]
	s_cbranch_scc0 .LBB158_17
; %bb.11:                               ;   in Loop: Header=BB158_10 Depth=1
	s_add_co_i32 s25, s16, 1
	s_delay_alu instid0(SALU_CYCLE_1)
	s_cmp_ge_u32 s25, s50
	s_cbranch_scc0 .LBB158_18
.LBB158_12:                             ;   in Loop: Header=BB158_10 Depth=1
	s_add_co_i32 s25, s25, 1
	s_delay_alu instid0(SALU_CYCLE_1)
	s_cmp_ge_u32 s25, s50
	s_cbranch_scc0 .LBB158_19
.LBB158_13:                             ;   in Loop: Header=BB158_10 Depth=1
	s_add_co_i32 s25, s25, 1
	s_delay_alu instid0(SALU_CYCLE_1)
	s_cmp_ge_u32 s25, s50
	s_cbranch_scc1 .LBB158_15
.LBB158_14:                             ;   in Loop: Header=BB158_10 Depth=1
	s_load_b32 s22, s[22:23], 0xc
	s_add_co_i32 s9, s15, s9
	s_wait_kmcnt 0x0
	s_add_co_i32 s8, s22, s8
.LBB158_15:                             ;   in Loop: Header=BB158_10 Depth=1
	s_add_co_i32 s12, s12, s17
	s_add_nc_u64 s[10:11], s[10:11], 16
	s_add_co_i32 s12, s12, s13
	s_add_co_i32 s13, s25, 4
	;; [unrolled: 1-line block ×3, first 2 shown]
	s_add_nc_u64 s[18:19], s[18:19], 16
	s_add_co_i32 s17, s12, s15
	s_add_co_i32 s12, s25, 1
	s_cmp_ge_u32 s13, s29
	s_cbranch_scc1 .LBB158_23
; %bb.16:                               ;   in Loop: Header=BB158_10 Depth=1
	s_mov_b32 s16, s12
	s_branch .LBB158_10
.LBB158_17:                             ;   in Loop: Header=BB158_10 Depth=1
	s_load_b32 s25, s[22:23], 0x0
	s_add_co_i32 s9, s12, s9
	s_wait_kmcnt 0x0
	s_add_co_i32 s8, s25, s8
	s_add_co_i32 s25, s16, 1
	s_delay_alu instid0(SALU_CYCLE_1)
	s_cmp_ge_u32 s25, s50
	s_cbranch_scc1 .LBB158_12
.LBB158_18:                             ;   in Loop: Header=BB158_10 Depth=1
	s_load_b32 s26, s[22:23], 0x4
	s_add_co_i32 s9, s13, s9
	s_wait_kmcnt 0x0
	s_add_co_i32 s8, s26, s8
	s_add_co_i32 s25, s25, 1
	s_delay_alu instid0(SALU_CYCLE_1)
	s_cmp_ge_u32 s25, s50
	s_cbranch_scc1 .LBB158_13
.LBB158_19:                             ;   in Loop: Header=BB158_10 Depth=1
	s_load_b32 s26, s[22:23], 0x8
	s_add_co_i32 s9, s14, s9
	s_wait_kmcnt 0x0
	s_add_co_i32 s8, s26, s8
	s_add_co_i32 s25, s25, 1
	s_delay_alu instid0(SALU_CYCLE_1)
	s_cmp_ge_u32 s25, s50
	s_cbranch_scc0 .LBB158_14
	s_branch .LBB158_15
.LBB158_20:
	v_cvt_f32_u32_e32 v1, s36
	s_sub_co_i32 s3, 0, s36
	s_mov_b32 s39, s35
	s_delay_alu instid0(VALU_DEP_1) | instskip(SKIP_1) | instid1(TRANS32_DEP_1)
	v_rcp_iflag_f32_e32 v1, v1
	v_nop
	v_mul_f32_e32 v1, 0x4f7ffffe, v1
	s_delay_alu instid0(VALU_DEP_1) | instskip(NEXT) | instid1(VALU_DEP_1)
	v_cvt_u32_f32_e32 v1, v1
	v_readfirstlane_b32 s2, v1
	s_mul_i32 s3, s3, s2
	s_delay_alu instid0(SALU_CYCLE_1) | instskip(NEXT) | instid1(SALU_CYCLE_1)
	s_mul_hi_u32 s3, s2, s3
	s_add_co_i32 s2, s2, s3
	s_delay_alu instid0(SALU_CYCLE_1) | instskip(NEXT) | instid1(SALU_CYCLE_1)
	s_mul_hi_u32 s2, s34, s2
	s_mul_i32 s3, s2, s36
	s_add_co_i32 s8, s2, 1
	s_sub_co_i32 s3, s34, s3
	s_delay_alu instid0(SALU_CYCLE_1)
	s_sub_co_i32 s9, s3, s36
	s_cmp_ge_u32 s3, s36
	s_cselect_b32 s2, s8, s2
	s_cselect_b32 s3, s9, s3
	s_add_co_i32 s8, s2, 1
	s_cmp_ge_u32 s3, s36
	s_cselect_b32 s38, s8, s2
	s_load_b64 s[42:43], s[0:1], 0x378
	v_cmp_lt_u64_e64 s2, s[34:35], s[40:41]
	s_and_b32 vcc_lo, exec_lo, s2
	s_cbranch_vccnz .LBB158_5
.LBB158_21:
	v_cvt_f32_u32_e32 v1, s40
	s_sub_co_i32 s3, 0, s40
	s_mov_b32 s45, 0
	s_delay_alu instid0(VALU_DEP_1) | instskip(SKIP_1) | instid1(TRANS32_DEP_1)
	v_rcp_iflag_f32_e32 v1, v1
	v_nop
	v_mul_f32_e32 v1, 0x4f7ffffe, v1
	s_delay_alu instid0(VALU_DEP_1) | instskip(NEXT) | instid1(VALU_DEP_1)
	v_cvt_u32_f32_e32 v1, v1
	v_readfirstlane_b32 s2, v1
	s_mul_i32 s3, s3, s2
	s_delay_alu instid0(SALU_CYCLE_1) | instskip(NEXT) | instid1(SALU_CYCLE_1)
	s_mul_hi_u32 s3, s2, s3
	s_add_co_i32 s2, s2, s3
	s_delay_alu instid0(SALU_CYCLE_1) | instskip(NEXT) | instid1(SALU_CYCLE_1)
	s_mul_hi_u32 s2, s34, s2
	s_mul_i32 s3, s2, s40
	s_add_co_i32 s8, s2, 1
	s_sub_co_i32 s3, s34, s3
	s_delay_alu instid0(SALU_CYCLE_1)
	s_sub_co_i32 s9, s3, s40
	s_cmp_ge_u32 s3, s40
	s_cselect_b32 s2, s8, s2
	s_cselect_b32 s3, s9, s3
	s_add_co_i32 s8, s2, 1
	s_cmp_ge_u32 s3, s40
	s_cselect_b32 s44, s8, s2
	s_wait_kmcnt 0x0
	v_cmp_lt_u64_e64 s2, s[34:35], s[42:43]
	s_mov_b64 s[46:47], 0
	s_and_b32 vcc_lo, exec_lo, s2
	s_cbranch_vccz .LBB158_6
	s_branch .LBB158_7
.LBB158_22:
	s_mov_b64 s[8:9], 0
	s_add_nc_u64 s[10:11], s[10:11], s[20:21]
	s_wait_kmcnt 0x0
	s_add_nc_u64 s[12:13], s[18:19], s[20:21]
	s_mov_b32 s14, 0
	s_delay_alu instid0(SALU_CYCLE_1)
	s_cmp_ge_u32 s14, s29
	s_cbranch_scc0 .LBB158_46
	s_branch .LBB158_24
.LBB158_23:
	s_add_co_i32 s14, s16, 4
	s_add_nc_u64 s[12:13], s[18:19], s[20:21]
	s_add_nc_u64 s[10:11], s[10:11], s[20:21]
	s_cmp_ge_u32 s14, s29
	s_cbranch_scc0 .LBB158_46
.LBB158_24:
	v_dual_mov_b32 v2, s8 :: v_dual_mov_b32 v3, s17
	v_dual_mov_b32 v4, s9 :: v_dual_mov_b32 v1, 0
	ds_store_b96 v1, v[2:4] offset:1056
.LBB158_25:
	s_or_b32 exec_lo, exec_lo, s24
	s_clause 0x5
	s_load_b64 s[48:49], s[0:1], 0x0
	s_load_b128 s[16:19], s[0:1], 0xd0
	s_load_b128 s[8:11], s[0:1], 0x1b8
	s_load_b128 s[24:27], s[0:1], 0x290
	s_load_b128 s[12:15], s[0:1], 0x360
	s_load_b128 s[20:23], s[0:1], 0x438
	s_cmp_eq_u32 s28, 0
	s_wait_dscnt 0x0
	s_barrier_signal -1
	s_barrier_wait -1
	s_cbranch_scc1 .LBB158_48
; %bb.26:
	v_dual_mov_b32 v7, 0 :: v_dual_lshrrev_b32 v1, 3, v0
	s_mul_u64 s[40:41], s[44:45], s[40:41]
	s_mul_u64 s[36:37], s[38:39], s[36:37]
	s_wait_kmcnt 0x0
	s_mul_u64 s[24:25], s[44:45], s[24:25]
	ds_load_b96 v[2:4], v7 offset:1056
	s_sub_nc_u64 s[40:41], s[34:35], s[40:41]
	s_sub_nc_u64 s[36:37], s[34:35], s[36:37]
	s_mul_u64 s[16:17], s[38:39], s[16:17]
	s_mul_u64 s[26:27], s[40:41], s[26:27]
	;; [unrolled: 1-line block ×3, first 2 shown]
	s_lshl_b64 s[16:17], s[16:17], 3
	s_lshl_b64 s[24:25], s[24:25], 3
	s_add_nc_u64 s[16:17], s[48:49], s[16:17]
	s_lshl_b64 s[18:19], s[18:19], 3
	s_add_nc_u64 s[24:25], s[10:11], s[24:25]
	s_lshl_b64 s[26:27], s[26:27], 3
	s_mul_u64 s[20:21], s[46:47], s[20:21]
	s_add_nc_u64 s[10:11], s[16:17], s[18:19]
	s_add_nc_u64 s[16:17], s[24:25], s[26:27]
	s_load_b32 s24, s[0:1], 0x1b0
	s_lshl_b64 s[18:19], s[20:21], 3
	v_dual_add_nc_u32 v8, -1, v0 :: v_dual_bitop2_b32 v1, 28, v1 bitop3:0x40
	s_add_nc_u64 s[20:21], s[14:15], s[18:19]
	s_load_b64 s[14:15], s[0:1], 0x508
	s_mul_u64 s[40:41], s[46:47], s[42:43]
	s_wait_dscnt 0x0
	v_dual_lshrrev_b32 v6, 3, v8 :: v_dual_add_nc_u32 v2, v2, v3
	v_lshl_add_u32 v5, v0, 2, v1
	v_and_b32_e32 v1, 0xfc, v0
	v_mbcnt_lo_u32_b32 v10, -1, 0
	s_delay_alu instid0(VALU_DEP_4)
	v_and_b32_e32 v3, 0x1ffffffc, v6
	v_mad_u32 v6, s50, s33, v0
	v_lshlrev_b32_e32 v9, 5, v0
	s_sub_nc_u64 s[34:35], s[34:35], s[40:41]
	s_xor_b64 s[18:19], s[30:31], 0x8000000000000000
	s_mul_u64 s[22:23], s[34:35], s[22:23]
	s_wait_xcnt 0x0
	v_cmp_gt_u32_e64 s0, 32, v0
	s_lshl_b64 s[22:23], s[22:23], 3
	v_lshl_add_u32 v11, v8, 2, v3
	v_dual_add_nc_u32 v12, v1, v9 :: v_dual_bitop2_b32 v13, 15, v10 bitop3:0x40
	v_add_nc_u32_e32 v15, -1, v10
	v_bfe_i32 v14, v10, 4, 1
	s_wait_kmcnt 0x0
	s_bitcmp1_b32 s24, 0
	s_add_nc_u64 s[20:21], s[20:21], s[22:23]
	s_cselect_b32 s1, -1, 0
                                        ; implicit-def: $vgpr0_vgpr1
	s_branch .LBB158_29
.LBB158_27:                             ;   in Loop: Header=BB158_29 Depth=1
	s_wait_xcnt 0x0
	s_or_b32 exec_lo, exec_lo, s22
	v_add_nc_u32_e32 v2, v3, v2
.LBB158_28:                             ;   in Loop: Header=BB158_29 Depth=1
	v_add_nc_u32_e32 v4, v16, v4
	v_add_nc_u32_e32 v6, 0x100, v6
	s_add_co_i32 s28, s28, -1
	s_delay_alu instid0(SALU_CYCLE_1)
	s_cmp_lg_u32 s28, 0
	s_cbranch_scc0 .LBB158_48
.LBB158_29:                             ; =>This Inner Loop Header: Depth=1
	v_dual_mov_b32 v3, v7 :: v_dual_mov_b32 v8, v7
	s_mov_b32 s22, exec_lo
	v_cmpx_gt_u64_e64 s[4:5], v[6:7]
	s_cbranch_execz .LBB158_31
; %bb.30:                               ;   in Loop: Header=BB158_29 Depth=1
	v_mul_u64_e32 v[0:1], s[8:9], v[6:7]
	s_delay_alu instid0(VALU_DEP_1) | instskip(SKIP_4) | instid1(VALU_DEP_1)
	v_lshl_add_u64 v[0:1], v[0:1], 3, s[10:11]
	global_load_b64 v[0:1], v[0:1], off
	s_wait_loadcnt 0x0
	v_xor_b32_e32 v9, 0x80000000, v1
	v_mov_b32_e32 v8, v0
	v_cmp_lt_u64_e32 vcc_lo, s[18:19], v[8:9]
	v_cndmask_b32_e64 v3, 0, 1, vcc_lo
	v_cmp_gt_u64_e32 vcc_lo, s[18:19], v[8:9]
	v_cndmask_b32_e64 v8, 0, 1, vcc_lo
	v_cmp_eq_u64_e32 vcc_lo, s[30:31], v[0:1]
	s_delay_alu instid0(VALU_DEP_2) | instskip(SKIP_1) | instid1(VALU_DEP_2)
	v_cndmask_b32_e64 v3, v8, v3, s1
	v_cndmask_b32_e64 v8, 0, 1, vcc_lo
	v_and_b32_e32 v3, 1, v3
.LBB158_31:                             ;   in Loop: Header=BB158_29 Depth=1
	s_wait_xcnt 0x0
	s_or_b32 exec_lo, exec_lo, s22
	ds_store_b32 v5, v3
	s_wait_dscnt 0x0
	s_barrier_signal -1
	s_barrier_wait -1
	s_and_saveexec_b32 s22, s0
	s_cbranch_execz .LBB158_33
; %bb.32:                               ;   in Loop: Header=BB158_29 Depth=1
	ds_load_2addr_b32 v[16:17], v12 offset1:1
	ds_load_2addr_b32 v[18:19], v12 offset0:2 offset1:3
	ds_load_2addr_b32 v[20:21], v12 offset0:4 offset1:5
	;; [unrolled: 1-line block ×3, first 2 shown]
	v_cmp_ne_u32_e32 vcc_lo, 0, v13
	; wave barrier
	s_wait_dscnt 0x3
	v_add_nc_u32_e32 v9, v17, v16
	s_wait_dscnt 0x2
	s_delay_alu instid0(VALU_DEP_1) | instskip(SKIP_1) | instid1(VALU_DEP_1)
	v_add3_u32 v9, v9, v18, v19
	s_wait_dscnt 0x1
	v_add3_u32 v9, v9, v20, v21
	s_wait_dscnt 0x0
	s_delay_alu instid0(VALU_DEP_1) | instskip(NEXT) | instid1(VALU_DEP_1)
	v_add3_u32 v9, v9, v22, v23
	v_mov_b32_dpp v17, v9 row_shr:1 row_mask:0xf bank_mask:0xf
	s_delay_alu instid0(VALU_DEP_1) | instskip(SKIP_1) | instid1(VALU_DEP_2)
	v_cndmask_b32_e32 v17, 0, v17, vcc_lo
	v_cmp_lt_u32_e32 vcc_lo, 1, v13
	v_add_nc_u32_e32 v9, v17, v9
	s_delay_alu instid0(VALU_DEP_1) | instskip(NEXT) | instid1(VALU_DEP_1)
	v_mov_b32_dpp v17, v9 row_shr:2 row_mask:0xf bank_mask:0xf
	v_cndmask_b32_e32 v17, 0, v17, vcc_lo
	v_cmp_lt_u32_e32 vcc_lo, 3, v13
	s_delay_alu instid0(VALU_DEP_2) | instskip(NEXT) | instid1(VALU_DEP_1)
	v_add_nc_u32_e32 v9, v9, v17
	v_mov_b32_dpp v17, v9 row_shr:4 row_mask:0xf bank_mask:0xf
	s_delay_alu instid0(VALU_DEP_1) | instskip(SKIP_1) | instid1(VALU_DEP_2)
	v_cndmask_b32_e32 v17, 0, v17, vcc_lo
	v_cmp_lt_u32_e32 vcc_lo, 7, v13
	v_add_nc_u32_e32 v9, v9, v17
	s_delay_alu instid0(VALU_DEP_1) | instskip(NEXT) | instid1(VALU_DEP_1)
	v_mov_b32_dpp v17, v9 row_shr:8 row_mask:0xf bank_mask:0xf
	v_cndmask_b32_e32 v17, 0, v17, vcc_lo
	v_cmp_gt_i32_e32 vcc_lo, 0, v15
	s_delay_alu instid0(VALU_DEP_2) | instskip(SKIP_3) | instid1(VALU_DEP_1)
	v_dual_cndmask_b32 v18, v15, v10 :: v_dual_add_nc_u32 v9, v9, v17
	ds_swizzle_b32 v17, v9 offset:swizzle(BROADCAST,32,15)
	s_wait_dscnt 0x0
	v_dual_lshlrev_b32 v18, 2, v18 :: v_dual_bitop2_b32 v17, v14, v17 bitop3:0x40
	v_add_nc_u32_e32 v9, v9, v17
	ds_bpermute_b32 v9, v18, v9
	s_wait_dscnt 0x0
	v_add_nc_u32_e32 v9, v9, v16
	s_delay_alu instid0(VALU_DEP_1)
	v_cndmask_b32_e64 v9, v9, v3, s3
	ds_store_b32 v12, v9
	; wave barrier
	ds_load_2addr_b32 v[16:17], v12 offset0:1 offset1:2
	ds_load_2addr_b32 v[18:19], v12 offset0:3 offset1:4
	;; [unrolled: 1-line block ×3, first 2 shown]
	ds_load_b32 v22, v12 offset:28
	s_wait_dscnt 0x3
	v_add_nc_u32_e32 v9, v16, v9
	s_delay_alu instid0(VALU_DEP_1) | instskip(SKIP_1) | instid1(VALU_DEP_1)
	v_add_nc_u32_e32 v16, v17, v9
	s_wait_dscnt 0x2
	v_add_nc_u32_e32 v17, v18, v16
	s_delay_alu instid0(VALU_DEP_1) | instskip(SKIP_1) | instid1(VALU_DEP_1)
	v_add_nc_u32_e32 v18, v19, v17
	;; [unrolled: 4-line block ×3, first 2 shown]
	s_wait_dscnt 0x0
	v_add_nc_u32_e32 v21, v22, v20
	ds_store_2addr_b32 v12, v9, v16 offset0:1 offset1:2
	ds_store_2addr_b32 v12, v17, v18 offset0:3 offset1:4
	;; [unrolled: 1-line block ×3, first 2 shown]
	ds_store_b32 v12, v21 offset:28
.LBB158_33:                             ;   in Loop: Header=BB158_29 Depth=1
	s_or_b32 exec_lo, exec_lo, s22
	v_mov_b32_e32 v9, 0
	s_wait_dscnt 0x0
	s_barrier_signal -1
	s_barrier_wait -1
	s_and_saveexec_b32 s22, s2
; %bb.34:                               ;   in Loop: Header=BB158_29 Depth=1
	ds_load_b32 v9, v11
; %bb.35:                               ;   in Loop: Header=BB158_29 Depth=1
	s_or_b32 exec_lo, exec_lo, s22
	ds_load_b32 v16, v7 offset:1048
	s_mov_b32 s22, exec_lo
	s_wait_dscnt 0x0
	s_barrier_signal -1
	s_barrier_wait -1
	v_cmpx_ne_u32_e32 0, v3
	s_cbranch_execz .LBB158_37
; %bb.36:                               ;   in Loop: Header=BB158_29 Depth=1
	v_dual_mov_b32 v19, v7 :: v_dual_add_nc_u32 v18, v9, v4
	s_delay_alu instid0(VALU_DEP_1) | instskip(SKIP_1) | instid1(VALU_DEP_2)
	v_mul_u64_e32 v[20:21], s[12:13], v[18:19]
	v_mul_u64_e32 v[18:19], s[14:15], v[18:19]
	v_lshl_add_u64 v[20:21], v[20:21], 3, s[16:17]
	s_delay_alu instid0(VALU_DEP_2)
	v_lshl_add_u64 v[18:19], v[18:19], 3, s[20:21]
	global_store_b64 v[20:21], v[0:1], off
	global_store_b64 v[18:19], v[6:7], off
.LBB158_37:                             ;   in Loop: Header=BB158_29 Depth=1
	s_wait_xcnt 0x0
	s_or_b32 exec_lo, exec_lo, s22
	v_mov_b32_e32 v3, v7
	s_delay_alu instid0(VALU_DEP_1)
	v_cmp_le_u64_e32 vcc_lo, s[6:7], v[2:3]
	s_cbranch_vccnz .LBB158_28
; %bb.38:                               ;   in Loop: Header=BB158_29 Depth=1
	ds_store_b32 v5, v8
	s_wait_storecnt_dscnt 0x0
	s_barrier_signal -1
	s_barrier_wait -1
	s_and_saveexec_b32 s22, s0
	s_cbranch_execz .LBB158_40
; %bb.39:                               ;   in Loop: Header=BB158_29 Depth=1
	ds_load_2addr_b32 v[18:19], v12 offset1:1
	ds_load_2addr_b32 v[20:21], v12 offset0:2 offset1:3
	ds_load_2addr_b32 v[22:23], v12 offset0:4 offset1:5
	;; [unrolled: 1-line block ×3, first 2 shown]
	v_cmp_ne_u32_e32 vcc_lo, 0, v13
	; wave barrier
	s_wait_dscnt 0x3
	v_add_nc_u32_e32 v3, v19, v18
	s_wait_dscnt 0x2
	s_delay_alu instid0(VALU_DEP_1) | instskip(SKIP_1) | instid1(VALU_DEP_1)
	v_add3_u32 v3, v3, v20, v21
	s_wait_dscnt 0x1
	v_add3_u32 v3, v3, v22, v23
	s_wait_dscnt 0x0
	s_delay_alu instid0(VALU_DEP_1) | instskip(NEXT) | instid1(VALU_DEP_1)
	v_add3_u32 v3, v3, v24, v25
	v_mov_b32_dpp v9, v3 row_shr:1 row_mask:0xf bank_mask:0xf
	s_delay_alu instid0(VALU_DEP_1) | instskip(SKIP_1) | instid1(VALU_DEP_2)
	v_cndmask_b32_e32 v9, 0, v9, vcc_lo
	v_cmp_lt_u32_e32 vcc_lo, 1, v13
	v_add_nc_u32_e32 v3, v9, v3
	s_delay_alu instid0(VALU_DEP_1) | instskip(NEXT) | instid1(VALU_DEP_1)
	v_mov_b32_dpp v9, v3 row_shr:2 row_mask:0xf bank_mask:0xf
	v_cndmask_b32_e32 v9, 0, v9, vcc_lo
	v_cmp_lt_u32_e32 vcc_lo, 3, v13
	s_delay_alu instid0(VALU_DEP_2) | instskip(NEXT) | instid1(VALU_DEP_1)
	v_add_nc_u32_e32 v3, v3, v9
	v_mov_b32_dpp v9, v3 row_shr:4 row_mask:0xf bank_mask:0xf
	s_delay_alu instid0(VALU_DEP_1) | instskip(SKIP_1) | instid1(VALU_DEP_2)
	v_cndmask_b32_e32 v9, 0, v9, vcc_lo
	v_cmp_lt_u32_e32 vcc_lo, 7, v13
	v_add_nc_u32_e32 v3, v3, v9
	s_delay_alu instid0(VALU_DEP_1) | instskip(NEXT) | instid1(VALU_DEP_1)
	v_mov_b32_dpp v9, v3 row_shr:8 row_mask:0xf bank_mask:0xf
	v_cndmask_b32_e32 v9, 0, v9, vcc_lo
	v_cmp_gt_i32_e32 vcc_lo, 0, v15
	s_delay_alu instid0(VALU_DEP_2)
	v_add_nc_u32_e32 v3, v3, v9
	v_cndmask_b32_e32 v17, v15, v10, vcc_lo
	ds_swizzle_b32 v9, v3 offset:swizzle(BROADCAST,32,15)
	v_lshlrev_b32_e32 v17, 2, v17
	s_wait_dscnt 0x0
	v_and_b32_e32 v9, v14, v9
	s_delay_alu instid0(VALU_DEP_1) | instskip(SKIP_3) | instid1(VALU_DEP_1)
	v_add_nc_u32_e32 v3, v3, v9
	ds_bpermute_b32 v3, v17, v3
	s_wait_dscnt 0x0
	v_add_nc_u32_e32 v3, v3, v18
	v_cndmask_b32_e64 v3, v3, v8, s3
	ds_store_b32 v12, v3
	; wave barrier
	ds_load_2addr_b32 v[18:19], v12 offset0:1 offset1:2
	ds_load_2addr_b32 v[20:21], v12 offset0:3 offset1:4
	;; [unrolled: 1-line block ×3, first 2 shown]
	ds_load_b32 v9, v12 offset:28
	s_wait_dscnt 0x3
	v_add_nc_u32_e32 v3, v18, v3
	s_delay_alu instid0(VALU_DEP_1) | instskip(SKIP_1) | instid1(VALU_DEP_1)
	v_add_nc_u32_e32 v17, v19, v3
	s_wait_dscnt 0x2
	v_add_nc_u32_e32 v18, v20, v17
	s_delay_alu instid0(VALU_DEP_1) | instskip(SKIP_1) | instid1(VALU_DEP_1)
	v_add_nc_u32_e32 v19, v21, v18
	;; [unrolled: 4-line block ×3, first 2 shown]
	s_wait_dscnt 0x0
	v_add_nc_u32_e32 v9, v9, v21
	ds_store_2addr_b32 v12, v3, v17 offset0:1 offset1:2
	ds_store_2addr_b32 v12, v18, v19 offset0:3 offset1:4
	;; [unrolled: 1-line block ×3, first 2 shown]
	ds_store_b32 v12, v9 offset:28
.LBB158_40:                             ;   in Loop: Header=BB158_29 Depth=1
	s_or_b32 exec_lo, exec_lo, s22
	v_mov_b32_e32 v9, 0
	s_wait_dscnt 0x0
	s_barrier_signal -1
	s_barrier_wait -1
	s_and_saveexec_b32 s22, s2
; %bb.41:                               ;   in Loop: Header=BB158_29 Depth=1
	ds_load_b32 v9, v11
; %bb.42:                               ;   in Loop: Header=BB158_29 Depth=1
	s_or_b32 exec_lo, exec_lo, s22
	ds_load_b32 v3, v7 offset:1048
	s_mov_b32 s22, exec_lo
	s_wait_dscnt 0x0
	s_barrier_signal -1
	s_barrier_wait -1
	v_cmpx_ne_u32_e32 0, v8
	s_cbranch_execz .LBB158_27
; %bb.43:                               ;   in Loop: Header=BB158_29 Depth=1
	v_dual_mov_b32 v9, v7 :: v_dual_add_nc_u32 v8, v9, v2
	s_delay_alu instid0(VALU_DEP_1)
	v_cmp_gt_u64_e32 vcc_lo, s[6:7], v[8:9]
	s_and_b32 exec_lo, exec_lo, vcc_lo
	s_cbranch_execz .LBB158_27
; %bb.44:                               ;   in Loop: Header=BB158_29 Depth=1
	v_mul_u64_e32 v[18:19], s[12:13], v[8:9]
	v_mul_u64_e32 v[8:9], s[14:15], v[8:9]
	s_delay_alu instid0(VALU_DEP_2) | instskip(NEXT) | instid1(VALU_DEP_2)
	v_lshl_add_u64 v[18:19], v[18:19], 3, s[16:17]
	v_lshl_add_u64 v[8:9], v[8:9], 3, s[20:21]
	global_store_b64 v[18:19], v[0:1], off
	global_store_b64 v[8:9], v[6:7], off
	s_branch .LBB158_27
.LBB158_45:                             ;   in Loop: Header=BB158_46 Depth=1
	s_add_co_i32 s14, s14, 1
	s_wait_kmcnt 0x0
	s_add_co_i32 s17, s15, s17
	s_add_nc_u64 s[10:11], s[10:11], 4
	s_cmp_lt_u32 s14, s29
	s_add_nc_u64 s[12:13], s[12:13], 4
	s_cbranch_scc0 .LBB158_24
.LBB158_46:                             ; =>This Inner Loop Header: Depth=1
	s_load_b32 s15, s[10:11], 0x0
	s_cmp_ge_u32 s14, s50
	s_cbranch_scc1 .LBB158_45
; %bb.47:                               ;   in Loop: Header=BB158_46 Depth=1
	s_load_b32 s16, s[12:13], 0x0
	s_wait_kmcnt 0x0
	s_add_co_i32 s9, s15, s9
	s_add_co_i32 s8, s16, s8
	s_branch .LBB158_45
.LBB158_48:
	s_endpgm
	.section	.rodata,"a",@progbits
	.p2align	6, 0x0
	.amdhsa_kernel _ZN2at6native6mbtopk10gatherTopKIlmLi2EEEvNS_4cuda6detail10TensorInfoIKT_T0_EES8_S8_bjS8_NS5_IS6_S8_EES8_NS5_IlS8_EES8_jjPS6_PjSD_j
		.amdhsa_group_segment_fixed_size 1068
		.amdhsa_private_segment_fixed_size 0
		.amdhsa_kernarg_size 1592
		.amdhsa_user_sgpr_count 2
		.amdhsa_user_sgpr_dispatch_ptr 0
		.amdhsa_user_sgpr_queue_ptr 0
		.amdhsa_user_sgpr_kernarg_segment_ptr 1
		.amdhsa_user_sgpr_dispatch_id 0
		.amdhsa_user_sgpr_kernarg_preload_length 0
		.amdhsa_user_sgpr_kernarg_preload_offset 0
		.amdhsa_user_sgpr_private_segment_size 0
		.amdhsa_wavefront_size32 1
		.amdhsa_uses_dynamic_stack 0
		.amdhsa_enable_private_segment 0
		.amdhsa_system_sgpr_workgroup_id_x 1
		.amdhsa_system_sgpr_workgroup_id_y 1
		.amdhsa_system_sgpr_workgroup_id_z 1
		.amdhsa_system_sgpr_workgroup_info 0
		.amdhsa_system_vgpr_workitem_id 0
		.amdhsa_next_free_vgpr 26
		.amdhsa_next_free_sgpr 51
		.amdhsa_named_barrier_count 0
		.amdhsa_reserve_vcc 1
		.amdhsa_float_round_mode_32 0
		.amdhsa_float_round_mode_16_64 0
		.amdhsa_float_denorm_mode_32 3
		.amdhsa_float_denorm_mode_16_64 3
		.amdhsa_fp16_overflow 0
		.amdhsa_memory_ordered 1
		.amdhsa_forward_progress 1
		.amdhsa_inst_pref_size 24
		.amdhsa_round_robin_scheduling 0
		.amdhsa_exception_fp_ieee_invalid_op 0
		.amdhsa_exception_fp_denorm_src 0
		.amdhsa_exception_fp_ieee_div_zero 0
		.amdhsa_exception_fp_ieee_overflow 0
		.amdhsa_exception_fp_ieee_underflow 0
		.amdhsa_exception_fp_ieee_inexact 0
		.amdhsa_exception_int_div_zero 0
	.end_amdhsa_kernel
	.section	.text._ZN2at6native6mbtopk10gatherTopKIlmLi2EEEvNS_4cuda6detail10TensorInfoIKT_T0_EES8_S8_bjS8_NS5_IS6_S8_EES8_NS5_IlS8_EES8_jjPS6_PjSD_j,"axG",@progbits,_ZN2at6native6mbtopk10gatherTopKIlmLi2EEEvNS_4cuda6detail10TensorInfoIKT_T0_EES8_S8_bjS8_NS5_IS6_S8_EES8_NS5_IlS8_EES8_jjPS6_PjSD_j,comdat
.Lfunc_end158:
	.size	_ZN2at6native6mbtopk10gatherTopKIlmLi2EEEvNS_4cuda6detail10TensorInfoIKT_T0_EES8_S8_bjS8_NS5_IS6_S8_EES8_NS5_IlS8_EES8_jjPS6_PjSD_j, .Lfunc_end158-_ZN2at6native6mbtopk10gatherTopKIlmLi2EEEvNS_4cuda6detail10TensorInfoIKT_T0_EES8_S8_bjS8_NS5_IS6_S8_EES8_NS5_IlS8_EES8_jjPS6_PjSD_j
                                        ; -- End function
	.set _ZN2at6native6mbtopk10gatherTopKIlmLi2EEEvNS_4cuda6detail10TensorInfoIKT_T0_EES8_S8_bjS8_NS5_IS6_S8_EES8_NS5_IlS8_EES8_jjPS6_PjSD_j.num_vgpr, 26
	.set _ZN2at6native6mbtopk10gatherTopKIlmLi2EEEvNS_4cuda6detail10TensorInfoIKT_T0_EES8_S8_bjS8_NS5_IS6_S8_EES8_NS5_IlS8_EES8_jjPS6_PjSD_j.num_agpr, 0
	.set _ZN2at6native6mbtopk10gatherTopKIlmLi2EEEvNS_4cuda6detail10TensorInfoIKT_T0_EES8_S8_bjS8_NS5_IS6_S8_EES8_NS5_IlS8_EES8_jjPS6_PjSD_j.numbered_sgpr, 51
	.set _ZN2at6native6mbtopk10gatherTopKIlmLi2EEEvNS_4cuda6detail10TensorInfoIKT_T0_EES8_S8_bjS8_NS5_IS6_S8_EES8_NS5_IlS8_EES8_jjPS6_PjSD_j.num_named_barrier, 0
	.set _ZN2at6native6mbtopk10gatherTopKIlmLi2EEEvNS_4cuda6detail10TensorInfoIKT_T0_EES8_S8_bjS8_NS5_IS6_S8_EES8_NS5_IlS8_EES8_jjPS6_PjSD_j.private_seg_size, 0
	.set _ZN2at6native6mbtopk10gatherTopKIlmLi2EEEvNS_4cuda6detail10TensorInfoIKT_T0_EES8_S8_bjS8_NS5_IS6_S8_EES8_NS5_IlS8_EES8_jjPS6_PjSD_j.uses_vcc, 1
	.set _ZN2at6native6mbtopk10gatherTopKIlmLi2EEEvNS_4cuda6detail10TensorInfoIKT_T0_EES8_S8_bjS8_NS5_IS6_S8_EES8_NS5_IlS8_EES8_jjPS6_PjSD_j.uses_flat_scratch, 0
	.set _ZN2at6native6mbtopk10gatherTopKIlmLi2EEEvNS_4cuda6detail10TensorInfoIKT_T0_EES8_S8_bjS8_NS5_IS6_S8_EES8_NS5_IlS8_EES8_jjPS6_PjSD_j.has_dyn_sized_stack, 0
	.set _ZN2at6native6mbtopk10gatherTopKIlmLi2EEEvNS_4cuda6detail10TensorInfoIKT_T0_EES8_S8_bjS8_NS5_IS6_S8_EES8_NS5_IlS8_EES8_jjPS6_PjSD_j.has_recursion, 0
	.set _ZN2at6native6mbtopk10gatherTopKIlmLi2EEEvNS_4cuda6detail10TensorInfoIKT_T0_EES8_S8_bjS8_NS5_IS6_S8_EES8_NS5_IlS8_EES8_jjPS6_PjSD_j.has_indirect_call, 0
	.section	.AMDGPU.csdata,"",@progbits
; Kernel info:
; codeLenInByte = 3008
; TotalNumSgprs: 53
; NumVgprs: 26
; ScratchSize: 0
; MemoryBound: 0
; FloatMode: 240
; IeeeMode: 1
; LDSByteSize: 1068 bytes/workgroup (compile time only)
; SGPRBlocks: 0
; VGPRBlocks: 1
; NumSGPRsForWavesPerEU: 53
; NumVGPRsForWavesPerEU: 26
; NamedBarCnt: 0
; Occupancy: 16
; WaveLimiterHint : 1
; COMPUTE_PGM_RSRC2:SCRATCH_EN: 0
; COMPUTE_PGM_RSRC2:USER_SGPR: 2
; COMPUTE_PGM_RSRC2:TRAP_HANDLER: 0
; COMPUTE_PGM_RSRC2:TGID_X_EN: 1
; COMPUTE_PGM_RSRC2:TGID_Y_EN: 1
; COMPUTE_PGM_RSRC2:TGID_Z_EN: 1
; COMPUTE_PGM_RSRC2:TIDIG_COMP_CNT: 0
	.section	.text._ZN2at6native6sbtopk10gatherTopKIlmLi2ELb0EEEvNS_4cuda6detail10TensorInfoIKT_T0_EES8_S8_bS8_S8_NS5_IS6_S8_EES8_NS5_IlS8_EES8_PS6_,"axG",@progbits,_ZN2at6native6sbtopk10gatherTopKIlmLi2ELb0EEEvNS_4cuda6detail10TensorInfoIKT_T0_EES8_S8_bS8_S8_NS5_IS6_S8_EES8_NS5_IlS8_EES8_PS6_,comdat
	.protected	_ZN2at6native6sbtopk10gatherTopKIlmLi2ELb0EEEvNS_4cuda6detail10TensorInfoIKT_T0_EES8_S8_bS8_S8_NS5_IS6_S8_EES8_NS5_IlS8_EES8_PS6_ ; -- Begin function _ZN2at6native6sbtopk10gatherTopKIlmLi2ELb0EEEvNS_4cuda6detail10TensorInfoIKT_T0_EES8_S8_bS8_S8_NS5_IS6_S8_EES8_NS5_IlS8_EES8_PS6_
	.globl	_ZN2at6native6sbtopk10gatherTopKIlmLi2ELb0EEEvNS_4cuda6detail10TensorInfoIKT_T0_EES8_S8_bS8_S8_NS5_IS6_S8_EES8_NS5_IlS8_EES8_PS6_
	.p2align	8
	.type	_ZN2at6native6sbtopk10gatherTopKIlmLi2ELb0EEEvNS_4cuda6detail10TensorInfoIKT_T0_EES8_S8_bS8_S8_NS5_IS6_S8_EES8_NS5_IlS8_EES8_PS6_,@function
_ZN2at6native6sbtopk10gatherTopKIlmLi2ELb0EEEvNS_4cuda6detail10TensorInfoIKT_T0_EES8_S8_bS8_S8_NS5_IS6_S8_EES8_NS5_IlS8_EES8_PS6_: ; @_ZN2at6native6sbtopk10gatherTopKIlmLi2ELb0EEEvNS_4cuda6detail10TensorInfoIKT_T0_EES8_S8_bS8_S8_NS5_IS6_S8_EES8_NS5_IlS8_EES8_PS6_
; %bb.0:
	s_clause 0x1
	s_load_b128 s[28:31], s[0:1], 0x1b8
	s_load_b64 s[12:13], s[0:1], 0x520
	s_bfe_u32 s2, ttmp6, 0x40010
	s_and_b32 s3, ttmp7, 0xffff
	s_add_co_i32 s2, s2, 1
	s_bfe_u32 s5, ttmp6, 0x4000c
	s_mul_i32 s2, s3, s2
	s_bfe_u32 s4, ttmp6, 0x40004
	s_add_co_i32 s5, s5, 1
	s_bfe_u32 s6, ttmp6, 0x40014
	s_add_co_i32 s4, s4, s2
	s_and_b32 s2, ttmp6, 15
	s_mul_i32 s5, ttmp9, s5
	s_lshr_b32 s7, ttmp7, 16
	s_add_co_i32 s6, s6, 1
	s_add_co_i32 s2, s2, s5
	s_mul_i32 s5, s7, s6
	s_bfe_u32 s6, ttmp6, 0x40008
	s_getreg_b32 s8, hwreg(HW_REG_IB_STS2, 6, 4)
	s_add_co_i32 s6, s6, s5
	s_cmp_eq_u32 s8, 0
	s_mov_b32 s49, 0
	s_cselect_b32 s5, s7, s6
	s_cselect_b32 s3, s3, s4
	s_wait_kmcnt 0x0
	s_mul_i32 s5, s13, s5
	s_cselect_b32 s13, ttmp9, s2
	s_add_co_i32 s2, s5, s3
	s_delay_alu instid0(SALU_CYCLE_1) | instskip(NEXT) | instid1(SALU_CYCLE_1)
	s_mul_i32 s2, s2, s12
	s_add_co_i32 s48, s2, s13
	s_delay_alu instid0(SALU_CYCLE_1)
	v_cmp_le_u64_e64 s2, s[28:29], s[48:49]
	s_and_b32 vcc_lo, exec_lo, s2
	s_cbranch_vccnz .LBB159_471
; %bb.1:
	s_clause 0x1
	s_load_b64 s[2:3], s[0:1], 0x10
	s_load_b64 s[52:53], s[0:1], 0x1d8
	s_mov_b64 s[50:51], 0
	s_mov_b64 s[6:7], 0
	s_wait_kmcnt 0x0
	v_cmp_lt_u64_e64 s4, s[48:49], s[2:3]
	s_and_b32 vcc_lo, exec_lo, s4
	s_cbranch_vccz .LBB159_472
; %bb.2:
	s_load_b64 s[54:55], s[0:1], 0x380
	v_cmp_lt_u64_e64 s4, s[48:49], s[52:53]
	s_and_b32 vcc_lo, exec_lo, s4
	s_cbranch_vccz .LBB159_473
.LBB159_3:
	s_wait_kmcnt 0x0
	v_cmp_lt_u64_e64 s4, s[48:49], s[54:55]
	s_mov_b64 s[56:57], 0
	s_and_b32 vcc_lo, exec_lo, s4
	s_cbranch_vccnz .LBB159_5
.LBB159_4:
	v_cvt_f32_u32_e32 v1, s54
	s_sub_co_i32 s5, 0, s54
	s_mov_b32 s57, 0
	s_delay_alu instid0(VALU_DEP_1) | instskip(SKIP_1) | instid1(TRANS32_DEP_1)
	v_rcp_iflag_f32_e32 v1, v1
	v_nop
	v_mul_f32_e32 v1, 0x4f7ffffe, v1
	s_delay_alu instid0(VALU_DEP_1) | instskip(NEXT) | instid1(VALU_DEP_1)
	v_cvt_u32_f32_e32 v1, v1
	v_readfirstlane_b32 s4, v1
	s_mul_i32 s5, s5, s4
	s_delay_alu instid0(SALU_CYCLE_1) | instskip(NEXT) | instid1(SALU_CYCLE_1)
	s_mul_hi_u32 s5, s4, s5
	s_add_co_i32 s4, s4, s5
	s_delay_alu instid0(SALU_CYCLE_1) | instskip(NEXT) | instid1(SALU_CYCLE_1)
	s_mul_hi_u32 s4, s48, s4
	s_mul_i32 s5, s4, s54
	s_add_co_i32 s8, s4, 1
	s_sub_co_i32 s5, s48, s5
	s_delay_alu instid0(SALU_CYCLE_1)
	s_sub_co_i32 s9, s5, s54
	s_cmp_ge_u32 s5, s54
	s_cselect_b32 s4, s8, s4
	s_cselect_b32 s5, s9, s5
	s_add_co_i32 s8, s4, 1
	s_cmp_ge_u32 s5, s54
	s_cselect_b32 s56, s8, s4
.LBB159_5:
	s_clause 0x2
	s_load_b128 s[8:11], s[0:1], 0xd0
	s_load_b64 s[16:17], s[0:1], 0x0
	s_load_b128 s[36:39], s[0:1], 0x1a0
	v_cmp_eq_u32_e64 s5, 0, v0
	s_add_nc_u64 s[14:15], s[0:1], 0x520
	s_mov_b32 s27, 0
	s_and_saveexec_b32 s4, s5
	s_cbranch_execz .LBB159_7
; %bb.6:
	s_wait_kmcnt 0x0
	v_dual_mov_b32 v2, 0 :: v_dual_mov_b32 v4, s36
	s_delay_alu instid0(VALU_DEP_1)
	v_dual_mov_b32 v5, s37 :: v_dual_mov_b32 v3, v2
	ds_store_b32 v2, v2 offset:5144
	ds_store_b128 v2, v[2:5] offset:5120
.LBB159_7:
	s_or_b32 exec_lo, exec_lo, s4
	s_clause 0x1
	s_load_b128 s[20:23], s[0:1], 0x440
	; meta instruction
	s_load_b64 s[18:19], s[0:1], 0x370
	v_dual_mov_b32 v21, 0 :: v_dual_lshlrev_b32 v22, 2, v0
	s_mul_u64 s[2:3], s[6:7], s[2:3]
	s_wait_kmcnt 0x0
	s_mul_u64 s[8:9], s[6:7], s[8:9]
	s_clause 0x1
	s_load_b64 s[6:7], s[0:1], 0x1c8
	s_load_b32 s4, s[0:1], 0x1b0
	v_dual_mov_b32 v1, v21 :: v_dual_lshlrev_b32 v38, 3, v0
	s_wait_dscnt 0x0
	s_barrier_signal -1
	s_barrier_wait -1
	s_delay_alu instid0(VALU_DEP_1)
	v_mul_u64_e32 v[2:3], s[30:31], v[0:1]
	v_mbcnt_lo_u32_b32 v17, -1, 0
	s_sub_nc_u64 s[2:3], s[48:49], s[2:3]
	v_cmp_gt_u32_e32 vcc_lo, 32, v0
	s_mul_u64 s[10:11], s[2:3], s[10:11]
	s_lshl_b64 s[8:9], s[8:9], 3
	v_writelane_b32 v56, s20, 0
	s_lshl_b64 s[10:11], s[10:11], 3
	s_add_nc_u64 s[8:9], s[16:17], s[8:9]
	v_lshlrev_b64_e64 v[4:5], v17, -1
	s_add_nc_u64 s[28:29], s[8:9], s[10:11]
	v_writelane_b32 v56, s21, 1
	v_cmp_lt_u64_e64 s33, 0x180, s[36:37]
	s_wait_kmcnt 0x0
	s_bitcmp1_b32 s4, 0
	v_cmp_gt_u64_e64 s3, s[36:37], v[0:1]
	s_cselect_b32 s4, -1, 0
	v_writelane_b32 v56, s22, 2
	s_xor_b32 s85, s4, -1
	v_mov_b64_e32 v[26:27], 0
	v_mov_b64_e32 v[30:31], s[38:39]
	;; [unrolled: 1-line block ×3, first 2 shown]
	v_writelane_b32 v56, s23, 3
	s_load_b128 s[20:23], s[0:1], 0x298
	v_mov_b64_e32 v[24:25], 0
	v_mov_b64_e32 v[28:29], 0
	s_mov_b32 s35, s27
	v_writelane_b32 v56, s18, 4
	v_cmp_eq_u32_e64 s2, 0, v17
	v_dual_mov_b32 v23, v21 :: v_dual_lshlrev_b32 v41, 5, v0
	v_add_nc_u32_e32 v39, 0xc00, v38
	v_writelane_b32 v56, s19, 5
	s_load_b32 s18, s[14:15], 0xc
	v_not_b32_e32 v16, v4
	v_lshl_add_u64 v[18:19], v[2:3], 3, s[28:29]
	v_lshl_or_b32 v42, v17, 3, 0xc00
	v_mov_b32_e32 v2, 1
	s_mov_b32 s92, 62
	s_mov_b32 s94, 0x4f800000
	;; [unrolled: 1-line block ×4, first 2 shown]
                                        ; implicit-def: $sgpr95
                                        ; implicit-def: $sgpr99
                                        ; implicit-def: $sgpr98
                                        ; implicit-def: $sgpr100
                                        ; implicit-def: $sgpr97
                                        ; implicit-def: $sgpr104
                                        ; implicit-def: $vcc_hi
                                        ; implicit-def: $sgpr101
                                        ; implicit-def: $sgpr103
                                        ; implicit-def: $sgpr102
	s_wait_kmcnt 0x0
	v_writelane_b32 v56, s20, 6
	v_writelane_b32 v56, s21, 7
	;; [unrolled: 1-line block ×3, first 2 shown]
	s_and_b32 s34, s18, 0xffff
	s_delay_alu instid0(SALU_CYCLE_1)
	s_add_nc_u64 s[62:63], s[34:35], -1
	v_writelane_b32 v56, s23, 9
	s_add_nc_u64 s[64:65], s[62:63], s[36:37]
	v_writelane_b32 v56, s6, 10
	v_writelane_b32 v56, s7, 11
	v_cmp_gt_i32_e64 s7, 4, v17
	v_cmp_gt_u32_e64 s6, 2, v0
	s_and_b32 s84, vcc_lo, s7
	s_bfe_u32 s7, s18, 0xb0005
	s_cmp_gt_u32 s34, 31
	s_cselect_b32 s86, -1, 0
	s_cmp_lt_u32 s13, s12
	s_cselect_b32 s26, 12, 18
	s_add_co_i32 s8, s7, -1
	s_bfe_u32 s87, s34, 0x30005
	s_and_b32 s8, s8, 0xffff
	s_add_nc_u64 s[66:67], s[14:15], s[26:27]
	s_cmp_gt_u32 s8, 6
	s_movk_i32 s8, 0x3e0
	s_cselect_b32 s88, -1, 0
	s_and_b32 s89, s7, 0x7f8
	v_and_or_b32 v40, v0, s8, 0xc00
	s_cmp_lg_u32 s87, 0
	s_cselect_b32 s90, -1, 0
	s_lshl_b32 s91, s34, 3
	s_and_b64 s[68:69], s[36:37], 0xffffffff00000000
	s_branch .LBB159_10
.LBB159_8:                              ;   in Loop: Header=BB159_10 Depth=1
	s_or_b32 exec_lo, exec_lo, s10
	v_mov_b64_e32 v[30:31], v[32:33]
	s_and_not1_b32 s10, s102, exec_lo
	s_and_b32 s9, s9, exec_lo
	s_and_not1_b32 s103, s103, exec_lo
	s_or_b32 s102, s10, s9
	s_and_not1_b32 s101, s101, exec_lo
	s_and_not1_b32 vcc_hi, vcc_hi, exec_lo
	s_and_not1_b32 s104, s104, exec_lo
	s_or_not1_b32 s8, s8, exec_lo
.LBB159_9:                              ;   in Loop: Header=BB159_10 Depth=1
	s_or_b32 exec_lo, exec_lo, s7
	s_delay_alu instid0(SALU_CYCLE_1) | instskip(NEXT) | instid1(SALU_CYCLE_1)
	s_and_b32 s7, exec_lo, s8
	s_or_b32 s93, s7, s93
	s_and_not1_b32 s7, s97, exec_lo
	s_and_b32 s8, s102, exec_lo
	s_and_not1_b32 s9, s100, exec_lo
	s_or_b32 s97, s7, s8
	s_and_b32 s7, s103, exec_lo
	s_and_not1_b32 s8, s98, exec_lo
	s_and_b32 s10, s101, exec_lo
	s_or_b32 s100, s9, s7
	s_or_b32 s98, s8, s10
	s_and_not1_b32 s7, s99, exec_lo
	s_and_b32 s8, vcc_hi, exec_lo
	s_and_not1_b32 s9, s95, exec_lo
	s_and_b32 s10, s104, exec_lo
	s_or_b32 s99, s7, s8
	s_or_b32 s95, s9, s10
	s_and_not1_b32 exec_lo, exec_lo, s93
	s_cbranch_execz .LBB159_467
.LBB159_10:                             ; =>This Loop Header: Depth=1
                                        ;     Child Loop BB159_16 Depth 2
                                        ;     Child Loop BB159_29 Depth 2
	;; [unrolled: 1-line block ×24, first 2 shown]
	ds_load_b128 v[8:11], v21 offset:5120
	s_wait_dscnt 0x0
	v_readfirstlane_b32 s71, v9
	v_readfirstlane_b32 s70, v8
	s_cmp_lg_u64 s[70:71], 0
	s_cbranch_scc1 .LBB159_37
; %bb.11:                               ;   in Loop: Header=BB159_10 Depth=1
	s_and_b32 vcc_lo, exec_lo, s33
	s_cbranch_vccz .LBB159_24
; %bb.12:                               ;   in Loop: Header=BB159_10 Depth=1
	v_cmp_gt_u64_e32 vcc_lo, 0x181, v[10:11]
	s_mov_b32 s9, 0
	s_mov_b32 s7, 0
	s_cbranch_vccz .LBB159_25
; %bb.13:                               ;   in Loop: Header=BB159_10 Depth=1
	s_and_saveexec_b32 s10, s3
	s_cbranch_execz .LBB159_91
; %bb.14:                               ;   in Loop: Header=BB159_10 Depth=1
	global_load_u16 v3, v21, s[66:67]
	global_load_b64 v[4:5], v[18:19], off
	v_mov_b64_e32 v[8:9], v[0:1]
	s_mov_b32 s11, 0
	s_wait_loadcnt 0x1
	v_and_b32_e32 v20, 0xffff, v3
	s_branch .LBB159_16
.LBB159_15:                             ;   in Loop: Header=BB159_16 Depth=2
	s_or_b32 exec_lo, exec_lo, s8
	v_mov_b64_e32 v[4:5], v[10:11]
	s_and_not1_b32 exec_lo, exec_lo, s11
	s_cbranch_execz .LBB159_91
.LBB159_16:                             ;   Parent Loop BB159_10 Depth=1
                                        ; =>  This Inner Loop Header: Depth=2
	s_delay_alu instid0(VALU_DEP_1) | instskip(SKIP_2) | instid1(VALU_DEP_2)
	v_add_nc_u64_e32 v[8:9], v[8:9], v[20:21]
	v_mov_b64_e32 v[10:11], 0
	s_mov_b32 s8, exec_lo
	v_cmp_le_u64_e32 vcc_lo, s[36:37], v[8:9]
	s_wait_xcnt 0x0
	v_cmpx_gt_u64_e64 s[36:37], v[8:9]
	s_cbranch_execz .LBB159_18
; %bb.17:                               ;   in Loop: Header=BB159_16 Depth=2
	v_mul_u64_e32 v[10:11], s[30:31], v[8:9]
	s_delay_alu instid0(VALU_DEP_1)
	v_lshl_add_u64 v[10:11], v[10:11], 3, s[28:29]
	global_load_b64 v[10:11], v[10:11], off
.LBB159_18:                             ;   in Loop: Header=BB159_16 Depth=2
	s_wait_xcnt 0x0
	s_or_b32 exec_lo, exec_lo, s8
	s_wait_loadcnt_dscnt 0x0
	v_xor_b32_e32 v3, 0x80000000, v5
	v_and_b32_e32 v12, v4, v28
	s_delay_alu instid0(VALU_DEP_2) | instskip(NEXT) | instid1(VALU_DEP_1)
	v_dual_mov_b32 v3, 0 :: v_dual_bitop2_b32 v13, v3, v29 bitop3:0x40
	v_cmp_eq_u64_e64 s7, v[12:13], v[24:25]
	s_cmp_lg_u32 s7, 0
	s_cselect_b32 s8, -1, 0
	s_delay_alu instid0(SALU_CYCLE_1) | instskip(NEXT) | instid1(SALU_CYCLE_1)
	s_and_b32 s8, s2, s8
	s_and_saveexec_b32 s12, s8
	s_cbranch_execz .LBB159_22
; %bb.19:                               ;   in Loop: Header=BB159_16 Depth=2
	s_mov_b32 s15, exec_lo
	s_bcnt1_i32_b32 s13, s7
	v_mbcnt_lo_u32_b32 v3, s15, 0
	s_mov_b32 s14, exec_lo
                                        ; implicit-def: $vgpr12
	s_delay_alu instid0(VALU_DEP_1)
	v_cmpx_eq_u32_e32 0, v3
; %bb.20:                               ;   in Loop: Header=BB159_16 Depth=2
	s_bcnt1_i32_b32 s8, s15
	s_delay_alu instid0(SALU_CYCLE_1) | instskip(NEXT) | instid1(SALU_CYCLE_1)
	s_mul_i32 s8, s13, s8
	v_mov_b32_e32 v12, s8
	ds_add_rtn_u32 v12, v21, v12 offset:5144
; %bb.21:                               ;   in Loop: Header=BB159_16 Depth=2
	s_or_b32 exec_lo, exec_lo, s14
	s_wait_dscnt 0x0
	v_readfirstlane_b32 s8, v12
	s_delay_alu instid0(VALU_DEP_1)
	v_mad_u32_u24 v3, s13, v3, s8
.LBB159_22:                             ;   in Loop: Header=BB159_16 Depth=2
	s_or_b32 exec_lo, exec_lo, s12
	ds_bpermute_b32 v3, v21, v3
	s_and_b32 s8, exec_lo, vcc_lo
	s_delay_alu instid0(SALU_CYCLE_1)
	s_or_b32 s11, s8, s11
	s_and_saveexec_b32 s8, s7
	s_cbranch_execz .LBB159_15
; %bb.23:                               ;   in Loop: Header=BB159_16 Depth=2
	v_and_b32_e32 v12, s7, v16
	s_delay_alu instid0(VALU_DEP_1) | instskip(NEXT) | instid1(VALU_DEP_1)
	v_bcnt_u32_b32 v12, v12, 0
	v_lshlrev_b32_e32 v12, 3, v12
	s_wait_dscnt 0x0
	s_delay_alu instid0(VALU_DEP_1)
	v_lshl_add_u32 v3, v3, 3, v12
	ds_store_b64 v3, v[4:5]
	s_branch .LBB159_15
.LBB159_24:                             ;   in Loop: Header=BB159_10 Depth=1
	s_mov_b32 s9, -1
	s_mov_b32 s7, 0
.LBB159_25:                             ;   in Loop: Header=BB159_10 Depth=1
	s_and_b32 vcc_lo, exec_lo, s9
	s_cbranch_vccz .LBB159_35
.LBB159_26:                             ;   in Loop: Header=BB159_10 Depth=1
	s_and_saveexec_b32 s7, s3
	s_cbranch_execz .LBB159_32
; %bb.27:                               ;   in Loop: Header=BB159_10 Depth=1
	global_load_u16 v3, v21, s[66:67]
	global_load_b64 v[4:5], v[18:19], off
	s_mov_b32 s8, exec_lo
	s_wait_loadcnt 0x1
	v_and_b32_e32 v8, 0xffff, v3
	v_mov_b32_e32 v3, v0
	s_delay_alu instid0(VALU_DEP_2) | instskip(SKIP_1) | instid1(VALU_DEP_1)
	v_add_nc_u32_e32 v20, v8, v0
	s_wait_xcnt 0x0
	v_cmpx_gt_u64_e64 s[36:37], v[20:21]
	s_cbranch_execz .LBB159_31
; %bb.28:                               ;   in Loop: Header=BB159_10 Depth=1
	v_mov_b64_e32 v[10:11], v[20:21]
	v_mov_b64_e32 v[14:15], v[0:1]
	v_mov_b32_e32 v9, v21
	s_mov_b32 s9, 0
.LBB159_29:                             ;   Parent Loop BB159_10 Depth=1
                                        ; =>  This Inner Loop Header: Depth=2
	s_delay_alu instid0(VALU_DEP_3) | instskip(NEXT) | instid1(VALU_DEP_3)
	v_mov_b64_e32 v[32:33], v[10:11]
	v_lshlrev_b32_e32 v3, 3, v14
	s_wait_loadcnt 0x0
	ds_store_b64 v3, v[4:5]
	v_mul_u64_e32 v[10:11], s[30:31], v[32:33]
	v_mov_b64_e32 v[14:15], v[32:33]
	s_delay_alu instid0(VALU_DEP_2) | instskip(SKIP_3) | instid1(VALU_DEP_1)
	v_lshl_add_u64 v[10:11], v[10:11], 3, s[28:29]
	global_load_b64 v[12:13], v[10:11], off
	s_wait_xcnt 0x0
	v_add_nc_u64_e32 v[10:11], v[32:33], v[8:9]
	v_cmp_le_u64_e32 vcc_lo, s[36:37], v[10:11]
	s_or_b32 s9, vcc_lo, s9
	s_wait_loadcnt 0x0
	v_mov_b64_e32 v[4:5], v[12:13]
	s_and_not1_b32 exec_lo, exec_lo, s9
	s_cbranch_execnz .LBB159_29
; %bb.30:                               ;   in Loop: Header=BB159_10 Depth=1
	s_or_b32 exec_lo, exec_lo, s9
	v_mov_b64_e32 v[4:5], v[12:13]
	v_sub_nc_u32_e32 v3, v10, v8
.LBB159_31:                             ;   in Loop: Header=BB159_10 Depth=1
	s_or_b32 exec_lo, exec_lo, s8
	s_delay_alu instid0(VALU_DEP_1)
	v_lshlrev_b32_e32 v3, 3, v3
	s_wait_loadcnt 0x0
	ds_store_b64 v3, v[4:5]
.LBB159_32:                             ;   in Loop: Header=BB159_10 Depth=1
	s_or_b32 exec_lo, exec_lo, s7
	s_wait_dscnt 0x0
	s_barrier_signal -1
	s_barrier_wait -1
	s_and_saveexec_b32 s7, s5
; %bb.33:                               ;   in Loop: Header=BB159_10 Depth=1
	v_mov_b64_e32 v[4:5], s[36:37]
	ds_store_b64 v21, v[4:5] offset:5120
; %bb.34:                               ;   in Loop: Header=BB159_10 Depth=1
	s_or_b32 exec_lo, exec_lo, s7
	s_mov_b32 s7, -1
	s_wait_dscnt 0x0
	s_barrier_signal -1
	s_barrier_wait -1
.LBB159_35:                             ;   in Loop: Header=BB159_10 Depth=1
	s_and_b32 vcc_lo, exec_lo, s7
	s_mov_b64 s[70:71], 0
	s_cbranch_vccz .LBB159_37
; %bb.36:                               ;   in Loop: Header=BB159_10 Depth=1
	ds_load_b64 v[4:5], v21 offset:5120
	s_wait_dscnt 0x0
	v_readfirstlane_b32 s70, v4
	v_readfirstlane_b32 s71, v5
.LBB159_37:                             ;   in Loop: Header=BB159_10 Depth=1
	s_delay_alu instid0(VALU_DEP_2)
	s_cmp_lt_i32 s70, 1
	s_mov_b32 s7, -1
                                        ; implicit-def: $vgpr14_vgpr15
                                        ; implicit-def: $vgpr10_vgpr11
	s_cbranch_scc1 .LBB159_47
; %bb.38:                               ;   in Loop: Header=BB159_10 Depth=1
	s_and_b32 vcc_lo, exec_lo, s7
	s_cbranch_vccnz .LBB159_61
.LBB159_39:                             ;   in Loop: Header=BB159_10 Depth=1
	s_lshl_b32 s7, s96, 7
	s_and_saveexec_b32 s8, s2
	s_cbranch_execz .LBB159_41
.LBB159_40:                             ;   in Loop: Header=BB159_10 Depth=1
	v_lshl_add_u32 v3, s7, 3, v40
	ds_store_b128 v3, v[8:11]
	ds_store_b128 v3, v[12:15] offset:16
.LBB159_41:                             ;   in Loop: Header=BB159_10 Depth=1
	s_or_b32 exec_lo, exec_lo, s8
	s_wait_dscnt 0x0
	s_barrier_signal -1
	s_barrier_wait -1
	s_and_saveexec_b32 s8, s84
	s_cbranch_execz .LBB159_75
; %bb.42:                               ;   in Loop: Header=BB159_10 Depth=1
	v_mov_b64_e32 v[4:5], 0
	s_and_not1_b32 vcc_lo, exec_lo, s86
	s_cbranch_vccnz .LBB159_74
; %bb.43:                               ;   in Loop: Header=BB159_10 Depth=1
	v_mov_b64_e32 v[4:5], 0
	s_and_not1_b32 vcc_lo, exec_lo, s88
	s_cbranch_vccnz .LBB159_71
; %bb.44:                               ;   in Loop: Header=BB159_10 Depth=1
	v_lshl_add_u32 v3, s96, 10, v42
	s_mov_b32 s9, 0
.LBB159_45:                             ;   Parent Loop BB159_10 Depth=1
                                        ; =>  This Inner Loop Header: Depth=2
	ds_load_2addr_b64 v[8:11], v3 offset1:4
	ds_load_2addr_b64 v[12:15], v3 offset0:8 offset1:12
	s_add_co_i32 s9, s9, 8
	s_delay_alu instid0(SALU_CYCLE_1) | instskip(SKIP_2) | instid1(VALU_DEP_1)
	s_cmp_eq_u32 s89, s9
	s_wait_dscnt 0x1
	v_add_nc_u64_e32 v[4:5], v[8:9], v[4:5]
	v_add_nc_u64_e32 v[4:5], v[10:11], v[4:5]
	ds_load_2addr_b64 v[8:11], v3 offset0:16 offset1:20
	s_wait_dscnt 0x1
	v_add_nc_u64_e32 v[4:5], v[12:13], v[4:5]
	s_delay_alu instid0(VALU_DEP_1) | instskip(SKIP_4) | instid1(VALU_DEP_1)
	v_add_nc_u64_e32 v[4:5], v[14:15], v[4:5]
	ds_load_2addr_b64 v[12:15], v3 offset0:24 offset1:28
	v_add_nc_u32_e32 v3, 0x100, v3
	s_wait_dscnt 0x1
	v_add_nc_u64_e32 v[4:5], v[8:9], v[4:5]
	v_add_nc_u64_e32 v[4:5], v[10:11], v[4:5]
	s_wait_dscnt 0x0
	s_delay_alu instid0(VALU_DEP_1) | instskip(NEXT) | instid1(VALU_DEP_1)
	v_add_nc_u64_e32 v[4:5], v[12:13], v[4:5]
	v_add_nc_u64_e32 v[4:5], v[14:15], v[4:5]
	s_cbranch_scc0 .LBB159_45
; %bb.46:                               ;   in Loop: Header=BB159_10 Depth=1
	s_mov_b32 s9, s89
	s_and_not1_b32 vcc_lo, exec_lo, s90
	s_cbranch_vccz .LBB159_72
	s_branch .LBB159_74
.LBB159_47:                             ;   in Loop: Header=BB159_10 Depth=1
	global_load_u16 v3, v21, s[66:67]
	s_mov_b32 s21, s27
	s_wait_loadcnt 0x0
	v_readfirstlane_b32 s7, v3
	s_and_b32 s7, 0xffff, s7
	s_delay_alu instid0(SALU_CYCLE_1)
	s_lshl_b32 s20, s7, 2
	s_cmp_lg_u64 s[68:69], 0
	s_cbranch_scc0 .LBB159_70
; %bb.48:                               ;   in Loop: Header=BB159_10 Depth=1
	s_cvt_f32_u32 s7, s20
	s_sub_nc_u64 s[10:11], 0, s[20:21]
	s_delay_alu instid0(SALU_CYCLE_2) | instskip(NEXT) | instid1(SALU_CYCLE_3)
	s_fmamk_f32 s7, s94, 0x0, s7
	v_s_rcp_f32 s7, s7
	s_delay_alu instid0(TRANS32_DEP_1) | instskip(NEXT) | instid1(SALU_CYCLE_3)
	s_mul_f32 s7, s7, 0x5f7ffffc
	s_mul_f32 s8, s7, 0x2f800000
	s_delay_alu instid0(SALU_CYCLE_3) | instskip(NEXT) | instid1(SALU_CYCLE_3)
	s_trunc_f32 s8, s8
	s_fmamk_f32 s7, s8, 0xcf800000, s7
	s_cvt_u32_f32 s9, s8
	s_delay_alu instid0(SALU_CYCLE_2) | instskip(NEXT) | instid1(SALU_CYCLE_3)
	s_cvt_u32_f32 s8, s7
	s_mul_u64 s[12:13], s[10:11], s[8:9]
	s_delay_alu instid0(SALU_CYCLE_1)
	s_mul_hi_u32 s15, s8, s13
	s_mul_i32 s14, s8, s13
	s_mul_hi_u32 s26, s8, s12
	s_mul_i32 s16, s9, s12
	s_add_nc_u64 s[14:15], s[26:27], s[14:15]
	s_mul_hi_u32 s7, s9, s12
	s_mul_hi_u32 s17, s9, s13
	s_mul_i32 s12, s9, s13
	s_add_co_u32 s13, s14, s16
	s_add_co_ci_u32 s26, s15, s7
	s_add_co_ci_u32 s13, s17, 0
	s_delay_alu instid0(SALU_CYCLE_1) | instskip(NEXT) | instid1(SALU_CYCLE_1)
	s_add_nc_u64 s[12:13], s[26:27], s[12:13]
	s_add_co_u32 s8, s8, s12
	s_cselect_b32 s7, -1, 0
	s_delay_alu instid0(SALU_CYCLE_1) | instskip(SKIP_1) | instid1(SALU_CYCLE_1)
	s_cmp_lg_u32 s7, 0
	s_add_co_ci_u32 s9, s9, s13
	s_mul_u64 s[10:11], s[10:11], s[8:9]
	s_delay_alu instid0(SALU_CYCLE_1)
	s_mul_hi_u32 s13, s8, s11
	s_mul_i32 s12, s8, s11
	s_mul_hi_u32 s26, s8, s10
	s_mul_i32 s14, s9, s10
	s_add_nc_u64 s[12:13], s[26:27], s[12:13]
	s_mul_hi_u32 s7, s9, s10
	s_mul_hi_u32 s15, s9, s11
	s_mul_i32 s10, s9, s11
	s_add_co_u32 s11, s12, s14
	s_add_co_ci_u32 s26, s13, s7
	s_add_co_ci_u32 s11, s15, 0
	s_delay_alu instid0(SALU_CYCLE_1) | instskip(NEXT) | instid1(SALU_CYCLE_1)
	s_add_nc_u64 s[10:11], s[26:27], s[10:11]
	s_add_co_u32 s7, s8, s10
	s_cselect_b32 s8, -1, 0
	s_mul_hi_u32 s26, s36, s7
	s_cmp_lg_u32 s8, 0
	s_mul_hi_u32 s12, s37, s7
	s_add_co_ci_u32 s10, s9, s11
	s_mul_i32 s7, s37, s7
	s_mul_hi_u32 s9, s36, s10
	s_mul_i32 s8, s36, s10
	s_mul_hi_u32 s11, s37, s10
	s_add_nc_u64 s[8:9], s[26:27], s[8:9]
	s_mul_i32 s10, s37, s10
	s_add_co_u32 s7, s8, s7
	s_add_co_ci_u32 s26, s9, s12
	s_add_co_ci_u32 s11, s11, 0
	s_delay_alu instid0(SALU_CYCLE_1) | instskip(NEXT) | instid1(SALU_CYCLE_1)
	s_add_nc_u64 s[8:9], s[26:27], s[10:11]
	s_and_b64 s[10:11], s[8:9], 0xffffffff00000000
	s_delay_alu instid0(SALU_CYCLE_1) | instskip(NEXT) | instid1(SALU_CYCLE_1)
	s_or_b32 s10, s10, s8
	s_mul_u64 s[8:9], s[20:21], s[10:11]
	s_delay_alu instid0(SALU_CYCLE_1) | instskip(SKIP_1) | instid1(SALU_CYCLE_1)
	s_sub_co_u32 s7, s36, s8
	s_cselect_b32 s8, -1, 0
	s_cmp_lg_u32 s8, 0
	s_sub_co_ci_u32 s8, s37, s9
	s_sub_co_u32 s9, s7, s20
	s_cselect_b32 s10, -1, 0
	s_delay_alu instid0(SALU_CYCLE_1) | instskip(SKIP_3) | instid1(SALU_CYCLE_1)
	s_cmp_lg_u32 s10, 0
	s_sub_co_ci_u32 s10, s8, 0
	s_sub_co_u32 s11, s9, s20
	s_cselect_b32 s12, -1, 0
	s_cmp_lg_u32 s12, 0
	s_sub_co_ci_u32 s12, s10, 0
	s_cmp_ge_u32 s9, s20
	s_cselect_b32 s13, -1, 0
	s_cmp_eq_u32 s10, 0
	s_cselect_b32 s13, s13, -1
	s_delay_alu instid0(SALU_CYCLE_1)
	s_cmp_lg_u32 s13, 0
	s_cselect_b32 s10, s12, s10
	s_cselect_b32 s11, s11, s9
	s_cmp_ge_u32 s7, s20
	s_cselect_b32 s9, -1, 0
	s_cmp_eq_u32 s8, 0
	s_cselect_b32 s9, s9, -1
	s_delay_alu instid0(SALU_CYCLE_1)
	s_cmp_lg_u32 s9, 0
	s_cselect_b32 s9, s10, s8
	s_cselect_b32 s8, s11, s7
	s_cbranch_execnz .LBB159_50
.LBB159_49:                             ;   in Loop: Header=BB159_10 Depth=1
	v_cvt_f32_u32_e32 v4, s20
	s_sub_co_i32 s8, 0, s20
	s_delay_alu instid0(VALU_DEP_1) | instskip(SKIP_1) | instid1(TRANS32_DEP_1)
	v_rcp_iflag_f32_e32 v4, v4
	v_nop
	v_mul_f32_e32 v4, 0x4f7ffffe, v4
	s_delay_alu instid0(VALU_DEP_1) | instskip(NEXT) | instid1(VALU_DEP_1)
	v_cvt_u32_f32_e32 v4, v4
	v_readfirstlane_b32 s7, v4
	s_mul_i32 s8, s8, s7
	s_delay_alu instid0(SALU_CYCLE_1) | instskip(NEXT) | instid1(SALU_CYCLE_1)
	s_mul_hi_u32 s8, s7, s8
	s_add_co_i32 s7, s7, s8
	s_delay_alu instid0(SALU_CYCLE_1) | instskip(NEXT) | instid1(SALU_CYCLE_1)
	s_mul_hi_u32 s7, s36, s7
	s_mul_i32 s7, s7, s20
	s_delay_alu instid0(SALU_CYCLE_1) | instskip(NEXT) | instid1(SALU_CYCLE_1)
	s_sub_co_i32 s7, s36, s7
	s_sub_co_i32 s8, s7, s20
	s_cmp_ge_u32 s7, s20
	s_cselect_b32 s7, s8, s7
	s_delay_alu instid0(SALU_CYCLE_1) | instskip(SKIP_2) | instid1(SALU_CYCLE_1)
	s_sub_co_i32 s8, s7, s20
	s_cmp_ge_u32 s7, s20
	s_cselect_b32 s26, s8, s7
	s_mov_b64 s[8:9], s[26:27]
.LBB159_50:                             ;   in Loop: Header=BB159_10 Depth=1
	v_mov_b64_e32 v[8:9], 0
	v_mov_b64_e32 v[10:11], 0
	;; [unrolled: 1-line block ×4, first 2 shown]
	s_sub_nc_u64 s[22:23], s[36:37], s[8:9]
	s_mov_b32 s19, exec_lo
	v_cmpx_gt_u64_e64 s[22:23], v[22:23]
	s_cbranch_execz .LBB159_54
; %bb.51:                               ;   in Loop: Header=BB159_10 Depth=1
	v_mov_b64_e32 v[4:5], v[22:23]
	s_mov_b64 s[24:25], 0
	s_mov_b32 s58, 0
	s_mov_b64 s[72:73], 0
	s_mov_b64 s[74:75], 0
	;; [unrolled: 1-line block ×3, first 2 shown]
.LBB159_52:                             ;   Parent Loop BB159_10 Depth=1
                                        ; =>  This Inner Loop Header: Depth=2
	s_delay_alu instid0(VALU_DEP_1) | instskip(SKIP_3) | instid1(VALU_DEP_1)
	v_mul_u64_e32 v[8:9], s[30:31], v[4:5]
	s_lshl_b64 s[8:9], s[30:31], 3
	v_dual_mov_b32 v33, v21 :: v_dual_mov_b32 v35, v21
	v_add_nc_u64_e32 v[4:5], s[20:21], v[4:5]
	v_cmp_le_u64_e32 vcc_lo, s[22:23], v[4:5]
	s_delay_alu instid0(VALU_DEP_4) | instskip(NEXT) | instid1(VALU_DEP_1)
	v_lshl_add_u64 v[8:9], v[8:9], 3, s[28:29]
	v_add_nc_u64_e32 v[10:11], s[8:9], v[8:9]
	s_clause 0x1
	global_load_b64 v[14:15], v[8:9], off
	global_load_b64 v[12:13], v[10:11], off
	s_wait_xcnt 0x1
	v_add_nc_u64_e32 v[8:9], s[8:9], v[10:11]
	v_mov_b32_e32 v37, v21
	global_load_b64 v[10:11], v[8:9], off
	s_wait_xcnt 0x0
	v_add_nc_u64_e32 v[8:9], s[8:9], v[8:9]
	global_load_b64 v[8:9], v[8:9], off
	s_wait_loadcnt 0x3
	v_xor_b32_e32 v15, 0x80000000, v15
	v_and_b32_e32 v44, v14, v28
	s_wait_loadcnt 0x2
	v_xor_b32_e32 v13, 0x80000000, v13
	v_and_b32_e32 v46, v12, v28
	v_and_b32_e32 v45, v15, v29
	v_lshrrev_b64 v[14:15], s92, v[14:15]
	s_delay_alu instid0(VALU_DEP_4)
	v_and_b32_e32 v47, v13, v29
	v_lshrrev_b64 v[12:13], s92, v[12:13]
	s_wait_loadcnt 0x1
	v_xor_b32_e32 v11, 0x80000000, v11
	v_cmp_eq_u64_e64 s7, v[44:45], v[24:25]
	v_cmp_eq_u64_e64 s8, v[46:47], v[24:25]
	v_and_b32_e32 v20, 3, v14
	v_and_b32_e32 v14, v10, v28
	;; [unrolled: 1-line block ×4, first 2 shown]
	v_lshrrev_b64 v[10:11], s92, v[10:11]
	v_cmp_eq_u64_e64 s9, 0, v[20:21]
	v_cmp_eq_u64_e64 s10, 1, v[20:21]
	;; [unrolled: 1-line block ×4, first 2 shown]
	s_wait_loadcnt 0x0
	v_xor_b32_e32 v9, 0x80000000, v9
	v_cmp_eq_u64_e64 s14, 0, v[32:33]
	v_and_b32_e32 v12, v8, v28
	s_and_b32 s9, s7, s9
	s_and_b32 s10, s7, s10
	;; [unrolled: 1-line block ×3, first 2 shown]
	v_cmp_eq_u64_e64 s13, v[14:15], v[24:25]
	v_cndmask_b32_e64 v11, 0, 1, s9
	v_cmp_eq_u64_e64 s9, 1, v[32:33]
	v_cndmask_b32_e64 v14, 0, 1, s10
	;; [unrolled: 2-line block ×3, first 2 shown]
	v_cmp_eq_u64_e64 s11, 3, v[32:33]
	s_and_b32 s7, s7, s12
	v_and_b32_e32 v13, v9, v29
	v_and_b32_e32 v34, 3, v10
	v_lshrrev_b64 v[8:9], s92, v[8:9]
	v_cndmask_b32_e64 v20, 0, 1, s7
	s_and_b32 s14, s8, s14
	v_cmp_ne_u32_e64 s7, 0, v11
	v_cmp_eq_u64_e64 s18, 0, v[34:35]
	v_cmp_ne_u32_e64 s15, 0, v15
	v_cmp_ne_u32_e64 s16, 0, v20
	v_cndmask_b32_e64 v9, 0, 1, s14
	v_cmp_eq_u64_e64 s14, 1, v[34:35]
	s_and_b32 s9, s8, s9
	s_and_b32 s10, s8, s10
	;; [unrolled: 1-line block ×3, first 2 shown]
	v_and_b32_e32 v36, 3, v8
	v_cmp_ne_u32_e64 s12, 0, v14
	v_cmp_eq_u64_e64 s17, v[12:13], v[24:25]
	v_cndmask_b32_e64 v10, 0, 1, s9
	v_cmp_eq_u64_e64 s9, 2, v[34:35]
	v_cndmask_b32_e64 v11, 0, 1, s10
	v_cndmask_b32_e64 v12, 0, 1, s8
	v_cmp_eq_u64_e64 s10, 3, v[34:35]
	s_bcnt1_i32_b32 s26, s7
	s_bcnt1_i32_b32 s41, s15
	;; [unrolled: 1-line block ×3, first 2 shown]
	v_cmp_ne_u32_e64 s7, 0, v9
	v_cmp_eq_u64_e64 s15, 0, v[36:37]
	s_and_b32 s16, s13, s18
	s_bcnt1_i32_b32 s40, s12
	v_cmp_ne_u32_e64 s8, 0, v10
	v_cmp_ne_u32_e64 s11, 0, v11
	;; [unrolled: 1-line block ×3, first 2 shown]
	v_cndmask_b32_e64 v8, 0, 1, s16
	v_cmp_eq_u64_e64 s16, 1, v[36:37]
	s_and_b32 s14, s13, s14
	s_and_b32 s9, s13, s9
	v_cndmask_b32_e64 v9, 0, 1, s14
	v_cmp_eq_u64_e64 s14, 2, v[36:37]
	s_and_b32 s10, s13, s10
	s_bcnt1_i32_b32 s7, s7
	v_cndmask_b32_e64 v10, 0, 1, s9
	v_cmp_eq_u64_e64 s9, 3, v[36:37]
	v_cndmask_b32_e64 v11, 0, 1, s10
	s_bcnt1_i32_b32 s8, s8
	s_bcnt1_i32_b32 s10, s11
	;; [unrolled: 1-line block ×3, first 2 shown]
	s_add_co_i32 s12, s7, s26
	v_cmp_ne_u32_e64 s7, 0, v8
	s_and_b32 s15, s17, s15
	s_add_co_i32 s13, s8, s40
	v_cmp_ne_u32_e64 s8, 0, v9
	v_cndmask_b32_e64 v8, 0, 1, s15
	s_and_b32 s15, s17, s16
	s_add_co_i32 s18, s10, s41
	v_cmp_ne_u32_e64 s10, 0, v10
	v_cndmask_b32_e64 v9, 0, 1, s15
	s_and_b32 s14, s17, s14
	s_bcnt1_i32_b32 s7, s7
	v_cndmask_b32_e64 v10, 0, 1, s14
	s_and_b32 s9, s17, s9
	s_add_co_i32 s26, s11, s42
	v_cmp_ne_u32_e64 s11, 0, v11
	s_bcnt1_i32_b32 s8, s8
	s_add_co_i32 s12, s12, s7
	v_cmp_ne_u32_e64 s7, 0, v8
	v_cndmask_b32_e64 v11, 0, 1, s9
	s_bcnt1_i32_b32 s9, s10
	s_add_co_i32 s13, s13, s8
	v_cmp_ne_u32_e64 s8, 0, v9
	s_add_co_i32 s14, s18, s9
	v_cmp_ne_u32_e64 s9, 0, v10
	s_bcnt1_i32_b32 s11, s11
	s_bcnt1_i32_b32 s7, s7
	v_cmp_ne_u32_e64 s10, 0, v11
	s_add_co_i32 s11, s26, s11
	s_bcnt1_i32_b32 s8, s8
	s_add_co_i32 s26, s12, s7
	s_bcnt1_i32_b32 s9, s9
	s_add_nc_u64 s[76:77], s[76:77], s[26:27]
	s_add_co_i32 s26, s13, s8
	s_bcnt1_i32_b32 s10, s10
	s_add_nc_u64 s[74:75], s[74:75], s[26:27]
	s_add_co_i32 s26, s14, s9
	v_mov_b64_e32 v[8:9], s[76:77]
	s_add_nc_u64 s[72:73], s[72:73], s[26:27]
	s_add_co_i32 s26, s11, s10
	v_mov_b64_e32 v[10:11], s[74:75]
	s_add_nc_u64 s[24:25], s[24:25], s[26:27]
	v_mov_b64_e32 v[12:13], s[72:73]
	v_mov_b64_e32 v[14:15], s[24:25]
	s_or_b32 s58, vcc_lo, s58
	s_delay_alu instid0(SALU_CYCLE_1)
	s_and_not1_b32 exec_lo, exec_lo, s58
	s_cbranch_execnz .LBB159_52
; %bb.53:                               ;   in Loop: Header=BB159_10 Depth=1
	s_or_b32 exec_lo, exec_lo, s58
.LBB159_54:                             ;   in Loop: Header=BB159_10 Depth=1
	s_delay_alu instid0(SALU_CYCLE_1) | instskip(SKIP_4) | instid1(VALU_DEP_3)
	s_or_b32 exec_lo, exec_lo, s19
	v_add_nc_u64_e32 v[32:33], s[22:23], v[0:1]
	v_and_b32_e32 v4, 0xffff, v3
	v_mov_b32_e32 v5, v21
	s_mov_b32 s10, exec_lo
	v_cmpx_gt_u64_e64 s[36:37], v[32:33]
	s_cbranch_execz .LBB159_60
; %bb.55:                               ;   in Loop: Header=BB159_10 Depth=1
	v_mul_u64_e32 v[34:35], s[30:31], v[32:33]
	s_mov_b32 s11, 0
	s_delay_alu instid0(VALU_DEP_1)
	v_lshl_add_u64 v[34:35], v[34:35], 3, s[28:29]
	global_load_b64 v[36:37], v[34:35], off
	s_branch .LBB159_57
.LBB159_56:                             ;   in Loop: Header=BB159_57 Depth=2
	s_wait_xcnt 0x0
	s_or_b32 exec_lo, exec_lo, s8
	s_wait_loadcnt 0x0
	v_xor_b32_e32 v37, 0x80000000, v37
	s_and_b32 s9, exec_lo, vcc_lo
	s_delay_alu instid0(SALU_CYCLE_1) | instskip(NEXT) | instid1(VALU_DEP_1)
	s_or_b32 s11, s9, s11
	v_lshrrev_b64 v[44:45], s92, v[36:37]
	v_and_b32_e32 v36, v36, v28
	v_and_b32_e32 v37, v37, v29
	s_delay_alu instid0(VALU_DEP_1) | instskip(NEXT) | instid1(VALU_DEP_4)
	v_cmp_eq_u64_e64 s7, v[36:37], v[24:25]
	v_and_b32_e32 v20, 3, v44
	v_mov_b64_e32 v[36:37], v[34:35]
	s_delay_alu instid0(VALU_DEP_2)
	v_cmp_eq_u64_e64 s8, 0, v[20:21]
	v_cmp_eq_u64_e32 vcc_lo, 1, v[20:21]
	v_cmp_eq_u64_e64 s9, 2, v[20:21]
	s_and_b32 s8, s7, s8
	s_and_b32 s12, s7, vcc_lo
	v_cndmask_b32_e64 v3, 0, 1, s8
	v_cmp_eq_u64_e64 s8, 3, v[20:21]
	v_cndmask_b32_e64 v20, 0, 1, s12
	s_and_b32 s9, s7, s9
	v_cmp_ne_u32_e32 vcc_lo, 0, v3
	v_cndmask_b32_e64 v3, 0, 1, s9
	s_delay_alu instid0(VALU_DEP_3) | instskip(SKIP_1) | instid1(SALU_CYCLE_1)
	v_cmp_ne_u32_e64 s9, 0, v20
	s_and_b32 s7, s7, s8
	v_cndmask_b32_e64 v20, 0, 1, s7
	s_bcnt1_i32_b32 s26, vcc_lo
	v_cmp_ne_u32_e32 vcc_lo, 0, v3
	v_add_nc_u64_e32 v[8:9], s[26:27], v[8:9]
	s_bcnt1_i32_b32 s26, s9
	v_cmp_ne_u32_e64 s7, 0, v20
	v_add_nc_u64_e32 v[10:11], s[26:27], v[10:11]
	s_bcnt1_i32_b32 s26, vcc_lo
	s_delay_alu instid0(SALU_CYCLE_1) | instskip(SKIP_1) | instid1(SALU_CYCLE_1)
	v_add_nc_u64_e32 v[12:13], s[26:27], v[12:13]
	s_bcnt1_i32_b32 s26, s7
	v_add_nc_u64_e32 v[14:15], s[26:27], v[14:15]
	s_and_not1_b32 exec_lo, exec_lo, s11
	s_cbranch_execz .LBB159_59
.LBB159_57:                             ;   Parent Loop BB159_10 Depth=1
                                        ; =>  This Inner Loop Header: Depth=2
	v_add_nc_u64_e32 v[32:33], v[32:33], v[4:5]
	s_wait_xcnt 0x0
	v_mov_b64_e32 v[34:35], 0
	s_mov_b32 s8, exec_lo
	s_delay_alu instid0(VALU_DEP_2)
	v_cmp_le_u64_e32 vcc_lo, s[36:37], v[32:33]
	v_cmpx_gt_u64_e64 s[36:37], v[32:33]
	s_cbranch_execz .LBB159_56
; %bb.58:                               ;   in Loop: Header=BB159_57 Depth=2
	v_mul_u64_e32 v[34:35], s[30:31], v[32:33]
	s_delay_alu instid0(VALU_DEP_1)
	v_lshl_add_u64 v[34:35], v[34:35], 3, s[28:29]
	global_load_b64 v[34:35], v[34:35], off
	s_branch .LBB159_56
.LBB159_59:                             ;   in Loop: Header=BB159_10 Depth=1
	s_or_b32 exec_lo, exec_lo, s11
.LBB159_60:                             ;   in Loop: Header=BB159_10 Depth=1
	s_delay_alu instid0(SALU_CYCLE_1)
	s_or_b32 exec_lo, exec_lo, s10
	s_branch .LBB159_39
.LBB159_61:                             ;   in Loop: Header=BB159_10 Depth=1
	global_load_u16 v3, v21, s[66:67]
	v_mov_b32_e32 v5, v21
	s_mov_b32 s75, s27
	v_mov_b64_e32 v[10:11], 0
	v_mov_b64_e32 v[12:13], 0
	;; [unrolled: 1-line block ×3, first 2 shown]
	s_mov_b32 s59, exec_lo
	s_wait_loadcnt 0x0
	v_readfirstlane_b32 s7, v3
	s_and_b32 s58, 0xffff, s7
	s_delay_alu instid0(SALU_CYCLE_1) | instskip(NEXT) | instid1(SALU_CYCLE_1)
	s_lshl_b32 s72, s58, 2
	s_cvt_f32_u32 s7, s72
	s_sub_co_i32 s8, 0, s72
	s_delay_alu instid0(SALU_CYCLE_2) | instskip(SKIP_1) | instid1(TRANS32_DEP_1)
	v_rcp_iflag_f32_e32 v4, s7
	v_nop
	v_readfirstlane_b32 s7, v4
	v_and_b32_e32 v4, 0xffff, v3
	s_mul_f32 s7, s7, 0x4f7ffffe
	s_delay_alu instid0(SALU_CYCLE_3) | instskip(NEXT) | instid1(SALU_CYCLE_3)
	s_cvt_u32_f32 s7, s7
	s_mul_i32 s8, s8, s7
	s_delay_alu instid0(SALU_CYCLE_1) | instskip(NEXT) | instid1(SALU_CYCLE_1)
	s_mul_hi_u32 s8, s7, s8
	s_add_co_i32 s7, s7, s8
	s_delay_alu instid0(SALU_CYCLE_1) | instskip(NEXT) | instid1(SALU_CYCLE_1)
	s_mul_hi_u32 s7, s70, s7
	s_mul_i32 s8, s7, s72
	s_add_co_i32 s9, s7, 1
	s_sub_co_i32 s8, s70, s8
	s_delay_alu instid0(SALU_CYCLE_1)
	s_sub_co_i32 s10, s8, s72
	s_cmp_ge_u32 s8, s72
	s_cselect_b32 s7, s9, s7
	s_cselect_b32 s8, s10, s8
	s_add_co_i32 s9, s7, 1
	s_cmp_ge_u32 s8, s72
	s_cselect_b32 s74, s9, s7
	s_delay_alu instid0(SALU_CYCLE_1) | instskip(NEXT) | instid1(VALU_DEP_1)
	v_mul_u64_e32 v[8:9], s[74:75], v[4:5]
	v_lshlrev_b64_e32 v[32:33], 2, v[8:9]
	v_mov_b64_e32 v[8:9], 0
	s_delay_alu instid0(VALU_DEP_2)
	v_cmpx_gt_u64_e64 v[32:33], v[22:23]
	s_cbranch_execz .LBB159_65
; %bb.62:                               ;   in Loop: Header=BB159_10 Depth=1
	v_mov_b64_e32 v[34:35], v[22:23]
	v_mov_b32_e32 v3, v41
	s_mov_b32 s73, s27
	s_lshl_b32 s60, s58, 5
	s_mov_b64 s[76:77], 0
	s_mov_b32 s61, 0
	s_mov_b64 s[78:79], 0
	s_mov_b64 s[80:81], 0
	;; [unrolled: 1-line block ×3, first 2 shown]
.LBB159_63:                             ;   Parent Loop BB159_10 Depth=1
                                        ; =>  This Inner Loop Header: Depth=2
	ds_load_b128 v[12:15], v3
	ds_load_b128 v[8:11], v3 offset:16
	v_dual_mov_b32 v37, v21 :: v_dual_mov_b32 v45, v21
	v_dual_mov_b32 v47, v21 :: v_dual_add_nc_u32 v3, s60, v3
	v_add_nc_u64_e32 v[34:35], s[72:73], v[34:35]
	s_delay_alu instid0(VALU_DEP_1)
	v_cmp_ge_u64_e32 vcc_lo, v[34:35], v[32:33]
	s_wait_dscnt 0x1
	v_xor_b32_e32 v13, 0x80000000, v13
	v_xor_b32_e32 v15, 0x80000000, v15
	s_wait_dscnt 0x0
	v_xor_b32_e32 v9, 0x80000000, v9
	v_xor_b32_e32 v11, 0x80000000, v11
	v_and_b32_e32 v48, v12, v28
	v_and_b32_e32 v50, v14, v28
	;; [unrolled: 1-line block ×4, first 2 shown]
	v_lshrrev_b64 v[12:13], s92, v[12:13]
	v_lshrrev_b64 v[14:15], s92, v[14:15]
	v_and_b32_e32 v52, v8, v28
	v_and_b32_e32 v53, v9, v29
	v_lshrrev_b64 v[8:9], s92, v[8:9]
	v_and_b32_e32 v54, v10, v28
	v_and_b32_e32 v55, v11, v29
	;; [unrolled: 3-line block ×3, first 2 shown]
	v_cmp_eq_u64_e64 s7, v[48:49], v[24:25]
	v_and_b32_e32 v44, 3, v8
	v_cmp_eq_u64_e64 s8, v[50:51], v[24:25]
	v_cmp_eq_u64_e64 s11, 0, v[20:21]
	v_and_b32_e32 v46, 3, v10
	v_cmp_eq_u64_e64 s12, 0, v[36:37]
	v_cmp_eq_u64_e64 s9, v[52:53], v[24:25]
	;; [unrolled: 1-line block ×15, first 2 shown]
	s_and_b32 s11, s7, s11
	s_and_b32 s12, s8, s12
	v_cmp_eq_u64_e64 s22, 2, v[46:47]
	v_cmp_eq_u64_e64 s26, 3, v[46:47]
	s_and_b32 s13, s9, s13
	s_and_b32 s15, s7, s15
	;; [unrolled: 1-line block ×3, first 2 shown]
	v_cndmask_b32_e64 v8, 0, 1, s11
	v_cndmask_b32_e64 v9, 0, 1, s12
	s_and_b32 s14, s10, s14
	s_and_b32 s17, s9, s17
	;; [unrolled: 1-line block ×4, first 2 shown]
	v_cndmask_b32_e64 v10, 0, 1, s13
	v_cndmask_b32_e64 v12, 0, 1, s15
	;; [unrolled: 1-line block ×3, first 2 shown]
	s_and_b32 s7, s7, s23
	s_and_b32 s8, s8, s24
	;; [unrolled: 1-line block ×4, first 2 shown]
	v_cndmask_b32_e64 v11, 0, 1, s14
	v_cndmask_b32_e64 v14, 0, 1, s17
	;; [unrolled: 1-line block ×4, first 2 shown]
	s_and_b32 s9, s9, s25
	v_cndmask_b32_e64 v44, 0, 1, s7
	v_cndmask_b32_e64 v45, 0, 1, s8
	v_cmp_ne_u32_e64 s7, 0, v8
	v_cmp_ne_u32_e64 s8, 0, v9
	s_and_b32 s22, s10, s22
	v_cndmask_b32_e64 v15, 0, 1, s18
	v_cndmask_b32_e64 v37, 0, 1, s21
	s_and_b32 s10, s10, s26
	v_cndmask_b32_e64 v46, 0, 1, s9
	v_cmp_ne_u32_e64 s9, 0, v10
	v_cmp_ne_u32_e64 s11, 0, v12
	;; [unrolled: 1-line block ×3, first 2 shown]
	v_cndmask_b32_e64 v43, 0, 1, s22
	v_cndmask_b32_e64 v47, 0, 1, s10
	v_cmp_ne_u32_e64 s10, 0, v11
	v_cmp_ne_u32_e64 s13, 0, v14
	;; [unrolled: 1-line block ×4, first 2 shown]
	s_bcnt1_i32_b32 s7, s7
	s_bcnt1_i32_b32 s8, s8
	v_cmp_ne_u32_e64 s14, 0, v15
	v_cmp_ne_u32_e64 s17, 0, v37
	;; [unrolled: 1-line block ×4, first 2 shown]
	s_bcnt1_i32_b32 s9, s9
	s_bcnt1_i32_b32 s11, s11
	;; [unrolled: 1-line block ×3, first 2 shown]
	s_add_co_i32 s7, s8, s7
	v_cmp_ne_u32_e64 s18, 0, v43
	v_cmp_ne_u32_e64 s21, 0, v46
	s_bcnt1_i32_b32 s10, s10
	s_bcnt1_i32_b32 s13, s13
	;; [unrolled: 1-line block ×4, first 2 shown]
	s_add_co_i32 s8, s12, s11
	s_add_co_i32 s7, s7, s9
	v_cmp_ne_u32_e64 s22, 0, v47
	s_bcnt1_i32_b32 s14, s14
	s_bcnt1_i32_b32 s17, s17
	s_bcnt1_i32_b32 s19, s19
	s_bcnt1_i32_b32 s20, s20
	s_add_co_i32 s11, s16, s15
	s_add_co_i32 s8, s8, s13
	;; [unrolled: 1-line block ×3, first 2 shown]
	s_bcnt1_i32_b32 s18, s18
	s_bcnt1_i32_b32 s21, s21
	s_add_co_i32 s12, s20, s19
	s_add_co_i32 s9, s11, s17
	s_add_nc_u64 s[82:83], s[82:83], s[26:27]
	s_add_co_i32 s26, s8, s14
	s_bcnt1_i32_b32 s22, s22
	s_add_co_i32 s11, s12, s21
	s_add_nc_u64 s[80:81], s[80:81], s[26:27]
	s_add_co_i32 s26, s9, s18
	v_mov_b64_e32 v[8:9], s[82:83]
	s_add_nc_u64 s[78:79], s[78:79], s[26:27]
	s_add_co_i32 s26, s11, s22
	v_mov_b64_e32 v[10:11], s[80:81]
	s_add_nc_u64 s[76:77], s[76:77], s[26:27]
	v_mov_b64_e32 v[12:13], s[78:79]
	v_mov_b64_e32 v[14:15], s[76:77]
	s_or_b32 s61, vcc_lo, s61
	s_delay_alu instid0(SALU_CYCLE_1)
	s_and_not1_b32 exec_lo, exec_lo, s61
	s_cbranch_execnz .LBB159_63
; %bb.64:                               ;   in Loop: Header=BB159_10 Depth=1
	s_or_b32 exec_lo, exec_lo, s61
.LBB159_65:                             ;   in Loop: Header=BB159_10 Depth=1
	s_delay_alu instid0(SALU_CYCLE_1) | instskip(SKIP_3) | instid1(VALU_DEP_1)
	s_or_b32 exec_lo, exec_lo, s59
	v_add_nc_u64_e32 v[32:33], v[32:33], v[0:1]
	s_and_b64 s[12:13], s[70:71], 0x7fffffff
	s_mov_b32 s14, exec_lo
	v_cmpx_gt_u64_e64 s[12:13], v[32:33]
	s_cbranch_execz .LBB159_69
; %bb.66:                               ;   in Loop: Header=BB159_10 Depth=1
	s_mul_i32 s7, s74, s58
	s_lshl_b32 s16, s58, 3
	v_lshl_add_u32 v3, s7, 5, v38
	s_mov_b32 s15, 0
.LBB159_67:                             ;   Parent Loop BB159_10 Depth=1
                                        ; =>  This Inner Loop Header: Depth=2
	ds_load_b64 v[34:35], v3
	v_add_nc_u64_e32 v[32:33], v[32:33], v[4:5]
	v_add_nc_u32_e32 v3, s16, v3
	s_delay_alu instid0(VALU_DEP_2) | instskip(SKIP_3) | instid1(VALU_DEP_2)
	v_cmp_le_u64_e32 vcc_lo, s[12:13], v[32:33]
	s_wait_dscnt 0x0
	v_xor_b32_e32 v35, 0x80000000, v35
	v_and_b32_e32 v36, v34, v28
	v_lshrrev_b64 v[44:45], s92, v[34:35]
	v_and_b32_e32 v37, v35, v29
	s_delay_alu instid0(VALU_DEP_1) | instskip(NEXT) | instid1(VALU_DEP_3)
	v_cmp_eq_u64_e64 s7, v[36:37], v[24:25]
	v_and_b32_e32 v20, 3, v44
	s_delay_alu instid0(VALU_DEP_1) | instskip(SKIP_4) | instid1(SALU_CYCLE_1)
	v_cmp_eq_u64_e64 s8, 0, v[20:21]
	v_cmp_eq_u64_e64 s9, 1, v[20:21]
	v_cmp_eq_u64_e64 s10, 2, v[20:21]
	v_cmp_eq_u64_e64 s11, 3, v[20:21]
	s_and_b32 s8, s7, s8
	v_cndmask_b32_e64 v20, 0, 1, s8
	s_and_b32 s8, s7, s9
	s_delay_alu instid0(SALU_CYCLE_1)
	v_cndmask_b32_e64 v34, 0, 1, s8
	s_and_b32 s8, s7, s10
	s_and_b32 s7, s7, s11
	v_cndmask_b32_e64 v35, 0, 1, s8
	v_cndmask_b32_e64 v36, 0, 1, s7
	v_cmp_ne_u32_e64 s7, 0, v20
	v_cmp_ne_u32_e64 s8, 0, v34
	s_delay_alu instid0(VALU_DEP_4) | instskip(NEXT) | instid1(VALU_DEP_4)
	v_cmp_ne_u32_e64 s9, 0, v35
	v_cmp_ne_u32_e64 s10, 0, v36
	s_bcnt1_i32_b32 s26, s7
	s_delay_alu instid0(SALU_CYCLE_1) | instskip(SKIP_1) | instid1(SALU_CYCLE_1)
	v_add_nc_u64_e32 v[8:9], s[26:27], v[8:9]
	s_bcnt1_i32_b32 s26, s8
	v_add_nc_u64_e32 v[10:11], s[26:27], v[10:11]
	s_bcnt1_i32_b32 s26, s9
	s_delay_alu instid0(SALU_CYCLE_1)
	v_add_nc_u64_e32 v[12:13], s[26:27], v[12:13]
	s_bcnt1_i32_b32 s26, s10
	s_or_b32 s15, vcc_lo, s15
	v_add_nc_u64_e32 v[14:15], s[26:27], v[14:15]
	s_and_not1_b32 exec_lo, exec_lo, s15
	s_cbranch_execnz .LBB159_67
; %bb.68:                               ;   in Loop: Header=BB159_10 Depth=1
	s_or_b32 exec_lo, exec_lo, s15
.LBB159_69:                             ;   in Loop: Header=BB159_10 Depth=1
	s_delay_alu instid0(SALU_CYCLE_1)
	s_or_b32 exec_lo, exec_lo, s14
	s_lshl_b32 s7, s96, 7
	s_and_saveexec_b32 s8, s2
	s_cbranch_execnz .LBB159_40
	s_branch .LBB159_41
.LBB159_70:                             ;   in Loop: Header=BB159_10 Depth=1
                                        ; implicit-def: $sgpr8_sgpr9
	s_branch .LBB159_49
.LBB159_71:                             ;   in Loop: Header=BB159_10 Depth=1
	s_mov_b32 s9, 0
	s_and_not1_b32 vcc_lo, exec_lo, s90
	s_cbranch_vccnz .LBB159_74
.LBB159_72:                             ;   in Loop: Header=BB159_10 Depth=1
	s_lshl_b32 s10, s96, 10
	s_lshl_b32 s9, s9, 5
	s_delay_alu instid0(SALU_CYCLE_1)
	v_add3_u32 v3, s10, s9, v42
	s_mov_b32 s9, s87
.LBB159_73:                             ;   Parent Loop BB159_10 Depth=1
                                        ; =>  This Inner Loop Header: Depth=2
	ds_load_b64 v[8:9], v3
	v_add_nc_u32_e32 v3, 32, v3
	s_add_co_i32 s9, s9, -1
	s_delay_alu instid0(SALU_CYCLE_1)
	s_cmp_lg_u32 s9, 0
	s_wait_dscnt 0x0
	v_add_nc_u64_e32 v[4:5], v[8:9], v[4:5]
	s_cbranch_scc1 .LBB159_73
.LBB159_74:                             ;   in Loop: Header=BB159_10 Depth=1
	v_add_lshl_u32 v3, s7, v17, 3
	ds_store_b64 v3, v[4:5] offset:3072
.LBB159_75:                             ;   in Loop: Header=BB159_10 Depth=1
	s_or_b32 exec_lo, exec_lo, s8
	s_lshl_b32 s7, s7, 3
	s_wait_dscnt 0x0
	v_mov_b32_e32 v3, s7
	s_barrier_signal -1
	s_barrier_wait -1
	v_cmp_eq_u64_e64 s7, 1, v[30:31]
	ds_load_b128 v[8:11], v3 offset:3072
	ds_load_b128 v[12:15], v3 offset:3088
	s_lshl_b64 s[12:13], 3, s92
	s_mov_b32 s75, -1
	s_not_b64 s[14:15], s[12:13]
	s_mov_b32 s70, 0
	s_and_not1_b32 vcc_lo, exec_lo, s85
	s_mov_b32 s72, 0
	s_mov_b32 s71, 0
                                        ; implicit-def: $sgpr73
                                        ; implicit-def: $sgpr74
                                        ; implicit-def: $vgpr32_vgpr33
                                        ; implicit-def: $vgpr20
	s_wait_dscnt 0x1
	v_readfirstlane_b32 s11, v9
	v_readfirstlane_b32 s10, v8
	;; [unrolled: 1-line block ×4, first 2 shown]
	s_wait_dscnt 0x0
	v_readfirstlane_b32 s19, v13
	v_readfirstlane_b32 s18, v12
	;; [unrolled: 1-line block ×4, first 2 shown]
                                        ; implicit-def: $vgpr14_vgpr15
                                        ; implicit-def: $vgpr12_vgpr13
                                        ; implicit-def: $vgpr10_vgpr11
	s_cbranch_vccnz .LBB159_270
; %bb.76:                               ;   in Loop: Header=BB159_10 Depth=1
	v_mov_b64_e32 v[14:15], v[24:25]
	v_mov_b64_e32 v[12:13], v[28:29]
	;; [unrolled: 1-line block ×3, first 2 shown]
	s_cmp_eq_u64 s[10:11], 1
                                        ; implicit-def: $sgpr74
                                        ; implicit-def: $sgpr73
	s_cselect_b32 s8, -1, 0
	s_delay_alu instid0(SALU_CYCLE_1)
	s_and_b32 s77, s8, s7
	s_mov_b32 s8, -1
	s_and_saveexec_b32 s58, s77
	s_cbranch_execz .LBB159_111
; %bb.77:                               ;   in Loop: Header=BB159_10 Depth=1
	ds_load_b64 v[4:5], v21 offset:5120
	s_wait_dscnt 0x0
	s_barrier_signal -1
	s_barrier_wait -1
	v_readfirstlane_b32 s8, v4
	v_readfirstlane_b32 s9, v5
	s_and_saveexec_b32 s22, s6
; %bb.78:                               ;   in Loop: Header=BB159_10 Depth=1
	ds_store_b64 v39, v[26:27]
; %bb.79:                               ;   in Loop: Header=BB159_10 Depth=1
	s_or_b32 exec_lo, exec_lo, s22
	v_and_b32_e32 v15, s15, v25
	v_and_b32_e32 v14, s14, v24
	v_or_b32_e32 v13, s13, v29
	v_or_b32_e32 v12, s12, v28
	s_mov_b32 s73, -1
	s_mov_b32 s74, 0
	s_cmp_eq_u64 s[8:9], 0
	s_mov_b32 s24, 0
	s_mov_b32 s25, -1
	s_wait_dscnt 0x0
	s_barrier_signal -1
	s_barrier_wait -1
                                        ; implicit-def: $vgpr10_vgpr11
	s_cbranch_scc1 .LBB159_96
; %bb.80:                               ;   in Loop: Header=BB159_10 Depth=1
	s_add_nc_u64 s[22:23], s[8:9], s[62:63]
	s_delay_alu instid0(SALU_CYCLE_1) | instskip(NEXT) | instid1(SALU_CYCLE_1)
	s_and_b64 s[24:25], s[22:23], 0xffffffff00000000
	s_cmp_lg_u64 s[24:25], 0
	s_cbranch_scc0 .LBB159_137
; %bb.81:                               ;   in Loop: Header=BB159_10 Depth=1
	s_cvt_f32_u32 s24, s34
	s_sub_nc_u64 s[40:41], 0, s[34:35]
	s_delay_alu instid0(SALU_CYCLE_2) | instskip(NEXT) | instid1(SALU_CYCLE_3)
	s_fmamk_f32 s24, s94, 0x0, s24
	v_s_rcp_f32 s24, s24
	s_delay_alu instid0(TRANS32_DEP_1) | instskip(NEXT) | instid1(SALU_CYCLE_3)
	s_mul_f32 s24, s24, 0x5f7ffffc
	s_mul_f32 s25, s24, 0x2f800000
	s_delay_alu instid0(SALU_CYCLE_3) | instskip(NEXT) | instid1(SALU_CYCLE_3)
	s_trunc_f32 s25, s25
	s_fmamk_f32 s24, s25, 0xcf800000, s24
	s_cvt_u32_f32 s25, s25
	s_delay_alu instid0(SALU_CYCLE_2) | instskip(NEXT) | instid1(SALU_CYCLE_3)
	s_cvt_u32_f32 s24, s24
	s_mul_u64 s[42:43], s[40:41], s[24:25]
	s_delay_alu instid0(SALU_CYCLE_1)
	s_mul_hi_u32 s45, s24, s43
	s_mul_i32 s44, s24, s43
	s_mul_hi_u32 s26, s24, s42
	s_mul_i32 s47, s25, s42
	s_add_nc_u64 s[44:45], s[26:27], s[44:45]
	s_mul_hi_u32 s46, s25, s42
	s_mul_hi_u32 s59, s25, s43
	s_add_co_u32 s26, s44, s47
	s_add_co_ci_u32 s26, s45, s46
	s_mul_i32 s42, s25, s43
	s_add_co_ci_u32 s43, s59, 0
	s_delay_alu instid0(SALU_CYCLE_1) | instskip(NEXT) | instid1(SALU_CYCLE_1)
	s_add_nc_u64 s[42:43], s[26:27], s[42:43]
	s_add_co_u32 s24, s24, s42
	s_cselect_b32 s26, -1, 0
	s_delay_alu instid0(SALU_CYCLE_1) | instskip(SKIP_1) | instid1(SALU_CYCLE_1)
	s_cmp_lg_u32 s26, 0
	s_add_co_ci_u32 s25, s25, s43
	s_mul_u64 s[40:41], s[40:41], s[24:25]
	s_delay_alu instid0(SALU_CYCLE_1)
	s_mul_hi_u32 s43, s24, s41
	s_mul_i32 s42, s24, s41
	s_mul_hi_u32 s26, s24, s40
	s_mul_i32 s45, s25, s40
	s_add_nc_u64 s[42:43], s[26:27], s[42:43]
	s_mul_hi_u32 s44, s25, s40
	s_mul_hi_u32 s46, s25, s41
	s_add_co_u32 s26, s42, s45
	s_add_co_ci_u32 s26, s43, s44
	s_mul_i32 s40, s25, s41
	s_add_co_ci_u32 s41, s46, 0
	s_delay_alu instid0(SALU_CYCLE_1) | instskip(NEXT) | instid1(SALU_CYCLE_1)
	s_add_nc_u64 s[40:41], s[26:27], s[40:41]
	s_add_co_u32 s24, s24, s40
	s_cselect_b32 s40, -1, 0
	s_mul_hi_u32 s26, s22, s24
	s_cmp_lg_u32 s40, 0
	s_mul_hi_u32 s42, s23, s24
	s_add_co_ci_u32 s40, s25, s41
	s_mul_i32 s41, s23, s24
	s_mul_hi_u32 s25, s22, s40
	s_mul_i32 s24, s22, s40
	s_mul_hi_u32 s43, s23, s40
	s_add_nc_u64 s[24:25], s[26:27], s[24:25]
	s_mul_i32 s40, s23, s40
	s_add_co_u32 s24, s24, s41
	s_add_co_ci_u32 s26, s25, s42
	s_add_co_ci_u32 s41, s43, 0
	s_delay_alu instid0(SALU_CYCLE_1) | instskip(NEXT) | instid1(SALU_CYCLE_1)
	s_add_nc_u64 s[24:25], s[26:27], s[40:41]
	s_and_b64 s[40:41], s[24:25], 0xffffffff00000000
	s_delay_alu instid0(SALU_CYCLE_1) | instskip(NEXT) | instid1(SALU_CYCLE_1)
	s_or_b32 s40, s40, s24
	s_mul_u64 s[24:25], s[34:35], s[40:41]
	s_delay_alu instid0(SALU_CYCLE_1) | instskip(SKIP_1) | instid1(SALU_CYCLE_1)
	s_sub_co_u32 s24, s22, s24
	s_cselect_b32 s26, -1, 0
	s_cmp_lg_u32 s26, 0
	s_sub_co_ci_u32 s25, s23, s25
	s_sub_co_u32 s26, s24, s34
	s_cselect_b32 s40, -1, 0
	s_delay_alu instid0(SALU_CYCLE_1) | instskip(SKIP_3) | instid1(SALU_CYCLE_1)
	s_cmp_lg_u32 s40, 0
	s_sub_co_ci_u32 s40, s25, 0
	s_sub_co_u32 s41, s26, s34
	s_cselect_b32 s42, -1, 0
	s_cmp_lg_u32 s42, 0
	s_sub_co_ci_u32 s42, s40, 0
	s_cmp_ge_u32 s26, s34
	s_cselect_b32 s43, -1, 0
	s_cmp_eq_u32 s40, 0
	s_cselect_b32 s43, s43, -1
	s_delay_alu instid0(SALU_CYCLE_1)
	s_cmp_lg_u32 s43, 0
	s_cselect_b32 s40, s42, s40
	s_cselect_b32 s26, s41, s26
	s_cmp_ge_u32 s24, s34
	s_cselect_b32 s41, -1, 0
	s_cmp_eq_u32 s25, 0
	s_cselect_b32 s41, s41, -1
	s_delay_alu instid0(SALU_CYCLE_1)
	s_cmp_lg_u32 s41, 0
	s_cselect_b32 s25, s40, s25
	s_cselect_b32 s24, s26, s24
	s_cbranch_execnz .LBB159_83
.LBB159_82:                             ;   in Loop: Header=BB159_10 Depth=1
	v_cvt_f32_u32_e32 v3, s34
	s_sub_co_i32 s25, 0, s34
	s_delay_alu instid0(VALU_DEP_1) | instskip(SKIP_1) | instid1(TRANS32_DEP_1)
	v_rcp_iflag_f32_e32 v3, v3
	v_nop
	v_mul_f32_e32 v3, 0x4f7ffffe, v3
	s_delay_alu instid0(VALU_DEP_1) | instskip(NEXT) | instid1(VALU_DEP_1)
	v_cvt_u32_f32_e32 v3, v3
	v_readfirstlane_b32 s24, v3
	s_mul_i32 s25, s25, s24
	s_delay_alu instid0(SALU_CYCLE_1) | instskip(NEXT) | instid1(SALU_CYCLE_1)
	s_mul_hi_u32 s25, s24, s25
	s_add_co_i32 s24, s24, s25
	s_delay_alu instid0(SALU_CYCLE_1) | instskip(NEXT) | instid1(SALU_CYCLE_1)
	s_mul_hi_u32 s24, s22, s24
	s_mul_i32 s24, s24, s34
	s_delay_alu instid0(SALU_CYCLE_1) | instskip(NEXT) | instid1(SALU_CYCLE_1)
	s_sub_co_i32 s24, s22, s24
	s_sub_co_i32 s25, s24, s34
	s_cmp_ge_u32 s24, s34
	s_cselect_b32 s24, s25, s24
	s_delay_alu instid0(SALU_CYCLE_1) | instskip(SKIP_2) | instid1(SALU_CYCLE_1)
	s_sub_co_i32 s25, s24, s34
	s_cmp_ge_u32 s24, s34
	s_cselect_b32 s26, s25, s24
	s_mov_b64 s[24:25], s[26:27]
.LBB159_83:                             ;   in Loop: Header=BB159_10 Depth=1
	s_delay_alu instid0(SALU_CYCLE_1)
	s_sub_nc_u64 s[22:23], s[22:23], s[24:25]
	s_mov_b32 s25, 0
	s_mov_b32 s24, 0
	s_mov_b32 s26, exec_lo
                                        ; implicit-def: $vgpr10_vgpr11
	v_cmpx_gt_u64_e64 s[22:23], v[0:1]
	s_cbranch_execz .LBB159_95
; %bb.84:                               ;   in Loop: Header=BB159_10 Depth=1
	v_mov_b64_e32 v[32:33], v[0:1]
	v_mov_b32_e32 v20, v38
                                        ; implicit-def: $sgpr40
	s_branch .LBB159_87
.LBB159_85:                             ;   in Loop: Header=BB159_87 Depth=2
	s_or_b32 exec_lo, exec_lo, s41
	s_wait_dscnt 0x0
	s_barrier_signal -1
	s_barrier_wait -1
	ds_load_b128 v[8:11], v21 offset:3072
	s_mov_b32 s41, -1
	s_mov_b32 s42, -1
	s_wait_dscnt 0x0
	s_barrier_signal -1
	s_barrier_wait -1
	v_cmp_ne_u64_e32 vcc_lo, 0, v[8:9]
	s_cbranch_vccz .LBB159_90
.LBB159_86:                             ;   in Loop: Header=BB159_87 Depth=2
	s_and_b32 s41, exec_lo, s41
	s_delay_alu instid0(SALU_CYCLE_1) | instskip(SKIP_2) | instid1(SALU_CYCLE_1)
	s_or_b32 s24, s41, s24
	s_and_not1_b32 s40, s40, exec_lo
	s_and_b32 s41, s42, exec_lo
	s_or_b32 s40, s40, s41
	s_and_not1_b32 exec_lo, exec_lo, s24
	s_cbranch_execz .LBB159_94
.LBB159_87:                             ;   Parent Loop BB159_10 Depth=1
                                        ; =>  This Inner Loop Header: Depth=2
	s_mov_b32 s41, exec_lo
	s_delay_alu instid0(VALU_DEP_2)
	v_cmpx_gt_u64_e64 s[8:9], v[32:33]
	s_cbranch_execz .LBB159_85
; %bb.88:                               ;   in Loop: Header=BB159_87 Depth=2
	ds_load_b64 v[4:5], v20
	s_wait_dscnt 0x0
	v_xor_b32_e32 v3, 0x80000000, v5
	v_and_b32_e32 v8, v4, v12
	s_delay_alu instid0(VALU_DEP_2) | instskip(NEXT) | instid1(VALU_DEP_1)
	v_and_b32_e32 v9, v3, v13
	v_cmp_eq_u64_e32 vcc_lo, v[8:9], v[14:15]
	s_and_b32 exec_lo, exec_lo, vcc_lo
	s_cbranch_execz .LBB159_85
; %bb.89:                               ;   in Loop: Header=BB159_87 Depth=2
	v_mov_b32_e32 v3, v21
	ds_store_b128 v21, v[2:5] offset:3072
	s_branch .LBB159_85
.LBB159_90:                             ;   in Loop: Header=BB159_87 Depth=2
	v_add_nc_u64_e32 v[32:33], s[34:35], v[32:33]
	v_add_nc_u32_e32 v20, s91, v20
	s_mov_b32 s42, 0
	s_delay_alu instid0(VALU_DEP_2)
	v_cmp_le_u64_e32 vcc_lo, s[22:23], v[32:33]
	s_or_not1_b32 s41, vcc_lo, exec_lo
	s_branch .LBB159_86
.LBB159_91:                             ;   in Loop: Header=BB159_10 Depth=1
	s_or_b32 exec_lo, exec_lo, s10
	s_wait_dscnt 0x0
	s_barrier_signal -1
	s_barrier_wait -1
	s_and_saveexec_b32 s7, s5
	s_cbranch_execz .LBB159_93
; %bb.92:                               ;   in Loop: Header=BB159_10 Depth=1
	ds_load_b32 v4, v21 offset:5144
	s_wait_dscnt 0x0
	v_ashrrev_i32_e32 v5, 31, v4
	ds_store_b64 v21, v[4:5] offset:5120
.LBB159_93:                             ;   in Loop: Header=BB159_10 Depth=1
	s_or_b32 exec_lo, exec_lo, s7
	s_wait_dscnt 0x0
	s_barrier_signal -1
	s_mov_b32 s7, -1
	s_barrier_wait -1
	s_and_b32 vcc_lo, exec_lo, s9
	s_cbranch_vccnz .LBB159_26
	s_branch .LBB159_35
.LBB159_94:                             ;   in Loop: Header=BB159_10 Depth=1
	s_or_b32 exec_lo, exec_lo, s24
	s_delay_alu instid0(SALU_CYCLE_1)
	s_and_b32 s24, s40, exec_lo
.LBB159_95:                             ;   in Loop: Header=BB159_10 Depth=1
	s_or_b32 exec_lo, exec_lo, s26
.LBB159_96:                             ;   in Loop: Header=BB159_10 Depth=1
	s_delay_alu instid0(SALU_CYCLE_1)
	s_and_b32 vcc_lo, exec_lo, s25
	s_cbranch_vccz .LBB159_110
; %bb.97:                               ;   in Loop: Header=BB159_10 Depth=1
	s_and_b64 s[8:9], s[64:65], 0xffffffff00000000
	s_delay_alu instid0(SALU_CYCLE_1)
	s_cmp_lg_u64 s[8:9], 0
	s_cbranch_scc0 .LBB159_138
; %bb.98:                               ;   in Loop: Header=BB159_10 Depth=1
	s_cvt_f32_u32 s8, s34
	s_sub_nc_u64 s[22:23], 0, s[34:35]
	s_delay_alu instid0(SALU_CYCLE_2) | instskip(NEXT) | instid1(SALU_CYCLE_3)
	s_fmamk_f32 s8, s94, 0x0, s8
	v_s_rcp_f32 s8, s8
	s_delay_alu instid0(TRANS32_DEP_1) | instskip(NEXT) | instid1(SALU_CYCLE_3)
	s_mul_f32 s8, s8, 0x5f7ffffc
	s_mul_f32 s9, s8, 0x2f800000
	s_delay_alu instid0(SALU_CYCLE_3) | instskip(NEXT) | instid1(SALU_CYCLE_3)
	s_trunc_f32 s9, s9
	s_fmamk_f32 s8, s9, 0xcf800000, s8
	s_cvt_u32_f32 s9, s9
	s_delay_alu instid0(SALU_CYCLE_2) | instskip(NEXT) | instid1(SALU_CYCLE_3)
	s_cvt_u32_f32 s8, s8
	s_mul_u64 s[40:41], s[22:23], s[8:9]
	s_delay_alu instid0(SALU_CYCLE_1)
	s_mul_hi_u32 s43, s8, s41
	s_mul_i32 s42, s8, s41
	s_mul_hi_u32 s26, s8, s40
	s_mul_i32 s44, s9, s40
	s_add_nc_u64 s[42:43], s[26:27], s[42:43]
	s_mul_hi_u32 s25, s9, s40
	s_mul_hi_u32 s45, s9, s41
	s_add_co_u32 s26, s42, s44
	s_add_co_ci_u32 s26, s43, s25
	s_mul_i32 s40, s9, s41
	s_add_co_ci_u32 s41, s45, 0
	s_delay_alu instid0(SALU_CYCLE_1) | instskip(NEXT) | instid1(SALU_CYCLE_1)
	s_add_nc_u64 s[40:41], s[26:27], s[40:41]
	s_add_co_u32 s8, s8, s40
	s_cselect_b32 s25, -1, 0
	s_delay_alu instid0(SALU_CYCLE_1) | instskip(SKIP_1) | instid1(SALU_CYCLE_1)
	s_cmp_lg_u32 s25, 0
	s_add_co_ci_u32 s9, s9, s41
	s_mul_u64 s[22:23], s[22:23], s[8:9]
	s_delay_alu instid0(SALU_CYCLE_1)
	s_mul_hi_u32 s41, s8, s23
	s_mul_i32 s40, s8, s23
	s_mul_hi_u32 s26, s8, s22
	s_mul_i32 s42, s9, s22
	s_add_nc_u64 s[40:41], s[26:27], s[40:41]
	s_mul_hi_u32 s25, s9, s22
	s_mul_hi_u32 s43, s9, s23
	s_mul_i32 s22, s9, s23
	s_add_co_u32 s23, s40, s42
	s_add_co_ci_u32 s26, s41, s25
	s_add_co_ci_u32 s23, s43, 0
	s_delay_alu instid0(SALU_CYCLE_1) | instskip(NEXT) | instid1(SALU_CYCLE_1)
	s_add_nc_u64 s[22:23], s[26:27], s[22:23]
	s_add_co_u32 s8, s8, s22
	s_cselect_b32 s22, -1, 0
	s_mul_hi_u32 s26, s64, s8
	s_cmp_lg_u32 s22, 0
	s_mul_hi_u32 s25, s65, s8
	s_add_co_ci_u32 s22, s9, s23
	s_mul_i32 s23, s65, s8
	s_mul_hi_u32 s9, s64, s22
	s_mul_i32 s8, s64, s22
	s_mul_hi_u32 s40, s65, s22
	s_add_nc_u64 s[8:9], s[26:27], s[8:9]
	s_mul_i32 s22, s65, s22
	s_add_co_u32 s8, s8, s23
	s_add_co_ci_u32 s26, s9, s25
	s_add_co_ci_u32 s23, s40, 0
	s_delay_alu instid0(SALU_CYCLE_1) | instskip(NEXT) | instid1(SALU_CYCLE_1)
	s_add_nc_u64 s[8:9], s[26:27], s[22:23]
	s_and_b64 s[22:23], s[8:9], 0xffffffff00000000
	s_delay_alu instid0(SALU_CYCLE_1) | instskip(NEXT) | instid1(SALU_CYCLE_1)
	s_or_b32 s22, s22, s8
	s_mul_u64 s[8:9], s[34:35], s[22:23]
	s_delay_alu instid0(SALU_CYCLE_1) | instskip(SKIP_1) | instid1(SALU_CYCLE_1)
	s_sub_co_u32 s8, s64, s8
	s_cselect_b32 s22, -1, 0
	s_cmp_lg_u32 s22, 0
	s_sub_co_ci_u32 s9, s65, s9
	s_sub_co_u32 s22, s8, s34
	s_cselect_b32 s23, -1, 0
	s_delay_alu instid0(SALU_CYCLE_1) | instskip(SKIP_3) | instid1(SALU_CYCLE_1)
	s_cmp_lg_u32 s23, 0
	s_sub_co_ci_u32 s23, s9, 0
	s_sub_co_u32 s25, s22, s34
	s_cselect_b32 s26, -1, 0
	s_cmp_lg_u32 s26, 0
	s_sub_co_ci_u32 s26, s23, 0
	s_cmp_ge_u32 s22, s34
	s_cselect_b32 s40, -1, 0
	s_cmp_eq_u32 s23, 0
	s_cselect_b32 s40, s40, -1
	s_delay_alu instid0(SALU_CYCLE_1)
	s_cmp_lg_u32 s40, 0
	s_cselect_b32 s23, s26, s23
	s_cselect_b32 s22, s25, s22
	s_cmp_ge_u32 s8, s34
	s_cselect_b32 s25, -1, 0
	s_cmp_eq_u32 s9, 0
	s_cselect_b32 s25, s25, -1
	s_delay_alu instid0(SALU_CYCLE_1)
	s_cmp_lg_u32 s25, 0
	s_cselect_b32 s9, s23, s9
	s_cselect_b32 s8, s22, s8
	s_cbranch_execnz .LBB159_100
.LBB159_99:                             ;   in Loop: Header=BB159_10 Depth=1
	v_cvt_f32_u32_e32 v3, s34
	s_sub_co_i32 s9, 0, s34
	s_delay_alu instid0(VALU_DEP_1) | instskip(SKIP_1) | instid1(TRANS32_DEP_1)
	v_rcp_iflag_f32_e32 v3, v3
	v_nop
	v_mul_f32_e32 v3, 0x4f7ffffe, v3
	s_delay_alu instid0(VALU_DEP_1) | instskip(NEXT) | instid1(VALU_DEP_1)
	v_cvt_u32_f32_e32 v3, v3
	v_readfirstlane_b32 s8, v3
	s_mul_i32 s9, s9, s8
	s_delay_alu instid0(SALU_CYCLE_1) | instskip(NEXT) | instid1(SALU_CYCLE_1)
	s_mul_hi_u32 s9, s8, s9
	s_add_co_i32 s8, s8, s9
	s_delay_alu instid0(SALU_CYCLE_1) | instskip(NEXT) | instid1(SALU_CYCLE_1)
	s_mul_hi_u32 s8, s64, s8
	s_mul_i32 s8, s8, s34
	s_delay_alu instid0(SALU_CYCLE_1) | instskip(NEXT) | instid1(SALU_CYCLE_1)
	s_sub_co_i32 s8, s64, s8
	s_sub_co_i32 s9, s8, s34
	s_cmp_ge_u32 s8, s34
	s_cselect_b32 s8, s9, s8
	s_delay_alu instid0(SALU_CYCLE_1) | instskip(SKIP_2) | instid1(SALU_CYCLE_1)
	s_sub_co_i32 s9, s8, s34
	s_cmp_ge_u32 s8, s34
	s_cselect_b32 s26, s9, s8
	s_mov_b64 s[8:9], s[26:27]
.LBB159_100:                            ;   in Loop: Header=BB159_10 Depth=1
	s_delay_alu instid0(SALU_CYCLE_1)
	s_sub_nc_u64 s[8:9], s[64:65], s[8:9]
	s_mov_b32 s22, exec_lo
                                        ; implicit-def: $vgpr10_vgpr11
	v_nop
	v_cmpx_gt_u64_e64 s[8:9], v[0:1]
	s_cbranch_execz .LBB159_109
; %bb.101:                              ;   in Loop: Header=BB159_10 Depth=1
	v_mov_b64_e32 v[32:33], v[0:1]
	s_mov_b32 s25, 0
                                        ; implicit-def: $sgpr23
	s_branch .LBB159_104
.LBB159_102:                            ;   in Loop: Header=BB159_104 Depth=2
	s_or_b32 exec_lo, exec_lo, s26
	s_wait_dscnt 0x0
	s_barrier_signal -1
	s_barrier_wait -1
	ds_load_b128 v[8:11], v21 offset:3072
	s_mov_b32 s40, -1
	s_mov_b32 s26, -1
	s_wait_dscnt 0x0
	s_barrier_signal -1
	s_barrier_wait -1
	v_cmp_ne_u64_e32 vcc_lo, 0, v[8:9]
	s_cbranch_vccz .LBB159_107
.LBB159_103:                            ;   in Loop: Header=BB159_104 Depth=2
	s_and_b32 s40, exec_lo, s40
	s_delay_alu instid0(SALU_CYCLE_1) | instskip(SKIP_2) | instid1(SALU_CYCLE_1)
	s_or_b32 s25, s40, s25
	s_and_not1_b32 s23, s23, exec_lo
	s_and_b32 s26, s26, exec_lo
	s_or_b32 s23, s23, s26
	s_and_not1_b32 exec_lo, exec_lo, s25
	s_cbranch_execz .LBB159_108
.LBB159_104:                            ;   Parent Loop BB159_10 Depth=1
                                        ; =>  This Inner Loop Header: Depth=2
	s_mov_b32 s26, exec_lo
	s_delay_alu instid0(VALU_DEP_1)
	v_cmpx_gt_u64_e64 s[36:37], v[32:33]
	s_cbranch_execz .LBB159_102
; %bb.105:                              ;   in Loop: Header=BB159_104 Depth=2
	v_mul_u64_e32 v[4:5], s[30:31], v[32:33]
	s_delay_alu instid0(VALU_DEP_1) | instskip(SKIP_4) | instid1(VALU_DEP_2)
	v_lshl_add_u64 v[4:5], v[4:5], 3, s[28:29]
	global_load_b64 v[4:5], v[4:5], off
	s_wait_loadcnt 0x0
	v_xor_b32_e32 v3, 0x80000000, v5
	v_and_b32_e32 v8, v4, v12
	v_and_b32_e32 v9, v3, v13
	s_delay_alu instid0(VALU_DEP_1)
	v_cmp_eq_u64_e32 vcc_lo, v[8:9], v[14:15]
	s_and_b32 exec_lo, exec_lo, vcc_lo
	s_cbranch_execz .LBB159_102
; %bb.106:                              ;   in Loop: Header=BB159_104 Depth=2
	v_mov_b32_e32 v3, v21
	ds_store_b128 v21, v[2:5] offset:3072
	s_branch .LBB159_102
.LBB159_107:                            ;   in Loop: Header=BB159_104 Depth=2
	v_add_nc_u64_e32 v[32:33], s[34:35], v[32:33]
	s_mov_b32 s26, 0
	s_delay_alu instid0(VALU_DEP_1)
	v_cmp_le_u64_e32 vcc_lo, s[8:9], v[32:33]
	s_or_not1_b32 s40, vcc_lo, exec_lo
	s_branch .LBB159_103
.LBB159_108:                            ;   in Loop: Header=BB159_10 Depth=1
	s_or_b32 exec_lo, exec_lo, s25
	s_delay_alu instid0(SALU_CYCLE_1) | instskip(SKIP_1) | instid1(SALU_CYCLE_1)
	s_and_not1_b32 s8, s24, exec_lo
	s_and_b32 s9, s23, exec_lo
	s_or_b32 s24, s8, s9
.LBB159_109:                            ;   in Loop: Header=BB159_10 Depth=1
	s_or_b32 exec_lo, exec_lo, s22
	s_mov_b32 s73, 0
	s_mov_b32 s74, -1
.LBB159_110:                            ;   in Loop: Header=BB159_10 Depth=1
	s_or_not1_b32 s8, s24, exec_lo
.LBB159_111:                            ;   in Loop: Header=BB159_10 Depth=1
	s_or_b32 exec_lo, exec_lo, s58
	s_mov_b32 s75, 0
	s_mov_b32 s72, 0
	;; [unrolled: 1-line block ×3, first 2 shown]
                                        ; implicit-def: $vgpr32_vgpr33
                                        ; implicit-def: $vgpr20
	s_and_saveexec_b32 s76, s8
	s_cbranch_execz .LBB159_269
; %bb.112:                              ;   in Loop: Header=BB159_10 Depth=1
	v_mov_b64_e32 v[32:33], 1
	v_mov_b32_e32 v20, 1
	s_xor_b32 s22, s77, -1
	s_mov_b32 s9, 0
	s_and_saveexec_b32 s8, s22
	s_cbranch_execz .LBB159_121
; %bb.113:                              ;   in Loop: Header=BB159_10 Depth=1
	s_mov_b32 s9, exec_lo
	v_cmpx_ge_u64_e64 s[10:11], v[30:31]
	s_xor_b32 s9, exec_lo, s9
	s_cbranch_execz .LBB159_118
; %bb.114:                              ;   in Loop: Header=BB159_10 Depth=1
	ds_load_b64 v[4:5], v21 offset:5120
	v_and_b32_e32 v15, s15, v15
	v_and_b32_e32 v14, s14, v14
	v_or_b32_e32 v13, s13, v13
	v_or_b32_e32 v12, s12, v12
	s_wait_dscnt 0x0
	v_cmp_ne_u64_e32 vcc_lo, 0, v[4:5]
	s_cbranch_vccnz .LBB159_118
; %bb.115:                              ;   in Loop: Header=BB159_10 Depth=1
	s_and_saveexec_b32 s22, s5
; %bb.116:                              ;   in Loop: Header=BB159_10 Depth=1
	v_mov_b64_e32 v[4:5], s[10:11]
	ds_store_b64 v21, v[4:5] offset:5128
; %bb.117:                              ;   in Loop: Header=BB159_10 Depth=1
	s_or_b32 exec_lo, exec_lo, s22
	s_wait_dscnt 0x0
	s_barrier_signal -1
	s_barrier_wait -1
.LBB159_118:                            ;   in Loop: Header=BB159_10 Depth=1
	s_or_saveexec_b32 s9, s9
	v_mov_b64_e32 v[32:33], v[30:31]
	v_mov_b32_e32 v20, 8
	s_mov_b32 s22, 0
	s_xor_b32 exec_lo, exec_lo, s9
; %bb.119:                              ;   in Loop: Header=BB159_10 Depth=1
	v_sub_nc_u64_e64 v[32:33], v[30:31], s[10:11]
	v_mov_b32_e32 v20, 0
	s_mov_b32 s22, exec_lo
; %bb.120:                              ;   in Loop: Header=BB159_10 Depth=1
	s_or_b32 exec_lo, exec_lo, s9
	s_delay_alu instid0(SALU_CYCLE_1)
	s_and_b32 s9, s22, exec_lo
.LBB159_121:                            ;   in Loop: Header=BB159_10 Depth=1
	s_or_b32 exec_lo, exec_lo, s8
	s_mov_b32 s8, -1
                                        ; implicit-def: $sgpr72
                                        ; implicit-def: $sgpr77
	s_and_saveexec_b32 s22, s9
	s_delay_alu instid0(SALU_CYCLE_1)
	s_xor_b32 s71, exec_lo, s22
	s_cbranch_execz .LBB159_266
; %bb.122:                              ;   in Loop: Header=BB159_10 Depth=1
	v_cmp_eq_u64_e32 vcc_lo, 1, v[32:33]
	s_cmp_eq_u64 s[16:17], 1
                                        ; implicit-def: $sgpr77
                                        ; implicit-def: $sgpr72
	s_cselect_b32 s8, -1, 0
	s_delay_alu instid0(SALU_CYCLE_1)
	s_and_b32 s79, s8, vcc_lo
	s_mov_b32 s8, -1
	s_and_saveexec_b32 s58, s79
	s_cbranch_execz .LBB159_156
; %bb.123:                              ;   in Loop: Header=BB159_10 Depth=1
	ds_load_b64 v[4:5], v21 offset:5120
	s_wait_dscnt 0x0
	s_barrier_signal -1
	s_barrier_wait -1
	v_readfirstlane_b32 s8, v4
	v_readfirstlane_b32 s9, v5
	s_and_saveexec_b32 s22, s6
; %bb.124:                              ;   in Loop: Header=BB159_10 Depth=1
	ds_store_b64 v39, v[26:27]
; %bb.125:                              ;   in Loop: Header=BB159_10 Depth=1
	s_or_b32 exec_lo, exec_lo, s22
	v_and_b32_e32 v3, s15, v15
	v_and_b32_e32 v4, s14, v14
	s_lshl_b64 s[22:23], 1, s92
	v_or_b32_e32 v13, s13, v13
	v_or_b32_e32 v12, s12, v12
	;; [unrolled: 1-line block ×4, first 2 shown]
	s_mov_b32 s72, -1
	s_mov_b32 s77, 0
	s_cmp_eq_u64 s[8:9], 0
	s_mov_b32 s24, 0
	s_mov_b32 s25, -1
	s_wait_dscnt 0x0
	s_barrier_signal -1
	s_barrier_wait -1
                                        ; implicit-def: $vgpr10_vgpr11
	s_cbranch_scc1 .LBB159_141
; %bb.126:                              ;   in Loop: Header=BB159_10 Depth=1
	s_add_nc_u64 s[22:23], s[8:9], s[62:63]
	s_delay_alu instid0(SALU_CYCLE_1) | instskip(NEXT) | instid1(SALU_CYCLE_1)
	s_and_b64 s[24:25], s[22:23], 0xffffffff00000000
	s_cmp_lg_u64 s[24:25], 0
	s_cbranch_scc0 .LBB159_182
; %bb.127:                              ;   in Loop: Header=BB159_10 Depth=1
	s_cvt_f32_u32 s24, s34
	s_sub_nc_u64 s[40:41], 0, s[34:35]
	s_delay_alu instid0(SALU_CYCLE_2) | instskip(NEXT) | instid1(SALU_CYCLE_3)
	s_fmamk_f32 s24, s94, 0x0, s24
	v_s_rcp_f32 s24, s24
	s_delay_alu instid0(TRANS32_DEP_1) | instskip(NEXT) | instid1(SALU_CYCLE_3)
	s_mul_f32 s24, s24, 0x5f7ffffc
	s_mul_f32 s25, s24, 0x2f800000
	s_delay_alu instid0(SALU_CYCLE_3) | instskip(NEXT) | instid1(SALU_CYCLE_3)
	s_trunc_f32 s25, s25
	s_fmamk_f32 s24, s25, 0xcf800000, s24
	s_cvt_u32_f32 s25, s25
	s_delay_alu instid0(SALU_CYCLE_2) | instskip(NEXT) | instid1(SALU_CYCLE_3)
	s_cvt_u32_f32 s24, s24
	s_mul_u64 s[42:43], s[40:41], s[24:25]
	s_delay_alu instid0(SALU_CYCLE_1)
	s_mul_hi_u32 s61, s24, s43
	s_mul_i32 s60, s24, s43
	s_mul_hi_u32 s26, s24, s42
	s_mul_i32 s45, s25, s42
	s_add_nc_u64 s[60:61], s[26:27], s[60:61]
	s_mul_hi_u32 s44, s25, s42
	s_mul_hi_u32 s46, s25, s43
	s_add_co_u32 s26, s60, s45
	s_add_co_ci_u32 s26, s61, s44
	s_mul_i32 s42, s25, s43
	s_add_co_ci_u32 s43, s46, 0
	s_delay_alu instid0(SALU_CYCLE_1) | instskip(NEXT) | instid1(SALU_CYCLE_1)
	s_add_nc_u64 s[42:43], s[26:27], s[42:43]
	s_add_co_u32 s24, s24, s42
	s_cselect_b32 s26, -1, 0
	s_delay_alu instid0(SALU_CYCLE_1) | instskip(SKIP_1) | instid1(SALU_CYCLE_1)
	s_cmp_lg_u32 s26, 0
	s_add_co_ci_u32 s25, s25, s43
	s_mul_u64 s[40:41], s[40:41], s[24:25]
	s_delay_alu instid0(SALU_CYCLE_1)
	s_mul_hi_u32 s43, s24, s41
	s_mul_i32 s42, s24, s41
	s_mul_hi_u32 s26, s24, s40
	s_mul_i32 s45, s25, s40
	s_add_nc_u64 s[42:43], s[26:27], s[42:43]
	s_mul_hi_u32 s44, s25, s40
	s_mul_hi_u32 s46, s25, s41
	s_add_co_u32 s26, s42, s45
	s_add_co_ci_u32 s26, s43, s44
	s_mul_i32 s40, s25, s41
	s_add_co_ci_u32 s41, s46, 0
	s_delay_alu instid0(SALU_CYCLE_1) | instskip(NEXT) | instid1(SALU_CYCLE_1)
	s_add_nc_u64 s[40:41], s[26:27], s[40:41]
	s_add_co_u32 s24, s24, s40
	s_cselect_b32 s40, -1, 0
	s_mul_hi_u32 s26, s22, s24
	s_cmp_lg_u32 s40, 0
	s_mul_hi_u32 s42, s23, s24
	s_add_co_ci_u32 s40, s25, s41
	s_mul_i32 s41, s23, s24
	s_mul_hi_u32 s25, s22, s40
	s_mul_i32 s24, s22, s40
	s_mul_hi_u32 s43, s23, s40
	s_add_nc_u64 s[24:25], s[26:27], s[24:25]
	s_mul_i32 s40, s23, s40
	s_add_co_u32 s24, s24, s41
	s_add_co_ci_u32 s26, s25, s42
	s_add_co_ci_u32 s41, s43, 0
	s_delay_alu instid0(SALU_CYCLE_1) | instskip(NEXT) | instid1(SALU_CYCLE_1)
	s_add_nc_u64 s[24:25], s[26:27], s[40:41]
	s_and_b64 s[40:41], s[24:25], 0xffffffff00000000
	s_delay_alu instid0(SALU_CYCLE_1) | instskip(NEXT) | instid1(SALU_CYCLE_1)
	s_or_b32 s40, s40, s24
	s_mul_u64 s[24:25], s[34:35], s[40:41]
	s_delay_alu instid0(SALU_CYCLE_1) | instskip(SKIP_1) | instid1(SALU_CYCLE_1)
	s_sub_co_u32 s24, s22, s24
	s_cselect_b32 s26, -1, 0
	s_cmp_lg_u32 s26, 0
	s_sub_co_ci_u32 s25, s23, s25
	s_sub_co_u32 s26, s24, s34
	s_cselect_b32 s40, -1, 0
	s_delay_alu instid0(SALU_CYCLE_1) | instskip(SKIP_3) | instid1(SALU_CYCLE_1)
	s_cmp_lg_u32 s40, 0
	s_sub_co_ci_u32 s40, s25, 0
	s_sub_co_u32 s41, s26, s34
	s_cselect_b32 s42, -1, 0
	s_cmp_lg_u32 s42, 0
	s_sub_co_ci_u32 s42, s40, 0
	s_cmp_ge_u32 s26, s34
	s_cselect_b32 s43, -1, 0
	s_cmp_eq_u32 s40, 0
	s_cselect_b32 s43, s43, -1
	s_delay_alu instid0(SALU_CYCLE_1)
	s_cmp_lg_u32 s43, 0
	s_cselect_b32 s40, s42, s40
	s_cselect_b32 s26, s41, s26
	s_cmp_ge_u32 s24, s34
	s_cselect_b32 s41, -1, 0
	s_cmp_eq_u32 s25, 0
	s_cselect_b32 s41, s41, -1
	s_delay_alu instid0(SALU_CYCLE_1)
	s_cmp_lg_u32 s41, 0
	s_cselect_b32 s25, s40, s25
	s_cselect_b32 s24, s26, s24
	s_cbranch_execnz .LBB159_129
.LBB159_128:                            ;   in Loop: Header=BB159_10 Depth=1
	v_cvt_f32_u32_e32 v3, s34
	s_sub_co_i32 s25, 0, s34
	s_delay_alu instid0(VALU_DEP_1) | instskip(SKIP_1) | instid1(TRANS32_DEP_1)
	v_rcp_iflag_f32_e32 v3, v3
	v_nop
	v_mul_f32_e32 v3, 0x4f7ffffe, v3
	s_delay_alu instid0(VALU_DEP_1) | instskip(NEXT) | instid1(VALU_DEP_1)
	v_cvt_u32_f32_e32 v3, v3
	v_readfirstlane_b32 s24, v3
	s_mul_i32 s25, s25, s24
	s_delay_alu instid0(SALU_CYCLE_1) | instskip(NEXT) | instid1(SALU_CYCLE_1)
	s_mul_hi_u32 s25, s24, s25
	s_add_co_i32 s24, s24, s25
	s_delay_alu instid0(SALU_CYCLE_1) | instskip(NEXT) | instid1(SALU_CYCLE_1)
	s_mul_hi_u32 s24, s22, s24
	s_mul_i32 s24, s24, s34
	s_delay_alu instid0(SALU_CYCLE_1) | instskip(NEXT) | instid1(SALU_CYCLE_1)
	s_sub_co_i32 s24, s22, s24
	s_sub_co_i32 s25, s24, s34
	s_cmp_ge_u32 s24, s34
	s_cselect_b32 s24, s25, s24
	s_delay_alu instid0(SALU_CYCLE_1) | instskip(SKIP_2) | instid1(SALU_CYCLE_1)
	s_sub_co_i32 s25, s24, s34
	s_cmp_ge_u32 s24, s34
	s_cselect_b32 s26, s25, s24
	s_mov_b64 s[24:25], s[26:27]
.LBB159_129:                            ;   in Loop: Header=BB159_10 Depth=1
	s_delay_alu instid0(SALU_CYCLE_1)
	s_sub_nc_u64 s[22:23], s[22:23], s[24:25]
	s_mov_b32 s25, 0
	s_mov_b32 s24, 0
	s_mov_b32 s26, exec_lo
                                        ; implicit-def: $vgpr10_vgpr11
	v_cmpx_gt_u64_e64 s[22:23], v[0:1]
	s_cbranch_execz .LBB159_140
; %bb.130:                              ;   in Loop: Header=BB159_10 Depth=1
	v_mov_b64_e32 v[34:35], v[0:1]
	v_mov_b32_e32 v36, v38
                                        ; implicit-def: $sgpr59
	s_branch .LBB159_133
.LBB159_131:                            ;   in Loop: Header=BB159_133 Depth=2
	s_or_b32 exec_lo, exec_lo, s40
	s_wait_dscnt 0x0
	s_barrier_signal -1
	s_barrier_wait -1
	ds_load_b128 v[8:11], v21 offset:3072
	s_mov_b32 s40, -1
	s_mov_b32 s41, -1
	s_wait_dscnt 0x0
	s_barrier_signal -1
	s_barrier_wait -1
	v_cmp_ne_u64_e32 vcc_lo, 0, v[8:9]
	s_cbranch_vccz .LBB159_136
.LBB159_132:                            ;   in Loop: Header=BB159_133 Depth=2
	s_and_b32 s40, exec_lo, s40
	s_delay_alu instid0(SALU_CYCLE_1) | instskip(SKIP_2) | instid1(SALU_CYCLE_1)
	s_or_b32 s24, s40, s24
	s_and_not1_b32 s40, s59, exec_lo
	s_and_b32 s41, s41, exec_lo
	s_or_b32 s59, s40, s41
	s_and_not1_b32 exec_lo, exec_lo, s24
	s_cbranch_execz .LBB159_139
.LBB159_133:                            ;   Parent Loop BB159_10 Depth=1
                                        ; =>  This Inner Loop Header: Depth=2
	s_mov_b32 s40, exec_lo
	s_delay_alu instid0(VALU_DEP_2)
	v_cmpx_gt_u64_e64 s[8:9], v[34:35]
	s_cbranch_execz .LBB159_131
; %bb.134:                              ;   in Loop: Header=BB159_133 Depth=2
	ds_load_b64 v[4:5], v36
	s_wait_dscnt 0x0
	v_xor_b32_e32 v3, 0x80000000, v5
	v_and_b32_e32 v8, v4, v12
	s_delay_alu instid0(VALU_DEP_2) | instskip(NEXT) | instid1(VALU_DEP_1)
	v_and_b32_e32 v9, v3, v13
	v_cmp_eq_u64_e32 vcc_lo, v[8:9], v[14:15]
	s_and_b32 exec_lo, exec_lo, vcc_lo
	s_cbranch_execz .LBB159_131
; %bb.135:                              ;   in Loop: Header=BB159_133 Depth=2
	v_mov_b32_e32 v3, v21
	ds_store_b128 v21, v[2:5] offset:3072
	s_branch .LBB159_131
.LBB159_136:                            ;   in Loop: Header=BB159_133 Depth=2
	v_add_nc_u64_e32 v[34:35], s[34:35], v[34:35]
	v_add_nc_u32_e32 v36, s91, v36
	s_mov_b32 s41, 0
	s_delay_alu instid0(VALU_DEP_2)
	v_cmp_le_u64_e32 vcc_lo, s[22:23], v[34:35]
	s_or_not1_b32 s40, vcc_lo, exec_lo
	s_branch .LBB159_132
.LBB159_137:                            ;   in Loop: Header=BB159_10 Depth=1
                                        ; implicit-def: $sgpr24_sgpr25
	s_branch .LBB159_82
.LBB159_138:                            ;   in Loop: Header=BB159_10 Depth=1
                                        ; implicit-def: $sgpr8_sgpr9
	s_branch .LBB159_99
.LBB159_139:                            ;   in Loop: Header=BB159_10 Depth=1
	s_or_b32 exec_lo, exec_lo, s24
	s_delay_alu instid0(SALU_CYCLE_1)
	s_and_b32 s24, s59, exec_lo
.LBB159_140:                            ;   in Loop: Header=BB159_10 Depth=1
	s_or_b32 exec_lo, exec_lo, s26
.LBB159_141:                            ;   in Loop: Header=BB159_10 Depth=1
	s_delay_alu instid0(SALU_CYCLE_1)
	s_and_b32 vcc_lo, exec_lo, s25
	s_cbranch_vccz .LBB159_155
; %bb.142:                              ;   in Loop: Header=BB159_10 Depth=1
	s_and_b64 s[8:9], s[64:65], 0xffffffff00000000
	s_delay_alu instid0(SALU_CYCLE_1)
	s_cmp_lg_u64 s[8:9], 0
	s_cbranch_scc0 .LBB159_183
; %bb.143:                              ;   in Loop: Header=BB159_10 Depth=1
	s_cvt_f32_u32 s8, s34
	s_sub_nc_u64 s[22:23], 0, s[34:35]
	s_delay_alu instid0(SALU_CYCLE_2) | instskip(NEXT) | instid1(SALU_CYCLE_3)
	s_fmamk_f32 s8, s94, 0x0, s8
	v_s_rcp_f32 s8, s8
	s_delay_alu instid0(TRANS32_DEP_1) | instskip(NEXT) | instid1(SALU_CYCLE_3)
	s_mul_f32 s8, s8, 0x5f7ffffc
	s_mul_f32 s9, s8, 0x2f800000
	s_delay_alu instid0(SALU_CYCLE_3) | instskip(NEXT) | instid1(SALU_CYCLE_3)
	s_trunc_f32 s9, s9
	s_fmamk_f32 s8, s9, 0xcf800000, s8
	s_cvt_u32_f32 s9, s9
	s_delay_alu instid0(SALU_CYCLE_2) | instskip(NEXT) | instid1(SALU_CYCLE_3)
	s_cvt_u32_f32 s8, s8
	s_mul_u64 s[40:41], s[22:23], s[8:9]
	s_delay_alu instid0(SALU_CYCLE_1)
	s_mul_hi_u32 s43, s8, s41
	s_mul_i32 s42, s8, s41
	s_mul_hi_u32 s26, s8, s40
	s_mul_i32 s44, s9, s40
	s_add_nc_u64 s[42:43], s[26:27], s[42:43]
	s_mul_hi_u32 s25, s9, s40
	s_mul_hi_u32 s45, s9, s41
	s_add_co_u32 s26, s42, s44
	s_add_co_ci_u32 s26, s43, s25
	s_mul_i32 s40, s9, s41
	s_add_co_ci_u32 s41, s45, 0
	s_delay_alu instid0(SALU_CYCLE_1) | instskip(NEXT) | instid1(SALU_CYCLE_1)
	s_add_nc_u64 s[40:41], s[26:27], s[40:41]
	s_add_co_u32 s8, s8, s40
	s_cselect_b32 s25, -1, 0
	s_delay_alu instid0(SALU_CYCLE_1) | instskip(SKIP_1) | instid1(SALU_CYCLE_1)
	s_cmp_lg_u32 s25, 0
	s_add_co_ci_u32 s9, s9, s41
	s_mul_u64 s[22:23], s[22:23], s[8:9]
	s_delay_alu instid0(SALU_CYCLE_1)
	s_mul_hi_u32 s41, s8, s23
	s_mul_i32 s40, s8, s23
	s_mul_hi_u32 s26, s8, s22
	s_mul_i32 s42, s9, s22
	s_add_nc_u64 s[40:41], s[26:27], s[40:41]
	s_mul_hi_u32 s25, s9, s22
	s_mul_hi_u32 s43, s9, s23
	s_mul_i32 s22, s9, s23
	s_add_co_u32 s23, s40, s42
	s_add_co_ci_u32 s26, s41, s25
	s_add_co_ci_u32 s23, s43, 0
	s_delay_alu instid0(SALU_CYCLE_1) | instskip(NEXT) | instid1(SALU_CYCLE_1)
	s_add_nc_u64 s[22:23], s[26:27], s[22:23]
	s_add_co_u32 s8, s8, s22
	s_cselect_b32 s22, -1, 0
	s_mul_hi_u32 s26, s64, s8
	s_cmp_lg_u32 s22, 0
	s_mul_hi_u32 s25, s65, s8
	s_add_co_ci_u32 s22, s9, s23
	s_mul_i32 s23, s65, s8
	s_mul_hi_u32 s9, s64, s22
	s_mul_i32 s8, s64, s22
	s_mul_hi_u32 s40, s65, s22
	s_add_nc_u64 s[8:9], s[26:27], s[8:9]
	s_mul_i32 s22, s65, s22
	s_add_co_u32 s8, s8, s23
	s_add_co_ci_u32 s26, s9, s25
	s_add_co_ci_u32 s23, s40, 0
	s_delay_alu instid0(SALU_CYCLE_1) | instskip(NEXT) | instid1(SALU_CYCLE_1)
	s_add_nc_u64 s[8:9], s[26:27], s[22:23]
	s_and_b64 s[22:23], s[8:9], 0xffffffff00000000
	s_delay_alu instid0(SALU_CYCLE_1) | instskip(NEXT) | instid1(SALU_CYCLE_1)
	s_or_b32 s22, s22, s8
	s_mul_u64 s[8:9], s[34:35], s[22:23]
	s_delay_alu instid0(SALU_CYCLE_1) | instskip(SKIP_1) | instid1(SALU_CYCLE_1)
	s_sub_co_u32 s8, s64, s8
	s_cselect_b32 s22, -1, 0
	s_cmp_lg_u32 s22, 0
	s_sub_co_ci_u32 s9, s65, s9
	s_sub_co_u32 s22, s8, s34
	s_cselect_b32 s23, -1, 0
	s_delay_alu instid0(SALU_CYCLE_1) | instskip(SKIP_3) | instid1(SALU_CYCLE_1)
	s_cmp_lg_u32 s23, 0
	s_sub_co_ci_u32 s23, s9, 0
	s_sub_co_u32 s25, s22, s34
	s_cselect_b32 s26, -1, 0
	s_cmp_lg_u32 s26, 0
	s_sub_co_ci_u32 s26, s23, 0
	s_cmp_ge_u32 s22, s34
	s_cselect_b32 s40, -1, 0
	s_cmp_eq_u32 s23, 0
	s_cselect_b32 s40, s40, -1
	s_delay_alu instid0(SALU_CYCLE_1)
	s_cmp_lg_u32 s40, 0
	s_cselect_b32 s23, s26, s23
	s_cselect_b32 s22, s25, s22
	s_cmp_ge_u32 s8, s34
	s_cselect_b32 s25, -1, 0
	s_cmp_eq_u32 s9, 0
	s_cselect_b32 s25, s25, -1
	s_delay_alu instid0(SALU_CYCLE_1)
	s_cmp_lg_u32 s25, 0
	s_cselect_b32 s9, s23, s9
	s_cselect_b32 s8, s22, s8
	s_cbranch_execnz .LBB159_145
.LBB159_144:                            ;   in Loop: Header=BB159_10 Depth=1
	v_cvt_f32_u32_e32 v3, s34
	s_sub_co_i32 s9, 0, s34
	s_delay_alu instid0(VALU_DEP_1) | instskip(SKIP_1) | instid1(TRANS32_DEP_1)
	v_rcp_iflag_f32_e32 v3, v3
	v_nop
	v_mul_f32_e32 v3, 0x4f7ffffe, v3
	s_delay_alu instid0(VALU_DEP_1) | instskip(NEXT) | instid1(VALU_DEP_1)
	v_cvt_u32_f32_e32 v3, v3
	v_readfirstlane_b32 s8, v3
	s_mul_i32 s9, s9, s8
	s_delay_alu instid0(SALU_CYCLE_1) | instskip(NEXT) | instid1(SALU_CYCLE_1)
	s_mul_hi_u32 s9, s8, s9
	s_add_co_i32 s8, s8, s9
	s_delay_alu instid0(SALU_CYCLE_1) | instskip(NEXT) | instid1(SALU_CYCLE_1)
	s_mul_hi_u32 s8, s64, s8
	s_mul_i32 s8, s8, s34
	s_delay_alu instid0(SALU_CYCLE_1) | instskip(NEXT) | instid1(SALU_CYCLE_1)
	s_sub_co_i32 s8, s64, s8
	s_sub_co_i32 s9, s8, s34
	s_cmp_ge_u32 s8, s34
	s_cselect_b32 s8, s9, s8
	s_delay_alu instid0(SALU_CYCLE_1) | instskip(SKIP_2) | instid1(SALU_CYCLE_1)
	s_sub_co_i32 s9, s8, s34
	s_cmp_ge_u32 s8, s34
	s_cselect_b32 s26, s9, s8
	s_mov_b64 s[8:9], s[26:27]
.LBB159_145:                            ;   in Loop: Header=BB159_10 Depth=1
	s_delay_alu instid0(SALU_CYCLE_1)
	s_sub_nc_u64 s[8:9], s[64:65], s[8:9]
	s_mov_b32 s22, exec_lo
                                        ; implicit-def: $vgpr10_vgpr11
	v_nop
	v_cmpx_gt_u64_e64 s[8:9], v[0:1]
	s_cbranch_execz .LBB159_154
; %bb.146:                              ;   in Loop: Header=BB159_10 Depth=1
	v_mov_b64_e32 v[34:35], v[0:1]
	s_mov_b32 s23, 0
                                        ; implicit-def: $sgpr25
	s_branch .LBB159_149
.LBB159_147:                            ;   in Loop: Header=BB159_149 Depth=2
	s_or_b32 exec_lo, exec_lo, s26
	s_wait_dscnt 0x0
	s_barrier_signal -1
	s_barrier_wait -1
	ds_load_b128 v[8:11], v21 offset:3072
	s_mov_b32 s40, -1
	s_mov_b32 s26, -1
	s_wait_dscnt 0x0
	s_barrier_signal -1
	s_barrier_wait -1
	v_cmp_eq_u64_e32 vcc_lo, 0, v[8:9]
	s_cbranch_vccnz .LBB159_152
.LBB159_148:                            ;   in Loop: Header=BB159_149 Depth=2
	s_and_b32 s40, exec_lo, s40
	s_delay_alu instid0(SALU_CYCLE_1) | instskip(SKIP_2) | instid1(SALU_CYCLE_1)
	s_or_b32 s23, s40, s23
	s_and_not1_b32 s25, s25, exec_lo
	s_and_b32 s26, s26, exec_lo
	s_or_b32 s25, s25, s26
	s_and_not1_b32 exec_lo, exec_lo, s23
	s_cbranch_execz .LBB159_153
.LBB159_149:                            ;   Parent Loop BB159_10 Depth=1
                                        ; =>  This Inner Loop Header: Depth=2
	s_mov_b32 s26, exec_lo
	s_delay_alu instid0(VALU_DEP_1)
	v_cmpx_gt_u64_e64 s[36:37], v[34:35]
	s_cbranch_execz .LBB159_147
; %bb.150:                              ;   in Loop: Header=BB159_149 Depth=2
	v_mul_u64_e32 v[4:5], s[30:31], v[34:35]
	s_delay_alu instid0(VALU_DEP_1) | instskip(SKIP_4) | instid1(VALU_DEP_2)
	v_lshl_add_u64 v[4:5], v[4:5], 3, s[28:29]
	global_load_b64 v[4:5], v[4:5], off
	s_wait_loadcnt 0x0
	v_xor_b32_e32 v3, 0x80000000, v5
	v_and_b32_e32 v8, v4, v12
	v_and_b32_e32 v9, v3, v13
	s_delay_alu instid0(VALU_DEP_1)
	v_cmp_eq_u64_e32 vcc_lo, v[8:9], v[14:15]
	s_and_b32 exec_lo, exec_lo, vcc_lo
	s_cbranch_execz .LBB159_147
; %bb.151:                              ;   in Loop: Header=BB159_149 Depth=2
	v_mov_b32_e32 v3, v21
	ds_store_b128 v21, v[2:5] offset:3072
	s_branch .LBB159_147
.LBB159_152:                            ;   in Loop: Header=BB159_149 Depth=2
	v_add_nc_u64_e32 v[34:35], s[34:35], v[34:35]
	s_mov_b32 s26, 0
	s_delay_alu instid0(VALU_DEP_1)
	v_cmp_le_u64_e32 vcc_lo, s[8:9], v[34:35]
	s_or_not1_b32 s40, vcc_lo, exec_lo
	s_branch .LBB159_148
.LBB159_153:                            ;   in Loop: Header=BB159_10 Depth=1
	s_or_b32 exec_lo, exec_lo, s23
	s_delay_alu instid0(SALU_CYCLE_1) | instskip(SKIP_1) | instid1(SALU_CYCLE_1)
	s_and_not1_b32 s8, s24, exec_lo
	s_and_b32 s9, s25, exec_lo
	s_or_b32 s24, s8, s9
.LBB159_154:                            ;   in Loop: Header=BB159_10 Depth=1
	s_or_b32 exec_lo, exec_lo, s22
	s_mov_b32 s72, 0
	s_mov_b32 s77, -1
.LBB159_155:                            ;   in Loop: Header=BB159_10 Depth=1
	s_or_not1_b32 s8, s24, exec_lo
.LBB159_156:                            ;   in Loop: Header=BB159_10 Depth=1
	s_or_b32 exec_lo, exec_lo, s58
	s_mov_b32 s9, 0
	s_and_saveexec_b32 s78, s8
	s_cbranch_execz .LBB159_265
; %bb.157:                              ;   in Loop: Header=BB159_10 Depth=1
	v_mov_b64_e32 v[34:35], 1
	v_mov_b32_e32 v20, 1
	s_xor_b32 s22, s79, -1
	s_delay_alu instid0(SALU_CYCLE_1)
	s_and_saveexec_b32 s8, s22
	s_cbranch_execz .LBB159_166
; %bb.158:                              ;   in Loop: Header=BB159_10 Depth=1
	s_mov_b32 s9, exec_lo
	v_cmpx_ge_u64_e64 s[16:17], v[32:33]
	s_xor_b32 s9, exec_lo, s9
	s_cbranch_execz .LBB159_163
; %bb.159:                              ;   in Loop: Header=BB159_10 Depth=1
	ds_load_b64 v[4:5], v21 offset:5120
	v_and_b32_e32 v3, s15, v15
	v_and_b32_e32 v8, s14, v14
	s_lshl_b64 s[22:23], 1, s92
	v_or_b32_e32 v13, s13, v13
	v_or_b32_e32 v12, s12, v12
	;; [unrolled: 1-line block ×4, first 2 shown]
	s_wait_dscnt 0x0
	v_cmp_ne_u64_e32 vcc_lo, 0, v[4:5]
	s_cbranch_vccnz .LBB159_163
; %bb.160:                              ;   in Loop: Header=BB159_10 Depth=1
	s_and_saveexec_b32 s22, s5
; %bb.161:                              ;   in Loop: Header=BB159_10 Depth=1
	v_mov_b64_e32 v[4:5], s[16:17]
	ds_store_b64 v21, v[4:5] offset:5128
; %bb.162:                              ;   in Loop: Header=BB159_10 Depth=1
	s_or_b32 exec_lo, exec_lo, s22
	s_wait_dscnt 0x0
	s_barrier_signal -1
	s_barrier_wait -1
.LBB159_163:                            ;   in Loop: Header=BB159_10 Depth=1
	s_or_saveexec_b32 s9, s9
	v_mov_b32_e32 v20, 8
	s_mov_b32 s22, 0
	s_xor_b32 exec_lo, exec_lo, s9
; %bb.164:                              ;   in Loop: Header=BB159_10 Depth=1
	v_sub_nc_u64_e64 v[32:33], v[32:33], s[16:17]
	v_mov_b32_e32 v20, 0
	s_mov_b32 s22, exec_lo
; %bb.165:                              ;   in Loop: Header=BB159_10 Depth=1
	s_or_b32 exec_lo, exec_lo, s9
	s_delay_alu instid0(VALU_DEP_2)
	v_mov_b64_e32 v[34:35], v[32:33]
	s_and_b32 s9, s22, exec_lo
.LBB159_166:                            ;   in Loop: Header=BB159_10 Depth=1
	s_or_b32 exec_lo, exec_lo, s8
	s_mov_b32 s8, -1
                                        ; implicit-def: $sgpr80
                                        ; implicit-def: $sgpr81
	s_and_saveexec_b32 s79, s9
	s_cbranch_execz .LBB159_264
; %bb.167:                              ;   in Loop: Header=BB159_10 Depth=1
	s_delay_alu instid0(VALU_DEP_1) | instskip(SKIP_2) | instid1(SALU_CYCLE_1)
	v_cmp_eq_u64_e32 vcc_lo, 1, v[34:35]
	s_cmp_eq_u64 s[18:19], 1
                                        ; implicit-def: $sgpr81
                                        ; implicit-def: $sgpr80
	s_cselect_b32 s8, -1, 0
	s_and_b32 s83, s8, vcc_lo
	s_mov_b32 s8, -1
	s_and_saveexec_b32 s58, s83
	s_cbranch_execz .LBB159_201
; %bb.168:                              ;   in Loop: Header=BB159_10 Depth=1
	ds_load_b64 v[4:5], v21 offset:5120
	s_wait_dscnt 0x0
	s_barrier_signal -1
	s_barrier_wait -1
	v_readfirstlane_b32 s8, v4
	v_readfirstlane_b32 s9, v5
	s_and_saveexec_b32 s22, s6
; %bb.169:                              ;   in Loop: Header=BB159_10 Depth=1
	ds_store_b64 v39, v[26:27]
; %bb.170:                              ;   in Loop: Header=BB159_10 Depth=1
	s_or_b32 exec_lo, exec_lo, s22
	v_and_b32_e32 v3, s15, v15
	v_and_b32_e32 v4, s14, v14
	s_lshl_b64 s[22:23], 2, s92
	v_or_b32_e32 v13, s13, v13
	v_or_b32_e32 v12, s12, v12
	;; [unrolled: 1-line block ×4, first 2 shown]
	s_mov_b32 s80, -1
	s_mov_b32 s81, 0
	s_cmp_eq_u64 s[8:9], 0
	s_mov_b32 s24, 0
	s_mov_b32 s25, -1
	s_wait_dscnt 0x0
	s_barrier_signal -1
	s_barrier_wait -1
                                        ; implicit-def: $vgpr10_vgpr11
	s_cbranch_scc1 .LBB159_186
; %bb.171:                              ;   in Loop: Header=BB159_10 Depth=1
	s_add_nc_u64 s[22:23], s[8:9], s[62:63]
	s_delay_alu instid0(SALU_CYCLE_1) | instskip(NEXT) | instid1(SALU_CYCLE_1)
	s_and_b64 s[24:25], s[22:23], 0xffffffff00000000
	s_cmp_lg_u64 s[24:25], 0
	s_cbranch_scc0 .LBB159_218
; %bb.172:                              ;   in Loop: Header=BB159_10 Depth=1
	s_cvt_f32_u32 s24, s34
	s_sub_nc_u64 s[40:41], 0, s[34:35]
	s_delay_alu instid0(SALU_CYCLE_2) | instskip(NEXT) | instid1(SALU_CYCLE_3)
	s_fmamk_f32 s24, s94, 0x0, s24
	v_s_rcp_f32 s24, s24
	s_delay_alu instid0(TRANS32_DEP_1) | instskip(NEXT) | instid1(SALU_CYCLE_3)
	s_mul_f32 s24, s24, 0x5f7ffffc
	s_mul_f32 s25, s24, 0x2f800000
	s_delay_alu instid0(SALU_CYCLE_3) | instskip(NEXT) | instid1(SALU_CYCLE_3)
	s_trunc_f32 s25, s25
	s_fmamk_f32 s24, s25, 0xcf800000, s24
	s_cvt_u32_f32 s25, s25
	s_delay_alu instid0(SALU_CYCLE_2) | instskip(NEXT) | instid1(SALU_CYCLE_3)
	s_cvt_u32_f32 s24, s24
	s_mul_u64 s[42:43], s[40:41], s[24:25]
	s_delay_alu instid0(SALU_CYCLE_1)
	s_mul_hi_u32 s61, s24, s43
	s_mul_i32 s60, s24, s43
	s_mul_hi_u32 s26, s24, s42
	s_mul_i32 s45, s25, s42
	s_add_nc_u64 s[60:61], s[26:27], s[60:61]
	s_mul_hi_u32 s44, s25, s42
	s_mul_hi_u32 s46, s25, s43
	s_add_co_u32 s26, s60, s45
	s_add_co_ci_u32 s26, s61, s44
	s_mul_i32 s42, s25, s43
	s_add_co_ci_u32 s43, s46, 0
	s_delay_alu instid0(SALU_CYCLE_1) | instskip(NEXT) | instid1(SALU_CYCLE_1)
	s_add_nc_u64 s[42:43], s[26:27], s[42:43]
	s_add_co_u32 s24, s24, s42
	s_cselect_b32 s26, -1, 0
	s_delay_alu instid0(SALU_CYCLE_1) | instskip(SKIP_1) | instid1(SALU_CYCLE_1)
	s_cmp_lg_u32 s26, 0
	s_add_co_ci_u32 s25, s25, s43
	s_mul_u64 s[40:41], s[40:41], s[24:25]
	s_delay_alu instid0(SALU_CYCLE_1)
	s_mul_hi_u32 s43, s24, s41
	s_mul_i32 s42, s24, s41
	s_mul_hi_u32 s26, s24, s40
	s_mul_i32 s45, s25, s40
	s_add_nc_u64 s[42:43], s[26:27], s[42:43]
	s_mul_hi_u32 s44, s25, s40
	s_mul_hi_u32 s46, s25, s41
	s_add_co_u32 s26, s42, s45
	s_add_co_ci_u32 s26, s43, s44
	s_mul_i32 s40, s25, s41
	s_add_co_ci_u32 s41, s46, 0
	s_delay_alu instid0(SALU_CYCLE_1) | instskip(NEXT) | instid1(SALU_CYCLE_1)
	s_add_nc_u64 s[40:41], s[26:27], s[40:41]
	s_add_co_u32 s24, s24, s40
	s_cselect_b32 s40, -1, 0
	s_mul_hi_u32 s26, s22, s24
	s_cmp_lg_u32 s40, 0
	s_mul_hi_u32 s42, s23, s24
	s_add_co_ci_u32 s40, s25, s41
	s_mul_i32 s41, s23, s24
	s_mul_hi_u32 s25, s22, s40
	s_mul_i32 s24, s22, s40
	s_mul_hi_u32 s43, s23, s40
	s_add_nc_u64 s[24:25], s[26:27], s[24:25]
	s_mul_i32 s40, s23, s40
	s_add_co_u32 s24, s24, s41
	s_add_co_ci_u32 s26, s25, s42
	s_add_co_ci_u32 s41, s43, 0
	s_delay_alu instid0(SALU_CYCLE_1) | instskip(NEXT) | instid1(SALU_CYCLE_1)
	s_add_nc_u64 s[24:25], s[26:27], s[40:41]
	s_and_b64 s[40:41], s[24:25], 0xffffffff00000000
	s_delay_alu instid0(SALU_CYCLE_1) | instskip(NEXT) | instid1(SALU_CYCLE_1)
	s_or_b32 s40, s40, s24
	s_mul_u64 s[24:25], s[34:35], s[40:41]
	s_delay_alu instid0(SALU_CYCLE_1) | instskip(SKIP_1) | instid1(SALU_CYCLE_1)
	s_sub_co_u32 s24, s22, s24
	s_cselect_b32 s26, -1, 0
	s_cmp_lg_u32 s26, 0
	s_sub_co_ci_u32 s25, s23, s25
	s_sub_co_u32 s26, s24, s34
	s_cselect_b32 s40, -1, 0
	s_delay_alu instid0(SALU_CYCLE_1) | instskip(SKIP_3) | instid1(SALU_CYCLE_1)
	s_cmp_lg_u32 s40, 0
	s_sub_co_ci_u32 s40, s25, 0
	s_sub_co_u32 s41, s26, s34
	s_cselect_b32 s42, -1, 0
	s_cmp_lg_u32 s42, 0
	s_sub_co_ci_u32 s42, s40, 0
	s_cmp_ge_u32 s26, s34
	s_cselect_b32 s43, -1, 0
	s_cmp_eq_u32 s40, 0
	s_cselect_b32 s43, s43, -1
	s_delay_alu instid0(SALU_CYCLE_1)
	s_cmp_lg_u32 s43, 0
	s_cselect_b32 s40, s42, s40
	s_cselect_b32 s26, s41, s26
	s_cmp_ge_u32 s24, s34
	s_cselect_b32 s41, -1, 0
	s_cmp_eq_u32 s25, 0
	s_cselect_b32 s41, s41, -1
	s_delay_alu instid0(SALU_CYCLE_1)
	s_cmp_lg_u32 s41, 0
	s_cselect_b32 s25, s40, s25
	s_cselect_b32 s24, s26, s24
	s_cbranch_execnz .LBB159_174
.LBB159_173:                            ;   in Loop: Header=BB159_10 Depth=1
	v_cvt_f32_u32_e32 v3, s34
	s_sub_co_i32 s25, 0, s34
	s_delay_alu instid0(VALU_DEP_1) | instskip(SKIP_1) | instid1(TRANS32_DEP_1)
	v_rcp_iflag_f32_e32 v3, v3
	v_nop
	v_mul_f32_e32 v3, 0x4f7ffffe, v3
	s_delay_alu instid0(VALU_DEP_1) | instskip(NEXT) | instid1(VALU_DEP_1)
	v_cvt_u32_f32_e32 v3, v3
	v_readfirstlane_b32 s24, v3
	s_mul_i32 s25, s25, s24
	s_delay_alu instid0(SALU_CYCLE_1) | instskip(NEXT) | instid1(SALU_CYCLE_1)
	s_mul_hi_u32 s25, s24, s25
	s_add_co_i32 s24, s24, s25
	s_delay_alu instid0(SALU_CYCLE_1) | instskip(NEXT) | instid1(SALU_CYCLE_1)
	s_mul_hi_u32 s24, s22, s24
	s_mul_i32 s24, s24, s34
	s_delay_alu instid0(SALU_CYCLE_1) | instskip(NEXT) | instid1(SALU_CYCLE_1)
	s_sub_co_i32 s24, s22, s24
	s_sub_co_i32 s25, s24, s34
	s_cmp_ge_u32 s24, s34
	s_cselect_b32 s24, s25, s24
	s_delay_alu instid0(SALU_CYCLE_1) | instskip(SKIP_2) | instid1(SALU_CYCLE_1)
	s_sub_co_i32 s25, s24, s34
	s_cmp_ge_u32 s24, s34
	s_cselect_b32 s26, s25, s24
	s_mov_b64 s[24:25], s[26:27]
.LBB159_174:                            ;   in Loop: Header=BB159_10 Depth=1
	s_delay_alu instid0(SALU_CYCLE_1)
	s_sub_nc_u64 s[22:23], s[22:23], s[24:25]
	s_mov_b32 s25, 0
	s_mov_b32 s24, 0
	s_mov_b32 s26, exec_lo
                                        ; implicit-def: $vgpr10_vgpr11
	v_cmpx_gt_u64_e64 s[22:23], v[0:1]
	s_cbranch_execz .LBB159_185
; %bb.175:                              ;   in Loop: Header=BB159_10 Depth=1
	v_mov_b64_e32 v[32:33], v[0:1]
	v_mov_b32_e32 v36, v38
                                        ; implicit-def: $sgpr59
	s_branch .LBB159_178
.LBB159_176:                            ;   in Loop: Header=BB159_178 Depth=2
	s_or_b32 exec_lo, exec_lo, s40
	s_wait_dscnt 0x0
	s_barrier_signal -1
	s_barrier_wait -1
	ds_load_b128 v[8:11], v21 offset:3072
	s_mov_b32 s40, -1
	s_mov_b32 s41, -1
	s_wait_dscnt 0x0
	s_barrier_signal -1
	s_barrier_wait -1
	v_cmp_ne_u64_e32 vcc_lo, 0, v[8:9]
	s_cbranch_vccz .LBB159_181
.LBB159_177:                            ;   in Loop: Header=BB159_178 Depth=2
	s_and_b32 s40, exec_lo, s40
	s_delay_alu instid0(SALU_CYCLE_1) | instskip(SKIP_2) | instid1(SALU_CYCLE_1)
	s_or_b32 s24, s40, s24
	s_and_not1_b32 s40, s59, exec_lo
	s_and_b32 s41, s41, exec_lo
	s_or_b32 s59, s40, s41
	s_and_not1_b32 exec_lo, exec_lo, s24
	s_cbranch_execz .LBB159_184
.LBB159_178:                            ;   Parent Loop BB159_10 Depth=1
                                        ; =>  This Inner Loop Header: Depth=2
	s_mov_b32 s40, exec_lo
	s_delay_alu instid0(VALU_DEP_2)
	v_cmpx_gt_u64_e64 s[8:9], v[32:33]
	s_cbranch_execz .LBB159_176
; %bb.179:                              ;   in Loop: Header=BB159_178 Depth=2
	ds_load_b64 v[4:5], v36
	s_wait_dscnt 0x0
	v_xor_b32_e32 v3, 0x80000000, v5
	v_and_b32_e32 v8, v4, v12
	s_delay_alu instid0(VALU_DEP_2) | instskip(NEXT) | instid1(VALU_DEP_1)
	v_and_b32_e32 v9, v3, v13
	v_cmp_eq_u64_e32 vcc_lo, v[8:9], v[14:15]
	s_and_b32 exec_lo, exec_lo, vcc_lo
	s_cbranch_execz .LBB159_176
; %bb.180:                              ;   in Loop: Header=BB159_178 Depth=2
	v_mov_b32_e32 v3, v21
	ds_store_b128 v21, v[2:5] offset:3072
	s_branch .LBB159_176
.LBB159_181:                            ;   in Loop: Header=BB159_178 Depth=2
	v_add_nc_u64_e32 v[32:33], s[34:35], v[32:33]
	v_add_nc_u32_e32 v36, s91, v36
	s_mov_b32 s41, 0
	s_delay_alu instid0(VALU_DEP_2)
	v_cmp_le_u64_e32 vcc_lo, s[22:23], v[32:33]
	s_or_not1_b32 s40, vcc_lo, exec_lo
	s_branch .LBB159_177
.LBB159_182:                            ;   in Loop: Header=BB159_10 Depth=1
                                        ; implicit-def: $sgpr24_sgpr25
	s_branch .LBB159_128
.LBB159_183:                            ;   in Loop: Header=BB159_10 Depth=1
                                        ; implicit-def: $sgpr8_sgpr9
	s_branch .LBB159_144
.LBB159_184:                            ;   in Loop: Header=BB159_10 Depth=1
	s_or_b32 exec_lo, exec_lo, s24
	s_delay_alu instid0(SALU_CYCLE_1)
	s_and_b32 s24, s59, exec_lo
.LBB159_185:                            ;   in Loop: Header=BB159_10 Depth=1
	s_or_b32 exec_lo, exec_lo, s26
.LBB159_186:                            ;   in Loop: Header=BB159_10 Depth=1
	s_delay_alu instid0(SALU_CYCLE_1)
	s_and_b32 vcc_lo, exec_lo, s25
	s_cbranch_vccz .LBB159_200
; %bb.187:                              ;   in Loop: Header=BB159_10 Depth=1
	s_and_b64 s[8:9], s[64:65], 0xffffffff00000000
	s_delay_alu instid0(SALU_CYCLE_1)
	s_cmp_lg_u64 s[8:9], 0
	s_cbranch_scc0 .LBB159_219
; %bb.188:                              ;   in Loop: Header=BB159_10 Depth=1
	s_cvt_f32_u32 s8, s34
	s_sub_nc_u64 s[22:23], 0, s[34:35]
	s_delay_alu instid0(SALU_CYCLE_2) | instskip(NEXT) | instid1(SALU_CYCLE_3)
	s_fmamk_f32 s8, s94, 0x0, s8
	v_s_rcp_f32 s8, s8
	s_delay_alu instid0(TRANS32_DEP_1) | instskip(NEXT) | instid1(SALU_CYCLE_3)
	s_mul_f32 s8, s8, 0x5f7ffffc
	s_mul_f32 s9, s8, 0x2f800000
	s_delay_alu instid0(SALU_CYCLE_3) | instskip(NEXT) | instid1(SALU_CYCLE_3)
	s_trunc_f32 s9, s9
	s_fmamk_f32 s8, s9, 0xcf800000, s8
	s_cvt_u32_f32 s9, s9
	s_delay_alu instid0(SALU_CYCLE_2) | instskip(NEXT) | instid1(SALU_CYCLE_3)
	s_cvt_u32_f32 s8, s8
	s_mul_u64 s[40:41], s[22:23], s[8:9]
	s_delay_alu instid0(SALU_CYCLE_1)
	s_mul_hi_u32 s43, s8, s41
	s_mul_i32 s42, s8, s41
	s_mul_hi_u32 s26, s8, s40
	s_mul_i32 s44, s9, s40
	s_add_nc_u64 s[42:43], s[26:27], s[42:43]
	s_mul_hi_u32 s25, s9, s40
	s_mul_hi_u32 s45, s9, s41
	s_add_co_u32 s26, s42, s44
	s_add_co_ci_u32 s26, s43, s25
	s_mul_i32 s40, s9, s41
	s_add_co_ci_u32 s41, s45, 0
	s_delay_alu instid0(SALU_CYCLE_1) | instskip(NEXT) | instid1(SALU_CYCLE_1)
	s_add_nc_u64 s[40:41], s[26:27], s[40:41]
	s_add_co_u32 s8, s8, s40
	s_cselect_b32 s25, -1, 0
	s_delay_alu instid0(SALU_CYCLE_1) | instskip(SKIP_1) | instid1(SALU_CYCLE_1)
	s_cmp_lg_u32 s25, 0
	s_add_co_ci_u32 s9, s9, s41
	s_mul_u64 s[22:23], s[22:23], s[8:9]
	s_delay_alu instid0(SALU_CYCLE_1)
	s_mul_hi_u32 s41, s8, s23
	s_mul_i32 s40, s8, s23
	s_mul_hi_u32 s26, s8, s22
	s_mul_i32 s42, s9, s22
	s_add_nc_u64 s[40:41], s[26:27], s[40:41]
	s_mul_hi_u32 s25, s9, s22
	s_mul_hi_u32 s43, s9, s23
	s_mul_i32 s22, s9, s23
	s_add_co_u32 s23, s40, s42
	s_add_co_ci_u32 s26, s41, s25
	s_add_co_ci_u32 s23, s43, 0
	s_delay_alu instid0(SALU_CYCLE_1) | instskip(NEXT) | instid1(SALU_CYCLE_1)
	s_add_nc_u64 s[22:23], s[26:27], s[22:23]
	s_add_co_u32 s8, s8, s22
	s_cselect_b32 s22, -1, 0
	s_mul_hi_u32 s26, s64, s8
	s_cmp_lg_u32 s22, 0
	s_mul_hi_u32 s25, s65, s8
	s_add_co_ci_u32 s22, s9, s23
	s_mul_i32 s23, s65, s8
	s_mul_hi_u32 s9, s64, s22
	s_mul_i32 s8, s64, s22
	s_mul_hi_u32 s40, s65, s22
	s_add_nc_u64 s[8:9], s[26:27], s[8:9]
	s_mul_i32 s22, s65, s22
	s_add_co_u32 s8, s8, s23
	s_add_co_ci_u32 s26, s9, s25
	s_add_co_ci_u32 s23, s40, 0
	s_delay_alu instid0(SALU_CYCLE_1) | instskip(NEXT) | instid1(SALU_CYCLE_1)
	s_add_nc_u64 s[8:9], s[26:27], s[22:23]
	s_and_b64 s[22:23], s[8:9], 0xffffffff00000000
	s_delay_alu instid0(SALU_CYCLE_1) | instskip(NEXT) | instid1(SALU_CYCLE_1)
	s_or_b32 s22, s22, s8
	s_mul_u64 s[8:9], s[34:35], s[22:23]
	s_delay_alu instid0(SALU_CYCLE_1) | instskip(SKIP_1) | instid1(SALU_CYCLE_1)
	s_sub_co_u32 s8, s64, s8
	s_cselect_b32 s22, -1, 0
	s_cmp_lg_u32 s22, 0
	s_sub_co_ci_u32 s9, s65, s9
	s_sub_co_u32 s22, s8, s34
	s_cselect_b32 s23, -1, 0
	s_delay_alu instid0(SALU_CYCLE_1) | instskip(SKIP_3) | instid1(SALU_CYCLE_1)
	s_cmp_lg_u32 s23, 0
	s_sub_co_ci_u32 s23, s9, 0
	s_sub_co_u32 s25, s22, s34
	s_cselect_b32 s26, -1, 0
	s_cmp_lg_u32 s26, 0
	s_sub_co_ci_u32 s26, s23, 0
	s_cmp_ge_u32 s22, s34
	s_cselect_b32 s40, -1, 0
	s_cmp_eq_u32 s23, 0
	s_cselect_b32 s40, s40, -1
	s_delay_alu instid0(SALU_CYCLE_1)
	s_cmp_lg_u32 s40, 0
	s_cselect_b32 s23, s26, s23
	s_cselect_b32 s22, s25, s22
	s_cmp_ge_u32 s8, s34
	s_cselect_b32 s25, -1, 0
	s_cmp_eq_u32 s9, 0
	s_cselect_b32 s25, s25, -1
	s_delay_alu instid0(SALU_CYCLE_1)
	s_cmp_lg_u32 s25, 0
	s_cselect_b32 s9, s23, s9
	s_cselect_b32 s8, s22, s8
	s_cbranch_execnz .LBB159_190
.LBB159_189:                            ;   in Loop: Header=BB159_10 Depth=1
	v_cvt_f32_u32_e32 v3, s34
	s_sub_co_i32 s9, 0, s34
	s_delay_alu instid0(VALU_DEP_1) | instskip(SKIP_1) | instid1(TRANS32_DEP_1)
	v_rcp_iflag_f32_e32 v3, v3
	v_nop
	v_mul_f32_e32 v3, 0x4f7ffffe, v3
	s_delay_alu instid0(VALU_DEP_1) | instskip(NEXT) | instid1(VALU_DEP_1)
	v_cvt_u32_f32_e32 v3, v3
	v_readfirstlane_b32 s8, v3
	s_mul_i32 s9, s9, s8
	s_delay_alu instid0(SALU_CYCLE_1) | instskip(NEXT) | instid1(SALU_CYCLE_1)
	s_mul_hi_u32 s9, s8, s9
	s_add_co_i32 s8, s8, s9
	s_delay_alu instid0(SALU_CYCLE_1) | instskip(NEXT) | instid1(SALU_CYCLE_1)
	s_mul_hi_u32 s8, s64, s8
	s_mul_i32 s8, s8, s34
	s_delay_alu instid0(SALU_CYCLE_1) | instskip(NEXT) | instid1(SALU_CYCLE_1)
	s_sub_co_i32 s8, s64, s8
	s_sub_co_i32 s9, s8, s34
	s_cmp_ge_u32 s8, s34
	s_cselect_b32 s8, s9, s8
	s_delay_alu instid0(SALU_CYCLE_1) | instskip(SKIP_2) | instid1(SALU_CYCLE_1)
	s_sub_co_i32 s9, s8, s34
	s_cmp_ge_u32 s8, s34
	s_cselect_b32 s26, s9, s8
	s_mov_b64 s[8:9], s[26:27]
.LBB159_190:                            ;   in Loop: Header=BB159_10 Depth=1
	s_delay_alu instid0(SALU_CYCLE_1)
	s_sub_nc_u64 s[8:9], s[64:65], s[8:9]
	s_mov_b32 s22, exec_lo
                                        ; implicit-def: $vgpr10_vgpr11
	v_nop
	v_cmpx_gt_u64_e64 s[8:9], v[0:1]
	s_cbranch_execz .LBB159_199
; %bb.191:                              ;   in Loop: Header=BB159_10 Depth=1
	v_mov_b64_e32 v[32:33], v[0:1]
	s_mov_b32 s23, 0
                                        ; implicit-def: $sgpr25
	s_branch .LBB159_194
.LBB159_192:                            ;   in Loop: Header=BB159_194 Depth=2
	s_or_b32 exec_lo, exec_lo, s26
	s_wait_dscnt 0x0
	s_barrier_signal -1
	s_barrier_wait -1
	ds_load_b128 v[8:11], v21 offset:3072
	s_mov_b32 s40, -1
	s_mov_b32 s26, -1
	s_wait_dscnt 0x0
	s_barrier_signal -1
	s_barrier_wait -1
	v_cmp_eq_u64_e32 vcc_lo, 0, v[8:9]
	s_cbranch_vccnz .LBB159_197
.LBB159_193:                            ;   in Loop: Header=BB159_194 Depth=2
	s_and_b32 s40, exec_lo, s40
	s_delay_alu instid0(SALU_CYCLE_1) | instskip(SKIP_2) | instid1(SALU_CYCLE_1)
	s_or_b32 s23, s40, s23
	s_and_not1_b32 s25, s25, exec_lo
	s_and_b32 s26, s26, exec_lo
	s_or_b32 s25, s25, s26
	s_and_not1_b32 exec_lo, exec_lo, s23
	s_cbranch_execz .LBB159_198
.LBB159_194:                            ;   Parent Loop BB159_10 Depth=1
                                        ; =>  This Inner Loop Header: Depth=2
	s_mov_b32 s26, exec_lo
	s_delay_alu instid0(VALU_DEP_1)
	v_cmpx_gt_u64_e64 s[36:37], v[32:33]
	s_cbranch_execz .LBB159_192
; %bb.195:                              ;   in Loop: Header=BB159_194 Depth=2
	v_mul_u64_e32 v[4:5], s[30:31], v[32:33]
	s_delay_alu instid0(VALU_DEP_1) | instskip(SKIP_4) | instid1(VALU_DEP_2)
	v_lshl_add_u64 v[4:5], v[4:5], 3, s[28:29]
	global_load_b64 v[4:5], v[4:5], off
	s_wait_loadcnt 0x0
	v_xor_b32_e32 v3, 0x80000000, v5
	v_and_b32_e32 v8, v4, v12
	v_and_b32_e32 v9, v3, v13
	s_delay_alu instid0(VALU_DEP_1)
	v_cmp_eq_u64_e32 vcc_lo, v[8:9], v[14:15]
	s_and_b32 exec_lo, exec_lo, vcc_lo
	s_cbranch_execz .LBB159_192
; %bb.196:                              ;   in Loop: Header=BB159_194 Depth=2
	v_mov_b32_e32 v3, v21
	ds_store_b128 v21, v[2:5] offset:3072
	s_branch .LBB159_192
.LBB159_197:                            ;   in Loop: Header=BB159_194 Depth=2
	v_add_nc_u64_e32 v[32:33], s[34:35], v[32:33]
	s_mov_b32 s26, 0
	s_delay_alu instid0(VALU_DEP_1)
	v_cmp_le_u64_e32 vcc_lo, s[8:9], v[32:33]
	s_or_not1_b32 s40, vcc_lo, exec_lo
	s_branch .LBB159_193
.LBB159_198:                            ;   in Loop: Header=BB159_10 Depth=1
	s_or_b32 exec_lo, exec_lo, s23
	s_delay_alu instid0(SALU_CYCLE_1) | instskip(SKIP_1) | instid1(SALU_CYCLE_1)
	s_and_not1_b32 s8, s24, exec_lo
	s_and_b32 s9, s25, exec_lo
	s_or_b32 s24, s8, s9
.LBB159_199:                            ;   in Loop: Header=BB159_10 Depth=1
	s_or_b32 exec_lo, exec_lo, s22
	s_mov_b32 s80, 0
	s_mov_b32 s81, -1
.LBB159_200:                            ;   in Loop: Header=BB159_10 Depth=1
	s_or_not1_b32 s8, s24, exec_lo
.LBB159_201:                            ;   in Loop: Header=BB159_10 Depth=1
	s_or_b32 exec_lo, exec_lo, s58
	s_mov_b32 s9, 0
	s_and_saveexec_b32 s82, s8
	s_cbranch_execz .LBB159_263
; %bb.202:                              ;   in Loop: Header=BB159_10 Depth=1
	v_mov_b64_e32 v[32:33], 1
	v_mov_b32_e32 v20, 1
	s_xor_b32 s22, s83, -1
	s_delay_alu instid0(SALU_CYCLE_1)
	s_and_saveexec_b32 s8, s22
	s_cbranch_execz .LBB159_211
; %bb.203:                              ;   in Loop: Header=BB159_10 Depth=1
	s_mov_b32 s9, exec_lo
	v_cmpx_ge_u64_e64 s[18:19], v[34:35]
	s_xor_b32 s9, exec_lo, s9
	s_cbranch_execz .LBB159_208
; %bb.204:                              ;   in Loop: Header=BB159_10 Depth=1
	ds_load_b64 v[4:5], v21 offset:5120
	v_and_b32_e32 v3, s15, v15
	v_and_b32_e32 v8, s14, v14
	s_lshl_b64 s[22:23], 2, s92
	v_or_b32_e32 v13, s13, v13
	v_or_b32_e32 v12, s12, v12
	;; [unrolled: 1-line block ×4, first 2 shown]
	s_wait_dscnt 0x0
	v_cmp_ne_u64_e32 vcc_lo, 0, v[4:5]
	s_cbranch_vccnz .LBB159_208
; %bb.205:                              ;   in Loop: Header=BB159_10 Depth=1
	s_and_saveexec_b32 s22, s5
; %bb.206:                              ;   in Loop: Header=BB159_10 Depth=1
	v_mov_b64_e32 v[4:5], s[18:19]
	ds_store_b64 v21, v[4:5] offset:5128
; %bb.207:                              ;   in Loop: Header=BB159_10 Depth=1
	s_or_b32 exec_lo, exec_lo, s22
	s_wait_dscnt 0x0
	s_barrier_signal -1
	s_barrier_wait -1
.LBB159_208:                            ;   in Loop: Header=BB159_10 Depth=1
	s_or_saveexec_b32 s9, s9
	v_mov_b32_e32 v20, 8
	s_mov_b32 s22, 0
	s_xor_b32 exec_lo, exec_lo, s9
; %bb.209:                              ;   in Loop: Header=BB159_10 Depth=1
	v_sub_nc_u64_e64 v[34:35], v[34:35], s[18:19]
	v_mov_b32_e32 v20, 0
	s_mov_b32 s22, exec_lo
; %bb.210:                              ;   in Loop: Header=BB159_10 Depth=1
	s_or_b32 exec_lo, exec_lo, s9
	s_delay_alu instid0(VALU_DEP_2)
	v_mov_b64_e32 v[32:33], v[34:35]
	s_and_b32 s9, s22, exec_lo
.LBB159_211:                            ;   in Loop: Header=BB159_10 Depth=1
	s_or_b32 exec_lo, exec_lo, s8
	s_mov_b32 s8, -1
                                        ; implicit-def: $sgpr61
                                        ; implicit-def: $sgpr60
	s_and_saveexec_b32 s83, s9
	s_cbranch_execz .LBB159_262
; %bb.212:                              ;   in Loop: Header=BB159_10 Depth=1
	s_delay_alu instid0(VALU_DEP_1) | instskip(SKIP_3) | instid1(SALU_CYCLE_1)
	v_cmp_eq_u64_e32 vcc_lo, 1, v[32:33]
	s_cmp_eq_u64 s[20:21], 1
	s_mov_b32 s9, -1
	s_cselect_b32 s8, -1, 0
                                        ; implicit-def: $sgpr61
                                        ; implicit-def: $sgpr60
	s_and_b32 s58, s8, vcc_lo
	s_delay_alu instid0(SALU_CYCLE_1)
	s_and_saveexec_b32 s59, s58
	s_cbranch_execz .LBB159_250
; %bb.213:                              ;   in Loop: Header=BB159_10 Depth=1
	ds_load_b64 v[4:5], v21 offset:5120
	s_wait_dscnt 0x0
	s_barrier_signal -1
	s_barrier_wait -1
	v_readfirstlane_b32 s8, v4
	v_readfirstlane_b32 s9, v5
	s_and_saveexec_b32 s22, s6
; %bb.214:                              ;   in Loop: Header=BB159_10 Depth=1
	ds_store_b64 v39, v[26:27]
; %bb.215:                              ;   in Loop: Header=BB159_10 Depth=1
	s_or_b32 exec_lo, exec_lo, s22
	v_or_b32_e32 v15, s13, v15
	v_or_b32_e32 v14, s12, v14
	;; [unrolled: 1-line block ×4, first 2 shown]
	s_mov_b32 s60, -1
	s_mov_b32 s61, 0
	s_cmp_eq_u64 s[8:9], 0
	s_mov_b32 s24, 0
	s_mov_b32 s25, -1
	s_wait_dscnt 0x0
	s_barrier_signal -1
	s_barrier_wait -1
                                        ; implicit-def: $vgpr10_vgpr11
	s_cbranch_scc1 .LBB159_233
; %bb.216:                              ;   in Loop: Header=BB159_10 Depth=1
	s_add_nc_u64 s[22:23], s[8:9], s[62:63]
	s_delay_alu instid0(SALU_CYCLE_1) | instskip(NEXT) | instid1(SALU_CYCLE_1)
	s_and_b64 s[24:25], s[22:23], 0xffffffff00000000
	s_cmp_lg_u64 s[24:25], 0
	s_cbranch_scc0 .LBB159_220
; %bb.217:                              ;   in Loop: Header=BB159_10 Depth=1
	s_cvt_f32_u32 s24, s34
	s_sub_nc_u64 s[40:41], 0, s[34:35]
	s_delay_alu instid0(SALU_CYCLE_2) | instskip(NEXT) | instid1(SALU_CYCLE_3)
	s_fmamk_f32 s24, s94, 0x0, s24
	v_s_rcp_f32 s24, s24
	s_delay_alu instid0(TRANS32_DEP_1) | instskip(NEXT) | instid1(SALU_CYCLE_3)
	s_mul_f32 s24, s24, 0x5f7ffffc
	s_mul_f32 s25, s24, 0x2f800000
	s_delay_alu instid0(SALU_CYCLE_3) | instskip(NEXT) | instid1(SALU_CYCLE_3)
	s_trunc_f32 s25, s25
	s_fmamk_f32 s24, s25, 0xcf800000, s24
	s_cvt_u32_f32 s25, s25
	s_delay_alu instid0(SALU_CYCLE_2) | instskip(NEXT) | instid1(SALU_CYCLE_3)
	s_cvt_u32_f32 s24, s24
	s_mul_u64 s[42:43], s[40:41], s[24:25]
	s_delay_alu instid0(SALU_CYCLE_1)
	s_mul_hi_u32 s45, s24, s43
	s_mul_i32 s44, s24, s43
	s_mul_hi_u32 s26, s24, s42
	s_mul_i32 s47, s25, s42
	s_add_nc_u64 s[44:45], s[26:27], s[44:45]
	s_mul_hi_u32 s46, s25, s42
	s_mul_hi_u32 vcc_lo, s25, s43
	s_add_co_u32 s26, s44, s47
	s_add_co_ci_u32 s26, s45, s46
	s_mul_i32 s42, s25, s43
	s_add_co_ci_u32 s43, vcc_lo, 0
	s_delay_alu instid0(SALU_CYCLE_1) | instskip(NEXT) | instid1(SALU_CYCLE_1)
	s_add_nc_u64 s[42:43], s[26:27], s[42:43]
	s_add_co_u32 s24, s24, s42
	s_cselect_b32 s26, -1, 0
	s_delay_alu instid0(SALU_CYCLE_1) | instskip(SKIP_1) | instid1(SALU_CYCLE_1)
	s_cmp_lg_u32 s26, 0
	s_add_co_ci_u32 s25, s25, s43
	s_mul_u64 s[40:41], s[40:41], s[24:25]
	s_delay_alu instid0(SALU_CYCLE_1)
	s_mul_hi_u32 s43, s24, s41
	s_mul_i32 s42, s24, s41
	s_mul_hi_u32 s26, s24, s40
	s_mul_i32 s45, s25, s40
	s_add_nc_u64 s[42:43], s[26:27], s[42:43]
	s_mul_hi_u32 s44, s25, s40
	s_mul_hi_u32 s46, s25, s41
	s_add_co_u32 s26, s42, s45
	s_add_co_ci_u32 s26, s43, s44
	s_mul_i32 s40, s25, s41
	s_add_co_ci_u32 s41, s46, 0
	s_delay_alu instid0(SALU_CYCLE_1) | instskip(NEXT) | instid1(SALU_CYCLE_1)
	s_add_nc_u64 s[40:41], s[26:27], s[40:41]
	s_add_co_u32 s24, s24, s40
	s_cselect_b32 s40, -1, 0
	s_mul_hi_u32 s26, s22, s24
	s_cmp_lg_u32 s40, 0
	s_mul_hi_u32 s42, s23, s24
	s_add_co_ci_u32 s40, s25, s41
	s_mul_i32 s41, s23, s24
	s_mul_hi_u32 s25, s22, s40
	s_mul_i32 s24, s22, s40
	s_mul_hi_u32 s43, s23, s40
	s_add_nc_u64 s[24:25], s[26:27], s[24:25]
	s_mul_i32 s40, s23, s40
	s_add_co_u32 s24, s24, s41
	s_add_co_ci_u32 s26, s25, s42
	s_add_co_ci_u32 s41, s43, 0
	s_delay_alu instid0(SALU_CYCLE_1) | instskip(NEXT) | instid1(SALU_CYCLE_1)
	s_add_nc_u64 s[24:25], s[26:27], s[40:41]
	s_and_b64 s[40:41], s[24:25], 0xffffffff00000000
	s_delay_alu instid0(SALU_CYCLE_1) | instskip(NEXT) | instid1(SALU_CYCLE_1)
	s_or_b32 s40, s40, s24
	s_mul_u64 s[24:25], s[34:35], s[40:41]
	s_delay_alu instid0(SALU_CYCLE_1) | instskip(SKIP_1) | instid1(SALU_CYCLE_1)
	s_sub_co_u32 s24, s22, s24
	s_cselect_b32 s26, -1, 0
	s_cmp_lg_u32 s26, 0
	s_sub_co_ci_u32 s25, s23, s25
	s_sub_co_u32 s26, s24, s34
	s_cselect_b32 s40, -1, 0
	s_delay_alu instid0(SALU_CYCLE_1) | instskip(SKIP_3) | instid1(SALU_CYCLE_1)
	s_cmp_lg_u32 s40, 0
	s_sub_co_ci_u32 s40, s25, 0
	s_sub_co_u32 s41, s26, s34
	s_cselect_b32 s42, -1, 0
	s_cmp_lg_u32 s42, 0
	s_sub_co_ci_u32 s42, s40, 0
	s_cmp_ge_u32 s26, s34
	s_cselect_b32 s43, -1, 0
	s_cmp_eq_u32 s40, 0
	s_cselect_b32 s43, s43, -1
	s_delay_alu instid0(SALU_CYCLE_1)
	s_cmp_lg_u32 s43, 0
	s_cselect_b32 s40, s42, s40
	s_cselect_b32 s26, s41, s26
	s_cmp_ge_u32 s24, s34
	s_cselect_b32 s41, -1, 0
	s_cmp_eq_u32 s25, 0
	s_cselect_b32 s41, s41, -1
	s_delay_alu instid0(SALU_CYCLE_1)
	s_cmp_lg_u32 s41, 0
	s_cselect_b32 s25, s40, s25
	s_cselect_b32 s24, s26, s24
	s_mov_b32 s26, 0
	s_branch .LBB159_221
.LBB159_218:                            ;   in Loop: Header=BB159_10 Depth=1
                                        ; implicit-def: $sgpr24_sgpr25
	s_branch .LBB159_173
.LBB159_219:                            ;   in Loop: Header=BB159_10 Depth=1
                                        ; implicit-def: $sgpr8_sgpr9
	s_branch .LBB159_189
.LBB159_220:                            ;   in Loop: Header=BB159_10 Depth=1
	s_mov_b32 s26, -1
                                        ; implicit-def: $sgpr24_sgpr25
.LBB159_221:                            ;   in Loop: Header=BB159_10 Depth=1
	s_delay_alu instid0(SALU_CYCLE_1)
	s_and_not1_b32 vcc_lo, exec_lo, s26
	s_cbranch_vccnz .LBB159_223
; %bb.222:                              ;   in Loop: Header=BB159_10 Depth=1
	v_cvt_f32_u32_e32 v3, s34
	s_sub_co_i32 s25, 0, s34
	s_delay_alu instid0(VALU_DEP_1) | instskip(SKIP_1) | instid1(TRANS32_DEP_1)
	v_rcp_iflag_f32_e32 v3, v3
	v_nop
	v_mul_f32_e32 v3, 0x4f7ffffe, v3
	s_delay_alu instid0(VALU_DEP_1) | instskip(NEXT) | instid1(VALU_DEP_1)
	v_cvt_u32_f32_e32 v3, v3
	v_readfirstlane_b32 s24, v3
	s_mul_i32 s25, s25, s24
	s_delay_alu instid0(SALU_CYCLE_1) | instskip(NEXT) | instid1(SALU_CYCLE_1)
	s_mul_hi_u32 s25, s24, s25
	s_add_co_i32 s24, s24, s25
	s_delay_alu instid0(SALU_CYCLE_1) | instskip(NEXT) | instid1(SALU_CYCLE_1)
	s_mul_hi_u32 s24, s22, s24
	s_mul_i32 s24, s24, s34
	s_delay_alu instid0(SALU_CYCLE_1) | instskip(NEXT) | instid1(SALU_CYCLE_1)
	s_sub_co_i32 s24, s22, s24
	s_sub_co_i32 s25, s24, s34
	s_cmp_ge_u32 s24, s34
	s_cselect_b32 s24, s25, s24
	s_delay_alu instid0(SALU_CYCLE_1) | instskip(SKIP_2) | instid1(SALU_CYCLE_1)
	s_sub_co_i32 s25, s24, s34
	s_cmp_ge_u32 s24, s34
	s_cselect_b32 s26, s25, s24
	s_mov_b64 s[24:25], s[26:27]
.LBB159_223:                            ;   in Loop: Header=BB159_10 Depth=1
	s_delay_alu instid0(SALU_CYCLE_1)
	s_sub_nc_u64 s[22:23], s[22:23], s[24:25]
	s_mov_b32 s25, 0
	s_mov_b32 s24, 0
	s_mov_b32 s26, exec_lo
                                        ; implicit-def: $vgpr10_vgpr11
	v_cmpx_gt_u64_e64 s[22:23], v[0:1]
	s_cbranch_execz .LBB159_232
; %bb.224:                              ;   in Loop: Header=BB159_10 Depth=1
	v_mov_b64_e32 v[34:35], v[0:1]
	v_mov_b32_e32 v36, v38
                                        ; implicit-def: $sgpr40
	s_branch .LBB159_227
.LBB159_225:                            ;   in Loop: Header=BB159_227 Depth=2
	s_or_b32 exec_lo, exec_lo, s41
	s_wait_dscnt 0x0
	s_barrier_signal -1
	s_barrier_wait -1
	ds_load_b128 v[8:11], v21 offset:3072
	s_mov_b32 s41, -1
	s_mov_b32 s42, -1
	s_wait_dscnt 0x0
	s_barrier_signal -1
	s_barrier_wait -1
	v_cmp_ne_u64_e32 vcc_lo, 0, v[8:9]
	s_cbranch_vccz .LBB159_230
.LBB159_226:                            ;   in Loop: Header=BB159_227 Depth=2
	s_and_b32 s41, exec_lo, s41
	s_delay_alu instid0(SALU_CYCLE_1) | instskip(SKIP_2) | instid1(SALU_CYCLE_1)
	s_or_b32 s24, s41, s24
	s_and_not1_b32 s40, s40, exec_lo
	s_and_b32 s41, s42, exec_lo
	s_or_b32 s40, s40, s41
	s_and_not1_b32 exec_lo, exec_lo, s24
	s_cbranch_execz .LBB159_231
.LBB159_227:                            ;   Parent Loop BB159_10 Depth=1
                                        ; =>  This Inner Loop Header: Depth=2
	s_mov_b32 s41, exec_lo
	s_delay_alu instid0(VALU_DEP_2)
	v_cmpx_gt_u64_e64 s[8:9], v[34:35]
	s_cbranch_execz .LBB159_225
; %bb.228:                              ;   in Loop: Header=BB159_227 Depth=2
	ds_load_b64 v[4:5], v36
	s_wait_dscnt 0x0
	v_xor_b32_e32 v3, 0x80000000, v5
	v_and_b32_e32 v8, v4, v12
	s_delay_alu instid0(VALU_DEP_2) | instskip(NEXT) | instid1(VALU_DEP_1)
	v_and_b32_e32 v9, v3, v13
	v_cmp_eq_u64_e32 vcc_lo, v[8:9], v[14:15]
	s_and_b32 exec_lo, exec_lo, vcc_lo
	s_cbranch_execz .LBB159_225
; %bb.229:                              ;   in Loop: Header=BB159_227 Depth=2
	v_mov_b32_e32 v3, v21
	ds_store_b128 v21, v[2:5] offset:3072
	s_branch .LBB159_225
.LBB159_230:                            ;   in Loop: Header=BB159_227 Depth=2
	v_add_nc_u64_e32 v[34:35], s[34:35], v[34:35]
	v_add_nc_u32_e32 v36, s91, v36
	s_mov_b32 s42, 0
	s_delay_alu instid0(VALU_DEP_2)
	v_cmp_le_u64_e32 vcc_lo, s[22:23], v[34:35]
	s_or_not1_b32 s41, vcc_lo, exec_lo
	s_branch .LBB159_226
.LBB159_231:                            ;   in Loop: Header=BB159_10 Depth=1
	s_or_b32 exec_lo, exec_lo, s24
	s_delay_alu instid0(SALU_CYCLE_1)
	s_and_b32 s24, s40, exec_lo
.LBB159_232:                            ;   in Loop: Header=BB159_10 Depth=1
	s_or_b32 exec_lo, exec_lo, s26
.LBB159_233:                            ;   in Loop: Header=BB159_10 Depth=1
	s_delay_alu instid0(SALU_CYCLE_1)
	s_and_b32 vcc_lo, exec_lo, s25
	s_cbranch_vccz .LBB159_249
; %bb.234:                              ;   in Loop: Header=BB159_10 Depth=1
	s_and_b64 s[8:9], s[64:65], 0xffffffff00000000
	s_delay_alu instid0(SALU_CYCLE_1)
	s_cmp_lg_u64 s[8:9], 0
	s_cbranch_scc0 .LBB159_236
; %bb.235:                              ;   in Loop: Header=BB159_10 Depth=1
	s_cvt_f32_u32 s8, s34
	s_sub_nc_u64 s[22:23], 0, s[34:35]
	s_delay_alu instid0(SALU_CYCLE_2) | instskip(NEXT) | instid1(SALU_CYCLE_3)
	s_fmamk_f32 s8, s94, 0x0, s8
	v_s_rcp_f32 s8, s8
	s_delay_alu instid0(TRANS32_DEP_1) | instskip(NEXT) | instid1(SALU_CYCLE_3)
	s_mul_f32 s8, s8, 0x5f7ffffc
	s_mul_f32 s9, s8, 0x2f800000
	s_delay_alu instid0(SALU_CYCLE_3) | instskip(NEXT) | instid1(SALU_CYCLE_3)
	s_trunc_f32 s9, s9
	s_fmamk_f32 s8, s9, 0xcf800000, s8
	s_cvt_u32_f32 s9, s9
	s_delay_alu instid0(SALU_CYCLE_2) | instskip(NEXT) | instid1(SALU_CYCLE_3)
	s_cvt_u32_f32 s8, s8
	s_mul_u64 s[40:41], s[22:23], s[8:9]
	s_delay_alu instid0(SALU_CYCLE_1)
	s_mul_hi_u32 s43, s8, s41
	s_mul_i32 s42, s8, s41
	s_mul_hi_u32 s26, s8, s40
	s_mul_i32 s44, s9, s40
	s_add_nc_u64 s[42:43], s[26:27], s[42:43]
	s_mul_hi_u32 s25, s9, s40
	s_mul_hi_u32 s45, s9, s41
	s_add_co_u32 s26, s42, s44
	s_add_co_ci_u32 s26, s43, s25
	s_mul_i32 s40, s9, s41
	s_add_co_ci_u32 s41, s45, 0
	s_delay_alu instid0(SALU_CYCLE_1) | instskip(NEXT) | instid1(SALU_CYCLE_1)
	s_add_nc_u64 s[40:41], s[26:27], s[40:41]
	s_add_co_u32 s8, s8, s40
	s_cselect_b32 s25, -1, 0
	s_delay_alu instid0(SALU_CYCLE_1) | instskip(SKIP_1) | instid1(SALU_CYCLE_1)
	s_cmp_lg_u32 s25, 0
	s_add_co_ci_u32 s9, s9, s41
	s_mul_u64 s[22:23], s[22:23], s[8:9]
	s_delay_alu instid0(SALU_CYCLE_1)
	s_mul_hi_u32 s41, s8, s23
	s_mul_i32 s40, s8, s23
	s_mul_hi_u32 s26, s8, s22
	s_mul_i32 s42, s9, s22
	s_add_nc_u64 s[40:41], s[26:27], s[40:41]
	s_mul_hi_u32 s25, s9, s22
	s_mul_hi_u32 s43, s9, s23
	s_mul_i32 s22, s9, s23
	s_add_co_u32 s23, s40, s42
	s_add_co_ci_u32 s26, s41, s25
	s_add_co_ci_u32 s23, s43, 0
	s_delay_alu instid0(SALU_CYCLE_1) | instskip(NEXT) | instid1(SALU_CYCLE_1)
	s_add_nc_u64 s[22:23], s[26:27], s[22:23]
	s_add_co_u32 s8, s8, s22
	s_cselect_b32 s22, -1, 0
	s_mul_hi_u32 s26, s64, s8
	s_cmp_lg_u32 s22, 0
	s_mul_hi_u32 s25, s65, s8
	s_add_co_ci_u32 s22, s9, s23
	s_mul_i32 s23, s65, s8
	s_mul_hi_u32 s9, s64, s22
	s_mul_i32 s8, s64, s22
	s_mul_hi_u32 s40, s65, s22
	s_add_nc_u64 s[8:9], s[26:27], s[8:9]
	s_mul_i32 s22, s65, s22
	s_add_co_u32 s8, s8, s23
	s_add_co_ci_u32 s26, s9, s25
	s_add_co_ci_u32 s23, s40, 0
	s_delay_alu instid0(SALU_CYCLE_1) | instskip(NEXT) | instid1(SALU_CYCLE_1)
	s_add_nc_u64 s[8:9], s[26:27], s[22:23]
	s_and_b64 s[22:23], s[8:9], 0xffffffff00000000
	s_delay_alu instid0(SALU_CYCLE_1) | instskip(NEXT) | instid1(SALU_CYCLE_1)
	s_or_b32 s22, s22, s8
	s_mul_u64 s[8:9], s[34:35], s[22:23]
	s_delay_alu instid0(SALU_CYCLE_1) | instskip(SKIP_1) | instid1(SALU_CYCLE_1)
	s_sub_co_u32 s8, s64, s8
	s_cselect_b32 s22, -1, 0
	s_cmp_lg_u32 s22, 0
	s_sub_co_ci_u32 s9, s65, s9
	s_sub_co_u32 s22, s8, s34
	s_cselect_b32 s23, -1, 0
	s_delay_alu instid0(SALU_CYCLE_1) | instskip(SKIP_3) | instid1(SALU_CYCLE_1)
	s_cmp_lg_u32 s23, 0
	s_sub_co_ci_u32 s23, s9, 0
	s_sub_co_u32 s25, s22, s34
	s_cselect_b32 s26, -1, 0
	s_cmp_lg_u32 s26, 0
	s_sub_co_ci_u32 s26, s23, 0
	s_cmp_ge_u32 s22, s34
	s_cselect_b32 s40, -1, 0
	s_cmp_eq_u32 s23, 0
	s_cselect_b32 s40, s40, -1
	s_delay_alu instid0(SALU_CYCLE_1)
	s_cmp_lg_u32 s40, 0
	s_cselect_b32 s23, s26, s23
	s_cselect_b32 s22, s25, s22
	s_cmp_ge_u32 s8, s34
	s_cselect_b32 s25, -1, 0
	s_cmp_eq_u32 s9, 0
	s_cselect_b32 s25, s25, -1
	s_delay_alu instid0(SALU_CYCLE_1)
	s_cmp_lg_u32 s25, 0
	s_cselect_b32 s9, s23, s9
	s_cselect_b32 s8, s22, s8
	s_mov_b32 s22, 0
	s_branch .LBB159_237
.LBB159_236:                            ;   in Loop: Header=BB159_10 Depth=1
	s_mov_b32 s22, -1
                                        ; implicit-def: $sgpr8_sgpr9
.LBB159_237:                            ;   in Loop: Header=BB159_10 Depth=1
	s_delay_alu instid0(SALU_CYCLE_1)
	s_and_not1_b32 vcc_lo, exec_lo, s22
	s_cbranch_vccnz .LBB159_239
; %bb.238:                              ;   in Loop: Header=BB159_10 Depth=1
	v_cvt_f32_u32_e32 v3, s34
	s_sub_co_i32 s9, 0, s34
	s_delay_alu instid0(VALU_DEP_1) | instskip(SKIP_1) | instid1(TRANS32_DEP_1)
	v_rcp_iflag_f32_e32 v3, v3
	v_nop
	v_mul_f32_e32 v3, 0x4f7ffffe, v3
	s_delay_alu instid0(VALU_DEP_1) | instskip(NEXT) | instid1(VALU_DEP_1)
	v_cvt_u32_f32_e32 v3, v3
	v_readfirstlane_b32 s8, v3
	s_mul_i32 s9, s9, s8
	s_delay_alu instid0(SALU_CYCLE_1) | instskip(NEXT) | instid1(SALU_CYCLE_1)
	s_mul_hi_u32 s9, s8, s9
	s_add_co_i32 s8, s8, s9
	s_delay_alu instid0(SALU_CYCLE_1) | instskip(NEXT) | instid1(SALU_CYCLE_1)
	s_mul_hi_u32 s8, s64, s8
	s_mul_i32 s8, s8, s34
	s_delay_alu instid0(SALU_CYCLE_1) | instskip(NEXT) | instid1(SALU_CYCLE_1)
	s_sub_co_i32 s8, s64, s8
	s_sub_co_i32 s9, s8, s34
	s_cmp_ge_u32 s8, s34
	s_cselect_b32 s8, s9, s8
	s_delay_alu instid0(SALU_CYCLE_1) | instskip(SKIP_2) | instid1(SALU_CYCLE_1)
	s_sub_co_i32 s9, s8, s34
	s_cmp_ge_u32 s8, s34
	s_cselect_b32 s26, s9, s8
	s_mov_b64 s[8:9], s[26:27]
.LBB159_239:                            ;   in Loop: Header=BB159_10 Depth=1
	s_delay_alu instid0(SALU_CYCLE_1)
	s_sub_nc_u64 s[8:9], s[64:65], s[8:9]
	s_mov_b32 s22, exec_lo
                                        ; implicit-def: $vgpr10_vgpr11
	v_nop
	v_cmpx_gt_u64_e64 s[8:9], v[0:1]
	s_cbranch_execz .LBB159_248
; %bb.240:                              ;   in Loop: Header=BB159_10 Depth=1
	v_mov_b64_e32 v[34:35], v[0:1]
	s_mov_b32 s23, 0
                                        ; implicit-def: $sgpr25
	s_branch .LBB159_243
.LBB159_241:                            ;   in Loop: Header=BB159_243 Depth=2
	s_or_b32 exec_lo, exec_lo, s26
	s_wait_dscnt 0x0
	s_barrier_signal -1
	s_barrier_wait -1
	ds_load_b128 v[8:11], v21 offset:3072
	s_mov_b32 s40, -1
	s_mov_b32 s26, -1
	s_wait_dscnt 0x0
	s_barrier_signal -1
	s_barrier_wait -1
	v_cmp_eq_u64_e32 vcc_lo, 0, v[8:9]
	s_cbranch_vccnz .LBB159_246
.LBB159_242:                            ;   in Loop: Header=BB159_243 Depth=2
	s_and_b32 s40, exec_lo, s40
	s_delay_alu instid0(SALU_CYCLE_1) | instskip(SKIP_2) | instid1(SALU_CYCLE_1)
	s_or_b32 s23, s40, s23
	s_and_not1_b32 s25, s25, exec_lo
	s_and_b32 s26, s26, exec_lo
	s_or_b32 s25, s25, s26
	s_and_not1_b32 exec_lo, exec_lo, s23
	s_cbranch_execz .LBB159_247
.LBB159_243:                            ;   Parent Loop BB159_10 Depth=1
                                        ; =>  This Inner Loop Header: Depth=2
	s_mov_b32 s26, exec_lo
	s_delay_alu instid0(VALU_DEP_1)
	v_cmpx_gt_u64_e64 s[36:37], v[34:35]
	s_cbranch_execz .LBB159_241
; %bb.244:                              ;   in Loop: Header=BB159_243 Depth=2
	v_mul_u64_e32 v[4:5], s[30:31], v[34:35]
	s_delay_alu instid0(VALU_DEP_1) | instskip(SKIP_4) | instid1(VALU_DEP_2)
	v_lshl_add_u64 v[4:5], v[4:5], 3, s[28:29]
	global_load_b64 v[4:5], v[4:5], off
	s_wait_loadcnt 0x0
	v_xor_b32_e32 v3, 0x80000000, v5
	v_and_b32_e32 v8, v4, v12
	v_and_b32_e32 v9, v3, v13
	s_delay_alu instid0(VALU_DEP_1)
	v_cmp_eq_u64_e32 vcc_lo, v[8:9], v[14:15]
	s_and_b32 exec_lo, exec_lo, vcc_lo
	s_cbranch_execz .LBB159_241
; %bb.245:                              ;   in Loop: Header=BB159_243 Depth=2
	v_mov_b32_e32 v3, v21
	ds_store_b128 v21, v[2:5] offset:3072
	s_branch .LBB159_241
.LBB159_246:                            ;   in Loop: Header=BB159_243 Depth=2
	v_add_nc_u64_e32 v[34:35], s[34:35], v[34:35]
	s_mov_b32 s26, 0
	s_delay_alu instid0(VALU_DEP_1)
	v_cmp_le_u64_e32 vcc_lo, s[8:9], v[34:35]
	s_or_not1_b32 s40, vcc_lo, exec_lo
	s_branch .LBB159_242
.LBB159_247:                            ;   in Loop: Header=BB159_10 Depth=1
	s_or_b32 exec_lo, exec_lo, s23
	s_delay_alu instid0(SALU_CYCLE_1) | instskip(SKIP_1) | instid1(SALU_CYCLE_1)
	s_and_not1_b32 s8, s24, exec_lo
	s_and_b32 s9, s25, exec_lo
	s_or_b32 s24, s8, s9
.LBB159_248:                            ;   in Loop: Header=BB159_10 Depth=1
	s_or_b32 exec_lo, exec_lo, s22
	s_mov_b32 s60, 0
	s_mov_b32 s61, -1
.LBB159_249:                            ;   in Loop: Header=BB159_10 Depth=1
	s_or_not1_b32 s9, s24, exec_lo
.LBB159_250:                            ;   in Loop: Header=BB159_10 Depth=1
	s_or_b32 exec_lo, exec_lo, s59
	s_mov_b32 s22, 0
	s_and_saveexec_b32 s8, s9
	s_cbranch_execz .LBB159_261
; %bb.251:                              ;   in Loop: Header=BB159_10 Depth=1
	v_mov_b64_e32 v[4:5], 1
	v_mov_b32_e32 v20, 1
	s_xor_b32 s22, s58, -1
	s_delay_alu instid0(SALU_CYCLE_1)
	s_and_saveexec_b32 s9, s22
	s_cbranch_execz .LBB159_260
; %bb.252:                              ;   in Loop: Header=BB159_10 Depth=1
	s_mov_b32 s22, exec_lo
	v_cmpx_ge_u64_e64 s[20:21], v[32:33]
	s_xor_b32 s22, exec_lo, s22
	s_cbranch_execz .LBB159_257
; %bb.253:                              ;   in Loop: Header=BB159_10 Depth=1
	ds_load_b64 v[4:5], v21 offset:5120
	v_or_b32_e32 v15, s13, v15
	v_or_b32_e32 v14, s12, v14
	;; [unrolled: 1-line block ×4, first 2 shown]
	s_wait_dscnt 0x0
	v_cmp_ne_u64_e32 vcc_lo, 0, v[4:5]
	s_cbranch_vccnz .LBB159_257
; %bb.254:                              ;   in Loop: Header=BB159_10 Depth=1
	s_and_saveexec_b32 s23, s5
; %bb.255:                              ;   in Loop: Header=BB159_10 Depth=1
	v_mov_b64_e32 v[4:5], s[20:21]
	ds_store_b64 v21, v[4:5] offset:5128
; %bb.256:                              ;   in Loop: Header=BB159_10 Depth=1
	s_or_b32 exec_lo, exec_lo, s23
	s_wait_dscnt 0x0
	s_barrier_signal -1
	s_barrier_wait -1
.LBB159_257:                            ;   in Loop: Header=BB159_10 Depth=1
	s_and_not1_saveexec_b32 s22, s22
; %bb.258:                              ;   in Loop: Header=BB159_10 Depth=1
	v_sub_nc_u64_e64 v[32:33], v[32:33], s[20:21]
; %bb.259:                              ;   in Loop: Header=BB159_10 Depth=1
	s_or_b32 exec_lo, exec_lo, s22
	s_delay_alu instid0(VALU_DEP_1)
	v_mov_b64_e32 v[4:5], v[32:33]
	v_mov_b32_e32 v20, 8
.LBB159_260:                            ;   in Loop: Header=BB159_10 Depth=1
	s_or_b32 exec_lo, exec_lo, s9
	s_delay_alu instid0(VALU_DEP_2)
	v_mov_b64_e32 v[32:33], v[4:5]
	s_mov_b32 s22, exec_lo
.LBB159_261:                            ;   in Loop: Header=BB159_10 Depth=1
	s_or_b32 exec_lo, exec_lo, s8
	s_delay_alu instid0(SALU_CYCLE_1)
	s_or_not1_b32 s8, s22, exec_lo
.LBB159_262:                            ;   in Loop: Header=BB159_10 Depth=1
	s_or_b32 exec_lo, exec_lo, s83
	s_delay_alu instid0(VALU_DEP_1)
	v_mov_b64_e32 v[34:35], v[32:33]
	s_and_not1_b32 s9, s81, exec_lo
	s_and_b32 s22, s61, exec_lo
	s_and_not1_b32 s23, s80, exec_lo
	s_and_b32 s24, s60, exec_lo
	s_or_b32 s81, s9, s22
	s_or_b32 s80, s23, s24
	s_and_b32 s9, s8, exec_lo
.LBB159_263:                            ;   in Loop: Header=BB159_10 Depth=1
	s_or_b32 exec_lo, exec_lo, s82
	s_delay_alu instid0(SALU_CYCLE_1)
	s_or_not1_b32 s8, s9, exec_lo
.LBB159_264:                            ;   in Loop: Header=BB159_10 Depth=1
	s_or_b32 exec_lo, exec_lo, s79
	v_mov_b64_e32 v[32:33], v[34:35]
	s_and_not1_b32 s9, s77, exec_lo
	s_and_b32 s22, s81, exec_lo
	s_and_not1_b32 s23, s72, exec_lo
	s_and_b32 s24, s80, exec_lo
	s_or_b32 s77, s9, s22
	s_or_b32 s72, s23, s24
	s_and_b32 s9, s8, exec_lo
.LBB159_265:                            ;   in Loop: Header=BB159_10 Depth=1
	s_or_b32 exec_lo, exec_lo, s78
	s_delay_alu instid0(SALU_CYCLE_1)
	s_or_not1_b32 s8, s9, exec_lo
.LBB159_266:                            ;   in Loop: Header=BB159_10 Depth=1
	s_or_b32 exec_lo, exec_lo, s71
	s_mov_b32 s9, 0
	s_mov_b32 s22, 0
	s_and_saveexec_b32 s23, s8
	s_delay_alu instid0(SALU_CYCLE_1)
	s_xor_b32 s23, exec_lo, s23
; %bb.267:                              ;   in Loop: Header=BB159_10 Depth=1
	v_cmp_ne_u32_e32 vcc_lo, 8, v20
	v_cmp_eq_u32_e64 s8, 8, v20
	s_and_b32 s22, vcc_lo, exec_lo
	s_and_b32 s9, s8, exec_lo
; %bb.268:                              ;   in Loop: Header=BB159_10 Depth=1
	s_or_b32 exec_lo, exec_lo, s23
	s_delay_alu instid0(SALU_CYCLE_1)
	s_and_not1_b32 s8, s74, exec_lo
	s_and_b32 s23, s77, exec_lo
	s_and_not1_b32 s24, s73, exec_lo
	s_and_b32 s25, s72, exec_lo
	s_or_b32 s74, s8, s23
	s_or_b32 s73, s24, s25
	s_and_b32 s71, s22, exec_lo
	s_and_b32 s72, s9, exec_lo
.LBB159_269:                            ;   in Loop: Header=BB159_10 Depth=1
	s_or_b32 exec_lo, exec_lo, s76
.LBB159_270:                            ;   in Loop: Header=BB159_10 Depth=1
	s_delay_alu instid0(SALU_CYCLE_1)
	s_and_b32 vcc_lo, exec_lo, s75
	s_cbranch_vccz .LBB159_286
; %bb.271:                              ;   in Loop: Header=BB159_10 Depth=1
	s_cmp_eq_u64 s[20:21], 1
                                        ; implicit-def: $sgpr75
                                        ; implicit-def: $sgpr70
	s_cselect_b32 s8, -1, 0
	s_delay_alu instid0(SALU_CYCLE_1)
	s_and_b32 s7, s8, s7
	s_mov_b32 s8, -1
	s_and_saveexec_b32 s58, s7
	s_cbranch_execz .LBB159_304
; %bb.272:                              ;   in Loop: Header=BB159_10 Depth=1
	ds_load_b64 v[4:5], v21 offset:5120
	s_wait_dscnt 0x0
	s_barrier_signal -1
	s_barrier_wait -1
	v_readfirstlane_b32 s8, v4
	v_readfirstlane_b32 s9, v5
	s_and_saveexec_b32 s22, s6
; %bb.273:                              ;   in Loop: Header=BB159_10 Depth=1
	ds_store_b64 v39, v[26:27]
; %bb.274:                              ;   in Loop: Header=BB159_10 Depth=1
	s_or_b32 exec_lo, exec_lo, s22
	v_or_b32_e32 v25, s13, v25
	v_or_b32_e32 v24, s12, v24
	;; [unrolled: 1-line block ×4, first 2 shown]
	s_mov_b32 s70, -1
	s_mov_b32 s75, 0
	s_cmp_eq_u64 s[8:9], 0
	s_mov_b32 s24, 0
	s_mov_b32 s25, -1
	s_wait_dscnt 0x0
	s_barrier_signal -1
	s_barrier_wait -1
                                        ; implicit-def: $vgpr6_vgpr7
	s_cbranch_scc1 .LBB159_289
; %bb.275:                              ;   in Loop: Header=BB159_10 Depth=1
	s_add_nc_u64 s[22:23], s[8:9], s[62:63]
	s_delay_alu instid0(SALU_CYCLE_1) | instskip(NEXT) | instid1(SALU_CYCLE_1)
	s_and_b64 s[24:25], s[22:23], 0xffffffff00000000
	s_cmp_lg_u64 s[24:25], 0
	s_cbranch_scc0 .LBB159_330
; %bb.276:                              ;   in Loop: Header=BB159_10 Depth=1
	s_cvt_f32_u32 s24, s34
	s_sub_nc_u64 s[40:41], 0, s[34:35]
	s_delay_alu instid0(SALU_CYCLE_2) | instskip(NEXT) | instid1(SALU_CYCLE_3)
	s_fmamk_f32 s24, s94, 0x0, s24
	v_s_rcp_f32 s24, s24
	s_delay_alu instid0(TRANS32_DEP_1) | instskip(NEXT) | instid1(SALU_CYCLE_3)
	s_mul_f32 s24, s24, 0x5f7ffffc
	s_mul_f32 s25, s24, 0x2f800000
	s_delay_alu instid0(SALU_CYCLE_3) | instskip(NEXT) | instid1(SALU_CYCLE_3)
	s_trunc_f32 s25, s25
	s_fmamk_f32 s24, s25, 0xcf800000, s24
	s_cvt_u32_f32 s25, s25
	s_delay_alu instid0(SALU_CYCLE_2) | instskip(NEXT) | instid1(SALU_CYCLE_3)
	s_cvt_u32_f32 s24, s24
	s_mul_u64 s[42:43], s[40:41], s[24:25]
	s_delay_alu instid0(SALU_CYCLE_1)
	s_mul_hi_u32 s61, s24, s43
	s_mul_i32 s60, s24, s43
	s_mul_hi_u32 s26, s24, s42
	s_mul_i32 s45, s25, s42
	s_add_nc_u64 s[60:61], s[26:27], s[60:61]
	s_mul_hi_u32 s44, s25, s42
	s_mul_hi_u32 s46, s25, s43
	s_add_co_u32 s26, s60, s45
	s_add_co_ci_u32 s26, s61, s44
	s_mul_i32 s42, s25, s43
	s_add_co_ci_u32 s43, s46, 0
	s_delay_alu instid0(SALU_CYCLE_1) | instskip(NEXT) | instid1(SALU_CYCLE_1)
	s_add_nc_u64 s[42:43], s[26:27], s[42:43]
	s_add_co_u32 s24, s24, s42
	s_cselect_b32 s26, -1, 0
	s_delay_alu instid0(SALU_CYCLE_1) | instskip(SKIP_1) | instid1(SALU_CYCLE_1)
	s_cmp_lg_u32 s26, 0
	s_add_co_ci_u32 s25, s25, s43
	s_mul_u64 s[40:41], s[40:41], s[24:25]
	s_delay_alu instid0(SALU_CYCLE_1)
	s_mul_hi_u32 s43, s24, s41
	s_mul_i32 s42, s24, s41
	s_mul_hi_u32 s26, s24, s40
	s_mul_i32 s45, s25, s40
	s_add_nc_u64 s[42:43], s[26:27], s[42:43]
	s_mul_hi_u32 s44, s25, s40
	s_mul_hi_u32 s46, s25, s41
	s_add_co_u32 s26, s42, s45
	s_add_co_ci_u32 s26, s43, s44
	s_mul_i32 s40, s25, s41
	s_add_co_ci_u32 s41, s46, 0
	s_delay_alu instid0(SALU_CYCLE_1) | instskip(NEXT) | instid1(SALU_CYCLE_1)
	s_add_nc_u64 s[40:41], s[26:27], s[40:41]
	s_add_co_u32 s24, s24, s40
	s_cselect_b32 s40, -1, 0
	s_mul_hi_u32 s26, s22, s24
	s_cmp_lg_u32 s40, 0
	s_mul_hi_u32 s42, s23, s24
	s_add_co_ci_u32 s40, s25, s41
	s_mul_i32 s41, s23, s24
	s_mul_hi_u32 s25, s22, s40
	s_mul_i32 s24, s22, s40
	s_mul_hi_u32 s43, s23, s40
	s_add_nc_u64 s[24:25], s[26:27], s[24:25]
	s_mul_i32 s40, s23, s40
	s_add_co_u32 s24, s24, s41
	s_add_co_ci_u32 s26, s25, s42
	s_add_co_ci_u32 s41, s43, 0
	s_delay_alu instid0(SALU_CYCLE_1) | instskip(NEXT) | instid1(SALU_CYCLE_1)
	s_add_nc_u64 s[24:25], s[26:27], s[40:41]
	s_and_b64 s[40:41], s[24:25], 0xffffffff00000000
	s_delay_alu instid0(SALU_CYCLE_1) | instskip(NEXT) | instid1(SALU_CYCLE_1)
	s_or_b32 s40, s40, s24
	s_mul_u64 s[24:25], s[34:35], s[40:41]
	s_delay_alu instid0(SALU_CYCLE_1) | instskip(SKIP_1) | instid1(SALU_CYCLE_1)
	s_sub_co_u32 s24, s22, s24
	s_cselect_b32 s26, -1, 0
	s_cmp_lg_u32 s26, 0
	s_sub_co_ci_u32 s25, s23, s25
	s_sub_co_u32 s26, s24, s34
	s_cselect_b32 s40, -1, 0
	s_delay_alu instid0(SALU_CYCLE_1) | instskip(SKIP_3) | instid1(SALU_CYCLE_1)
	s_cmp_lg_u32 s40, 0
	s_sub_co_ci_u32 s40, s25, 0
	s_sub_co_u32 s41, s26, s34
	s_cselect_b32 s42, -1, 0
	s_cmp_lg_u32 s42, 0
	s_sub_co_ci_u32 s42, s40, 0
	s_cmp_ge_u32 s26, s34
	s_cselect_b32 s43, -1, 0
	s_cmp_eq_u32 s40, 0
	s_cselect_b32 s43, s43, -1
	s_delay_alu instid0(SALU_CYCLE_1)
	s_cmp_lg_u32 s43, 0
	s_cselect_b32 s40, s42, s40
	s_cselect_b32 s26, s41, s26
	s_cmp_ge_u32 s24, s34
	s_cselect_b32 s41, -1, 0
	s_cmp_eq_u32 s25, 0
	s_cselect_b32 s41, s41, -1
	s_delay_alu instid0(SALU_CYCLE_1)
	s_cmp_lg_u32 s41, 0
	s_cselect_b32 s25, s40, s25
	s_cselect_b32 s24, s26, s24
	s_cbranch_execnz .LBB159_278
.LBB159_277:                            ;   in Loop: Header=BB159_10 Depth=1
	v_cvt_f32_u32_e32 v3, s34
	s_sub_co_i32 s25, 0, s34
	s_delay_alu instid0(VALU_DEP_1) | instskip(SKIP_1) | instid1(TRANS32_DEP_1)
	v_rcp_iflag_f32_e32 v3, v3
	v_nop
	v_mul_f32_e32 v3, 0x4f7ffffe, v3
	s_delay_alu instid0(VALU_DEP_1) | instskip(NEXT) | instid1(VALU_DEP_1)
	v_cvt_u32_f32_e32 v3, v3
	v_readfirstlane_b32 s24, v3
	s_mul_i32 s25, s25, s24
	s_delay_alu instid0(SALU_CYCLE_1) | instskip(NEXT) | instid1(SALU_CYCLE_1)
	s_mul_hi_u32 s25, s24, s25
	s_add_co_i32 s24, s24, s25
	s_delay_alu instid0(SALU_CYCLE_1) | instskip(NEXT) | instid1(SALU_CYCLE_1)
	s_mul_hi_u32 s24, s22, s24
	s_mul_i32 s24, s24, s34
	s_delay_alu instid0(SALU_CYCLE_1) | instskip(NEXT) | instid1(SALU_CYCLE_1)
	s_sub_co_i32 s24, s22, s24
	s_sub_co_i32 s25, s24, s34
	s_cmp_ge_u32 s24, s34
	s_cselect_b32 s24, s25, s24
	s_delay_alu instid0(SALU_CYCLE_1) | instskip(SKIP_2) | instid1(SALU_CYCLE_1)
	s_sub_co_i32 s25, s24, s34
	s_cmp_ge_u32 s24, s34
	s_cselect_b32 s26, s25, s24
	s_mov_b64 s[24:25], s[26:27]
.LBB159_278:                            ;   in Loop: Header=BB159_10 Depth=1
	s_delay_alu instid0(SALU_CYCLE_1)
	s_sub_nc_u64 s[22:23], s[22:23], s[24:25]
	s_mov_b32 s25, 0
	s_mov_b32 s24, 0
	s_mov_b32 s26, exec_lo
                                        ; implicit-def: $vgpr6_vgpr7
	v_cmpx_gt_u64_e64 s[22:23], v[0:1]
	s_cbranch_execz .LBB159_288
; %bb.279:                              ;   in Loop: Header=BB159_10 Depth=1
	v_mov_b64_e32 v[8:9], v[0:1]
	v_mov_b32_e32 v10, v38
                                        ; implicit-def: $sgpr59
	s_branch .LBB159_282
.LBB159_280:                            ;   in Loop: Header=BB159_282 Depth=2
	s_or_b32 exec_lo, exec_lo, s40
	s_wait_dscnt 0x0
	s_barrier_signal -1
	s_barrier_wait -1
	ds_load_b128 v[4:7], v21 offset:3072
	s_mov_b32 s40, -1
	s_mov_b32 s41, -1
	s_wait_dscnt 0x0
	s_barrier_signal -1
	s_barrier_wait -1
	v_cmp_ne_u64_e32 vcc_lo, 0, v[4:5]
	s_cbranch_vccz .LBB159_285
.LBB159_281:                            ;   in Loop: Header=BB159_282 Depth=2
	s_and_b32 s40, exec_lo, s40
	s_delay_alu instid0(SALU_CYCLE_1) | instskip(SKIP_2) | instid1(SALU_CYCLE_1)
	s_or_b32 s24, s40, s24
	s_and_not1_b32 s40, s59, exec_lo
	s_and_b32 s41, s41, exec_lo
	s_or_b32 s59, s40, s41
	s_and_not1_b32 exec_lo, exec_lo, s24
	s_cbranch_execz .LBB159_287
.LBB159_282:                            ;   Parent Loop BB159_10 Depth=1
                                        ; =>  This Inner Loop Header: Depth=2
	s_mov_b32 s40, exec_lo
	s_delay_alu instid0(VALU_DEP_2)
	v_cmpx_gt_u64_e64 s[8:9], v[8:9]
	s_cbranch_execz .LBB159_280
; %bb.283:                              ;   in Loop: Header=BB159_282 Depth=2
	ds_load_b64 v[4:5], v10
	s_wait_dscnt 0x0
	v_xor_b32_e32 v3, 0x80000000, v5
	v_and_b32_e32 v6, v4, v28
	s_delay_alu instid0(VALU_DEP_2) | instskip(NEXT) | instid1(VALU_DEP_1)
	v_and_b32_e32 v7, v3, v29
	v_cmp_eq_u64_e32 vcc_lo, v[6:7], v[24:25]
	s_and_b32 exec_lo, exec_lo, vcc_lo
	s_cbranch_execz .LBB159_280
; %bb.284:                              ;   in Loop: Header=BB159_282 Depth=2
	v_mov_b32_e32 v3, v21
	ds_store_b128 v21, v[2:5] offset:3072
	s_branch .LBB159_280
.LBB159_285:                            ;   in Loop: Header=BB159_282 Depth=2
	v_add_nc_u64_e32 v[8:9], s[34:35], v[8:9]
	v_add_nc_u32_e32 v10, s91, v10
	s_mov_b32 s41, 0
	s_delay_alu instid0(VALU_DEP_2)
	v_cmp_le_u64_e32 vcc_lo, s[22:23], v[8:9]
	s_or_not1_b32 s40, vcc_lo, exec_lo
	s_branch .LBB159_281
.LBB159_286:                            ;   in Loop: Header=BB159_10 Depth=1
	v_mov_b64_e32 v[24:25], v[14:15]
	v_mov_b64_e32 v[28:29], v[12:13]
	;; [unrolled: 1-line block ×3, first 2 shown]
	s_mov_b32 s75, 0
	s_and_saveexec_b32 s7, s72
	s_cbranch_execnz .LBB159_463
	s_branch .LBB159_464
.LBB159_287:                            ;   in Loop: Header=BB159_10 Depth=1
	s_or_b32 exec_lo, exec_lo, s24
	s_delay_alu instid0(SALU_CYCLE_1)
	s_and_b32 s24, s59, exec_lo
.LBB159_288:                            ;   in Loop: Header=BB159_10 Depth=1
	s_or_b32 exec_lo, exec_lo, s26
.LBB159_289:                            ;   in Loop: Header=BB159_10 Depth=1
	s_delay_alu instid0(SALU_CYCLE_1)
	s_and_b32 vcc_lo, exec_lo, s25
	s_cbranch_vccz .LBB159_303
; %bb.290:                              ;   in Loop: Header=BB159_10 Depth=1
	s_and_b64 s[8:9], s[64:65], 0xffffffff00000000
	s_delay_alu instid0(SALU_CYCLE_1)
	s_cmp_lg_u64 s[8:9], 0
	s_cbranch_scc0 .LBB159_331
; %bb.291:                              ;   in Loop: Header=BB159_10 Depth=1
	s_cvt_f32_u32 s8, s34
	s_sub_nc_u64 s[22:23], 0, s[34:35]
	s_delay_alu instid0(SALU_CYCLE_2) | instskip(NEXT) | instid1(SALU_CYCLE_3)
	s_fmamk_f32 s8, s94, 0x0, s8
	v_s_rcp_f32 s8, s8
	s_delay_alu instid0(TRANS32_DEP_1) | instskip(NEXT) | instid1(SALU_CYCLE_3)
	s_mul_f32 s8, s8, 0x5f7ffffc
	s_mul_f32 s9, s8, 0x2f800000
	s_delay_alu instid0(SALU_CYCLE_3) | instskip(NEXT) | instid1(SALU_CYCLE_3)
	s_trunc_f32 s9, s9
	s_fmamk_f32 s8, s9, 0xcf800000, s8
	s_cvt_u32_f32 s9, s9
	s_delay_alu instid0(SALU_CYCLE_2) | instskip(NEXT) | instid1(SALU_CYCLE_3)
	s_cvt_u32_f32 s8, s8
	s_mul_u64 s[40:41], s[22:23], s[8:9]
	s_delay_alu instid0(SALU_CYCLE_1)
	s_mul_hi_u32 s43, s8, s41
	s_mul_i32 s42, s8, s41
	s_mul_hi_u32 s26, s8, s40
	s_mul_i32 s44, s9, s40
	s_add_nc_u64 s[42:43], s[26:27], s[42:43]
	s_mul_hi_u32 s25, s9, s40
	s_mul_hi_u32 s45, s9, s41
	s_add_co_u32 s26, s42, s44
	s_add_co_ci_u32 s26, s43, s25
	s_mul_i32 s40, s9, s41
	s_add_co_ci_u32 s41, s45, 0
	s_delay_alu instid0(SALU_CYCLE_1) | instskip(NEXT) | instid1(SALU_CYCLE_1)
	s_add_nc_u64 s[40:41], s[26:27], s[40:41]
	s_add_co_u32 s8, s8, s40
	s_cselect_b32 s25, -1, 0
	s_delay_alu instid0(SALU_CYCLE_1) | instskip(SKIP_1) | instid1(SALU_CYCLE_1)
	s_cmp_lg_u32 s25, 0
	s_add_co_ci_u32 s9, s9, s41
	s_mul_u64 s[22:23], s[22:23], s[8:9]
	s_delay_alu instid0(SALU_CYCLE_1)
	s_mul_hi_u32 s41, s8, s23
	s_mul_i32 s40, s8, s23
	s_mul_hi_u32 s26, s8, s22
	s_mul_i32 s42, s9, s22
	s_add_nc_u64 s[40:41], s[26:27], s[40:41]
	s_mul_hi_u32 s25, s9, s22
	s_mul_hi_u32 s43, s9, s23
	s_mul_i32 s22, s9, s23
	s_add_co_u32 s23, s40, s42
	s_add_co_ci_u32 s26, s41, s25
	s_add_co_ci_u32 s23, s43, 0
	s_delay_alu instid0(SALU_CYCLE_1) | instskip(NEXT) | instid1(SALU_CYCLE_1)
	s_add_nc_u64 s[22:23], s[26:27], s[22:23]
	s_add_co_u32 s8, s8, s22
	s_cselect_b32 s22, -1, 0
	s_mul_hi_u32 s26, s64, s8
	s_cmp_lg_u32 s22, 0
	s_mul_hi_u32 s25, s65, s8
	s_add_co_ci_u32 s22, s9, s23
	s_mul_i32 s23, s65, s8
	s_mul_hi_u32 s9, s64, s22
	s_mul_i32 s8, s64, s22
	s_mul_hi_u32 s40, s65, s22
	s_add_nc_u64 s[8:9], s[26:27], s[8:9]
	s_mul_i32 s22, s65, s22
	s_add_co_u32 s8, s8, s23
	s_add_co_ci_u32 s26, s9, s25
	s_add_co_ci_u32 s23, s40, 0
	s_delay_alu instid0(SALU_CYCLE_1) | instskip(NEXT) | instid1(SALU_CYCLE_1)
	s_add_nc_u64 s[8:9], s[26:27], s[22:23]
	s_and_b64 s[22:23], s[8:9], 0xffffffff00000000
	s_delay_alu instid0(SALU_CYCLE_1) | instskip(NEXT) | instid1(SALU_CYCLE_1)
	s_or_b32 s22, s22, s8
	s_mul_u64 s[8:9], s[34:35], s[22:23]
	s_delay_alu instid0(SALU_CYCLE_1) | instskip(SKIP_1) | instid1(SALU_CYCLE_1)
	s_sub_co_u32 s8, s64, s8
	s_cselect_b32 s22, -1, 0
	s_cmp_lg_u32 s22, 0
	s_sub_co_ci_u32 s9, s65, s9
	s_sub_co_u32 s22, s8, s34
	s_cselect_b32 s23, -1, 0
	s_delay_alu instid0(SALU_CYCLE_1) | instskip(SKIP_3) | instid1(SALU_CYCLE_1)
	s_cmp_lg_u32 s23, 0
	s_sub_co_ci_u32 s23, s9, 0
	s_sub_co_u32 s25, s22, s34
	s_cselect_b32 s26, -1, 0
	s_cmp_lg_u32 s26, 0
	s_sub_co_ci_u32 s26, s23, 0
	s_cmp_ge_u32 s22, s34
	s_cselect_b32 s40, -1, 0
	s_cmp_eq_u32 s23, 0
	s_cselect_b32 s40, s40, -1
	s_delay_alu instid0(SALU_CYCLE_1)
	s_cmp_lg_u32 s40, 0
	s_cselect_b32 s23, s26, s23
	s_cselect_b32 s22, s25, s22
	s_cmp_ge_u32 s8, s34
	s_cselect_b32 s25, -1, 0
	s_cmp_eq_u32 s9, 0
	s_cselect_b32 s25, s25, -1
	s_delay_alu instid0(SALU_CYCLE_1)
	s_cmp_lg_u32 s25, 0
	s_cselect_b32 s9, s23, s9
	s_cselect_b32 s8, s22, s8
	s_cbranch_execnz .LBB159_293
.LBB159_292:                            ;   in Loop: Header=BB159_10 Depth=1
	v_cvt_f32_u32_e32 v3, s34
	s_sub_co_i32 s9, 0, s34
	s_delay_alu instid0(VALU_DEP_1) | instskip(SKIP_1) | instid1(TRANS32_DEP_1)
	v_rcp_iflag_f32_e32 v3, v3
	v_nop
	v_mul_f32_e32 v3, 0x4f7ffffe, v3
	s_delay_alu instid0(VALU_DEP_1) | instskip(NEXT) | instid1(VALU_DEP_1)
	v_cvt_u32_f32_e32 v3, v3
	v_readfirstlane_b32 s8, v3
	s_mul_i32 s9, s9, s8
	s_delay_alu instid0(SALU_CYCLE_1) | instskip(NEXT) | instid1(SALU_CYCLE_1)
	s_mul_hi_u32 s9, s8, s9
	s_add_co_i32 s8, s8, s9
	s_delay_alu instid0(SALU_CYCLE_1) | instskip(NEXT) | instid1(SALU_CYCLE_1)
	s_mul_hi_u32 s8, s64, s8
	s_mul_i32 s8, s8, s34
	s_delay_alu instid0(SALU_CYCLE_1) | instskip(NEXT) | instid1(SALU_CYCLE_1)
	s_sub_co_i32 s8, s64, s8
	s_sub_co_i32 s9, s8, s34
	s_cmp_ge_u32 s8, s34
	s_cselect_b32 s8, s9, s8
	s_delay_alu instid0(SALU_CYCLE_1) | instskip(SKIP_2) | instid1(SALU_CYCLE_1)
	s_sub_co_i32 s9, s8, s34
	s_cmp_ge_u32 s8, s34
	s_cselect_b32 s26, s9, s8
	s_mov_b64 s[8:9], s[26:27]
.LBB159_293:                            ;   in Loop: Header=BB159_10 Depth=1
	s_delay_alu instid0(SALU_CYCLE_1)
	s_sub_nc_u64 s[8:9], s[64:65], s[8:9]
	s_mov_b32 s22, exec_lo
                                        ; implicit-def: $vgpr6_vgpr7
	v_nop
	v_cmpx_gt_u64_e64 s[8:9], v[0:1]
	s_cbranch_execz .LBB159_302
; %bb.294:                              ;   in Loop: Header=BB159_10 Depth=1
	v_mov_b64_e32 v[8:9], v[0:1]
	s_mov_b32 s25, 0
                                        ; implicit-def: $sgpr23
	s_branch .LBB159_297
.LBB159_295:                            ;   in Loop: Header=BB159_297 Depth=2
	s_or_b32 exec_lo, exec_lo, s26
	s_wait_dscnt 0x0
	s_barrier_signal -1
	s_barrier_wait -1
	ds_load_b128 v[4:7], v21 offset:3072
	s_mov_b32 s40, -1
	s_mov_b32 s26, -1
	s_wait_dscnt 0x0
	s_barrier_signal -1
	s_barrier_wait -1
	v_cmp_ne_u64_e32 vcc_lo, 0, v[4:5]
	s_cbranch_vccz .LBB159_300
.LBB159_296:                            ;   in Loop: Header=BB159_297 Depth=2
	s_and_b32 s40, exec_lo, s40
	s_delay_alu instid0(SALU_CYCLE_1) | instskip(SKIP_2) | instid1(SALU_CYCLE_1)
	s_or_b32 s25, s40, s25
	s_and_not1_b32 s23, s23, exec_lo
	s_and_b32 s26, s26, exec_lo
	s_or_b32 s23, s23, s26
	s_and_not1_b32 exec_lo, exec_lo, s25
	s_cbranch_execz .LBB159_301
.LBB159_297:                            ;   Parent Loop BB159_10 Depth=1
                                        ; =>  This Inner Loop Header: Depth=2
	s_mov_b32 s26, exec_lo
	s_delay_alu instid0(VALU_DEP_1)
	v_cmpx_gt_u64_e64 s[36:37], v[8:9]
	s_cbranch_execz .LBB159_295
; %bb.298:                              ;   in Loop: Header=BB159_297 Depth=2
	v_mul_u64_e32 v[4:5], s[30:31], v[8:9]
	s_delay_alu instid0(VALU_DEP_1) | instskip(SKIP_4) | instid1(VALU_DEP_2)
	v_lshl_add_u64 v[4:5], v[4:5], 3, s[28:29]
	global_load_b64 v[4:5], v[4:5], off
	s_wait_loadcnt 0x0
	v_xor_b32_e32 v3, 0x80000000, v5
	v_and_b32_e32 v6, v4, v28
	v_and_b32_e32 v7, v3, v29
	s_delay_alu instid0(VALU_DEP_1)
	v_cmp_eq_u64_e32 vcc_lo, v[6:7], v[24:25]
	s_and_b32 exec_lo, exec_lo, vcc_lo
	s_cbranch_execz .LBB159_295
; %bb.299:                              ;   in Loop: Header=BB159_297 Depth=2
	v_mov_b32_e32 v3, v21
	ds_store_b128 v21, v[2:5] offset:3072
	s_branch .LBB159_295
.LBB159_300:                            ;   in Loop: Header=BB159_297 Depth=2
	v_add_nc_u64_e32 v[8:9], s[34:35], v[8:9]
	s_mov_b32 s26, 0
	s_delay_alu instid0(VALU_DEP_1)
	v_cmp_le_u64_e32 vcc_lo, s[8:9], v[8:9]
	s_or_not1_b32 s40, vcc_lo, exec_lo
	s_branch .LBB159_296
.LBB159_301:                            ;   in Loop: Header=BB159_10 Depth=1
	s_or_b32 exec_lo, exec_lo, s25
	s_delay_alu instid0(SALU_CYCLE_1) | instskip(SKIP_1) | instid1(SALU_CYCLE_1)
	s_and_not1_b32 s8, s24, exec_lo
	s_and_b32 s9, s23, exec_lo
	s_or_b32 s24, s8, s9
.LBB159_302:                            ;   in Loop: Header=BB159_10 Depth=1
	s_or_b32 exec_lo, exec_lo, s22
	s_mov_b32 s70, 0
	s_mov_b32 s75, -1
.LBB159_303:                            ;   in Loop: Header=BB159_10 Depth=1
	s_or_not1_b32 s8, s24, exec_lo
.LBB159_304:                            ;   in Loop: Header=BB159_10 Depth=1
	s_or_b32 exec_lo, exec_lo, s58
                                        ; implicit-def: $vgpr32_vgpr33
                                        ; implicit-def: $vgpr20
	s_and_saveexec_b32 s24, s8
	s_cbranch_execz .LBB159_462
; %bb.305:                              ;   in Loop: Header=BB159_10 Depth=1
	v_mov_b64_e32 v[32:33], 1
	v_mov_b32_e32 v20, 1
	s_xor_b32 s8, s7, -1
	s_mov_b32 s9, 0
	s_and_saveexec_b32 s7, s8
	s_cbranch_execz .LBB159_314
; %bb.306:                              ;   in Loop: Header=BB159_10 Depth=1
	s_mov_b32 s8, exec_lo
	v_cmpx_ge_u64_e64 s[20:21], v[30:31]
	s_xor_b32 s8, exec_lo, s8
	s_cbranch_execz .LBB159_311
; %bb.307:                              ;   in Loop: Header=BB159_10 Depth=1
	ds_load_b64 v[4:5], v21 offset:5120
	v_or_b32_e32 v25, s13, v25
	v_or_b32_e32 v24, s12, v24
	;; [unrolled: 1-line block ×4, first 2 shown]
	s_wait_dscnt 0x0
	v_cmp_ne_u64_e32 vcc_lo, 0, v[4:5]
	s_cbranch_vccnz .LBB159_311
; %bb.308:                              ;   in Loop: Header=BB159_10 Depth=1
	s_and_saveexec_b32 s9, s5
; %bb.309:                              ;   in Loop: Header=BB159_10 Depth=1
	v_mov_b64_e32 v[4:5], s[20:21]
	ds_store_b64 v21, v[4:5] offset:5128
; %bb.310:                              ;   in Loop: Header=BB159_10 Depth=1
	s_or_b32 exec_lo, exec_lo, s9
	s_wait_dscnt 0x0
	s_barrier_signal -1
	s_barrier_wait -1
.LBB159_311:                            ;   in Loop: Header=BB159_10 Depth=1
	s_or_saveexec_b32 s8, s8
	v_mov_b32_e32 v20, 5
	s_mov_b32 s9, 0
	s_xor_b32 exec_lo, exec_lo, s8
; %bb.312:                              ;   in Loop: Header=BB159_10 Depth=1
	v_sub_nc_u64_e64 v[30:31], v[30:31], s[20:21]
	v_mov_b32_e32 v20, 0
	s_mov_b32 s9, exec_lo
; %bb.313:                              ;   in Loop: Header=BB159_10 Depth=1
	s_or_b32 exec_lo, exec_lo, s8
	s_delay_alu instid0(VALU_DEP_2)
	v_mov_b64_e32 v[32:33], v[30:31]
	s_and_b32 s9, s9, exec_lo
.LBB159_314:                            ;   in Loop: Header=BB159_10 Depth=1
	s_or_b32 exec_lo, exec_lo, s7
	s_mov_b32 s8, -1
                                        ; implicit-def: $sgpr25
                                        ; implicit-def: $sgpr73
	s_and_saveexec_b32 s7, s9
	s_delay_alu instid0(SALU_CYCLE_1)
	s_xor_b32 s7, exec_lo, s7
	s_cbranch_execz .LBB159_459
; %bb.315:                              ;   in Loop: Header=BB159_10 Depth=1
	v_cmp_eq_u64_e32 vcc_lo, 1, v[32:33]
	s_cmp_eq_u64 s[18:19], 1
                                        ; implicit-def: $sgpr73
                                        ; implicit-def: $sgpr25
	s_cselect_b32 s8, -1, 0
	s_delay_alu instid0(SALU_CYCLE_1)
	s_and_b32 s74, s8, vcc_lo
	s_mov_b32 s8, -1
	s_and_saveexec_b32 s58, s74
	s_cbranch_execz .LBB159_349
; %bb.316:                              ;   in Loop: Header=BB159_10 Depth=1
	ds_load_b64 v[4:5], v21 offset:5120
	s_wait_dscnt 0x0
	s_barrier_signal -1
	s_barrier_wait -1
	v_readfirstlane_b32 s8, v4
	v_readfirstlane_b32 s9, v5
	s_and_saveexec_b32 s20, s6
; %bb.317:                              ;   in Loop: Header=BB159_10 Depth=1
	ds_store_b64 v39, v[26:27]
; %bb.318:                              ;   in Loop: Header=BB159_10 Depth=1
	s_or_b32 exec_lo, exec_lo, s20
	v_and_b32_e32 v3, s15, v25
	v_and_b32_e32 v4, s14, v24
	s_lshl_b64 s[20:21], 2, s92
	v_or_b32_e32 v29, s13, v29
	v_or_b32_e32 v28, s12, v28
	;; [unrolled: 1-line block ×4, first 2 shown]
	s_mov_b32 s25, -1
	s_mov_b32 s73, 0
	s_cmp_eq_u64 s[8:9], 0
	s_mov_b32 s22, 0
	s_mov_b32 s23, -1
	s_wait_dscnt 0x0
	s_barrier_signal -1
	s_barrier_wait -1
                                        ; implicit-def: $vgpr6_vgpr7
	s_cbranch_scc1 .LBB159_334
; %bb.319:                              ;   in Loop: Header=BB159_10 Depth=1
	s_add_nc_u64 s[20:21], s[8:9], s[62:63]
	s_delay_alu instid0(SALU_CYCLE_1) | instskip(NEXT) | instid1(SALU_CYCLE_1)
	s_and_b64 s[22:23], s[20:21], 0xffffffff00000000
	s_cmp_lg_u64 s[22:23], 0
	s_cbranch_scc0 .LBB159_375
; %bb.320:                              ;   in Loop: Header=BB159_10 Depth=1
	s_cvt_f32_u32 s22, s34
	s_sub_nc_u64 s[40:41], 0, s[34:35]
	s_delay_alu instid0(SALU_CYCLE_2) | instskip(NEXT) | instid1(SALU_CYCLE_3)
	s_fmamk_f32 s22, s94, 0x0, s22
	v_s_rcp_f32 s22, s22
	s_delay_alu instid0(TRANS32_DEP_1) | instskip(NEXT) | instid1(SALU_CYCLE_3)
	s_mul_f32 s22, s22, 0x5f7ffffc
	s_mul_f32 s23, s22, 0x2f800000
	s_delay_alu instid0(SALU_CYCLE_3) | instskip(NEXT) | instid1(SALU_CYCLE_3)
	s_trunc_f32 s23, s23
	s_fmamk_f32 s22, s23, 0xcf800000, s22
	s_cvt_u32_f32 s23, s23
	s_delay_alu instid0(SALU_CYCLE_2) | instskip(NEXT) | instid1(SALU_CYCLE_3)
	s_cvt_u32_f32 s22, s22
	s_mul_u64 s[42:43], s[40:41], s[22:23]
	s_delay_alu instid0(SALU_CYCLE_1)
	s_mul_hi_u32 s61, s22, s43
	s_mul_i32 s60, s22, s43
	s_mul_hi_u32 s26, s22, s42
	s_mul_i32 s45, s23, s42
	s_add_nc_u64 s[60:61], s[26:27], s[60:61]
	s_mul_hi_u32 s44, s23, s42
	s_mul_hi_u32 s46, s23, s43
	s_add_co_u32 s26, s60, s45
	s_add_co_ci_u32 s26, s61, s44
	s_mul_i32 s42, s23, s43
	s_add_co_ci_u32 s43, s46, 0
	s_delay_alu instid0(SALU_CYCLE_1) | instskip(NEXT) | instid1(SALU_CYCLE_1)
	s_add_nc_u64 s[42:43], s[26:27], s[42:43]
	s_add_co_u32 s22, s22, s42
	s_cselect_b32 s26, -1, 0
	s_delay_alu instid0(SALU_CYCLE_1) | instskip(SKIP_1) | instid1(SALU_CYCLE_1)
	s_cmp_lg_u32 s26, 0
	s_add_co_ci_u32 s23, s23, s43
	s_mul_u64 s[40:41], s[40:41], s[22:23]
	s_delay_alu instid0(SALU_CYCLE_1)
	s_mul_hi_u32 s43, s22, s41
	s_mul_i32 s42, s22, s41
	s_mul_hi_u32 s26, s22, s40
	s_mul_i32 s45, s23, s40
	s_add_nc_u64 s[42:43], s[26:27], s[42:43]
	s_mul_hi_u32 s44, s23, s40
	s_mul_hi_u32 s46, s23, s41
	s_add_co_u32 s26, s42, s45
	s_add_co_ci_u32 s26, s43, s44
	s_mul_i32 s40, s23, s41
	s_add_co_ci_u32 s41, s46, 0
	s_delay_alu instid0(SALU_CYCLE_1) | instskip(NEXT) | instid1(SALU_CYCLE_1)
	s_add_nc_u64 s[40:41], s[26:27], s[40:41]
	s_add_co_u32 s22, s22, s40
	s_cselect_b32 s40, -1, 0
	s_mul_hi_u32 s26, s20, s22
	s_cmp_lg_u32 s40, 0
	s_mul_hi_u32 s42, s21, s22
	s_add_co_ci_u32 s40, s23, s41
	s_mul_i32 s41, s21, s22
	s_mul_hi_u32 s23, s20, s40
	s_mul_i32 s22, s20, s40
	s_mul_hi_u32 s43, s21, s40
	s_add_nc_u64 s[22:23], s[26:27], s[22:23]
	s_mul_i32 s40, s21, s40
	s_add_co_u32 s22, s22, s41
	s_add_co_ci_u32 s26, s23, s42
	s_add_co_ci_u32 s41, s43, 0
	s_delay_alu instid0(SALU_CYCLE_1) | instskip(NEXT) | instid1(SALU_CYCLE_1)
	s_add_nc_u64 s[22:23], s[26:27], s[40:41]
	s_and_b64 s[40:41], s[22:23], 0xffffffff00000000
	s_delay_alu instid0(SALU_CYCLE_1) | instskip(NEXT) | instid1(SALU_CYCLE_1)
	s_or_b32 s40, s40, s22
	s_mul_u64 s[22:23], s[34:35], s[40:41]
	s_delay_alu instid0(SALU_CYCLE_1) | instskip(SKIP_1) | instid1(SALU_CYCLE_1)
	s_sub_co_u32 s22, s20, s22
	s_cselect_b32 s26, -1, 0
	s_cmp_lg_u32 s26, 0
	s_sub_co_ci_u32 s23, s21, s23
	s_sub_co_u32 s26, s22, s34
	s_cselect_b32 s40, -1, 0
	s_delay_alu instid0(SALU_CYCLE_1) | instskip(SKIP_3) | instid1(SALU_CYCLE_1)
	s_cmp_lg_u32 s40, 0
	s_sub_co_ci_u32 s40, s23, 0
	s_sub_co_u32 s41, s26, s34
	s_cselect_b32 s42, -1, 0
	s_cmp_lg_u32 s42, 0
	s_sub_co_ci_u32 s42, s40, 0
	s_cmp_ge_u32 s26, s34
	s_cselect_b32 s43, -1, 0
	s_cmp_eq_u32 s40, 0
	s_cselect_b32 s43, s43, -1
	s_delay_alu instid0(SALU_CYCLE_1)
	s_cmp_lg_u32 s43, 0
	s_cselect_b32 s40, s42, s40
	s_cselect_b32 s26, s41, s26
	s_cmp_ge_u32 s22, s34
	s_cselect_b32 s41, -1, 0
	s_cmp_eq_u32 s23, 0
	s_cselect_b32 s41, s41, -1
	s_delay_alu instid0(SALU_CYCLE_1)
	s_cmp_lg_u32 s41, 0
	s_cselect_b32 s23, s40, s23
	s_cselect_b32 s22, s26, s22
	s_cbranch_execnz .LBB159_322
.LBB159_321:                            ;   in Loop: Header=BB159_10 Depth=1
	v_cvt_f32_u32_e32 v3, s34
	s_sub_co_i32 s23, 0, s34
	s_delay_alu instid0(VALU_DEP_1) | instskip(SKIP_1) | instid1(TRANS32_DEP_1)
	v_rcp_iflag_f32_e32 v3, v3
	v_nop
	v_mul_f32_e32 v3, 0x4f7ffffe, v3
	s_delay_alu instid0(VALU_DEP_1) | instskip(NEXT) | instid1(VALU_DEP_1)
	v_cvt_u32_f32_e32 v3, v3
	v_readfirstlane_b32 s22, v3
	s_mul_i32 s23, s23, s22
	s_delay_alu instid0(SALU_CYCLE_1) | instskip(NEXT) | instid1(SALU_CYCLE_1)
	s_mul_hi_u32 s23, s22, s23
	s_add_co_i32 s22, s22, s23
	s_delay_alu instid0(SALU_CYCLE_1) | instskip(NEXT) | instid1(SALU_CYCLE_1)
	s_mul_hi_u32 s22, s20, s22
	s_mul_i32 s22, s22, s34
	s_delay_alu instid0(SALU_CYCLE_1) | instskip(NEXT) | instid1(SALU_CYCLE_1)
	s_sub_co_i32 s22, s20, s22
	s_sub_co_i32 s23, s22, s34
	s_cmp_ge_u32 s22, s34
	s_cselect_b32 s22, s23, s22
	s_delay_alu instid0(SALU_CYCLE_1) | instskip(SKIP_2) | instid1(SALU_CYCLE_1)
	s_sub_co_i32 s23, s22, s34
	s_cmp_ge_u32 s22, s34
	s_cselect_b32 s26, s23, s22
	s_mov_b64 s[22:23], s[26:27]
.LBB159_322:                            ;   in Loop: Header=BB159_10 Depth=1
	s_delay_alu instid0(SALU_CYCLE_1)
	s_sub_nc_u64 s[20:21], s[20:21], s[22:23]
	s_mov_b32 s23, 0
	s_mov_b32 s22, 0
	s_mov_b32 s26, exec_lo
                                        ; implicit-def: $vgpr6_vgpr7
	v_cmpx_gt_u64_e64 s[20:21], v[0:1]
	s_cbranch_execz .LBB159_333
; %bb.323:                              ;   in Loop: Header=BB159_10 Depth=1
	v_mov_b64_e32 v[8:9], v[0:1]
	v_mov_b32_e32 v10, v38
                                        ; implicit-def: $sgpr59
	s_branch .LBB159_326
.LBB159_324:                            ;   in Loop: Header=BB159_326 Depth=2
	s_or_b32 exec_lo, exec_lo, s40
	s_wait_dscnt 0x0
	s_barrier_signal -1
	s_barrier_wait -1
	ds_load_b128 v[4:7], v21 offset:3072
	s_mov_b32 s40, -1
	s_mov_b32 s41, -1
	s_wait_dscnt 0x0
	s_barrier_signal -1
	s_barrier_wait -1
	v_cmp_ne_u64_e32 vcc_lo, 0, v[4:5]
	s_cbranch_vccz .LBB159_329
.LBB159_325:                            ;   in Loop: Header=BB159_326 Depth=2
	s_and_b32 s40, exec_lo, s40
	s_delay_alu instid0(SALU_CYCLE_1) | instskip(SKIP_2) | instid1(SALU_CYCLE_1)
	s_or_b32 s22, s40, s22
	s_and_not1_b32 s40, s59, exec_lo
	s_and_b32 s41, s41, exec_lo
	s_or_b32 s59, s40, s41
	s_and_not1_b32 exec_lo, exec_lo, s22
	s_cbranch_execz .LBB159_332
.LBB159_326:                            ;   Parent Loop BB159_10 Depth=1
                                        ; =>  This Inner Loop Header: Depth=2
	s_mov_b32 s40, exec_lo
	s_delay_alu instid0(VALU_DEP_2)
	v_cmpx_gt_u64_e64 s[8:9], v[8:9]
	s_cbranch_execz .LBB159_324
; %bb.327:                              ;   in Loop: Header=BB159_326 Depth=2
	ds_load_b64 v[4:5], v10
	s_wait_dscnt 0x0
	v_xor_b32_e32 v3, 0x80000000, v5
	v_and_b32_e32 v6, v4, v28
	s_delay_alu instid0(VALU_DEP_2) | instskip(NEXT) | instid1(VALU_DEP_1)
	v_and_b32_e32 v7, v3, v29
	v_cmp_eq_u64_e32 vcc_lo, v[6:7], v[24:25]
	s_and_b32 exec_lo, exec_lo, vcc_lo
	s_cbranch_execz .LBB159_324
; %bb.328:                              ;   in Loop: Header=BB159_326 Depth=2
	v_mov_b32_e32 v3, v21
	ds_store_b128 v21, v[2:5] offset:3072
	s_branch .LBB159_324
.LBB159_329:                            ;   in Loop: Header=BB159_326 Depth=2
	v_add_nc_u64_e32 v[8:9], s[34:35], v[8:9]
	v_add_nc_u32_e32 v10, s91, v10
	s_mov_b32 s41, 0
	s_delay_alu instid0(VALU_DEP_2)
	v_cmp_le_u64_e32 vcc_lo, s[20:21], v[8:9]
	s_or_not1_b32 s40, vcc_lo, exec_lo
	s_branch .LBB159_325
.LBB159_330:                            ;   in Loop: Header=BB159_10 Depth=1
                                        ; implicit-def: $sgpr24_sgpr25
	s_branch .LBB159_277
.LBB159_331:                            ;   in Loop: Header=BB159_10 Depth=1
                                        ; implicit-def: $sgpr8_sgpr9
	s_branch .LBB159_292
.LBB159_332:                            ;   in Loop: Header=BB159_10 Depth=1
	s_or_b32 exec_lo, exec_lo, s22
	s_delay_alu instid0(SALU_CYCLE_1)
	s_and_b32 s22, s59, exec_lo
.LBB159_333:                            ;   in Loop: Header=BB159_10 Depth=1
	s_or_b32 exec_lo, exec_lo, s26
.LBB159_334:                            ;   in Loop: Header=BB159_10 Depth=1
	s_delay_alu instid0(SALU_CYCLE_1)
	s_and_b32 vcc_lo, exec_lo, s23
	s_cbranch_vccz .LBB159_348
; %bb.335:                              ;   in Loop: Header=BB159_10 Depth=1
	s_and_b64 s[8:9], s[64:65], 0xffffffff00000000
	s_delay_alu instid0(SALU_CYCLE_1)
	s_cmp_lg_u64 s[8:9], 0
	s_cbranch_scc0 .LBB159_376
; %bb.336:                              ;   in Loop: Header=BB159_10 Depth=1
	s_cvt_f32_u32 s8, s34
	s_sub_nc_u64 s[20:21], 0, s[34:35]
	s_delay_alu instid0(SALU_CYCLE_2) | instskip(NEXT) | instid1(SALU_CYCLE_3)
	s_fmamk_f32 s8, s94, 0x0, s8
	v_s_rcp_f32 s8, s8
	s_delay_alu instid0(TRANS32_DEP_1) | instskip(NEXT) | instid1(SALU_CYCLE_3)
	s_mul_f32 s8, s8, 0x5f7ffffc
	s_mul_f32 s9, s8, 0x2f800000
	s_delay_alu instid0(SALU_CYCLE_3) | instskip(NEXT) | instid1(SALU_CYCLE_3)
	s_trunc_f32 s9, s9
	s_fmamk_f32 s8, s9, 0xcf800000, s8
	s_cvt_u32_f32 s9, s9
	s_delay_alu instid0(SALU_CYCLE_2) | instskip(NEXT) | instid1(SALU_CYCLE_3)
	s_cvt_u32_f32 s8, s8
	s_mul_u64 s[40:41], s[20:21], s[8:9]
	s_delay_alu instid0(SALU_CYCLE_1)
	s_mul_hi_u32 s43, s8, s41
	s_mul_i32 s42, s8, s41
	s_mul_hi_u32 s26, s8, s40
	s_mul_i32 s25, s9, s40
	s_add_nc_u64 s[42:43], s[26:27], s[42:43]
	s_mul_hi_u32 s23, s9, s40
	s_mul_hi_u32 s44, s9, s41
	s_add_co_u32 s25, s42, s25
	s_add_co_ci_u32 s26, s43, s23
	s_mul_i32 s40, s9, s41
	s_add_co_ci_u32 s41, s44, 0
	s_delay_alu instid0(SALU_CYCLE_1) | instskip(NEXT) | instid1(SALU_CYCLE_1)
	s_add_nc_u64 s[40:41], s[26:27], s[40:41]
	s_add_co_u32 s8, s8, s40
	s_cselect_b32 s23, -1, 0
	s_delay_alu instid0(SALU_CYCLE_1) | instskip(SKIP_1) | instid1(SALU_CYCLE_1)
	s_cmp_lg_u32 s23, 0
	s_add_co_ci_u32 s9, s9, s41
	s_mul_u64 s[20:21], s[20:21], s[8:9]
	s_delay_alu instid0(SALU_CYCLE_1)
	s_mul_hi_u32 s41, s8, s21
	s_mul_i32 s40, s8, s21
	s_mul_hi_u32 s26, s8, s20
	s_mul_i32 s25, s9, s20
	s_add_nc_u64 s[40:41], s[26:27], s[40:41]
	s_mul_hi_u32 s23, s9, s20
	s_mul_hi_u32 s42, s9, s21
	s_mul_i32 s20, s9, s21
	s_add_co_u32 s21, s40, s25
	s_add_co_ci_u32 s26, s41, s23
	s_add_co_ci_u32 s21, s42, 0
	s_delay_alu instid0(SALU_CYCLE_1) | instskip(NEXT) | instid1(SALU_CYCLE_1)
	s_add_nc_u64 s[20:21], s[26:27], s[20:21]
	s_add_co_u32 s8, s8, s20
	s_cselect_b32 s20, -1, 0
	s_mul_hi_u32 s26, s64, s8
	s_cmp_lg_u32 s20, 0
	s_mul_hi_u32 s23, s65, s8
	s_add_co_ci_u32 s20, s9, s21
	s_mul_i32 s21, s65, s8
	s_mul_hi_u32 s9, s64, s20
	s_mul_i32 s8, s64, s20
	s_mul_hi_u32 s25, s65, s20
	s_add_nc_u64 s[8:9], s[26:27], s[8:9]
	s_mul_i32 s20, s65, s20
	s_add_co_u32 s8, s8, s21
	s_add_co_ci_u32 s26, s9, s23
	s_add_co_ci_u32 s21, s25, 0
	s_delay_alu instid0(SALU_CYCLE_1) | instskip(NEXT) | instid1(SALU_CYCLE_1)
	s_add_nc_u64 s[8:9], s[26:27], s[20:21]
	s_and_b64 s[20:21], s[8:9], 0xffffffff00000000
	s_delay_alu instid0(SALU_CYCLE_1) | instskip(NEXT) | instid1(SALU_CYCLE_1)
	s_or_b32 s20, s20, s8
	s_mul_u64 s[8:9], s[34:35], s[20:21]
	s_delay_alu instid0(SALU_CYCLE_1) | instskip(SKIP_1) | instid1(SALU_CYCLE_1)
	s_sub_co_u32 s8, s64, s8
	s_cselect_b32 s20, -1, 0
	s_cmp_lg_u32 s20, 0
	s_sub_co_ci_u32 s9, s65, s9
	s_sub_co_u32 s20, s8, s34
	s_cselect_b32 s21, -1, 0
	s_delay_alu instid0(SALU_CYCLE_1) | instskip(SKIP_3) | instid1(SALU_CYCLE_1)
	s_cmp_lg_u32 s21, 0
	s_sub_co_ci_u32 s21, s9, 0
	s_sub_co_u32 s23, s20, s34
	s_cselect_b32 s25, -1, 0
	s_cmp_lg_u32 s25, 0
	s_sub_co_ci_u32 s25, s21, 0
	s_cmp_ge_u32 s20, s34
	s_cselect_b32 s26, -1, 0
	s_cmp_eq_u32 s21, 0
	s_cselect_b32 s26, s26, -1
	s_delay_alu instid0(SALU_CYCLE_1)
	s_cmp_lg_u32 s26, 0
	s_cselect_b32 s21, s25, s21
	s_cselect_b32 s20, s23, s20
	s_cmp_ge_u32 s8, s34
	s_cselect_b32 s23, -1, 0
	s_cmp_eq_u32 s9, 0
	s_cselect_b32 s23, s23, -1
	s_delay_alu instid0(SALU_CYCLE_1)
	s_cmp_lg_u32 s23, 0
	s_cselect_b32 s9, s21, s9
	s_cselect_b32 s8, s20, s8
	s_cbranch_execnz .LBB159_338
.LBB159_337:                            ;   in Loop: Header=BB159_10 Depth=1
	v_cvt_f32_u32_e32 v3, s34
	s_sub_co_i32 s9, 0, s34
	s_delay_alu instid0(VALU_DEP_1) | instskip(SKIP_1) | instid1(TRANS32_DEP_1)
	v_rcp_iflag_f32_e32 v3, v3
	v_nop
	v_mul_f32_e32 v3, 0x4f7ffffe, v3
	s_delay_alu instid0(VALU_DEP_1) | instskip(NEXT) | instid1(VALU_DEP_1)
	v_cvt_u32_f32_e32 v3, v3
	v_readfirstlane_b32 s8, v3
	s_mul_i32 s9, s9, s8
	s_delay_alu instid0(SALU_CYCLE_1) | instskip(NEXT) | instid1(SALU_CYCLE_1)
	s_mul_hi_u32 s9, s8, s9
	s_add_co_i32 s8, s8, s9
	s_delay_alu instid0(SALU_CYCLE_1) | instskip(NEXT) | instid1(SALU_CYCLE_1)
	s_mul_hi_u32 s8, s64, s8
	s_mul_i32 s8, s8, s34
	s_delay_alu instid0(SALU_CYCLE_1) | instskip(NEXT) | instid1(SALU_CYCLE_1)
	s_sub_co_i32 s8, s64, s8
	s_sub_co_i32 s9, s8, s34
	s_cmp_ge_u32 s8, s34
	s_cselect_b32 s8, s9, s8
	s_delay_alu instid0(SALU_CYCLE_1) | instskip(SKIP_2) | instid1(SALU_CYCLE_1)
	s_sub_co_i32 s9, s8, s34
	s_cmp_ge_u32 s8, s34
	s_cselect_b32 s26, s9, s8
	s_mov_b64 s[8:9], s[26:27]
.LBB159_338:                            ;   in Loop: Header=BB159_10 Depth=1
	s_delay_alu instid0(SALU_CYCLE_1)
	s_sub_nc_u64 s[8:9], s[64:65], s[8:9]
	s_mov_b32 s20, exec_lo
                                        ; implicit-def: $vgpr6_vgpr7
	v_nop
	v_cmpx_gt_u64_e64 s[8:9], v[0:1]
	s_cbranch_execz .LBB159_347
; %bb.339:                              ;   in Loop: Header=BB159_10 Depth=1
	v_mov_b64_e32 v[8:9], v[0:1]
	s_mov_b32 s21, 0
                                        ; implicit-def: $sgpr23
	s_branch .LBB159_342
.LBB159_340:                            ;   in Loop: Header=BB159_342 Depth=2
	s_or_b32 exec_lo, exec_lo, s25
	s_wait_dscnt 0x0
	s_barrier_signal -1
	s_barrier_wait -1
	ds_load_b128 v[4:7], v21 offset:3072
	s_mov_b32 s26, -1
	s_mov_b32 s25, -1
	s_wait_dscnt 0x0
	s_barrier_signal -1
	s_barrier_wait -1
	v_cmp_eq_u64_e32 vcc_lo, 0, v[4:5]
	s_cbranch_vccnz .LBB159_345
.LBB159_341:                            ;   in Loop: Header=BB159_342 Depth=2
	s_and_b32 s26, exec_lo, s26
	s_delay_alu instid0(SALU_CYCLE_1) | instskip(SKIP_2) | instid1(SALU_CYCLE_1)
	s_or_b32 s21, s26, s21
	s_and_not1_b32 s23, s23, exec_lo
	s_and_b32 s25, s25, exec_lo
	s_or_b32 s23, s23, s25
	s_and_not1_b32 exec_lo, exec_lo, s21
	s_cbranch_execz .LBB159_346
.LBB159_342:                            ;   Parent Loop BB159_10 Depth=1
                                        ; =>  This Inner Loop Header: Depth=2
	s_mov_b32 s25, exec_lo
	s_delay_alu instid0(VALU_DEP_1)
	v_cmpx_gt_u64_e64 s[36:37], v[8:9]
	s_cbranch_execz .LBB159_340
; %bb.343:                              ;   in Loop: Header=BB159_342 Depth=2
	v_mul_u64_e32 v[4:5], s[30:31], v[8:9]
	s_delay_alu instid0(VALU_DEP_1) | instskip(SKIP_4) | instid1(VALU_DEP_2)
	v_lshl_add_u64 v[4:5], v[4:5], 3, s[28:29]
	global_load_b64 v[4:5], v[4:5], off
	s_wait_loadcnt 0x0
	v_xor_b32_e32 v3, 0x80000000, v5
	v_and_b32_e32 v6, v4, v28
	v_and_b32_e32 v7, v3, v29
	s_delay_alu instid0(VALU_DEP_1)
	v_cmp_eq_u64_e32 vcc_lo, v[6:7], v[24:25]
	s_and_b32 exec_lo, exec_lo, vcc_lo
	s_cbranch_execz .LBB159_340
; %bb.344:                              ;   in Loop: Header=BB159_342 Depth=2
	v_mov_b32_e32 v3, v21
	ds_store_b128 v21, v[2:5] offset:3072
	s_branch .LBB159_340
.LBB159_345:                            ;   in Loop: Header=BB159_342 Depth=2
	v_add_nc_u64_e32 v[8:9], s[34:35], v[8:9]
	s_mov_b32 s25, 0
	s_delay_alu instid0(VALU_DEP_1)
	v_cmp_le_u64_e32 vcc_lo, s[8:9], v[8:9]
	s_or_not1_b32 s26, vcc_lo, exec_lo
	s_branch .LBB159_341
.LBB159_346:                            ;   in Loop: Header=BB159_10 Depth=1
	s_or_b32 exec_lo, exec_lo, s21
	s_delay_alu instid0(SALU_CYCLE_1) | instskip(SKIP_1) | instid1(SALU_CYCLE_1)
	s_and_not1_b32 s8, s22, exec_lo
	s_and_b32 s9, s23, exec_lo
	s_or_b32 s22, s8, s9
.LBB159_347:                            ;   in Loop: Header=BB159_10 Depth=1
	s_or_b32 exec_lo, exec_lo, s20
	s_mov_b32 s25, 0
	s_mov_b32 s73, -1
.LBB159_348:                            ;   in Loop: Header=BB159_10 Depth=1
	s_or_not1_b32 s8, s22, exec_lo
.LBB159_349:                            ;   in Loop: Header=BB159_10 Depth=1
	s_or_b32 exec_lo, exec_lo, s58
	s_mov_b32 s9, 0
	s_and_saveexec_b32 s22, s8
	s_cbranch_execz .LBB159_458
; %bb.350:                              ;   in Loop: Header=BB159_10 Depth=1
	v_mov_b64_e32 v[8:9], 1
	v_mov_b32_e32 v20, 1
	s_xor_b32 s20, s74, -1
	s_delay_alu instid0(SALU_CYCLE_1)
	s_and_saveexec_b32 s8, s20
	s_cbranch_execz .LBB159_359
; %bb.351:                              ;   in Loop: Header=BB159_10 Depth=1
	s_mov_b32 s9, exec_lo
	v_cmpx_ge_u64_e64 s[18:19], v[32:33]
	s_xor_b32 s9, exec_lo, s9
	s_cbranch_execz .LBB159_356
; %bb.352:                              ;   in Loop: Header=BB159_10 Depth=1
	ds_load_b64 v[4:5], v21 offset:5120
	v_and_b32_e32 v3, s15, v25
	v_and_b32_e32 v8, s14, v24
	s_lshl_b64 s[20:21], 2, s92
	v_or_b32_e32 v29, s13, v29
	v_or_b32_e32 v28, s12, v28
	;; [unrolled: 1-line block ×4, first 2 shown]
	s_wait_dscnt 0x0
	v_cmp_ne_u64_e32 vcc_lo, 0, v[4:5]
	s_cbranch_vccnz .LBB159_356
; %bb.353:                              ;   in Loop: Header=BB159_10 Depth=1
	s_and_saveexec_b32 s20, s5
; %bb.354:                              ;   in Loop: Header=BB159_10 Depth=1
	v_mov_b64_e32 v[4:5], s[18:19]
	ds_store_b64 v21, v[4:5] offset:5128
; %bb.355:                              ;   in Loop: Header=BB159_10 Depth=1
	s_or_b32 exec_lo, exec_lo, s20
	s_wait_dscnt 0x0
	s_barrier_signal -1
	s_barrier_wait -1
.LBB159_356:                            ;   in Loop: Header=BB159_10 Depth=1
	s_or_saveexec_b32 s9, s9
	v_mov_b32_e32 v20, 5
	s_mov_b32 s20, 0
	s_xor_b32 exec_lo, exec_lo, s9
; %bb.357:                              ;   in Loop: Header=BB159_10 Depth=1
	v_sub_nc_u64_e64 v[32:33], v[32:33], s[18:19]
	v_mov_b32_e32 v20, 0
	s_mov_b32 s20, exec_lo
; %bb.358:                              ;   in Loop: Header=BB159_10 Depth=1
	s_or_b32 exec_lo, exec_lo, s9
	s_delay_alu instid0(VALU_DEP_2)
	v_mov_b64_e32 v[8:9], v[32:33]
	s_and_b32 s9, s20, exec_lo
.LBB159_359:                            ;   in Loop: Header=BB159_10 Depth=1
	s_or_b32 exec_lo, exec_lo, s8
	s_mov_b32 s8, -1
                                        ; implicit-def: $sgpr74
                                        ; implicit-def: $sgpr76
	s_and_saveexec_b32 s23, s9
	s_cbranch_execz .LBB159_457
; %bb.360:                              ;   in Loop: Header=BB159_10 Depth=1
	s_delay_alu instid0(VALU_DEP_1) | instskip(SKIP_2) | instid1(SALU_CYCLE_1)
	v_cmp_eq_u64_e32 vcc_lo, 1, v[8:9]
	s_cmp_eq_u64 s[16:17], 1
                                        ; implicit-def: $sgpr76
                                        ; implicit-def: $sgpr74
	s_cselect_b32 s8, -1, 0
	s_and_b32 s77, s8, vcc_lo
	s_mov_b32 s8, -1
	s_and_saveexec_b32 s58, s77
	s_cbranch_execz .LBB159_394
; %bb.361:                              ;   in Loop: Header=BB159_10 Depth=1
	ds_load_b64 v[4:5], v21 offset:5120
	s_wait_dscnt 0x0
	s_barrier_signal -1
	s_barrier_wait -1
	v_readfirstlane_b32 s8, v4
	v_readfirstlane_b32 s9, v5
	s_and_saveexec_b32 s18, s6
; %bb.362:                              ;   in Loop: Header=BB159_10 Depth=1
	ds_store_b64 v39, v[26:27]
; %bb.363:                              ;   in Loop: Header=BB159_10 Depth=1
	s_or_b32 exec_lo, exec_lo, s18
	v_and_b32_e32 v3, s15, v25
	v_and_b32_e32 v4, s14, v24
	s_lshl_b64 s[18:19], 1, s92
	v_or_b32_e32 v29, s13, v29
	v_or_b32_e32 v28, s12, v28
	;; [unrolled: 1-line block ×4, first 2 shown]
	s_mov_b32 s74, -1
	s_mov_b32 s76, 0
	s_cmp_eq_u64 s[8:9], 0
	s_mov_b32 s20, 0
	s_mov_b32 s21, -1
	s_wait_dscnt 0x0
	s_barrier_signal -1
	s_barrier_wait -1
                                        ; implicit-def: $vgpr6_vgpr7
	s_cbranch_scc1 .LBB159_379
; %bb.364:                              ;   in Loop: Header=BB159_10 Depth=1
	s_add_nc_u64 s[18:19], s[8:9], s[62:63]
	s_delay_alu instid0(SALU_CYCLE_1) | instskip(NEXT) | instid1(SALU_CYCLE_1)
	s_and_b64 s[20:21], s[18:19], 0xffffffff00000000
	s_cmp_lg_u64 s[20:21], 0
	s_cbranch_scc0 .LBB159_411
; %bb.365:                              ;   in Loop: Header=BB159_10 Depth=1
	s_cvt_f32_u32 s20, s34
	s_sub_nc_u64 s[40:41], 0, s[34:35]
	s_delay_alu instid0(SALU_CYCLE_2) | instskip(NEXT) | instid1(SALU_CYCLE_3)
	s_fmamk_f32 s20, s94, 0x0, s20
	v_s_rcp_f32 s20, s20
	s_delay_alu instid0(TRANS32_DEP_1) | instskip(NEXT) | instid1(SALU_CYCLE_3)
	s_mul_f32 s20, s20, 0x5f7ffffc
	s_mul_f32 s21, s20, 0x2f800000
	s_delay_alu instid0(SALU_CYCLE_3) | instskip(NEXT) | instid1(SALU_CYCLE_3)
	s_trunc_f32 s21, s21
	s_fmamk_f32 s20, s21, 0xcf800000, s20
	s_cvt_u32_f32 s21, s21
	s_delay_alu instid0(SALU_CYCLE_2) | instskip(NEXT) | instid1(SALU_CYCLE_3)
	s_cvt_u32_f32 s20, s20
	s_mul_u64 s[42:43], s[40:41], s[20:21]
	s_delay_alu instid0(SALU_CYCLE_1)
	s_mul_hi_u32 s61, s20, s43
	s_mul_i32 s60, s20, s43
	s_mul_hi_u32 s26, s20, s42
	s_mul_i32 s45, s21, s42
	s_add_nc_u64 s[60:61], s[26:27], s[60:61]
	s_mul_hi_u32 s44, s21, s42
	s_mul_hi_u32 s46, s21, s43
	s_add_co_u32 s26, s60, s45
	s_add_co_ci_u32 s26, s61, s44
	s_mul_i32 s42, s21, s43
	s_add_co_ci_u32 s43, s46, 0
	s_delay_alu instid0(SALU_CYCLE_1) | instskip(NEXT) | instid1(SALU_CYCLE_1)
	s_add_nc_u64 s[42:43], s[26:27], s[42:43]
	s_add_co_u32 s20, s20, s42
	s_cselect_b32 s26, -1, 0
	s_delay_alu instid0(SALU_CYCLE_1) | instskip(SKIP_1) | instid1(SALU_CYCLE_1)
	s_cmp_lg_u32 s26, 0
	s_add_co_ci_u32 s21, s21, s43
	s_mul_u64 s[40:41], s[40:41], s[20:21]
	s_delay_alu instid0(SALU_CYCLE_1)
	s_mul_hi_u32 s43, s20, s41
	s_mul_i32 s42, s20, s41
	s_mul_hi_u32 s26, s20, s40
	s_mul_i32 s45, s21, s40
	s_add_nc_u64 s[42:43], s[26:27], s[42:43]
	s_mul_hi_u32 s44, s21, s40
	s_mul_hi_u32 s46, s21, s41
	s_add_co_u32 s26, s42, s45
	s_add_co_ci_u32 s26, s43, s44
	s_mul_i32 s40, s21, s41
	s_add_co_ci_u32 s41, s46, 0
	s_delay_alu instid0(SALU_CYCLE_1) | instskip(NEXT) | instid1(SALU_CYCLE_1)
	s_add_nc_u64 s[40:41], s[26:27], s[40:41]
	s_add_co_u32 s20, s20, s40
	s_cselect_b32 s40, -1, 0
	s_mul_hi_u32 s26, s18, s20
	s_cmp_lg_u32 s40, 0
	s_mul_hi_u32 s42, s19, s20
	s_add_co_ci_u32 s40, s21, s41
	s_mul_i32 s41, s19, s20
	s_mul_hi_u32 s21, s18, s40
	s_mul_i32 s20, s18, s40
	s_mul_hi_u32 s43, s19, s40
	s_add_nc_u64 s[20:21], s[26:27], s[20:21]
	s_mul_i32 s40, s19, s40
	s_add_co_u32 s20, s20, s41
	s_add_co_ci_u32 s26, s21, s42
	s_add_co_ci_u32 s41, s43, 0
	s_delay_alu instid0(SALU_CYCLE_1) | instskip(NEXT) | instid1(SALU_CYCLE_1)
	s_add_nc_u64 s[20:21], s[26:27], s[40:41]
	s_and_b64 s[40:41], s[20:21], 0xffffffff00000000
	s_delay_alu instid0(SALU_CYCLE_1) | instskip(NEXT) | instid1(SALU_CYCLE_1)
	s_or_b32 s40, s40, s20
	s_mul_u64 s[20:21], s[34:35], s[40:41]
	s_delay_alu instid0(SALU_CYCLE_1) | instskip(SKIP_1) | instid1(SALU_CYCLE_1)
	s_sub_co_u32 s20, s18, s20
	s_cselect_b32 s26, -1, 0
	s_cmp_lg_u32 s26, 0
	s_sub_co_ci_u32 s21, s19, s21
	s_sub_co_u32 s26, s20, s34
	s_cselect_b32 s40, -1, 0
	s_delay_alu instid0(SALU_CYCLE_1) | instskip(SKIP_3) | instid1(SALU_CYCLE_1)
	s_cmp_lg_u32 s40, 0
	s_sub_co_ci_u32 s40, s21, 0
	s_sub_co_u32 s41, s26, s34
	s_cselect_b32 s42, -1, 0
	s_cmp_lg_u32 s42, 0
	s_sub_co_ci_u32 s42, s40, 0
	s_cmp_ge_u32 s26, s34
	s_cselect_b32 s43, -1, 0
	s_cmp_eq_u32 s40, 0
	s_cselect_b32 s43, s43, -1
	s_delay_alu instid0(SALU_CYCLE_1)
	s_cmp_lg_u32 s43, 0
	s_cselect_b32 s40, s42, s40
	s_cselect_b32 s26, s41, s26
	s_cmp_ge_u32 s20, s34
	s_cselect_b32 s41, -1, 0
	s_cmp_eq_u32 s21, 0
	s_cselect_b32 s41, s41, -1
	s_delay_alu instid0(SALU_CYCLE_1)
	s_cmp_lg_u32 s41, 0
	s_cselect_b32 s21, s40, s21
	s_cselect_b32 s20, s26, s20
	s_cbranch_execnz .LBB159_367
.LBB159_366:                            ;   in Loop: Header=BB159_10 Depth=1
	v_cvt_f32_u32_e32 v3, s34
	s_sub_co_i32 s21, 0, s34
	s_delay_alu instid0(VALU_DEP_1) | instskip(SKIP_1) | instid1(TRANS32_DEP_1)
	v_rcp_iflag_f32_e32 v3, v3
	v_nop
	v_mul_f32_e32 v3, 0x4f7ffffe, v3
	s_delay_alu instid0(VALU_DEP_1) | instskip(NEXT) | instid1(VALU_DEP_1)
	v_cvt_u32_f32_e32 v3, v3
	v_readfirstlane_b32 s20, v3
	s_mul_i32 s21, s21, s20
	s_delay_alu instid0(SALU_CYCLE_1) | instskip(NEXT) | instid1(SALU_CYCLE_1)
	s_mul_hi_u32 s21, s20, s21
	s_add_co_i32 s20, s20, s21
	s_delay_alu instid0(SALU_CYCLE_1) | instskip(NEXT) | instid1(SALU_CYCLE_1)
	s_mul_hi_u32 s20, s18, s20
	s_mul_i32 s20, s20, s34
	s_delay_alu instid0(SALU_CYCLE_1) | instskip(NEXT) | instid1(SALU_CYCLE_1)
	s_sub_co_i32 s20, s18, s20
	s_sub_co_i32 s21, s20, s34
	s_cmp_ge_u32 s20, s34
	s_cselect_b32 s20, s21, s20
	s_delay_alu instid0(SALU_CYCLE_1) | instskip(SKIP_2) | instid1(SALU_CYCLE_1)
	s_sub_co_i32 s21, s20, s34
	s_cmp_ge_u32 s20, s34
	s_cselect_b32 s26, s21, s20
	s_mov_b64 s[20:21], s[26:27]
.LBB159_367:                            ;   in Loop: Header=BB159_10 Depth=1
	s_delay_alu instid0(SALU_CYCLE_1)
	s_sub_nc_u64 s[18:19], s[18:19], s[20:21]
	s_mov_b32 s21, 0
	s_mov_b32 s20, 0
	s_mov_b32 s26, exec_lo
                                        ; implicit-def: $vgpr6_vgpr7
	v_cmpx_gt_u64_e64 s[18:19], v[0:1]
	s_cbranch_execz .LBB159_378
; %bb.368:                              ;   in Loop: Header=BB159_10 Depth=1
	v_mov_b64_e32 v[10:11], v[0:1]
	v_mov_b32_e32 v12, v38
                                        ; implicit-def: $sgpr59
	s_branch .LBB159_371
.LBB159_369:                            ;   in Loop: Header=BB159_371 Depth=2
	s_or_b32 exec_lo, exec_lo, s40
	s_wait_dscnt 0x0
	s_barrier_signal -1
	s_barrier_wait -1
	ds_load_b128 v[4:7], v21 offset:3072
	s_mov_b32 s40, -1
	s_mov_b32 s41, -1
	s_wait_dscnt 0x0
	s_barrier_signal -1
	s_barrier_wait -1
	v_cmp_ne_u64_e32 vcc_lo, 0, v[4:5]
	s_cbranch_vccz .LBB159_374
.LBB159_370:                            ;   in Loop: Header=BB159_371 Depth=2
	s_and_b32 s40, exec_lo, s40
	s_delay_alu instid0(SALU_CYCLE_1) | instskip(SKIP_2) | instid1(SALU_CYCLE_1)
	s_or_b32 s20, s40, s20
	s_and_not1_b32 s40, s59, exec_lo
	s_and_b32 s41, s41, exec_lo
	s_or_b32 s59, s40, s41
	s_and_not1_b32 exec_lo, exec_lo, s20
	s_cbranch_execz .LBB159_377
.LBB159_371:                            ;   Parent Loop BB159_10 Depth=1
                                        ; =>  This Inner Loop Header: Depth=2
	s_mov_b32 s40, exec_lo
	s_delay_alu instid0(VALU_DEP_2)
	v_cmpx_gt_u64_e64 s[8:9], v[10:11]
	s_cbranch_execz .LBB159_369
; %bb.372:                              ;   in Loop: Header=BB159_371 Depth=2
	ds_load_b64 v[4:5], v12
	s_wait_dscnt 0x0
	v_xor_b32_e32 v3, 0x80000000, v5
	v_and_b32_e32 v6, v4, v28
	s_delay_alu instid0(VALU_DEP_2) | instskip(NEXT) | instid1(VALU_DEP_1)
	v_and_b32_e32 v7, v3, v29
	v_cmp_eq_u64_e32 vcc_lo, v[6:7], v[24:25]
	s_and_b32 exec_lo, exec_lo, vcc_lo
	s_cbranch_execz .LBB159_369
; %bb.373:                              ;   in Loop: Header=BB159_371 Depth=2
	v_mov_b32_e32 v3, v21
	ds_store_b128 v21, v[2:5] offset:3072
	s_branch .LBB159_369
.LBB159_374:                            ;   in Loop: Header=BB159_371 Depth=2
	v_add_nc_u64_e32 v[10:11], s[34:35], v[10:11]
	v_add_nc_u32_e32 v12, s91, v12
	s_mov_b32 s41, 0
	s_delay_alu instid0(VALU_DEP_2)
	v_cmp_le_u64_e32 vcc_lo, s[18:19], v[10:11]
	s_or_not1_b32 s40, vcc_lo, exec_lo
	s_branch .LBB159_370
.LBB159_375:                            ;   in Loop: Header=BB159_10 Depth=1
                                        ; implicit-def: $sgpr22_sgpr23
	s_branch .LBB159_321
.LBB159_376:                            ;   in Loop: Header=BB159_10 Depth=1
                                        ; implicit-def: $sgpr8_sgpr9
	s_branch .LBB159_337
.LBB159_377:                            ;   in Loop: Header=BB159_10 Depth=1
	s_or_b32 exec_lo, exec_lo, s20
	s_delay_alu instid0(SALU_CYCLE_1)
	s_and_b32 s20, s59, exec_lo
.LBB159_378:                            ;   in Loop: Header=BB159_10 Depth=1
	s_or_b32 exec_lo, exec_lo, s26
.LBB159_379:                            ;   in Loop: Header=BB159_10 Depth=1
	s_delay_alu instid0(SALU_CYCLE_1)
	s_and_b32 vcc_lo, exec_lo, s21
	s_cbranch_vccz .LBB159_393
; %bb.380:                              ;   in Loop: Header=BB159_10 Depth=1
	s_and_b64 s[8:9], s[64:65], 0xffffffff00000000
	s_delay_alu instid0(SALU_CYCLE_1)
	s_cmp_lg_u64 s[8:9], 0
	s_cbranch_scc0 .LBB159_412
; %bb.381:                              ;   in Loop: Header=BB159_10 Depth=1
	s_cvt_f32_u32 s8, s34
	s_sub_nc_u64 s[18:19], 0, s[34:35]
	s_delay_alu instid0(SALU_CYCLE_2) | instskip(NEXT) | instid1(SALU_CYCLE_3)
	s_fmamk_f32 s8, s94, 0x0, s8
	v_s_rcp_f32 s8, s8
	s_delay_alu instid0(TRANS32_DEP_1) | instskip(NEXT) | instid1(SALU_CYCLE_3)
	s_mul_f32 s8, s8, 0x5f7ffffc
	s_mul_f32 s9, s8, 0x2f800000
	s_delay_alu instid0(SALU_CYCLE_3) | instskip(NEXT) | instid1(SALU_CYCLE_3)
	s_trunc_f32 s9, s9
	s_fmamk_f32 s8, s9, 0xcf800000, s8
	s_cvt_u32_f32 s9, s9
	s_delay_alu instid0(SALU_CYCLE_2) | instskip(NEXT) | instid1(SALU_CYCLE_3)
	s_cvt_u32_f32 s8, s8
	s_mul_u64 s[40:41], s[18:19], s[8:9]
	s_delay_alu instid0(SALU_CYCLE_1)
	s_mul_hi_u32 s43, s8, s41
	s_mul_i32 s42, s8, s41
	s_mul_hi_u32 s26, s8, s40
	s_mul_i32 s44, s9, s40
	s_add_nc_u64 s[42:43], s[26:27], s[42:43]
	s_mul_hi_u32 s21, s9, s40
	s_mul_hi_u32 s45, s9, s41
	s_add_co_u32 s26, s42, s44
	s_add_co_ci_u32 s26, s43, s21
	s_mul_i32 s40, s9, s41
	s_add_co_ci_u32 s41, s45, 0
	s_delay_alu instid0(SALU_CYCLE_1) | instskip(NEXT) | instid1(SALU_CYCLE_1)
	s_add_nc_u64 s[40:41], s[26:27], s[40:41]
	s_add_co_u32 s8, s8, s40
	s_cselect_b32 s21, -1, 0
	s_delay_alu instid0(SALU_CYCLE_1) | instskip(SKIP_1) | instid1(SALU_CYCLE_1)
	s_cmp_lg_u32 s21, 0
	s_add_co_ci_u32 s9, s9, s41
	s_mul_u64 s[18:19], s[18:19], s[8:9]
	s_delay_alu instid0(SALU_CYCLE_1)
	s_mul_hi_u32 s41, s8, s19
	s_mul_i32 s40, s8, s19
	s_mul_hi_u32 s26, s8, s18
	s_mul_i32 s42, s9, s18
	s_add_nc_u64 s[40:41], s[26:27], s[40:41]
	s_mul_hi_u32 s21, s9, s18
	s_mul_hi_u32 s43, s9, s19
	s_mul_i32 s18, s9, s19
	s_add_co_u32 s19, s40, s42
	s_add_co_ci_u32 s26, s41, s21
	s_add_co_ci_u32 s19, s43, 0
	s_delay_alu instid0(SALU_CYCLE_1) | instskip(NEXT) | instid1(SALU_CYCLE_1)
	s_add_nc_u64 s[18:19], s[26:27], s[18:19]
	s_add_co_u32 s8, s8, s18
	s_cselect_b32 s18, -1, 0
	s_mul_hi_u32 s26, s64, s8
	s_cmp_lg_u32 s18, 0
	s_mul_hi_u32 s21, s65, s8
	s_add_co_ci_u32 s18, s9, s19
	s_mul_i32 s19, s65, s8
	s_mul_hi_u32 s9, s64, s18
	s_mul_i32 s8, s64, s18
	s_mul_hi_u32 s40, s65, s18
	s_add_nc_u64 s[8:9], s[26:27], s[8:9]
	s_mul_i32 s18, s65, s18
	s_add_co_u32 s8, s8, s19
	s_add_co_ci_u32 s26, s9, s21
	s_add_co_ci_u32 s19, s40, 0
	s_delay_alu instid0(SALU_CYCLE_1) | instskip(NEXT) | instid1(SALU_CYCLE_1)
	s_add_nc_u64 s[8:9], s[26:27], s[18:19]
	s_and_b64 s[18:19], s[8:9], 0xffffffff00000000
	s_delay_alu instid0(SALU_CYCLE_1) | instskip(NEXT) | instid1(SALU_CYCLE_1)
	s_or_b32 s18, s18, s8
	s_mul_u64 s[8:9], s[34:35], s[18:19]
	s_delay_alu instid0(SALU_CYCLE_1) | instskip(SKIP_1) | instid1(SALU_CYCLE_1)
	s_sub_co_u32 s8, s64, s8
	s_cselect_b32 s18, -1, 0
	s_cmp_lg_u32 s18, 0
	s_sub_co_ci_u32 s9, s65, s9
	s_sub_co_u32 s18, s8, s34
	s_cselect_b32 s19, -1, 0
	s_delay_alu instid0(SALU_CYCLE_1) | instskip(SKIP_3) | instid1(SALU_CYCLE_1)
	s_cmp_lg_u32 s19, 0
	s_sub_co_ci_u32 s19, s9, 0
	s_sub_co_u32 s21, s18, s34
	s_cselect_b32 s26, -1, 0
	s_cmp_lg_u32 s26, 0
	s_sub_co_ci_u32 s26, s19, 0
	s_cmp_ge_u32 s18, s34
	s_cselect_b32 s40, -1, 0
	s_cmp_eq_u32 s19, 0
	s_cselect_b32 s40, s40, -1
	s_delay_alu instid0(SALU_CYCLE_1)
	s_cmp_lg_u32 s40, 0
	s_cselect_b32 s19, s26, s19
	s_cselect_b32 s18, s21, s18
	s_cmp_ge_u32 s8, s34
	s_cselect_b32 s21, -1, 0
	s_cmp_eq_u32 s9, 0
	s_cselect_b32 s21, s21, -1
	s_delay_alu instid0(SALU_CYCLE_1)
	s_cmp_lg_u32 s21, 0
	s_cselect_b32 s9, s19, s9
	s_cselect_b32 s8, s18, s8
	s_cbranch_execnz .LBB159_383
.LBB159_382:                            ;   in Loop: Header=BB159_10 Depth=1
	v_cvt_f32_u32_e32 v3, s34
	s_sub_co_i32 s9, 0, s34
	s_delay_alu instid0(VALU_DEP_1) | instskip(SKIP_1) | instid1(TRANS32_DEP_1)
	v_rcp_iflag_f32_e32 v3, v3
	v_nop
	v_mul_f32_e32 v3, 0x4f7ffffe, v3
	s_delay_alu instid0(VALU_DEP_1) | instskip(NEXT) | instid1(VALU_DEP_1)
	v_cvt_u32_f32_e32 v3, v3
	v_readfirstlane_b32 s8, v3
	s_mul_i32 s9, s9, s8
	s_delay_alu instid0(SALU_CYCLE_1) | instskip(NEXT) | instid1(SALU_CYCLE_1)
	s_mul_hi_u32 s9, s8, s9
	s_add_co_i32 s8, s8, s9
	s_delay_alu instid0(SALU_CYCLE_1) | instskip(NEXT) | instid1(SALU_CYCLE_1)
	s_mul_hi_u32 s8, s64, s8
	s_mul_i32 s8, s8, s34
	s_delay_alu instid0(SALU_CYCLE_1) | instskip(NEXT) | instid1(SALU_CYCLE_1)
	s_sub_co_i32 s8, s64, s8
	s_sub_co_i32 s9, s8, s34
	s_cmp_ge_u32 s8, s34
	s_cselect_b32 s8, s9, s8
	s_delay_alu instid0(SALU_CYCLE_1) | instskip(SKIP_2) | instid1(SALU_CYCLE_1)
	s_sub_co_i32 s9, s8, s34
	s_cmp_ge_u32 s8, s34
	s_cselect_b32 s26, s9, s8
	s_mov_b64 s[8:9], s[26:27]
.LBB159_383:                            ;   in Loop: Header=BB159_10 Depth=1
	s_delay_alu instid0(SALU_CYCLE_1)
	s_sub_nc_u64 s[8:9], s[64:65], s[8:9]
	s_mov_b32 s18, exec_lo
                                        ; implicit-def: $vgpr6_vgpr7
	v_nop
	v_cmpx_gt_u64_e64 s[8:9], v[0:1]
	s_cbranch_execz .LBB159_392
; %bb.384:                              ;   in Loop: Header=BB159_10 Depth=1
	v_mov_b64_e32 v[10:11], v[0:1]
	s_mov_b32 s19, 0
                                        ; implicit-def: $sgpr21
	s_branch .LBB159_387
.LBB159_385:                            ;   in Loop: Header=BB159_387 Depth=2
	s_or_b32 exec_lo, exec_lo, s26
	s_wait_dscnt 0x0
	s_barrier_signal -1
	s_barrier_wait -1
	ds_load_b128 v[4:7], v21 offset:3072
	s_mov_b32 s40, -1
	s_mov_b32 s26, -1
	s_wait_dscnt 0x0
	s_barrier_signal -1
	s_barrier_wait -1
	v_cmp_eq_u64_e32 vcc_lo, 0, v[4:5]
	s_cbranch_vccnz .LBB159_390
.LBB159_386:                            ;   in Loop: Header=BB159_387 Depth=2
	s_and_b32 s40, exec_lo, s40
	s_delay_alu instid0(SALU_CYCLE_1) | instskip(SKIP_2) | instid1(SALU_CYCLE_1)
	s_or_b32 s19, s40, s19
	s_and_not1_b32 s21, s21, exec_lo
	s_and_b32 s26, s26, exec_lo
	s_or_b32 s21, s21, s26
	s_and_not1_b32 exec_lo, exec_lo, s19
	s_cbranch_execz .LBB159_391
.LBB159_387:                            ;   Parent Loop BB159_10 Depth=1
                                        ; =>  This Inner Loop Header: Depth=2
	s_mov_b32 s26, exec_lo
	s_delay_alu instid0(VALU_DEP_1)
	v_cmpx_gt_u64_e64 s[36:37], v[10:11]
	s_cbranch_execz .LBB159_385
; %bb.388:                              ;   in Loop: Header=BB159_387 Depth=2
	v_mul_u64_e32 v[4:5], s[30:31], v[10:11]
	s_delay_alu instid0(VALU_DEP_1) | instskip(SKIP_4) | instid1(VALU_DEP_2)
	v_lshl_add_u64 v[4:5], v[4:5], 3, s[28:29]
	global_load_b64 v[4:5], v[4:5], off
	s_wait_loadcnt 0x0
	v_xor_b32_e32 v3, 0x80000000, v5
	v_and_b32_e32 v6, v4, v28
	v_and_b32_e32 v7, v3, v29
	s_delay_alu instid0(VALU_DEP_1)
	v_cmp_eq_u64_e32 vcc_lo, v[6:7], v[24:25]
	s_and_b32 exec_lo, exec_lo, vcc_lo
	s_cbranch_execz .LBB159_385
; %bb.389:                              ;   in Loop: Header=BB159_387 Depth=2
	v_mov_b32_e32 v3, v21
	ds_store_b128 v21, v[2:5] offset:3072
	s_branch .LBB159_385
.LBB159_390:                            ;   in Loop: Header=BB159_387 Depth=2
	v_add_nc_u64_e32 v[10:11], s[34:35], v[10:11]
	s_mov_b32 s26, 0
	s_delay_alu instid0(VALU_DEP_1)
	v_cmp_le_u64_e32 vcc_lo, s[8:9], v[10:11]
	s_or_not1_b32 s40, vcc_lo, exec_lo
	s_branch .LBB159_386
.LBB159_391:                            ;   in Loop: Header=BB159_10 Depth=1
	s_or_b32 exec_lo, exec_lo, s19
	s_delay_alu instid0(SALU_CYCLE_1) | instskip(SKIP_1) | instid1(SALU_CYCLE_1)
	s_and_not1_b32 s8, s20, exec_lo
	s_and_b32 s9, s21, exec_lo
	s_or_b32 s20, s8, s9
.LBB159_392:                            ;   in Loop: Header=BB159_10 Depth=1
	s_or_b32 exec_lo, exec_lo, s18
	s_mov_b32 s74, 0
	s_mov_b32 s76, -1
.LBB159_393:                            ;   in Loop: Header=BB159_10 Depth=1
	s_or_not1_b32 s8, s20, exec_lo
.LBB159_394:                            ;   in Loop: Header=BB159_10 Depth=1
	s_or_b32 exec_lo, exec_lo, s58
	s_mov_b32 s9, 0
	s_and_saveexec_b32 s20, s8
	s_cbranch_execz .LBB159_456
; %bb.395:                              ;   in Loop: Header=BB159_10 Depth=1
	v_mov_b64_e32 v[10:11], 1
	v_mov_b32_e32 v20, 1
	s_xor_b32 s18, s77, -1
	s_delay_alu instid0(SALU_CYCLE_1)
	s_and_saveexec_b32 s8, s18
	s_cbranch_execz .LBB159_404
; %bb.396:                              ;   in Loop: Header=BB159_10 Depth=1
	s_mov_b32 s9, exec_lo
	v_cmpx_ge_u64_e64 s[16:17], v[8:9]
	s_xor_b32 s9, exec_lo, s9
	s_cbranch_execz .LBB159_401
; %bb.397:                              ;   in Loop: Header=BB159_10 Depth=1
	ds_load_b64 v[4:5], v21 offset:5120
	v_and_b32_e32 v3, s15, v25
	v_and_b32_e32 v10, s14, v24
	s_lshl_b64 s[18:19], 1, s92
	v_or_b32_e32 v29, s13, v29
	v_or_b32_e32 v28, s12, v28
	;; [unrolled: 1-line block ×4, first 2 shown]
	s_wait_dscnt 0x0
	v_cmp_ne_u64_e32 vcc_lo, 0, v[4:5]
	s_cbranch_vccnz .LBB159_401
; %bb.398:                              ;   in Loop: Header=BB159_10 Depth=1
	s_and_saveexec_b32 s18, s5
; %bb.399:                              ;   in Loop: Header=BB159_10 Depth=1
	v_mov_b64_e32 v[4:5], s[16:17]
	ds_store_b64 v21, v[4:5] offset:5128
; %bb.400:                              ;   in Loop: Header=BB159_10 Depth=1
	s_or_b32 exec_lo, exec_lo, s18
	s_wait_dscnt 0x0
	s_barrier_signal -1
	s_barrier_wait -1
.LBB159_401:                            ;   in Loop: Header=BB159_10 Depth=1
	s_or_saveexec_b32 s9, s9
	v_mov_b32_e32 v20, 5
	s_mov_b32 s18, 0
	s_xor_b32 exec_lo, exec_lo, s9
; %bb.402:                              ;   in Loop: Header=BB159_10 Depth=1
	v_sub_nc_u64_e64 v[8:9], v[8:9], s[16:17]
	v_mov_b32_e32 v20, 0
	s_mov_b32 s18, exec_lo
; %bb.403:                              ;   in Loop: Header=BB159_10 Depth=1
	s_or_b32 exec_lo, exec_lo, s9
	s_delay_alu instid0(VALU_DEP_2)
	v_mov_b64_e32 v[10:11], v[8:9]
	s_and_b32 s9, s18, exec_lo
.LBB159_404:                            ;   in Loop: Header=BB159_10 Depth=1
	s_or_b32 exec_lo, exec_lo, s8
	s_mov_b32 s8, -1
                                        ; implicit-def: $sgpr60
                                        ; implicit-def: $sgpr77
	s_and_saveexec_b32 s21, s9
	s_cbranch_execz .LBB159_455
; %bb.405:                              ;   in Loop: Header=BB159_10 Depth=1
	s_delay_alu instid0(VALU_DEP_1) | instskip(SKIP_3) | instid1(SALU_CYCLE_1)
	v_cmp_eq_u64_e32 vcc_lo, 1, v[10:11]
	s_cmp_eq_u64 s[10:11], 1
	s_mov_b32 s9, -1
	s_cselect_b32 s8, -1, 0
                                        ; implicit-def: $sgpr60
                                        ; implicit-def: $sgpr77
	s_and_b32 s58, s8, vcc_lo
	s_delay_alu instid0(SALU_CYCLE_1)
	s_and_saveexec_b32 s59, s58
	s_cbranch_execz .LBB159_443
; %bb.406:                              ;   in Loop: Header=BB159_10 Depth=1
	ds_load_b64 v[4:5], v21 offset:5120
	s_wait_dscnt 0x0
	s_barrier_signal -1
	s_barrier_wait -1
	v_readfirstlane_b32 s8, v4
	v_readfirstlane_b32 s9, v5
	s_and_saveexec_b32 s16, s6
; %bb.407:                              ;   in Loop: Header=BB159_10 Depth=1
	ds_store_b64 v39, v[26:27]
; %bb.408:                              ;   in Loop: Header=BB159_10 Depth=1
	s_or_b32 exec_lo, exec_lo, s16
	v_and_b32_e32 v25, s15, v25
	v_and_b32_e32 v24, s14, v24
	v_or_b32_e32 v29, s13, v29
	v_or_b32_e32 v28, s12, v28
	s_mov_b32 s77, -1
	s_mov_b32 s60, 0
	s_cmp_eq_u64 s[8:9], 0
	s_mov_b32 s18, 0
	s_mov_b32 s19, -1
	s_wait_dscnt 0x0
	s_barrier_signal -1
	s_barrier_wait -1
                                        ; implicit-def: $vgpr6_vgpr7
	s_cbranch_scc1 .LBB159_426
; %bb.409:                              ;   in Loop: Header=BB159_10 Depth=1
	s_add_nc_u64 s[16:17], s[8:9], s[62:63]
	s_delay_alu instid0(SALU_CYCLE_1) | instskip(NEXT) | instid1(SALU_CYCLE_1)
	s_and_b64 s[18:19], s[16:17], 0xffffffff00000000
	s_cmp_lg_u64 s[18:19], 0
	s_cbranch_scc0 .LBB159_413
; %bb.410:                              ;   in Loop: Header=BB159_10 Depth=1
	s_cvt_f32_u32 s18, s34
	s_sub_nc_u64 s[40:41], 0, s[34:35]
	s_delay_alu instid0(SALU_CYCLE_2) | instskip(NEXT) | instid1(SALU_CYCLE_3)
	s_fmamk_f32 s18, s94, 0x0, s18
	v_s_rcp_f32 s18, s18
	s_delay_alu instid0(TRANS32_DEP_1) | instskip(NEXT) | instid1(SALU_CYCLE_3)
	s_mul_f32 s18, s18, 0x5f7ffffc
	s_mul_f32 s19, s18, 0x2f800000
	s_delay_alu instid0(SALU_CYCLE_3) | instskip(NEXT) | instid1(SALU_CYCLE_3)
	s_trunc_f32 s19, s19
	s_fmamk_f32 s18, s19, 0xcf800000, s18
	s_cvt_u32_f32 s19, s19
	s_delay_alu instid0(SALU_CYCLE_2) | instskip(NEXT) | instid1(SALU_CYCLE_3)
	s_cvt_u32_f32 s18, s18
	s_mul_u64 s[42:43], s[40:41], s[18:19]
	s_delay_alu instid0(SALU_CYCLE_1)
	s_mul_hi_u32 s79, s18, s43
	s_mul_i32 s78, s18, s43
	s_mul_hi_u32 s26, s18, s42
	s_mul_i32 s45, s19, s42
	s_add_nc_u64 s[78:79], s[26:27], s[78:79]
	s_mul_hi_u32 s44, s19, s42
	s_mul_hi_u32 s46, s19, s43
	s_add_co_u32 s26, s78, s45
	s_add_co_ci_u32 s26, s79, s44
	s_mul_i32 s42, s19, s43
	s_add_co_ci_u32 s43, s46, 0
	s_delay_alu instid0(SALU_CYCLE_1) | instskip(NEXT) | instid1(SALU_CYCLE_1)
	s_add_nc_u64 s[42:43], s[26:27], s[42:43]
	s_add_co_u32 s18, s18, s42
	s_cselect_b32 s26, -1, 0
	s_delay_alu instid0(SALU_CYCLE_1) | instskip(SKIP_1) | instid1(SALU_CYCLE_1)
	s_cmp_lg_u32 s26, 0
	s_add_co_ci_u32 s19, s19, s43
	s_mul_u64 s[40:41], s[40:41], s[18:19]
	s_delay_alu instid0(SALU_CYCLE_1)
	s_mul_hi_u32 s43, s18, s41
	s_mul_i32 s42, s18, s41
	s_mul_hi_u32 s26, s18, s40
	s_mul_i32 s45, s19, s40
	s_add_nc_u64 s[42:43], s[26:27], s[42:43]
	s_mul_hi_u32 s44, s19, s40
	s_mul_hi_u32 s46, s19, s41
	s_add_co_u32 s26, s42, s45
	s_add_co_ci_u32 s26, s43, s44
	s_mul_i32 s40, s19, s41
	s_add_co_ci_u32 s41, s46, 0
	s_delay_alu instid0(SALU_CYCLE_1) | instskip(NEXT) | instid1(SALU_CYCLE_1)
	s_add_nc_u64 s[40:41], s[26:27], s[40:41]
	s_add_co_u32 s18, s18, s40
	s_cselect_b32 s40, -1, 0
	s_mul_hi_u32 s26, s16, s18
	s_cmp_lg_u32 s40, 0
	s_mul_hi_u32 s42, s17, s18
	s_add_co_ci_u32 s40, s19, s41
	s_mul_i32 s41, s17, s18
	s_mul_hi_u32 s19, s16, s40
	s_mul_i32 s18, s16, s40
	s_mul_hi_u32 s43, s17, s40
	s_add_nc_u64 s[18:19], s[26:27], s[18:19]
	s_mul_i32 s40, s17, s40
	s_add_co_u32 s18, s18, s41
	s_add_co_ci_u32 s26, s19, s42
	s_add_co_ci_u32 s41, s43, 0
	s_delay_alu instid0(SALU_CYCLE_1) | instskip(NEXT) | instid1(SALU_CYCLE_1)
	s_add_nc_u64 s[18:19], s[26:27], s[40:41]
	s_and_b64 s[40:41], s[18:19], 0xffffffff00000000
	s_delay_alu instid0(SALU_CYCLE_1) | instskip(NEXT) | instid1(SALU_CYCLE_1)
	s_or_b32 s40, s40, s18
	s_mul_u64 s[18:19], s[34:35], s[40:41]
	s_delay_alu instid0(SALU_CYCLE_1) | instskip(SKIP_1) | instid1(SALU_CYCLE_1)
	s_sub_co_u32 s18, s16, s18
	s_cselect_b32 s26, -1, 0
	s_cmp_lg_u32 s26, 0
	s_sub_co_ci_u32 s19, s17, s19
	s_sub_co_u32 s26, s18, s34
	s_cselect_b32 s40, -1, 0
	s_delay_alu instid0(SALU_CYCLE_1) | instskip(SKIP_3) | instid1(SALU_CYCLE_1)
	s_cmp_lg_u32 s40, 0
	s_sub_co_ci_u32 s40, s19, 0
	s_sub_co_u32 s41, s26, s34
	s_cselect_b32 s42, -1, 0
	s_cmp_lg_u32 s42, 0
	s_sub_co_ci_u32 s42, s40, 0
	s_cmp_ge_u32 s26, s34
	s_cselect_b32 s43, -1, 0
	s_cmp_eq_u32 s40, 0
	s_cselect_b32 s43, s43, -1
	s_delay_alu instid0(SALU_CYCLE_1)
	s_cmp_lg_u32 s43, 0
	s_cselect_b32 s40, s42, s40
	s_cselect_b32 s26, s41, s26
	s_cmp_ge_u32 s18, s34
	s_cselect_b32 s41, -1, 0
	s_cmp_eq_u32 s19, 0
	s_cselect_b32 s41, s41, -1
	s_delay_alu instid0(SALU_CYCLE_1)
	s_cmp_lg_u32 s41, 0
	s_cselect_b32 s19, s40, s19
	s_cselect_b32 s18, s26, s18
	s_mov_b32 s26, 0
	s_branch .LBB159_414
.LBB159_411:                            ;   in Loop: Header=BB159_10 Depth=1
                                        ; implicit-def: $sgpr20_sgpr21
	s_branch .LBB159_366
.LBB159_412:                            ;   in Loop: Header=BB159_10 Depth=1
                                        ; implicit-def: $sgpr8_sgpr9
	s_branch .LBB159_382
.LBB159_413:                            ;   in Loop: Header=BB159_10 Depth=1
	s_mov_b32 s26, -1
                                        ; implicit-def: $sgpr18_sgpr19
.LBB159_414:                            ;   in Loop: Header=BB159_10 Depth=1
	s_delay_alu instid0(SALU_CYCLE_1)
	s_and_not1_b32 vcc_lo, exec_lo, s26
	s_cbranch_vccnz .LBB159_416
; %bb.415:                              ;   in Loop: Header=BB159_10 Depth=1
	v_cvt_f32_u32_e32 v3, s34
	s_sub_co_i32 s19, 0, s34
	s_delay_alu instid0(VALU_DEP_1) | instskip(SKIP_1) | instid1(TRANS32_DEP_1)
	v_rcp_iflag_f32_e32 v3, v3
	v_nop
	v_mul_f32_e32 v3, 0x4f7ffffe, v3
	s_delay_alu instid0(VALU_DEP_1) | instskip(NEXT) | instid1(VALU_DEP_1)
	v_cvt_u32_f32_e32 v3, v3
	v_readfirstlane_b32 s18, v3
	s_mul_i32 s19, s19, s18
	s_delay_alu instid0(SALU_CYCLE_1) | instskip(NEXT) | instid1(SALU_CYCLE_1)
	s_mul_hi_u32 s19, s18, s19
	s_add_co_i32 s18, s18, s19
	s_delay_alu instid0(SALU_CYCLE_1) | instskip(NEXT) | instid1(SALU_CYCLE_1)
	s_mul_hi_u32 s18, s16, s18
	s_mul_i32 s18, s18, s34
	s_delay_alu instid0(SALU_CYCLE_1) | instskip(NEXT) | instid1(SALU_CYCLE_1)
	s_sub_co_i32 s18, s16, s18
	s_sub_co_i32 s19, s18, s34
	s_cmp_ge_u32 s18, s34
	s_cselect_b32 s18, s19, s18
	s_delay_alu instid0(SALU_CYCLE_1) | instskip(SKIP_2) | instid1(SALU_CYCLE_1)
	s_sub_co_i32 s19, s18, s34
	s_cmp_ge_u32 s18, s34
	s_cselect_b32 s26, s19, s18
	s_mov_b64 s[18:19], s[26:27]
.LBB159_416:                            ;   in Loop: Header=BB159_10 Depth=1
	s_delay_alu instid0(SALU_CYCLE_1)
	s_sub_nc_u64 s[16:17], s[16:17], s[18:19]
	s_mov_b32 s19, 0
	s_mov_b32 s18, 0
	s_mov_b32 s26, exec_lo
                                        ; implicit-def: $vgpr6_vgpr7
	v_cmpx_gt_u64_e64 s[16:17], v[0:1]
	s_cbranch_execz .LBB159_425
; %bb.417:                              ;   in Loop: Header=BB159_10 Depth=1
	v_mov_b64_e32 v[8:9], v[0:1]
	v_mov_b32_e32 v12, v38
                                        ; implicit-def: $sgpr61
	s_branch .LBB159_420
.LBB159_418:                            ;   in Loop: Header=BB159_420 Depth=2
	s_or_b32 exec_lo, exec_lo, s40
	s_wait_dscnt 0x0
	s_barrier_signal -1
	s_barrier_wait -1
	ds_load_b128 v[4:7], v21 offset:3072
	s_mov_b32 s40, -1
	s_mov_b32 s41, -1
	s_wait_dscnt 0x0
	s_barrier_signal -1
	s_barrier_wait -1
	v_cmp_ne_u64_e32 vcc_lo, 0, v[4:5]
	s_cbranch_vccz .LBB159_423
.LBB159_419:                            ;   in Loop: Header=BB159_420 Depth=2
	s_and_b32 s40, exec_lo, s40
	s_delay_alu instid0(SALU_CYCLE_1) | instskip(SKIP_2) | instid1(SALU_CYCLE_1)
	s_or_b32 s18, s40, s18
	s_and_not1_b32 s40, s61, exec_lo
	s_and_b32 s41, s41, exec_lo
	s_or_b32 s61, s40, s41
	s_and_not1_b32 exec_lo, exec_lo, s18
	s_cbranch_execz .LBB159_424
.LBB159_420:                            ;   Parent Loop BB159_10 Depth=1
                                        ; =>  This Inner Loop Header: Depth=2
	s_mov_b32 s40, exec_lo
	s_delay_alu instid0(VALU_DEP_2)
	v_cmpx_gt_u64_e64 s[8:9], v[8:9]
	s_cbranch_execz .LBB159_418
; %bb.421:                              ;   in Loop: Header=BB159_420 Depth=2
	ds_load_b64 v[4:5], v12
	s_wait_dscnt 0x0
	v_xor_b32_e32 v3, 0x80000000, v5
	v_and_b32_e32 v6, v4, v28
	s_delay_alu instid0(VALU_DEP_2) | instskip(NEXT) | instid1(VALU_DEP_1)
	v_and_b32_e32 v7, v3, v29
	v_cmp_eq_u64_e32 vcc_lo, v[6:7], v[24:25]
	s_and_b32 exec_lo, exec_lo, vcc_lo
	s_cbranch_execz .LBB159_418
; %bb.422:                              ;   in Loop: Header=BB159_420 Depth=2
	v_mov_b32_e32 v3, v21
	ds_store_b128 v21, v[2:5] offset:3072
	s_branch .LBB159_418
.LBB159_423:                            ;   in Loop: Header=BB159_420 Depth=2
	v_add_nc_u64_e32 v[8:9], s[34:35], v[8:9]
	v_add_nc_u32_e32 v12, s91, v12
	s_mov_b32 s41, 0
	s_delay_alu instid0(VALU_DEP_2)
	v_cmp_le_u64_e32 vcc_lo, s[16:17], v[8:9]
	s_or_not1_b32 s40, vcc_lo, exec_lo
	s_branch .LBB159_419
.LBB159_424:                            ;   in Loop: Header=BB159_10 Depth=1
	s_or_b32 exec_lo, exec_lo, s18
	s_delay_alu instid0(SALU_CYCLE_1)
	s_and_b32 s18, s61, exec_lo
.LBB159_425:                            ;   in Loop: Header=BB159_10 Depth=1
	s_or_b32 exec_lo, exec_lo, s26
.LBB159_426:                            ;   in Loop: Header=BB159_10 Depth=1
	s_delay_alu instid0(SALU_CYCLE_1)
	s_and_b32 vcc_lo, exec_lo, s19
	s_cbranch_vccz .LBB159_442
; %bb.427:                              ;   in Loop: Header=BB159_10 Depth=1
	s_and_b64 s[8:9], s[64:65], 0xffffffff00000000
	s_delay_alu instid0(SALU_CYCLE_1)
	s_cmp_lg_u64 s[8:9], 0
	s_cbranch_scc0 .LBB159_429
; %bb.428:                              ;   in Loop: Header=BB159_10 Depth=1
	s_cvt_f32_u32 s8, s34
	s_sub_nc_u64 s[16:17], 0, s[34:35]
	s_delay_alu instid0(SALU_CYCLE_2) | instskip(NEXT) | instid1(SALU_CYCLE_3)
	s_fmamk_f32 s8, s94, 0x0, s8
	v_s_rcp_f32 s8, s8
	s_delay_alu instid0(TRANS32_DEP_1) | instskip(NEXT) | instid1(SALU_CYCLE_3)
	s_mul_f32 s8, s8, 0x5f7ffffc
	s_mul_f32 s9, s8, 0x2f800000
	s_delay_alu instid0(SALU_CYCLE_3) | instskip(NEXT) | instid1(SALU_CYCLE_3)
	s_trunc_f32 s9, s9
	s_fmamk_f32 s8, s9, 0xcf800000, s8
	s_cvt_u32_f32 s9, s9
	s_delay_alu instid0(SALU_CYCLE_2) | instskip(NEXT) | instid1(SALU_CYCLE_3)
	s_cvt_u32_f32 s8, s8
	s_mul_u64 s[40:41], s[16:17], s[8:9]
	s_delay_alu instid0(SALU_CYCLE_1)
	s_mul_hi_u32 s43, s8, s41
	s_mul_i32 s42, s8, s41
	s_mul_hi_u32 s26, s8, s40
	s_mul_i32 s44, s9, s40
	s_add_nc_u64 s[42:43], s[26:27], s[42:43]
	s_mul_hi_u32 s19, s9, s40
	s_mul_hi_u32 s45, s9, s41
	s_add_co_u32 s26, s42, s44
	s_add_co_ci_u32 s26, s43, s19
	s_mul_i32 s40, s9, s41
	s_add_co_ci_u32 s41, s45, 0
	s_delay_alu instid0(SALU_CYCLE_1) | instskip(NEXT) | instid1(SALU_CYCLE_1)
	s_add_nc_u64 s[40:41], s[26:27], s[40:41]
	s_add_co_u32 s8, s8, s40
	s_cselect_b32 s19, -1, 0
	s_delay_alu instid0(SALU_CYCLE_1) | instskip(SKIP_1) | instid1(SALU_CYCLE_1)
	s_cmp_lg_u32 s19, 0
	s_add_co_ci_u32 s9, s9, s41
	s_mul_u64 s[16:17], s[16:17], s[8:9]
	s_delay_alu instid0(SALU_CYCLE_1)
	s_mul_hi_u32 s41, s8, s17
	s_mul_i32 s40, s8, s17
	s_mul_hi_u32 s26, s8, s16
	s_mul_i32 s42, s9, s16
	s_add_nc_u64 s[40:41], s[26:27], s[40:41]
	s_mul_hi_u32 s19, s9, s16
	s_mul_hi_u32 s43, s9, s17
	s_mul_i32 s16, s9, s17
	s_add_co_u32 s17, s40, s42
	s_add_co_ci_u32 s26, s41, s19
	s_add_co_ci_u32 s17, s43, 0
	s_delay_alu instid0(SALU_CYCLE_1) | instskip(NEXT) | instid1(SALU_CYCLE_1)
	s_add_nc_u64 s[16:17], s[26:27], s[16:17]
	s_add_co_u32 s8, s8, s16
	s_cselect_b32 s16, -1, 0
	s_mul_hi_u32 s26, s64, s8
	s_cmp_lg_u32 s16, 0
	s_mul_hi_u32 s19, s65, s8
	s_add_co_ci_u32 s16, s9, s17
	s_mul_i32 s17, s65, s8
	s_mul_hi_u32 s9, s64, s16
	s_mul_i32 s8, s64, s16
	s_mul_hi_u32 s40, s65, s16
	s_add_nc_u64 s[8:9], s[26:27], s[8:9]
	s_mul_i32 s16, s65, s16
	s_add_co_u32 s8, s8, s17
	s_add_co_ci_u32 s26, s9, s19
	s_add_co_ci_u32 s17, s40, 0
	s_delay_alu instid0(SALU_CYCLE_1) | instskip(NEXT) | instid1(SALU_CYCLE_1)
	s_add_nc_u64 s[8:9], s[26:27], s[16:17]
	s_and_b64 s[16:17], s[8:9], 0xffffffff00000000
	s_delay_alu instid0(SALU_CYCLE_1) | instskip(NEXT) | instid1(SALU_CYCLE_1)
	s_or_b32 s16, s16, s8
	s_mul_u64 s[8:9], s[34:35], s[16:17]
	s_delay_alu instid0(SALU_CYCLE_1) | instskip(SKIP_1) | instid1(SALU_CYCLE_1)
	s_sub_co_u32 s8, s64, s8
	s_cselect_b32 s16, -1, 0
	s_cmp_lg_u32 s16, 0
	s_sub_co_ci_u32 s9, s65, s9
	s_sub_co_u32 s16, s8, s34
	s_cselect_b32 s17, -1, 0
	s_delay_alu instid0(SALU_CYCLE_1) | instskip(SKIP_3) | instid1(SALU_CYCLE_1)
	s_cmp_lg_u32 s17, 0
	s_sub_co_ci_u32 s17, s9, 0
	s_sub_co_u32 s19, s16, s34
	s_cselect_b32 s26, -1, 0
	s_cmp_lg_u32 s26, 0
	s_sub_co_ci_u32 s26, s17, 0
	s_cmp_ge_u32 s16, s34
	s_cselect_b32 s40, -1, 0
	s_cmp_eq_u32 s17, 0
	s_cselect_b32 s40, s40, -1
	s_delay_alu instid0(SALU_CYCLE_1)
	s_cmp_lg_u32 s40, 0
	s_cselect_b32 s17, s26, s17
	s_cselect_b32 s16, s19, s16
	s_cmp_ge_u32 s8, s34
	s_cselect_b32 s19, -1, 0
	s_cmp_eq_u32 s9, 0
	s_cselect_b32 s19, s19, -1
	s_delay_alu instid0(SALU_CYCLE_1)
	s_cmp_lg_u32 s19, 0
	s_cselect_b32 s9, s17, s9
	s_cselect_b32 s8, s16, s8
	s_mov_b32 s16, 0
	s_branch .LBB159_430
.LBB159_429:                            ;   in Loop: Header=BB159_10 Depth=1
	s_mov_b32 s16, -1
                                        ; implicit-def: $sgpr8_sgpr9
.LBB159_430:                            ;   in Loop: Header=BB159_10 Depth=1
	s_delay_alu instid0(SALU_CYCLE_1)
	s_and_not1_b32 vcc_lo, exec_lo, s16
	s_cbranch_vccnz .LBB159_432
; %bb.431:                              ;   in Loop: Header=BB159_10 Depth=1
	v_cvt_f32_u32_e32 v3, s34
	s_sub_co_i32 s9, 0, s34
	s_delay_alu instid0(VALU_DEP_1) | instskip(SKIP_1) | instid1(TRANS32_DEP_1)
	v_rcp_iflag_f32_e32 v3, v3
	v_nop
	v_mul_f32_e32 v3, 0x4f7ffffe, v3
	s_delay_alu instid0(VALU_DEP_1) | instskip(NEXT) | instid1(VALU_DEP_1)
	v_cvt_u32_f32_e32 v3, v3
	v_readfirstlane_b32 s8, v3
	s_mul_i32 s9, s9, s8
	s_delay_alu instid0(SALU_CYCLE_1) | instskip(NEXT) | instid1(SALU_CYCLE_1)
	s_mul_hi_u32 s9, s8, s9
	s_add_co_i32 s8, s8, s9
	s_delay_alu instid0(SALU_CYCLE_1) | instskip(NEXT) | instid1(SALU_CYCLE_1)
	s_mul_hi_u32 s8, s64, s8
	s_mul_i32 s8, s8, s34
	s_delay_alu instid0(SALU_CYCLE_1) | instskip(NEXT) | instid1(SALU_CYCLE_1)
	s_sub_co_i32 s8, s64, s8
	s_sub_co_i32 s9, s8, s34
	s_cmp_ge_u32 s8, s34
	s_cselect_b32 s8, s9, s8
	s_delay_alu instid0(SALU_CYCLE_1) | instskip(SKIP_2) | instid1(SALU_CYCLE_1)
	s_sub_co_i32 s9, s8, s34
	s_cmp_ge_u32 s8, s34
	s_cselect_b32 s26, s9, s8
	s_mov_b64 s[8:9], s[26:27]
.LBB159_432:                            ;   in Loop: Header=BB159_10 Depth=1
	s_delay_alu instid0(SALU_CYCLE_1)
	s_sub_nc_u64 s[8:9], s[64:65], s[8:9]
	s_mov_b32 s16, exec_lo
                                        ; implicit-def: $vgpr6_vgpr7
	v_nop
	v_cmpx_gt_u64_e64 s[8:9], v[0:1]
	s_cbranch_execz .LBB159_441
; %bb.433:                              ;   in Loop: Header=BB159_10 Depth=1
	v_mov_b64_e32 v[8:9], v[0:1]
	s_mov_b32 s17, 0
                                        ; implicit-def: $sgpr19
	s_branch .LBB159_436
.LBB159_434:                            ;   in Loop: Header=BB159_436 Depth=2
	s_or_b32 exec_lo, exec_lo, s26
	s_wait_dscnt 0x0
	s_barrier_signal -1
	s_barrier_wait -1
	ds_load_b128 v[4:7], v21 offset:3072
	s_mov_b32 s40, -1
	s_mov_b32 s26, -1
	s_wait_dscnt 0x0
	s_barrier_signal -1
	s_barrier_wait -1
	v_cmp_eq_u64_e32 vcc_lo, 0, v[4:5]
	s_cbranch_vccnz .LBB159_439
.LBB159_435:                            ;   in Loop: Header=BB159_436 Depth=2
	s_and_b32 s40, exec_lo, s40
	s_delay_alu instid0(SALU_CYCLE_1) | instskip(SKIP_2) | instid1(SALU_CYCLE_1)
	s_or_b32 s17, s40, s17
	s_and_not1_b32 s19, s19, exec_lo
	s_and_b32 s26, s26, exec_lo
	s_or_b32 s19, s19, s26
	s_and_not1_b32 exec_lo, exec_lo, s17
	s_cbranch_execz .LBB159_440
.LBB159_436:                            ;   Parent Loop BB159_10 Depth=1
                                        ; =>  This Inner Loop Header: Depth=2
	s_mov_b32 s26, exec_lo
	s_delay_alu instid0(VALU_DEP_1)
	v_cmpx_gt_u64_e64 s[36:37], v[8:9]
	s_cbranch_execz .LBB159_434
; %bb.437:                              ;   in Loop: Header=BB159_436 Depth=2
	v_mul_u64_e32 v[4:5], s[30:31], v[8:9]
	s_delay_alu instid0(VALU_DEP_1) | instskip(SKIP_4) | instid1(VALU_DEP_2)
	v_lshl_add_u64 v[4:5], v[4:5], 3, s[28:29]
	global_load_b64 v[4:5], v[4:5], off
	s_wait_loadcnt 0x0
	v_xor_b32_e32 v3, 0x80000000, v5
	v_and_b32_e32 v6, v4, v28
	v_and_b32_e32 v7, v3, v29
	s_delay_alu instid0(VALU_DEP_1)
	v_cmp_eq_u64_e32 vcc_lo, v[6:7], v[24:25]
	s_and_b32 exec_lo, exec_lo, vcc_lo
	s_cbranch_execz .LBB159_434
; %bb.438:                              ;   in Loop: Header=BB159_436 Depth=2
	v_mov_b32_e32 v3, v21
	ds_store_b128 v21, v[2:5] offset:3072
	s_branch .LBB159_434
.LBB159_439:                            ;   in Loop: Header=BB159_436 Depth=2
	v_add_nc_u64_e32 v[8:9], s[34:35], v[8:9]
	s_mov_b32 s26, 0
	s_delay_alu instid0(VALU_DEP_1)
	v_cmp_le_u64_e32 vcc_lo, s[8:9], v[8:9]
	s_or_not1_b32 s40, vcc_lo, exec_lo
	s_branch .LBB159_435
.LBB159_440:                            ;   in Loop: Header=BB159_10 Depth=1
	s_or_b32 exec_lo, exec_lo, s17
	s_delay_alu instid0(SALU_CYCLE_1) | instskip(SKIP_1) | instid1(SALU_CYCLE_1)
	s_and_not1_b32 s8, s18, exec_lo
	s_and_b32 s9, s19, exec_lo
	s_or_b32 s18, s8, s9
.LBB159_441:                            ;   in Loop: Header=BB159_10 Depth=1
	s_or_b32 exec_lo, exec_lo, s16
	s_mov_b32 s77, 0
	s_mov_b32 s60, -1
.LBB159_442:                            ;   in Loop: Header=BB159_10 Depth=1
	s_or_not1_b32 s9, s18, exec_lo
.LBB159_443:                            ;   in Loop: Header=BB159_10 Depth=1
	s_or_b32 exec_lo, exec_lo, s59
	s_mov_b32 s16, 0
	s_and_saveexec_b32 s8, s9
	s_cbranch_execz .LBB159_454
; %bb.444:                              ;   in Loop: Header=BB159_10 Depth=1
	v_mov_b64_e32 v[4:5], 1
	v_mov_b32_e32 v20, 1
	s_xor_b32 s16, s58, -1
	s_delay_alu instid0(SALU_CYCLE_1)
	s_and_saveexec_b32 s9, s16
	s_cbranch_execz .LBB159_453
; %bb.445:                              ;   in Loop: Header=BB159_10 Depth=1
	s_mov_b32 s16, exec_lo
	v_cmpx_ge_u64_e64 s[10:11], v[10:11]
	s_xor_b32 s16, exec_lo, s16
	s_cbranch_execz .LBB159_450
; %bb.446:                              ;   in Loop: Header=BB159_10 Depth=1
	ds_load_b64 v[4:5], v21 offset:5120
	v_and_b32_e32 v25, s15, v25
	v_and_b32_e32 v24, s14, v24
	v_or_b32_e32 v29, s13, v29
	v_or_b32_e32 v28, s12, v28
	s_wait_dscnt 0x0
	v_cmp_ne_u64_e32 vcc_lo, 0, v[4:5]
	s_cbranch_vccnz .LBB159_450
; %bb.447:                              ;   in Loop: Header=BB159_10 Depth=1
	s_and_saveexec_b32 s12, s5
; %bb.448:                              ;   in Loop: Header=BB159_10 Depth=1
	v_mov_b64_e32 v[4:5], s[10:11]
	ds_store_b64 v21, v[4:5] offset:5128
; %bb.449:                              ;   in Loop: Header=BB159_10 Depth=1
	s_or_b32 exec_lo, exec_lo, s12
	s_wait_dscnt 0x0
	s_barrier_signal -1
	s_barrier_wait -1
.LBB159_450:                            ;   in Loop: Header=BB159_10 Depth=1
	s_and_not1_saveexec_b32 s12, s16
; %bb.451:                              ;   in Loop: Header=BB159_10 Depth=1
	v_sub_nc_u64_e64 v[10:11], v[10:11], s[10:11]
; %bb.452:                              ;   in Loop: Header=BB159_10 Depth=1
	s_or_b32 exec_lo, exec_lo, s12
	s_delay_alu instid0(VALU_DEP_1)
	v_mov_b64_e32 v[4:5], v[10:11]
	v_mov_b32_e32 v20, 5
.LBB159_453:                            ;   in Loop: Header=BB159_10 Depth=1
	s_or_b32 exec_lo, exec_lo, s9
	s_delay_alu instid0(VALU_DEP_2)
	v_mov_b64_e32 v[10:11], v[4:5]
	s_mov_b32 s16, exec_lo
.LBB159_454:                            ;   in Loop: Header=BB159_10 Depth=1
	s_or_b32 exec_lo, exec_lo, s8
	s_delay_alu instid0(SALU_CYCLE_1)
	s_or_not1_b32 s8, s16, exec_lo
.LBB159_455:                            ;   in Loop: Header=BB159_10 Depth=1
	s_or_b32 exec_lo, exec_lo, s21
	s_delay_alu instid0(VALU_DEP_1)
	v_mov_b64_e32 v[8:9], v[10:11]
	s_and_not1_b32 s9, s76, exec_lo
	s_and_b32 s10, s60, exec_lo
	s_and_not1_b32 s11, s74, exec_lo
	s_and_b32 s12, s77, exec_lo
	s_or_b32 s76, s9, s10
	s_or_b32 s74, s11, s12
	s_and_b32 s9, s8, exec_lo
.LBB159_456:                            ;   in Loop: Header=BB159_10 Depth=1
	s_or_b32 exec_lo, exec_lo, s20
	s_delay_alu instid0(SALU_CYCLE_1)
	s_or_not1_b32 s8, s9, exec_lo
.LBB159_457:                            ;   in Loop: Header=BB159_10 Depth=1
	s_or_b32 exec_lo, exec_lo, s23
	v_mov_b64_e32 v[32:33], v[8:9]
	s_and_not1_b32 s9, s73, exec_lo
	s_and_b32 s10, s76, exec_lo
	s_and_not1_b32 s11, s25, exec_lo
	s_and_b32 s12, s74, exec_lo
	s_or_b32 s73, s9, s10
	s_or_b32 s25, s11, s12
	s_and_b32 s9, s8, exec_lo
.LBB159_458:                            ;   in Loop: Header=BB159_10 Depth=1
	s_or_b32 exec_lo, exec_lo, s22
	s_delay_alu instid0(SALU_CYCLE_1)
	s_or_not1_b32 s8, s9, exec_lo
.LBB159_459:                            ;   in Loop: Header=BB159_10 Depth=1
	s_or_b32 exec_lo, exec_lo, s7
	s_mov_b32 s7, s72
	s_mov_b32 s9, s71
	s_and_saveexec_b32 s10, s8
; %bb.460:                              ;   in Loop: Header=BB159_10 Depth=1
	v_cmp_ne_u32_e32 vcc_lo, 5, v20
	v_cmp_eq_u32_e64 s7, 5, v20
	s_and_not1_b32 s8, s71, exec_lo
	s_and_not1_b32 s11, s72, exec_lo
	s_and_b32 s9, vcc_lo, exec_lo
	s_and_b32 s7, s7, exec_lo
	s_or_b32 s9, s8, s9
	s_or_b32 s7, s11, s7
; %bb.461:                              ;   in Loop: Header=BB159_10 Depth=1
	s_or_b32 exec_lo, exec_lo, s10
	s_delay_alu instid0(SALU_CYCLE_1)
	s_and_not1_b32 s8, s75, exec_lo
	s_and_b32 s10, s73, exec_lo
	s_and_not1_b32 s11, s70, exec_lo
	s_and_b32 s12, s25, exec_lo
	s_or_b32 s75, s8, s10
	s_and_not1_b32 s8, s71, exec_lo
	s_and_b32 s9, s9, exec_lo
	s_and_not1_b32 s10, s72, exec_lo
	s_and_b32 s7, s7, exec_lo
	s_or_b32 s70, s11, s12
	s_or_b32 s71, s8, s9
	s_or_b32 s72, s10, s7
.LBB159_462:                            ;   in Loop: Header=BB159_10 Depth=1
	s_or_b32 exec_lo, exec_lo, s24
	s_mov_b32 s73, 0
	s_mov_b32 s74, 0
	s_and_saveexec_b32 s7, s72
.LBB159_463:                            ;   in Loop: Header=BB159_10 Depth=1
	v_mov_b32_e32 v20, 0
	s_or_b32 s71, s71, exec_lo
.LBB159_464:                            ;   in Loop: Header=BB159_10 Depth=1
	s_or_b32 exec_lo, exec_lo, s7
	v_mov_b64_e32 v[30:31], v[32:33]
	s_and_not1_b32 s7, s103, exec_lo
	s_and_b32 s9, s75, exec_lo
	s_and_not1_b32 s10, s101, exec_lo
	s_and_b32 s11, s70, exec_lo
	s_or_b32 s103, s7, s9
	s_or_b32 s101, s10, s11
	s_and_not1_b32 s7, vcc_hi, exec_lo
	s_and_b32 s9, s74, exec_lo
	s_and_not1_b32 s10, s104, exec_lo
	s_and_b32 s11, s73, exec_lo
	s_mov_b32 s8, -1
	s_and_not1_b32 s102, s102, exec_lo
	s_or_b32 vcc_hi, s7, s9
	s_or_b32 s104, s10, s11
	s_and_saveexec_b32 s7, s71
	s_delay_alu instid0(SALU_CYCLE_1)
	s_xor_b32 s7, exec_lo, s7
	s_cbranch_execz .LBB159_9
; %bb.465:                              ;   in Loop: Header=BB159_10 Depth=1
	s_mov_b32 s9, -1
	s_mov_b32 s10, exec_lo
	v_cmpx_eq_u32_e32 0, v20
	s_cbranch_execz .LBB159_8
; %bb.466:                              ;   in Loop: Header=BB159_10 Depth=1
	s_xor_b32 s96, s96, 1
	s_add_co_i32 s11, s92, -2
	s_cmp_eq_u32 s92, 0
	s_mov_b32 s92, s11
	s_cselect_b32 s8, -1, 0
	s_xor_b32 s9, exec_lo, -1
	s_or_not1_b32 s8, s8, exec_lo
	s_branch .LBB159_8
.LBB159_467:
	s_or_b32 exec_lo, exec_lo, s93
	s_xor_b32 s7, s100, -1
	s_xor_b32 s9, s98, -1
	;; [unrolled: 1-line block ×5, first 2 shown]
	s_mov_b32 s8, 0
	s_and_saveexec_b32 s12, s11
	s_delay_alu instid0(SALU_CYCLE_1)
	s_xor_b32 s16, exec_lo, s12
	s_cbranch_execnz .LBB159_474
; %bb.468:
	s_and_not1_saveexec_b32 s0, s16
	s_cbranch_execnz .LBB159_493
.LBB159_469:
	s_or_b32 exec_lo, exec_lo, s0
	s_and_saveexec_b32 s0, s8
.LBB159_470:
	; divergent unreachable
.LBB159_471:
	s_endpgm
.LBB159_472:
	v_cvt_f32_u32_e32 v1, s2
	s_sub_co_i32 s5, 0, s2
	s_delay_alu instid0(VALU_DEP_1) | instskip(SKIP_1) | instid1(TRANS32_DEP_1)
	v_rcp_iflag_f32_e32 v1, v1
	v_nop
	v_mul_f32_e32 v1, 0x4f7ffffe, v1
	s_delay_alu instid0(VALU_DEP_1) | instskip(NEXT) | instid1(VALU_DEP_1)
	v_cvt_u32_f32_e32 v1, v1
	v_readfirstlane_b32 s4, v1
	s_mul_i32 s5, s5, s4
	s_delay_alu instid0(SALU_CYCLE_1) | instskip(NEXT) | instid1(SALU_CYCLE_1)
	s_mul_hi_u32 s5, s4, s5
	s_add_co_i32 s4, s4, s5
	s_delay_alu instid0(SALU_CYCLE_1) | instskip(NEXT) | instid1(SALU_CYCLE_1)
	s_mul_hi_u32 s4, s48, s4
	s_mul_i32 s5, s4, s2
	s_add_co_i32 s6, s4, 1
	s_sub_co_i32 s5, s48, s5
	s_delay_alu instid0(SALU_CYCLE_1)
	s_sub_co_i32 s7, s5, s2
	s_cmp_ge_u32 s5, s2
	s_cselect_b32 s4, s6, s4
	s_cselect_b32 s5, s7, s5
	s_add_co_i32 s6, s4, 1
	s_cmp_ge_u32 s5, s2
	s_mov_b32 s7, 0
	s_cselect_b32 s6, s6, s4
	s_load_b64 s[54:55], s[0:1], 0x380
	v_cmp_lt_u64_e64 s4, s[48:49], s[52:53]
	s_and_b32 vcc_lo, exec_lo, s4
	s_cbranch_vccnz .LBB159_3
.LBB159_473:
	v_cvt_f32_u32_e32 v1, s52
	s_sub_co_i32 s5, 0, s52
	s_mov_b32 s51, 0
	s_delay_alu instid0(VALU_DEP_1) | instskip(SKIP_1) | instid1(TRANS32_DEP_1)
	v_rcp_iflag_f32_e32 v1, v1
	v_nop
	v_mul_f32_e32 v1, 0x4f7ffffe, v1
	s_delay_alu instid0(VALU_DEP_1) | instskip(NEXT) | instid1(VALU_DEP_1)
	v_cvt_u32_f32_e32 v1, v1
	v_readfirstlane_b32 s4, v1
	s_mul_i32 s5, s5, s4
	s_delay_alu instid0(SALU_CYCLE_1) | instskip(NEXT) | instid1(SALU_CYCLE_1)
	s_mul_hi_u32 s5, s4, s5
	s_add_co_i32 s4, s4, s5
	s_delay_alu instid0(SALU_CYCLE_1) | instskip(NEXT) | instid1(SALU_CYCLE_1)
	s_mul_hi_u32 s4, s48, s4
	s_mul_i32 s5, s4, s52
	s_add_co_i32 s8, s4, 1
	s_sub_co_i32 s5, s48, s5
	s_delay_alu instid0(SALU_CYCLE_1)
	s_sub_co_i32 s9, s5, s52
	s_cmp_ge_u32 s5, s52
	s_cselect_b32 s4, s8, s4
	s_cselect_b32 s5, s9, s5
	s_add_co_i32 s8, s4, 1
	s_cmp_ge_u32 s5, s52
	s_cselect_b32 s50, s8, s4
	s_wait_kmcnt 0x0
	v_cmp_lt_u64_e64 s4, s[48:49], s[54:55]
	s_mov_b64 s[56:57], 0
	s_and_b32 vcc_lo, exec_lo, s4
	s_cbranch_vccz .LBB159_4
	s_branch .LBB159_5
.LBB159_474:
	s_and_saveexec_b32 s11, s10
	s_delay_alu instid0(SALU_CYCLE_1)
	s_xor_b32 s17, exec_lo, s11
	s_cbranch_execz .LBB159_491
; %bb.475:
	s_and_saveexec_b32 s10, s9
	s_delay_alu instid0(SALU_CYCLE_1)
	s_xor_b32 s18, exec_lo, s10
	s_cbranch_execz .LBB159_489
; %bb.476:
	;; [unrolled: 5-line block ×3, first 2 shown]
	s_and_saveexec_b32 s7, s6
	s_delay_alu instid0(SALU_CYCLE_1)
	s_xor_b32 s6, exec_lo, s7
; %bb.478:
	v_xor_b32_e32 v25, 0x80000000, v25
	s_delay_alu instid0(VALU_DEP_1)
	v_mov_b64_e32 v[6:7], v[24:25]
; %bb.479:
	s_or_b32 exec_lo, exec_lo, s6
	s_and_saveexec_b32 s6, s5
; %bb.480:
	v_mov_b64_e32 v[2:3], 0
	v_mov_b32_e32 v4, 0
	ds_store_b64 v4, v[2:3] offset:5136
; %bb.481:
	s_or_b32 exec_lo, exec_lo, s6
	v_mov_b64_e32 v[2:3], 0
	s_wait_dscnt 0x0
	s_barrier_signal -1
	s_barrier_wait -1
	s_and_saveexec_b32 s5, s3
	s_cbranch_execz .LBB159_483
; %bb.482:
	global_load_b64 v[2:3], v[18:19], off
.LBB159_483:
	s_wait_xcnt 0x0
	s_or_b32 exec_lo, exec_lo, s5
	v_readlane_b32 s20, v56, 6
	v_readlane_b32 s21, v56, 7
	;; [unrolled: 1-line block ×4, first 2 shown]
	s_mul_u64 s[10:11], s[50:51], s[52:53]
	s_add_nc_u64 s[6:7], s[36:37], 31
	s_sub_nc_u64 s[12:13], s[48:49], s[10:11]
	s_mov_b64 s[8:9], 0xffffffffffffffe0
	s_mul_u64 s[12:13], s[12:13], s[22:23]
	s_mul_u64 s[14:15], s[50:51], s[20:21]
	v_readlane_b32 s20, v56, 0
	v_readlane_b32 s22, v56, 2
	;; [unrolled: 1-line block ×3, first 2 shown]
	s_and_b64 s[6:7], s[6:7], s[8:9]
	s_clause 0x1
	s_load_b64 s[8:9], s[0:1], 0x368
	s_load_b64 s[10:11], s[0:1], 0x510
	s_wait_xcnt 0x0
	s_mul_u64 s[0:1], s[56:57], s[54:55]
	v_readlane_b32 s21, v56, 1
	s_sub_nc_u64 s[0:1], s[48:49], s[0:1]
	s_lshl_b64 s[14:15], s[14:15], 3
	s_mul_u64 s[0:1], s[0:1], s[22:23]
	v_readlane_b32 s22, v56, 10
	v_readlane_b32 s23, v56, 11
	s_mul_u64 s[20:21], s[56:57], s[20:21]
	v_cmp_gt_u64_e32 vcc_lo, s[6:7], v[0:1]
	s_lshl_b64 s[20:21], s[20:21], 3
	s_lshl_b64 s[12:13], s[12:13], 3
	s_add_nc_u64 s[14:15], s[22:23], s[14:15]
	v_readlane_b32 s22, v56, 4
	v_readlane_b32 s23, v56, 5
	s_lshl_b64 s[0:1], s[0:1], 3
	s_add_nc_u64 s[12:13], s[14:15], s[12:13]
	s_mov_b32 s5, 0
	s_add_nc_u64 s[20:21], s[22:23], s[20:21]
	s_delay_alu instid0(SALU_CYCLE_1)
	s_add_nc_u64 s[14:15], s[20:21], s[0:1]
	s_mov_b32 s0, -1
	s_mov_b32 s1, 0
	s_and_saveexec_b32 s20, vcc_lo
	s_cbranch_execnz .LBB159_494
; %bb.484:
	s_or_b32 exec_lo, exec_lo, s20
	s_and_saveexec_b32 s4, s0
	s_cbranch_execnz .LBB159_509
.LBB159_485:
	s_or_b32 exec_lo, exec_lo, s4
	s_and_saveexec_b32 s0, s1
	s_delay_alu instid0(SALU_CYCLE_1)
	s_xor_b32 s0, exec_lo, s0
	s_cbranch_execnz .LBB159_532
.LBB159_486:
	s_or_b32 exec_lo, exec_lo, s0
	s_wait_kmcnt 0x0
	s_and_b32 s8, s5, exec_lo
.LBB159_487:
	s_and_not1_saveexec_b32 s0, s19
	s_cbranch_execnz .LBB159_534
.LBB159_488:
	s_or_b32 exec_lo, exec_lo, s0
	s_delay_alu instid0(SALU_CYCLE_1)
	s_and_b32 s8, s8, exec_lo
.LBB159_489:
	s_and_not1_saveexec_b32 s0, s18
	s_cbranch_execnz .LBB159_533
.LBB159_490:
	s_or_b32 exec_lo, exec_lo, s0
	s_delay_alu instid0(SALU_CYCLE_1)
	s_and_b32 s8, s8, exec_lo
.LBB159_491:
	s_and_not1_saveexec_b32 s0, s17
	s_cbranch_execnz .LBB159_528
.LBB159_492:
	s_or_b32 exec_lo, exec_lo, s0
	s_delay_alu instid0(SALU_CYCLE_1)
	s_and_b32 s8, s8, exec_lo
	s_and_not1_saveexec_b32 s0, s16
	s_cbranch_execz .LBB159_469
.LBB159_493:
	s_or_b32 s8, s8, exec_lo
	s_trap 2
	s_or_b32 exec_lo, exec_lo, s0
	s_and_saveexec_b32 s0, s8
	s_cbranch_execnz .LBB159_470
	s_branch .LBB159_471
.LBB159_494:
	v_mov_b64_e32 v[20:21], v[0:1]
	v_xor_b32_e32 v5, 0x80000000, v7
	v_dual_mov_b32 v4, v6 :: v_dual_mov_b32 v9, 0
	s_mov_b32 s21, 0
                                        ; implicit-def: $sgpr22
                                        ; implicit-def: $vgpr14_vgpr15
	s_branch .LBB159_496
.LBB159_495:                            ;   in Loop: Header=BB159_496 Depth=1
	s_or_b32 exec_lo, exec_lo, s24
	s_xor_b32 s0, s23, -1
	s_and_b32 s1, exec_lo, s1
	v_mov_b64_e32 v[2:3], v[12:13]
	v_mov_b64_e32 v[20:21], v[10:11]
	s_or_b32 s21, s1, s21
	s_and_not1_b32 s1, s22, exec_lo
	s_and_b32 s0, s0, exec_lo
	s_delay_alu instid0(SALU_CYCLE_1)
	s_or_b32 s22, s1, s0
	s_and_not1_b32 exec_lo, exec_lo, s21
	s_cbranch_execz .LBB159_508
.LBB159_496:                            ; =>This Inner Loop Header: Depth=1
	s_delay_alu instid0(VALU_DEP_3) | instskip(SKIP_2) | instid1(VALU_DEP_2)
	v_add_nc_u64_e32 v[10:11], s[34:35], v[20:21]
	v_mov_b64_e32 v[12:13], 0
	s_mov_b32 s1, exec_lo
	v_cmpx_gt_u64_e64 s[36:37], v[10:11]
	s_cbranch_execz .LBB159_498
; %bb.497:                              ;   in Loop: Header=BB159_496 Depth=1
	v_mul_u64_e32 v[12:13], s[30:31], v[10:11]
	s_delay_alu instid0(VALU_DEP_1)
	v_lshl_add_u64 v[12:13], v[12:13], 3, s[28:29]
	global_load_b64 v[12:13], v[12:13], off
.LBB159_498:                            ;   in Loop: Header=BB159_496 Depth=1
	s_wait_xcnt 0x0
	s_or_b32 exec_lo, exec_lo, s1
	s_wait_loadcnt 0x0
	v_xor_b32_e32 v23, 0x80000000, v3
	v_mov_b32_e32 v22, v2
	s_delay_alu instid0(VALU_DEP_1) | instskip(NEXT) | instid1(VALU_DEP_1)
	v_cmp_gt_u64_e64 s0, v[22:23], v[4:5]
	v_cndmask_b32_e64 v8, 0, 1, s0
	v_cmp_lt_u64_e64 s0, v[22:23], v[4:5]
	s_delay_alu instid0(VALU_DEP_1) | instskip(SKIP_1) | instid1(VALU_DEP_2)
	v_cndmask_b32_e64 v17, 0, 1, s0
	v_cmp_gt_u64_e64 s0, s[36:37], v[20:21]
	v_cndmask_b32_e64 v8, v17, v8, s4
	s_delay_alu instid0(VALU_DEP_1) | instskip(NEXT) | instid1(VALU_DEP_1)
	v_and_b32_e32 v8, 1, v8
	v_cmp_eq_u32_e64 s1, 1, v8
	s_and_b32 s23, s0, s1
	s_delay_alu instid0(SALU_CYCLE_1) | instskip(NEXT) | instid1(VALU_DEP_1)
	v_cndmask_b32_e64 v8, 0, 1, s23
	v_cmp_ne_u32_e64 s0, 0, v8
	s_cmp_lg_u32 s0, 0
	s_cselect_b32 s1, -1, 0
	s_delay_alu instid0(SALU_CYCLE_1) | instskip(NEXT) | instid1(SALU_CYCLE_1)
	s_and_b32 s1, s2, s1
	s_and_saveexec_b32 s24, s1
	s_cbranch_execz .LBB159_502
; %bb.499:                              ;   in Loop: Header=BB159_496 Depth=1
	s_mov_b32 s27, exec_lo
	s_bcnt1_i32_b32 s25, s0
	v_mbcnt_lo_u32_b32 v17, s27, 0
	s_mov_b32 s26, exec_lo
                                        ; implicit-def: $vgpr14_vgpr15
	s_delay_alu instid0(VALU_DEP_1)
	v_cmpx_eq_u32_e32 0, v17
	s_cbranch_execz .LBB159_501
; %bb.500:                              ;   in Loop: Header=BB159_496 Depth=1
	s_bcnt1_i32_b32 s1, s27
	s_delay_alu instid0(SALU_CYCLE_1) | instskip(NEXT) | instid1(SALU_CYCLE_1)
	s_mul_i32 s1, s25, s1
	v_mov_b32_e32 v8, s1
	s_wait_dscnt 0x0
	ds_add_rtn_u64 v[14:15], v9, v[8:9] offset:5136
.LBB159_501:                            ;   in Loop: Header=BB159_496 Depth=1
	s_or_b32 exec_lo, exec_lo, s26
	s_wait_dscnt 0x0
	v_readfirstlane_b32 s27, v15
	v_readfirstlane_b32 s26, v14
	s_delay_alu instid0(VALU_DEP_1)
	v_mad_nc_u64_u32 v[14:15], s25, v17, s[26:27]
.LBB159_502:                            ;   in Loop: Header=BB159_496 Depth=1
	s_or_b32 exec_lo, exec_lo, s24
	s_wait_dscnt 0x1
	ds_bpermute_b32 v14, v9, v14
	s_wait_dscnt 0x1
	ds_bpermute_b32 v15, v9, v15
	s_mov_b32 s1, -1
	s_mov_b32 s25, -1
	s_and_saveexec_b32 s24, s23
	s_cbranch_execz .LBB159_506
; %bb.503:                              ;   in Loop: Header=BB159_496 Depth=1
	v_and_b32_e32 v8, s0, v16
	s_mov_b32 s23, 0
	s_mov_b32 s25, exec_lo
	s_delay_alu instid0(VALU_DEP_1) | instskip(SKIP_1) | instid1(VALU_DEP_1)
	v_bcnt_u32_b32 v8, v8, 0
	s_wait_dscnt 0x0
	v_add_nc_u64_e32 v[22:23], v[14:15], v[8:9]
	s_delay_alu instid0(VALU_DEP_1)
	v_cmpx_gt_u64_e64 s[38:39], v[22:23]
	s_cbranch_execz .LBB159_505
; %bb.504:                              ;   in Loop: Header=BB159_496 Depth=1
	s_wait_kmcnt 0x0
	v_mul_u64_e32 v[24:25], s[8:9], v[22:23]
	v_mul_u64_e32 v[22:23], s[10:11], v[22:23]
	s_mov_b32 s23, exec_lo
	s_delay_alu instid0(VALU_DEP_2) | instskip(NEXT) | instid1(VALU_DEP_2)
	v_lshl_add_u64 v[24:25], v[24:25], 3, s[12:13]
	v_lshl_add_u64 v[22:23], v[22:23], 3, s[14:15]
	global_store_b64 v[24:25], v[2:3], off
	global_store_b64 v[22:23], v[20:21], off
.LBB159_505:                            ;   in Loop: Header=BB159_496 Depth=1
	s_wait_xcnt 0x0
	s_or_b32 exec_lo, exec_lo, s25
	s_delay_alu instid0(SALU_CYCLE_1)
	s_or_not1_b32 s25, s23, exec_lo
.LBB159_506:                            ;   in Loop: Header=BB159_496 Depth=1
	s_or_b32 exec_lo, exec_lo, s24
	s_mov_b32 s23, -1
	s_and_saveexec_b32 s24, s25
	s_cbranch_execz .LBB159_495
; %bb.507:                              ;   in Loop: Header=BB159_496 Depth=1
	v_cmp_le_u64_e64 s0, s[6:7], v[10:11]
	s_xor_b32 s23, exec_lo, -1
	s_or_not1_b32 s1, s0, exec_lo
	s_branch .LBB159_495
.LBB159_508:
	s_or_b32 exec_lo, exec_lo, s21
	s_delay_alu instid0(SALU_CYCLE_1)
	s_mov_b32 s1, exec_lo
	s_or_not1_b32 s0, s22, exec_lo
	s_or_b32 exec_lo, exec_lo, s20
	s_and_saveexec_b32 s4, s0
	s_cbranch_execz .LBB159_485
.LBB159_509:
	v_mov_b64_e32 v[12:13], 0
	s_wait_storecnt 0x0
	s_wait_loadcnt_dscnt 0x0
	s_barrier_signal -1
	s_barrier_wait -1
	s_and_saveexec_b32 s0, s3
	s_cbranch_execz .LBB159_511
; %bb.510:
	global_load_b64 v[12:13], v[18:19], off
.LBB159_511:
	s_wait_xcnt 0x0
	s_or_b32 exec_lo, exec_lo, s0
	s_mov_b32 s0, 0
	s_and_saveexec_b32 s3, vcc_lo
	s_cbranch_execz .LBB159_531
; %bb.512:
	v_mov_b32_e32 v3, 0
	s_mov_b32 s5, 0
                                        ; implicit-def: $sgpr20
                                        ; implicit-def: $vgpr10_vgpr11
	s_branch .LBB159_515
.LBB159_513:                            ;   in Loop: Header=BB159_515 Depth=1
	s_or_b32 exec_lo, exec_lo, s21
	s_delay_alu instid0(SALU_CYCLE_1)
	s_or_not1_b32 s23, s23, exec_lo
	s_or_not1_b32 s22, s22, exec_lo
.LBB159_514:                            ;   in Loop: Header=BB159_515 Depth=1
	s_or_b32 exec_lo, exec_lo, s0
	s_xor_b32 s0, s23, -1
	s_and_b32 s21, exec_lo, s22
	v_mov_b64_e32 v[0:1], v[4:5]
	v_mov_b64_e32 v[12:13], v[8:9]
	s_or_b32 s5, s21, s5
	s_and_not1_b32 s20, s20, exec_lo
	s_and_b32 s0, s0, exec_lo
	s_delay_alu instid0(SALU_CYCLE_1)
	s_or_b32 s20, s20, s0
	s_and_not1_b32 exec_lo, exec_lo, s5
	s_cbranch_execz .LBB159_529
.LBB159_515:                            ; =>This Inner Loop Header: Depth=1
	v_add_nc_u64_e32 v[4:5], s[34:35], v[0:1]
	v_mov_b64_e32 v[8:9], 0
	s_mov_b32 s0, exec_lo
	s_delay_alu instid0(VALU_DEP_2)
	v_cmpx_gt_u64_e64 s[36:37], v[4:5]
	s_cbranch_execz .LBB159_517
; %bb.516:                              ;   in Loop: Header=BB159_515 Depth=1
	v_mul_u64_e32 v[8:9], s[30:31], v[4:5]
	s_delay_alu instid0(VALU_DEP_1)
	v_lshl_add_u64 v[8:9], v[8:9], 3, s[28:29]
	global_load_b64 v[8:9], v[8:9], off
.LBB159_517:                            ;   in Loop: Header=BB159_515 Depth=1
	s_wait_xcnt 0x0
	s_or_b32 exec_lo, exec_lo, s0
	v_cmp_gt_u64_e32 vcc_lo, s[36:37], v[0:1]
	s_wait_loadcnt 0x0
	v_cmp_eq_u64_e64 s0, v[12:13], v[6:7]
	s_and_b32 s21, vcc_lo, s0
	s_delay_alu instid0(SALU_CYCLE_1) | instskip(NEXT) | instid1(VALU_DEP_1)
	v_cndmask_b32_e64 v2, 0, 1, s21
	v_cmp_ne_u32_e32 vcc_lo, 0, v2
	s_cmp_lg_u32 vcc_lo, 0
	s_cselect_b32 s0, -1, 0
	s_delay_alu instid0(SALU_CYCLE_1) | instskip(NEXT) | instid1(SALU_CYCLE_1)
	s_and_b32 s0, s2, s0
	s_and_saveexec_b32 s22, s0
	s_cbranch_execz .LBB159_521
; %bb.518:                              ;   in Loop: Header=BB159_515 Depth=1
	s_mov_b32 s25, exec_lo
	s_bcnt1_i32_b32 s23, vcc_lo
	v_mbcnt_lo_u32_b32 v12, s25, 0
	s_mov_b32 s24, exec_lo
                                        ; implicit-def: $vgpr10_vgpr11
	s_delay_alu instid0(VALU_DEP_1)
	v_cmpx_eq_u32_e32 0, v12
; %bb.519:                              ;   in Loop: Header=BB159_515 Depth=1
	s_bcnt1_i32_b32 s0, s25
	s_delay_alu instid0(SALU_CYCLE_1) | instskip(NEXT) | instid1(SALU_CYCLE_1)
	s_mul_i32 s0, s23, s0
	v_mov_b32_e32 v2, s0
	ds_add_rtn_u64 v[10:11], v3, v[2:3] offset:5136
; %bb.520:                              ;   in Loop: Header=BB159_515 Depth=1
	s_or_b32 exec_lo, exec_lo, s24
	s_wait_dscnt 0x0
	v_readfirstlane_b32 s25, v11
	v_readfirstlane_b32 s24, v10
	s_delay_alu instid0(VALU_DEP_1)
	v_mad_nc_u64_u32 v[10:11], s23, v12, s[24:25]
.LBB159_521:                            ;   in Loop: Header=BB159_515 Depth=1
	s_or_b32 exec_lo, exec_lo, s22
	ds_bpermute_b32 v10, v3, v10
	ds_bpermute_b32 v11, v3, v11
	s_cmp_eq_u32 vcc_lo, 0
	s_mov_b32 s22, -1
	s_cselect_b32 s23, -1, 0
	s_wait_dscnt 0x0
	v_cmp_gt_u64_e64 s0, s[38:39], v[10:11]
	s_or_b32 s24, s23, s0
	s_mov_b32 s23, -1
	s_and_saveexec_b32 s0, s24
	s_cbranch_execz .LBB159_514
; %bb.522:                              ;   in Loop: Header=BB159_515 Depth=1
	v_and_b32_e32 v2, vcc_lo, v16
	v_sub_nc_u64_e32 v[12:13], s[38:39], v[10:11]
	s_mov_b32 s24, -1
	s_delay_alu instid0(VALU_DEP_2) | instskip(NEXT) | instid1(VALU_DEP_1)
	v_bcnt_u32_b32 v2, v2, 0
	v_bcnt_u32_b32 v2, 0, v2
	s_delay_alu instid0(VALU_DEP_1) | instskip(SKIP_1) | instid1(SALU_CYCLE_1)
	v_cmp_gt_u64_e32 vcc_lo, v[12:13], v[2:3]
	s_and_b32 s25, s21, vcc_lo
	s_and_saveexec_b32 s21, s25
	s_cbranch_execz .LBB159_526
; %bb.523:                              ;   in Loop: Header=BB159_515 Depth=1
	v_add_nc_u64_e32 v[12:13], v[10:11], v[2:3]
	s_mov_b32 s24, 0
	s_mov_b32 s23, exec_lo
	s_delay_alu instid0(VALU_DEP_1)
	v_cmpx_gt_u64_e64 s[38:39], v[12:13]
	s_cbranch_execz .LBB159_525
; %bb.524:                              ;   in Loop: Header=BB159_515 Depth=1
	s_wait_kmcnt 0x0
	v_mul_u64_e32 v[14:15], s[8:9], v[12:13]
	v_mul_u64_e32 v[12:13], s[10:11], v[12:13]
	s_mov_b32 s24, exec_lo
	s_delay_alu instid0(VALU_DEP_2) | instskip(NEXT) | instid1(VALU_DEP_2)
	v_lshl_add_u64 v[14:15], v[14:15], 3, s[12:13]
	v_lshl_add_u64 v[12:13], v[12:13], 3, s[14:15]
	global_store_b64 v[14:15], v[6:7], off
	global_store_b64 v[12:13], v[0:1], off
.LBB159_525:                            ;   in Loop: Header=BB159_515 Depth=1
	s_wait_xcnt 0x0
	s_or_b32 exec_lo, exec_lo, s23
	s_delay_alu instid0(SALU_CYCLE_1)
	s_xor_b32 s23, exec_lo, -1
	s_or_not1_b32 s24, s24, exec_lo
.LBB159_526:                            ;   in Loop: Header=BB159_515 Depth=1
	s_or_b32 exec_lo, exec_lo, s21
	s_and_saveexec_b32 s21, s24
	s_cbranch_execz .LBB159_513
; %bb.527:                              ;   in Loop: Header=BB159_515 Depth=1
	v_cmp_le_u64_e32 vcc_lo, s[6:7], v[4:5]
	s_or_b32 s23, s23, exec_lo
	s_or_not1_b32 s22, vcc_lo, exec_lo
	s_branch .LBB159_513
.LBB159_528:
	s_or_b32 s8, s8, exec_lo
	s_trap 2
	s_branch .LBB159_492
.LBB159_529:
	s_or_b32 exec_lo, exec_lo, s5
	s_mov_b32 s0, 0
	s_and_saveexec_b32 s2, s20
	s_delay_alu instid0(SALU_CYCLE_1)
	s_xor_b32 s2, exec_lo, s2
	s_cbranch_execnz .LBB159_535
.LBB159_530:
	s_or_b32 exec_lo, exec_lo, s2
	s_delay_alu instid0(SALU_CYCLE_1)
	s_and_b32 s0, s0, exec_lo
.LBB159_531:
	s_or_b32 exec_lo, exec_lo, s3
	s_delay_alu instid0(SALU_CYCLE_1) | instskip(SKIP_3) | instid1(SALU_CYCLE_1)
	s_and_b32 s5, s0, exec_lo
	s_and_not1_b32 s1, s1, exec_lo
	s_or_b32 exec_lo, exec_lo, s4
	s_and_saveexec_b32 s0, s1
	s_xor_b32 s0, exec_lo, s0
	s_cbranch_execz .LBB159_486
.LBB159_532:
	s_or_b32 s5, s5, exec_lo
	s_trap 2
	s_branch .LBB159_486
.LBB159_533:
	s_or_b32 s8, s8, exec_lo
	s_trap 2
	s_branch .LBB159_490
.LBB159_534:
	s_or_b32 s8, s8, exec_lo
	s_trap 2
	s_branch .LBB159_488
.LBB159_535:
	s_mov_b32 s0, exec_lo
	s_trap 2
	s_branch .LBB159_530
	.section	.rodata,"a",@progbits
	.p2align	6, 0x0
	.amdhsa_kernel _ZN2at6native6sbtopk10gatherTopKIlmLi2ELb0EEEvNS_4cuda6detail10TensorInfoIKT_T0_EES8_S8_bS8_S8_NS5_IS6_S8_EES8_NS5_IlS8_EES8_PS6_
		.amdhsa_group_segment_fixed_size 5152
		.amdhsa_private_segment_fixed_size 0
		.amdhsa_kernarg_size 1568
		.amdhsa_user_sgpr_count 2
		.amdhsa_user_sgpr_dispatch_ptr 0
		.amdhsa_user_sgpr_queue_ptr 0
		.amdhsa_user_sgpr_kernarg_segment_ptr 1
		.amdhsa_user_sgpr_dispatch_id 0
		.amdhsa_user_sgpr_kernarg_preload_length 0
		.amdhsa_user_sgpr_kernarg_preload_offset 0
		.amdhsa_user_sgpr_private_segment_size 0
		.amdhsa_wavefront_size32 1
		.amdhsa_uses_dynamic_stack 0
		.amdhsa_enable_private_segment 0
		.amdhsa_system_sgpr_workgroup_id_x 1
		.amdhsa_system_sgpr_workgroup_id_y 1
		.amdhsa_system_sgpr_workgroup_id_z 1
		.amdhsa_system_sgpr_workgroup_info 0
		.amdhsa_system_vgpr_workitem_id 0
		.amdhsa_next_free_vgpr 57
		.amdhsa_next_free_sgpr 105
		.amdhsa_named_barrier_count 0
		.amdhsa_reserve_vcc 1
		.amdhsa_float_round_mode_32 0
		.amdhsa_float_round_mode_16_64 0
		.amdhsa_float_denorm_mode_32 3
		.amdhsa_float_denorm_mode_16_64 3
		.amdhsa_fp16_overflow 0
		.amdhsa_memory_ordered 1
		.amdhsa_forward_progress 1
		.amdhsa_inst_pref_size 194
		.amdhsa_round_robin_scheduling 0
		.amdhsa_exception_fp_ieee_invalid_op 0
		.amdhsa_exception_fp_denorm_src 0
		.amdhsa_exception_fp_ieee_div_zero 0
		.amdhsa_exception_fp_ieee_overflow 0
		.amdhsa_exception_fp_ieee_underflow 0
		.amdhsa_exception_fp_ieee_inexact 0
		.amdhsa_exception_int_div_zero 0
	.end_amdhsa_kernel
	.section	.text._ZN2at6native6sbtopk10gatherTopKIlmLi2ELb0EEEvNS_4cuda6detail10TensorInfoIKT_T0_EES8_S8_bS8_S8_NS5_IS6_S8_EES8_NS5_IlS8_EES8_PS6_,"axG",@progbits,_ZN2at6native6sbtopk10gatherTopKIlmLi2ELb0EEEvNS_4cuda6detail10TensorInfoIKT_T0_EES8_S8_bS8_S8_NS5_IS6_S8_EES8_NS5_IlS8_EES8_PS6_,comdat
.Lfunc_end159:
	.size	_ZN2at6native6sbtopk10gatherTopKIlmLi2ELb0EEEvNS_4cuda6detail10TensorInfoIKT_T0_EES8_S8_bS8_S8_NS5_IS6_S8_EES8_NS5_IlS8_EES8_PS6_, .Lfunc_end159-_ZN2at6native6sbtopk10gatherTopKIlmLi2ELb0EEEvNS_4cuda6detail10TensorInfoIKT_T0_EES8_S8_bS8_S8_NS5_IS6_S8_EES8_NS5_IlS8_EES8_PS6_
                                        ; -- End function
	.set _ZN2at6native6sbtopk10gatherTopKIlmLi2ELb0EEEvNS_4cuda6detail10TensorInfoIKT_T0_EES8_S8_bS8_S8_NS5_IS6_S8_EES8_NS5_IlS8_EES8_PS6_.num_vgpr, 57
	.set _ZN2at6native6sbtopk10gatherTopKIlmLi2ELb0EEEvNS_4cuda6detail10TensorInfoIKT_T0_EES8_S8_bS8_S8_NS5_IS6_S8_EES8_NS5_IlS8_EES8_PS6_.num_agpr, 0
	.set _ZN2at6native6sbtopk10gatherTopKIlmLi2ELb0EEEvNS_4cuda6detail10TensorInfoIKT_T0_EES8_S8_bS8_S8_NS5_IS6_S8_EES8_NS5_IlS8_EES8_PS6_.numbered_sgpr, 105
	.set _ZN2at6native6sbtopk10gatherTopKIlmLi2ELb0EEEvNS_4cuda6detail10TensorInfoIKT_T0_EES8_S8_bS8_S8_NS5_IS6_S8_EES8_NS5_IlS8_EES8_PS6_.num_named_barrier, 0
	.set _ZN2at6native6sbtopk10gatherTopKIlmLi2ELb0EEEvNS_4cuda6detail10TensorInfoIKT_T0_EES8_S8_bS8_S8_NS5_IS6_S8_EES8_NS5_IlS8_EES8_PS6_.private_seg_size, 0
	.set _ZN2at6native6sbtopk10gatherTopKIlmLi2ELb0EEEvNS_4cuda6detail10TensorInfoIKT_T0_EES8_S8_bS8_S8_NS5_IS6_S8_EES8_NS5_IlS8_EES8_PS6_.uses_vcc, 1
	.set _ZN2at6native6sbtopk10gatherTopKIlmLi2ELb0EEEvNS_4cuda6detail10TensorInfoIKT_T0_EES8_S8_bS8_S8_NS5_IS6_S8_EES8_NS5_IlS8_EES8_PS6_.uses_flat_scratch, 0
	.set _ZN2at6native6sbtopk10gatherTopKIlmLi2ELb0EEEvNS_4cuda6detail10TensorInfoIKT_T0_EES8_S8_bS8_S8_NS5_IS6_S8_EES8_NS5_IlS8_EES8_PS6_.has_dyn_sized_stack, 0
	.set _ZN2at6native6sbtopk10gatherTopKIlmLi2ELb0EEEvNS_4cuda6detail10TensorInfoIKT_T0_EES8_S8_bS8_S8_NS5_IS6_S8_EES8_NS5_IlS8_EES8_PS6_.has_recursion, 0
	.set _ZN2at6native6sbtopk10gatherTopKIlmLi2ELb0EEEvNS_4cuda6detail10TensorInfoIKT_T0_EES8_S8_bS8_S8_NS5_IS6_S8_EES8_NS5_IlS8_EES8_PS6_.has_indirect_call, 0
	.section	.AMDGPU.csdata,"",@progbits
; Kernel info:
; codeLenInByte = 24732
; TotalNumSgprs: 107
; NumVgprs: 57
; ScratchSize: 0
; MemoryBound: 0
; FloatMode: 240
; IeeeMode: 1
; LDSByteSize: 5152 bytes/workgroup (compile time only)
; SGPRBlocks: 0
; VGPRBlocks: 3
; NumSGPRsForWavesPerEU: 107
; NumVGPRsForWavesPerEU: 57
; NamedBarCnt: 0
; Occupancy: 16
; WaveLimiterHint : 1
; COMPUTE_PGM_RSRC2:SCRATCH_EN: 0
; COMPUTE_PGM_RSRC2:USER_SGPR: 2
; COMPUTE_PGM_RSRC2:TRAP_HANDLER: 0
; COMPUTE_PGM_RSRC2:TGID_X_EN: 1
; COMPUTE_PGM_RSRC2:TGID_Y_EN: 1
; COMPUTE_PGM_RSRC2:TGID_Z_EN: 1
; COMPUTE_PGM_RSRC2:TIDIG_COMP_CNT: 0
	.section	.text._ZN2at6native6mbtopk23computeBlockDigitCountsIlmmLi3EEEvNS_4cuda6detail10TensorInfoIKT_T0_EEjPjjS8_iijT1_PSB_Ps,"axG",@progbits,_ZN2at6native6mbtopk23computeBlockDigitCountsIlmmLi3EEEvNS_4cuda6detail10TensorInfoIKT_T0_EEjPjjS8_iijT1_PSB_Ps,comdat
	.protected	_ZN2at6native6mbtopk23computeBlockDigitCountsIlmmLi3EEEvNS_4cuda6detail10TensorInfoIKT_T0_EEjPjjS8_iijT1_PSB_Ps ; -- Begin function _ZN2at6native6mbtopk23computeBlockDigitCountsIlmmLi3EEEvNS_4cuda6detail10TensorInfoIKT_T0_EEjPjjS8_iijT1_PSB_Ps
	.globl	_ZN2at6native6mbtopk23computeBlockDigitCountsIlmmLi3EEEvNS_4cuda6detail10TensorInfoIKT_T0_EEjPjjS8_iijT1_PSB_Ps
	.p2align	8
	.type	_ZN2at6native6mbtopk23computeBlockDigitCountsIlmmLi3EEEvNS_4cuda6detail10TensorInfoIKT_T0_EEjPjjS8_iijT1_PSB_Ps,@function
_ZN2at6native6mbtopk23computeBlockDigitCountsIlmmLi3EEEvNS_4cuda6detail10TensorInfoIKT_T0_EEjPjjS8_iijT1_PSB_Ps: ; @_ZN2at6native6mbtopk23computeBlockDigitCountsIlmmLi3EEEvNS_4cuda6detail10TensorInfoIKT_T0_EEjPjjS8_iijT1_PSB_Ps
; %bb.0:
	s_load_b96 s[12:14], s[0:1], 0x1c0
	s_bfe_u32 s2, ttmp6, 0x40010
	s_and_b32 s4, ttmp7, 0xffff
	s_add_co_i32 s5, s2, 1
	s_bfe_u32 s6, ttmp6, 0x40004
	s_mul_i32 s5, s4, s5
	s_load_b64 s[2:3], s[0:1], 0x1e8
	s_add_co_i32 s6, s6, s5
	s_bfe_u32 s7, ttmp6, 0x4000c
	s_bfe_u32 s9, ttmp6, 0x40014
	s_add_co_i32 s7, s7, 1
	s_and_b32 s8, ttmp6, 15
	s_mul_i32 s7, ttmp9, s7
	s_add_co_i32 s9, s9, 1
	s_add_co_i32 s8, s8, s7
	s_getreg_b32 s10, hwreg(HW_REG_IB_STS2, 6, 4)
	s_mov_b32 s17, 0
	s_wait_kmcnt 0x0
	s_cvt_f32_u32 s5, s14
	s_delay_alu instid0(SALU_CYCLE_3) | instskip(SKIP_1) | instid1(SALU_CYCLE_1)
	v_rcp_iflag_f32_e32 v1, s5
	s_lshr_b32 s5, ttmp7, 16
	s_mul_i32 s7, s5, s9
	s_bfe_u32 s9, ttmp6, 0x40008
	s_delay_alu instid0(SALU_CYCLE_1) | instskip(SKIP_1) | instid1(TRANS32_DEP_1)
	s_add_co_i32 s9, s9, s7
	v_nop
	v_readfirstlane_b32 s11, v1
	s_cmp_eq_u32 s10, 0
	s_cselect_b32 s5, s5, s9
	s_load_b32 s9, s[0:1], 0x1b0
	s_mul_f32 s7, s11, 0x4f7ffffe
	s_mul_i32 s3, s3, s5
	s_cselect_b32 s5, ttmp9, s8
	s_cselect_b32 s4, s4, s6
	s_cvt_u32_f32 s7, s7
	s_sub_co_i32 s6, 0, s14
	s_add_co_i32 s3, s3, s4
	s_delay_alu instid0(SALU_CYCLE_1) | instskip(SKIP_3) | instid1(SALU_CYCLE_1)
	s_mul_i32 s26, s3, s2
	s_mul_i32 s6, s6, s7
	s_add_co_i32 s26, s26, s5
	s_mul_hi_u32 s2, s7, s6
	s_add_co_i32 s7, s7, s2
	s_delay_alu instid0(SALU_CYCLE_1) | instskip(NEXT) | instid1(SALU_CYCLE_1)
	s_mul_hi_u32 s2, s26, s7
	s_mul_i32 s3, s2, s14
	s_add_co_i32 s4, s2, 1
	s_sub_co_i32 s3, s26, s3
	s_delay_alu instid0(SALU_CYCLE_1)
	s_sub_co_i32 s5, s3, s14
	s_cmp_ge_u32 s3, s14
	s_cselect_b32 s2, s4, s2
	s_cselect_b32 s3, s5, s3
	s_add_co_i32 s4, s2, 1
	s_cmp_ge_u32 s3, s14
	s_cselect_b32 s16, s4, s2
	s_wait_kmcnt 0x0
	s_cmp_ge_u32 s16, s9
	s_cbranch_scc1 .LBB160_25
; %bb.1:
	s_load_b128 s[8:11], s[0:1], 0x10
	s_mov_b64 s[20:21], 0
	s_mov_b64 s[22:23], 0
	s_wait_kmcnt 0x0
	v_cmp_lt_u64_e64 s2, s[16:17], s[10:11]
	s_and_b32 vcc_lo, exec_lo, s2
	s_cbranch_vccnz .LBB160_3
; %bb.2:
	v_cvt_f32_u32_e32 v1, s10
	s_sub_co_i32 s3, 0, s10
	s_mov_b32 s23, 0
	s_delay_alu instid0(VALU_DEP_1) | instskip(SKIP_1) | instid1(TRANS32_DEP_1)
	v_rcp_iflag_f32_e32 v1, v1
	v_nop
	v_mul_f32_e32 v1, 0x4f7ffffe, v1
	s_delay_alu instid0(VALU_DEP_1) | instskip(NEXT) | instid1(VALU_DEP_1)
	v_cvt_u32_f32_e32 v1, v1
	v_readfirstlane_b32 s2, v1
	s_mul_i32 s3, s3, s2
	s_delay_alu instid0(SALU_CYCLE_1) | instskip(NEXT) | instid1(SALU_CYCLE_1)
	s_mul_hi_u32 s3, s2, s3
	s_add_co_i32 s2, s2, s3
	s_delay_alu instid0(SALU_CYCLE_1) | instskip(NEXT) | instid1(SALU_CYCLE_1)
	s_mul_hi_u32 s2, s16, s2
	s_mul_i32 s3, s2, s10
	s_add_co_i32 s4, s2, 1
	s_sub_co_i32 s3, s16, s3
	s_delay_alu instid0(SALU_CYCLE_1)
	s_sub_co_i32 s5, s3, s10
	s_cmp_ge_u32 s3, s10
	s_cselect_b32 s2, s4, s2
	s_cselect_b32 s3, s5, s3
	s_add_co_i32 s4, s2, 1
	s_cmp_ge_u32 s3, s10
	s_cselect_b32 s22, s4, s2
.LBB160_3:
	s_clause 0x1
	s_load_b128 s[4:7], s[0:1], 0x1d0
	s_load_b64 s[2:3], s[0:1], 0x1e0
	v_cmp_lt_u64_e64 s15, s[22:23], s[8:9]
	s_and_b32 vcc_lo, exec_lo, s15
	s_cbranch_vccnz .LBB160_5
; %bb.4:
	v_cvt_f32_u32_e32 v1, s8
	s_sub_co_i32 s18, 0, s8
	s_mov_b32 s21, 0
	s_delay_alu instid0(VALU_DEP_1) | instskip(SKIP_1) | instid1(TRANS32_DEP_1)
	v_rcp_iflag_f32_e32 v1, v1
	v_nop
	v_mul_f32_e32 v1, 0x4f7ffffe, v1
	s_delay_alu instid0(VALU_DEP_1) | instskip(NEXT) | instid1(VALU_DEP_1)
	v_cvt_u32_f32_e32 v1, v1
	v_readfirstlane_b32 s15, v1
	s_mul_i32 s18, s18, s15
	s_delay_alu instid0(SALU_CYCLE_1) | instskip(NEXT) | instid1(SALU_CYCLE_1)
	s_mul_hi_u32 s18, s15, s18
	s_add_co_i32 s15, s15, s18
	s_delay_alu instid0(SALU_CYCLE_1) | instskip(NEXT) | instid1(SALU_CYCLE_1)
	s_mul_hi_u32 s15, s22, s15
	s_mul_i32 s18, s15, s8
	s_add_co_i32 s19, s15, 1
	s_sub_co_i32 s18, s22, s18
	s_delay_alu instid0(SALU_CYCLE_1)
	s_sub_co_i32 s20, s18, s8
	s_cmp_ge_u32 s18, s8
	s_cselect_b32 s15, s19, s15
	s_cselect_b32 s18, s20, s18
	s_add_co_i32 s19, s15, 1
	s_cmp_ge_u32 s18, s8
	s_cselect_b32 s20, s19, s15
.LBB160_5:
	v_cmp_gt_u32_e32 vcc_lo, 0x100, v0
	v_lshlrev_b32_e32 v1, 2, v0
	s_and_saveexec_b32 s15, vcc_lo
; %bb.6:
	v_mov_b32_e32 v2, 0
	ds_store_b32 v1, v2
; %bb.7:
	s_or_b32 exec_lo, exec_lo, s15
	s_load_b32 s27, s[0:1], 0x1a0
	s_mul_i32 s15, s16, s14
	s_mov_b32 s25, 0
	s_sub_co_i32 s15, s26, s15
	s_wait_dscnt 0x0
	s_mul_i32 s18, s13, s15
	s_add_co_i32 s15, s15, 1
	s_lshl_b32 s28, s18, 8
	s_barrier_signal -1
	s_barrier_wait -1
	s_wait_kmcnt 0x0
	s_sub_co_i32 s24, s27, s28
	s_delay_alu instid0(SALU_CYCLE_1) | instskip(NEXT) | instid1(SALU_CYCLE_1)
	s_add_nc_u64 s[18:19], s[24:25], 0xff
	s_lshr_b64 s[18:19], s[18:19], 8
	s_cmp_lt_u32 s15, s14
	s_cselect_b32 s13, s13, s18
	s_delay_alu instid0(SALU_CYCLE_1)
	s_cmp_lt_i32 s13, 1
	s_cbranch_scc1 .LBB160_23
; %bb.8:
	s_clause 0x2
	s_load_b64 s[30:31], s[0:1], 0xe0
	s_load_b128 s[36:39], s[0:1], 0xd0
	s_load_b64 s[34:35], s[0:1], 0x0
	s_load_b64 s[14:15], s[6:7], s16 offset:0x0 scale_offset
	s_load_b64 s[18:19], s[0:1], 0x1b8
	s_wait_xcnt 0x0
	s_mul_u64 s[6:7], s[20:21], s[8:9]
	s_mul_u64 s[0:1], s[22:23], s[10:11]
	s_sub_nc_u64 s[6:7], s[22:23], s[6:7]
	s_sub_nc_u64 s[0:1], s[16:17], s[0:1]
	v_add_nc_u32_e32 v6, s28, v0
	s_wait_kmcnt 0x0
	s_mul_u64 s[0:1], s[0:1], s[30:31]
	s_mul_u64 s[8:9], s[20:21], s[36:37]
	s_mul_u64 s[6:7], s[6:7], s[38:39]
	s_lshl_b64 s[8:9], s[8:9], 3
	s_lshl_b64 s[6:7], s[6:7], 3
	s_add_nc_u64 s[8:9], s[34:35], s[8:9]
	s_lshl_b64 s[10:11], s[0:1], 3
	s_add_nc_u64 s[6:7], s[8:9], s[6:7]
	s_and_b32 s1, s12, 0xff
	s_cmp_eq_u32 s13, 1
	s_add_nc_u64 s[6:7], s[6:7], s[10:11]
	s_cbranch_scc1 .LBB160_18
; %bb.9:
	v_dual_mov_b32 v3, 0 :: v_dual_mov_b32 v7, 1
	v_mov_b32_e32 v2, v6
	s_and_b32 s8, s13, 0x7ffffffe
	s_mov_b32 s9, 0
	s_branch .LBB160_11
.LBB160_10:                             ;   in Loop: Header=BB160_11 Depth=1
	s_or_b32 exec_lo, exec_lo, s10
	v_add_nc_u32_e32 v2, 0x200, v2
	s_add_co_i32 s9, s9, 2
	s_delay_alu instid0(SALU_CYCLE_1)
	s_cmp_eq_u32 s8, s9
	s_cbranch_scc1 .LBB160_17
.LBB160_11:                             ; =>This Inner Loop Header: Depth=1
	s_mov_b32 s10, exec_lo
	v_cmpx_gt_u32_e64 s27, v2
	s_cbranch_execz .LBB160_14
; %bb.12:                               ;   in Loop: Header=BB160_11 Depth=1
	v_mul_u64_e32 v[4:5], s[18:19], v[2:3]
	s_delay_alu instid0(VALU_DEP_1)
	v_lshl_add_u64 v[4:5], v[4:5], 3, s[6:7]
	global_load_b64 v[4:5], v[4:5], off
	s_wait_loadcnt 0x0
	s_wait_xcnt 0x0
	v_xor_b32_e32 v5, 0x80000000, v5
	v_xor_b32_e32 v10, s14, v4
	s_delay_alu instid0(VALU_DEP_2) | instskip(NEXT) | instid1(VALU_DEP_1)
	v_xor_b32_e32 v8, s15, v5
	v_and_b32_e32 v9, s5, v8
	s_delay_alu instid0(VALU_DEP_3) | instskip(NEXT) | instid1(VALU_DEP_1)
	v_and_b32_e32 v8, s4, v10
	v_cmp_eq_u64_e64 s0, 0, v[8:9]
	s_and_b32 exec_lo, exec_lo, s0
	s_cbranch_execz .LBB160_14
; %bb.13:                               ;   in Loop: Header=BB160_11 Depth=1
	v_lshrrev_b64 v[4:5], s1, v[4:5]
	s_delay_alu instid0(VALU_DEP_1) | instskip(NEXT) | instid1(VALU_DEP_1)
	v_and_b32_e32 v4, 0xff, v4
	v_lshlrev_b32_e32 v4, 2, v4
	ds_add_u32 v4, v7
.LBB160_14:                             ;   in Loop: Header=BB160_11 Depth=1
	s_or_b32 exec_lo, exec_lo, s10
	v_add_nc_u32_e32 v4, 0x100, v2
	s_mov_b32 s10, exec_lo
	s_delay_alu instid0(VALU_DEP_1)
	v_cmpx_gt_u32_e64 s27, v4
	s_cbranch_execz .LBB160_10
; %bb.15:                               ;   in Loop: Header=BB160_11 Depth=1
	v_mov_b32_e32 v5, v3
	s_delay_alu instid0(VALU_DEP_1) | instskip(NEXT) | instid1(VALU_DEP_1)
	v_mul_u64_e32 v[4:5], s[18:19], v[4:5]
	v_lshl_add_u64 v[4:5], v[4:5], 3, s[6:7]
	global_load_b64 v[4:5], v[4:5], off
	s_wait_loadcnt 0x0
	v_xor_b32_e32 v5, 0x80000000, v5
	v_xor_b32_e32 v10, s14, v4
	s_delay_alu instid0(VALU_DEP_2) | instskip(NEXT) | instid1(VALU_DEP_1)
	v_xor_b32_e32 v8, s15, v5
	v_and_b32_e32 v9, s5, v8
	s_delay_alu instid0(VALU_DEP_3) | instskip(NEXT) | instid1(VALU_DEP_1)
	v_and_b32_e32 v8, s4, v10
	v_cmp_eq_u64_e64 s0, 0, v[8:9]
	s_and_b32 exec_lo, exec_lo, s0
	s_cbranch_execz .LBB160_10
; %bb.16:                               ;   in Loop: Header=BB160_11 Depth=1
	v_lshrrev_b64 v[4:5], s1, v[4:5]
	s_delay_alu instid0(VALU_DEP_1) | instskip(NEXT) | instid1(VALU_DEP_1)
	v_and_b32_e32 v4, 0xff, v4
	v_lshlrev_b32_e32 v4, 2, v4
	ds_add_u32 v4, v7
	s_branch .LBB160_10
.LBB160_17:
	s_lshl_b32 s25, s8, 8
.LBB160_18:
	s_bitcmp0_b32 s13, 0
	s_cbranch_scc1 .LBB160_23
; %bb.19:
	v_add_nc_u32_e32 v2, s25, v6
	s_mov_b32 s8, exec_lo
	s_delay_alu instid0(VALU_DEP_1)
	v_cmpx_gt_u32_e64 s27, v2
	s_cbranch_execz .LBB160_22
; %bb.20:
	v_mov_b32_e32 v3, 0
	s_delay_alu instid0(VALU_DEP_1) | instskip(NEXT) | instid1(VALU_DEP_1)
	v_mul_u64_e32 v[2:3], s[18:19], v[2:3]
	v_lshl_add_u64 v[2:3], v[2:3], 3, s[6:7]
	global_load_b64 v[2:3], v[2:3], off
	s_wait_loadcnt 0x0
	v_xor_b32_e32 v3, 0x80000000, v3
	v_xor_b32_e32 v6, s14, v2
	s_delay_alu instid0(VALU_DEP_2) | instskip(NEXT) | instid1(VALU_DEP_1)
	v_xor_b32_e32 v4, s15, v3
	v_and_b32_e32 v5, s5, v4
	s_delay_alu instid0(VALU_DEP_3) | instskip(NEXT) | instid1(VALU_DEP_1)
	v_and_b32_e32 v4, s4, v6
	v_cmp_eq_u64_e64 s0, 0, v[4:5]
	s_and_b32 exec_lo, exec_lo, s0
	s_cbranch_execz .LBB160_22
; %bb.21:
	v_lshrrev_b64 v[2:3], s1, v[2:3]
	v_mov_b32_e32 v3, 1
	s_delay_alu instid0(VALU_DEP_2) | instskip(NEXT) | instid1(VALU_DEP_1)
	v_and_b32_e32 v2, 0xff, v2
	v_lshlrev_b32_e32 v2, 2, v2
	ds_add_u32 v2, v3
.LBB160_22:
	s_or_b32 exec_lo, exec_lo, s8
.LBB160_23:
	s_wait_dscnt 0x0
	s_barrier_signal -1
	s_barrier_wait -1
	s_and_saveexec_b32 s0, vcc_lo
	s_cbranch_execz .LBB160_25
; %bb.24:
	ds_load_b32 v1, v1
	v_lshl_or_b32 v0, s26, 8, v0
	s_wait_dscnt 0x0
	global_store_b16 v0, v1, s[2:3] scale_offset
.LBB160_25:
	s_endpgm
	.section	.rodata,"a",@progbits
	.p2align	6, 0x0
	.amdhsa_kernel _ZN2at6native6mbtopk23computeBlockDigitCountsIlmmLi3EEEvNS_4cuda6detail10TensorInfoIKT_T0_EEjPjjS8_iijT1_PSB_Ps
		.amdhsa_group_segment_fixed_size 1024
		.amdhsa_private_segment_fixed_size 0
		.amdhsa_kernarg_size 744
		.amdhsa_user_sgpr_count 2
		.amdhsa_user_sgpr_dispatch_ptr 0
		.amdhsa_user_sgpr_queue_ptr 0
		.amdhsa_user_sgpr_kernarg_segment_ptr 1
		.amdhsa_user_sgpr_dispatch_id 0
		.amdhsa_user_sgpr_kernarg_preload_length 0
		.amdhsa_user_sgpr_kernarg_preload_offset 0
		.amdhsa_user_sgpr_private_segment_size 0
		.amdhsa_wavefront_size32 1
		.amdhsa_uses_dynamic_stack 0
		.amdhsa_enable_private_segment 0
		.amdhsa_system_sgpr_workgroup_id_x 1
		.amdhsa_system_sgpr_workgroup_id_y 1
		.amdhsa_system_sgpr_workgroup_id_z 1
		.amdhsa_system_sgpr_workgroup_info 0
		.amdhsa_system_vgpr_workitem_id 0
		.amdhsa_next_free_vgpr 11
		.amdhsa_next_free_sgpr 40
		.amdhsa_named_barrier_count 0
		.amdhsa_reserve_vcc 1
		.amdhsa_float_round_mode_32 0
		.amdhsa_float_round_mode_16_64 0
		.amdhsa_float_denorm_mode_32 3
		.amdhsa_float_denorm_mode_16_64 3
		.amdhsa_fp16_overflow 0
		.amdhsa_memory_ordered 1
		.amdhsa_forward_progress 1
		.amdhsa_inst_pref_size 11
		.amdhsa_round_robin_scheduling 0
		.amdhsa_exception_fp_ieee_invalid_op 0
		.amdhsa_exception_fp_denorm_src 0
		.amdhsa_exception_fp_ieee_div_zero 0
		.amdhsa_exception_fp_ieee_overflow 0
		.amdhsa_exception_fp_ieee_underflow 0
		.amdhsa_exception_fp_ieee_inexact 0
		.amdhsa_exception_int_div_zero 0
	.end_amdhsa_kernel
	.section	.text._ZN2at6native6mbtopk23computeBlockDigitCountsIlmmLi3EEEvNS_4cuda6detail10TensorInfoIKT_T0_EEjPjjS8_iijT1_PSB_Ps,"axG",@progbits,_ZN2at6native6mbtopk23computeBlockDigitCountsIlmmLi3EEEvNS_4cuda6detail10TensorInfoIKT_T0_EEjPjjS8_iijT1_PSB_Ps,comdat
.Lfunc_end160:
	.size	_ZN2at6native6mbtopk23computeBlockDigitCountsIlmmLi3EEEvNS_4cuda6detail10TensorInfoIKT_T0_EEjPjjS8_iijT1_PSB_Ps, .Lfunc_end160-_ZN2at6native6mbtopk23computeBlockDigitCountsIlmmLi3EEEvNS_4cuda6detail10TensorInfoIKT_T0_EEjPjjS8_iijT1_PSB_Ps
                                        ; -- End function
	.set _ZN2at6native6mbtopk23computeBlockDigitCountsIlmmLi3EEEvNS_4cuda6detail10TensorInfoIKT_T0_EEjPjjS8_iijT1_PSB_Ps.num_vgpr, 11
	.set _ZN2at6native6mbtopk23computeBlockDigitCountsIlmmLi3EEEvNS_4cuda6detail10TensorInfoIKT_T0_EEjPjjS8_iijT1_PSB_Ps.num_agpr, 0
	.set _ZN2at6native6mbtopk23computeBlockDigitCountsIlmmLi3EEEvNS_4cuda6detail10TensorInfoIKT_T0_EEjPjjS8_iijT1_PSB_Ps.numbered_sgpr, 40
	.set _ZN2at6native6mbtopk23computeBlockDigitCountsIlmmLi3EEEvNS_4cuda6detail10TensorInfoIKT_T0_EEjPjjS8_iijT1_PSB_Ps.num_named_barrier, 0
	.set _ZN2at6native6mbtopk23computeBlockDigitCountsIlmmLi3EEEvNS_4cuda6detail10TensorInfoIKT_T0_EEjPjjS8_iijT1_PSB_Ps.private_seg_size, 0
	.set _ZN2at6native6mbtopk23computeBlockDigitCountsIlmmLi3EEEvNS_4cuda6detail10TensorInfoIKT_T0_EEjPjjS8_iijT1_PSB_Ps.uses_vcc, 1
	.set _ZN2at6native6mbtopk23computeBlockDigitCountsIlmmLi3EEEvNS_4cuda6detail10TensorInfoIKT_T0_EEjPjjS8_iijT1_PSB_Ps.uses_flat_scratch, 0
	.set _ZN2at6native6mbtopk23computeBlockDigitCountsIlmmLi3EEEvNS_4cuda6detail10TensorInfoIKT_T0_EEjPjjS8_iijT1_PSB_Ps.has_dyn_sized_stack, 0
	.set _ZN2at6native6mbtopk23computeBlockDigitCountsIlmmLi3EEEvNS_4cuda6detail10TensorInfoIKT_T0_EEjPjjS8_iijT1_PSB_Ps.has_recursion, 0
	.set _ZN2at6native6mbtopk23computeBlockDigitCountsIlmmLi3EEEvNS_4cuda6detail10TensorInfoIKT_T0_EEjPjjS8_iijT1_PSB_Ps.has_indirect_call, 0
	.section	.AMDGPU.csdata,"",@progbits
; Kernel info:
; codeLenInByte = 1380
; TotalNumSgprs: 42
; NumVgprs: 11
; ScratchSize: 0
; MemoryBound: 0
; FloatMode: 240
; IeeeMode: 1
; LDSByteSize: 1024 bytes/workgroup (compile time only)
; SGPRBlocks: 0
; VGPRBlocks: 0
; NumSGPRsForWavesPerEU: 42
; NumVGPRsForWavesPerEU: 11
; NamedBarCnt: 0
; Occupancy: 16
; WaveLimiterHint : 1
; COMPUTE_PGM_RSRC2:SCRATCH_EN: 0
; COMPUTE_PGM_RSRC2:USER_SGPR: 2
; COMPUTE_PGM_RSRC2:TRAP_HANDLER: 0
; COMPUTE_PGM_RSRC2:TGID_X_EN: 1
; COMPUTE_PGM_RSRC2:TGID_Y_EN: 1
; COMPUTE_PGM_RSRC2:TGID_Z_EN: 1
; COMPUTE_PGM_RSRC2:TIDIG_COMP_CNT: 0
	.section	.text._ZN2at6native6mbtopk10gatherTopKIlmLi3EEEvNS_4cuda6detail10TensorInfoIKT_T0_EES8_S8_bjS8_NS5_IS6_S8_EES8_NS5_IlS8_EES8_jjPS6_PjSD_j,"axG",@progbits,_ZN2at6native6mbtopk10gatherTopKIlmLi3EEEvNS_4cuda6detail10TensorInfoIKT_T0_EES8_S8_bjS8_NS5_IS6_S8_EES8_NS5_IlS8_EES8_jjPS6_PjSD_j,comdat
	.protected	_ZN2at6native6mbtopk10gatherTopKIlmLi3EEEvNS_4cuda6detail10TensorInfoIKT_T0_EES8_S8_bjS8_NS5_IS6_S8_EES8_NS5_IlS8_EES8_jjPS6_PjSD_j ; -- Begin function _ZN2at6native6mbtopk10gatherTopKIlmLi3EEEvNS_4cuda6detail10TensorInfoIKT_T0_EES8_S8_bjS8_NS5_IS6_S8_EES8_NS5_IlS8_EES8_jjPS6_PjSD_j
	.globl	_ZN2at6native6mbtopk10gatherTopKIlmLi3EEEvNS_4cuda6detail10TensorInfoIKT_T0_EES8_S8_bjS8_NS5_IS6_S8_EES8_NS5_IlS8_EES8_jjPS6_PjSD_j
	.p2align	8
	.type	_ZN2at6native6mbtopk10gatherTopKIlmLi3EEEvNS_4cuda6detail10TensorInfoIKT_T0_EES8_S8_bjS8_NS5_IS6_S8_EES8_NS5_IlS8_EES8_jjPS6_PjSD_j,@function
_ZN2at6native6mbtopk10gatherTopKIlmLi3EEEvNS_4cuda6detail10TensorInfoIKT_T0_EES8_S8_bjS8_NS5_IS6_S8_EES8_NS5_IlS8_EES8_jjPS6_PjSD_j: ; @_ZN2at6native6mbtopk10gatherTopKIlmLi3EEEvNS_4cuda6detail10TensorInfoIKT_T0_EES8_S8_bjS8_NS5_IS6_S8_EES8_NS5_IlS8_EES8_jjPS6_PjSD_j
; %bb.0:
	s_bfe_u32 s2, ttmp6, 0x40010
	s_and_b32 s4, ttmp7, 0xffff
	s_add_co_i32 s5, s2, 1
	s_clause 0x1
	s_load_b32 s6, s[0:1], 0x530
	s_load_b64 s[2:3], s[0:1], 0x538
	s_bfe_u32 s8, ttmp6, 0x4000c
	s_mul_i32 s5, s4, s5
	s_bfe_u32 s7, ttmp6, 0x40004
	s_add_co_i32 s8, s8, 1
	s_bfe_u32 s9, ttmp6, 0x40014
	s_add_co_i32 s7, s7, s5
	s_and_b32 s5, ttmp6, 15
	s_mul_i32 s8, ttmp9, s8
	s_lshr_b32 s10, ttmp7, 16
	s_add_co_i32 s9, s9, 1
	s_add_co_i32 s5, s5, s8
	s_mul_i32 s8, s10, s9
	s_bfe_u32 s9, ttmp6, 0x40008
	s_getreg_b32 s11, hwreg(HW_REG_IB_STS2, 6, 4)
	s_add_co_i32 s9, s9, s8
	s_cmp_eq_u32 s11, 0
	s_cselect_b32 s8, s10, s9
	s_cselect_b32 s4, s4, s7
	s_wait_kmcnt 0x0
	s_mul_i32 s3, s3, s8
	s_cselect_b32 s5, ttmp9, s5
	s_add_co_i32 s3, s3, s4
	s_delay_alu instid0(SALU_CYCLE_1) | instskip(NEXT) | instid1(SALU_CYCLE_1)
	s_mul_i32 s2, s3, s2
	s_add_co_i32 s2, s2, s5
	s_delay_alu instid0(SALU_CYCLE_1)
	s_cmp_ge_u32 s2, s6
	s_cbranch_scc1 .LBB161_54
; %bb.1:
	s_load_b64 s[34:35], s[0:1], 0x510
	s_wait_kmcnt 0x0
	s_cvt_f32_u32 s3, s35
	s_sub_co_i32 s4, 0, s35
	s_lshl_b32 s33, s34, 8
	s_delay_alu instid0(SALU_CYCLE_1) | instskip(SKIP_1) | instid1(TRANS32_DEP_1)
	v_rcp_iflag_f32_e32 v1, s3
	v_nop
	v_readfirstlane_b32 s3, v1
	s_mul_f32 s3, s3, 0x4f7ffffe
	s_delay_alu instid0(SALU_CYCLE_3) | instskip(NEXT) | instid1(SALU_CYCLE_3)
	s_cvt_u32_f32 s3, s3
	s_mul_i32 s4, s4, s3
	s_delay_alu instid0(SALU_CYCLE_1) | instskip(NEXT) | instid1(SALU_CYCLE_1)
	s_mul_hi_u32 s4, s3, s4
	s_add_co_i32 s3, s3, s4
	s_clause 0x1
	s_load_b128 s[4:7], s[0:1], 0x1a0
	s_load_b128 s[8:11], s[0:1], 0x10
	s_mul_hi_u32 s3, s2, s3
	s_delay_alu instid0(SALU_CYCLE_1) | instskip(SKIP_2) | instid1(SALU_CYCLE_1)
	s_mul_i32 s12, s3, s35
	s_add_co_i32 s13, s3, 1
	s_sub_co_i32 s12, s2, s12
	s_sub_co_i32 s14, s12, s35
	s_cmp_ge_u32 s12, s35
	s_cselect_b32 s3, s13, s3
	s_cselect_b32 s12, s14, s12
	s_add_co_i32 s13, s3, 1
	s_cmp_ge_u32 s12, s35
	s_cselect_b32 s46, s13, s3
	s_delay_alu instid0(SALU_CYCLE_1) | instskip(NEXT) | instid1(SALU_CYCLE_1)
	s_mul_i32 s52, s46, s35
	s_sub_co_i32 s74, s2, s52
	s_delay_alu instid0(SALU_CYCLE_1) | instskip(NEXT) | instid1(SALU_CYCLE_1)
	s_add_co_i32 s2, s74, 1
	s_cmp_lt_u32 s2, s35
	s_cbranch_scc1 .LBB161_3
; %bb.2:
	s_mul_i32 s2, s74, s33
	s_mov_b32 s3, 0
	s_wait_kmcnt 0x0
	s_sub_nc_u64 s[12:13], s[4:5], s[2:3]
	s_delay_alu instid0(SALU_CYCLE_1) | instskip(NEXT) | instid1(SALU_CYCLE_1)
	s_add_nc_u64 s[12:13], s[12:13], 0xff
	s_ashr_i32 s2, s13, 31
	s_delay_alu instid0(SALU_CYCLE_1) | instskip(NEXT) | instid1(SALU_CYCLE_1)
	s_lshr_b32 s2, s2, 24
	s_add_nc_u64 s[2:3], s[12:13], s[2:3]
	s_delay_alu instid0(SALU_CYCLE_1) | instskip(NEXT) | instid1(SALU_CYCLE_1)
	s_lshr_b64 s[2:3], s[2:3], 8
	s_mov_b32 s34, s2
.LBB161_3:
	s_mov_b32 s47, 0
	s_mov_b64 s[48:49], 0
	s_wait_kmcnt 0x0
	v_cmp_lt_u64_e64 s2, s[46:47], s[10:11]
	s_mov_b64 s[50:51], 0
	s_and_b32 vcc_lo, exec_lo, s2
	s_cbranch_vccnz .LBB161_5
; %bb.4:
	v_cvt_f32_u32_e32 v1, s10
	s_sub_co_i32 s3, 0, s10
	s_mov_b32 s51, s47
	s_delay_alu instid0(VALU_DEP_1) | instskip(SKIP_1) | instid1(TRANS32_DEP_1)
	v_rcp_iflag_f32_e32 v1, v1
	v_nop
	v_mul_f32_e32 v1, 0x4f7ffffe, v1
	s_delay_alu instid0(VALU_DEP_1) | instskip(NEXT) | instid1(VALU_DEP_1)
	v_cvt_u32_f32_e32 v1, v1
	v_readfirstlane_b32 s2, v1
	s_mul_i32 s3, s3, s2
	s_delay_alu instid0(SALU_CYCLE_1) | instskip(NEXT) | instid1(SALU_CYCLE_1)
	s_mul_hi_u32 s3, s2, s3
	s_add_co_i32 s2, s2, s3
	s_delay_alu instid0(SALU_CYCLE_1) | instskip(NEXT) | instid1(SALU_CYCLE_1)
	s_mul_hi_u32 s2, s46, s2
	s_mul_i32 s3, s2, s10
	s_add_co_i32 s12, s2, 1
	s_sub_co_i32 s3, s46, s3
	s_delay_alu instid0(SALU_CYCLE_1)
	s_sub_co_i32 s13, s3, s10
	s_cmp_ge_u32 s3, s10
	s_cselect_b32 s2, s12, s2
	s_cselect_b32 s3, s13, s3
	s_add_co_i32 s12, s2, 1
	s_cmp_ge_u32 s3, s10
	s_cselect_b32 s50, s12, s2
.LBB161_5:
	s_load_b128 s[20:23], s[0:1], 0x1d0
	v_cmp_lt_u64_e64 s2, s[50:51], s[8:9]
	s_and_b32 vcc_lo, exec_lo, s2
	s_cbranch_vccnz .LBB161_7
; %bb.6:
	v_cvt_f32_u32_e32 v1, s8
	s_sub_co_i32 s3, 0, s8
	s_mov_b32 s49, 0
	s_delay_alu instid0(VALU_DEP_1) | instskip(SKIP_1) | instid1(TRANS32_DEP_1)
	v_rcp_iflag_f32_e32 v1, v1
	v_nop
	v_mul_f32_e32 v1, 0x4f7ffffe, v1
	s_delay_alu instid0(VALU_DEP_1) | instskip(NEXT) | instid1(VALU_DEP_1)
	v_cvt_u32_f32_e32 v1, v1
	v_readfirstlane_b32 s2, v1
	s_mul_i32 s3, s3, s2
	s_delay_alu instid0(SALU_CYCLE_1) | instskip(NEXT) | instid1(SALU_CYCLE_1)
	s_mul_hi_u32 s3, s2, s3
	s_add_co_i32 s2, s2, s3
	s_delay_alu instid0(SALU_CYCLE_1) | instskip(NEXT) | instid1(SALU_CYCLE_1)
	s_mul_hi_u32 s2, s50, s2
	s_mul_i32 s3, s2, s8
	s_add_co_i32 s12, s2, 1
	s_sub_co_i32 s3, s50, s3
	s_delay_alu instid0(SALU_CYCLE_1)
	s_sub_co_i32 s13, s3, s8
	s_cmp_ge_u32 s3, s8
	s_cselect_b32 s2, s12, s2
	s_cselect_b32 s3, s13, s3
	s_add_co_i32 s12, s2, 1
	s_cmp_ge_u32 s3, s8
	s_cselect_b32 s48, s12, s2
.LBB161_7:
	s_wait_kmcnt 0x0
	v_cmp_lt_u64_e64 s2, s[46:47], s[22:23]
	s_mov_b64 s[56:57], 0
	s_mov_b64 s[54:55], 0
	s_and_b32 vcc_lo, exec_lo, s2
	s_cbranch_vccnz .LBB161_9
; %bb.8:
	v_cvt_f32_u32_e32 v1, s22
	s_sub_co_i32 s3, 0, s22
	s_mov_b32 s55, 0
	s_delay_alu instid0(VALU_DEP_1) | instskip(SKIP_1) | instid1(TRANS32_DEP_1)
	v_rcp_iflag_f32_e32 v1, v1
	v_nop
	v_mul_f32_e32 v1, 0x4f7ffffe, v1
	s_delay_alu instid0(VALU_DEP_1) | instskip(NEXT) | instid1(VALU_DEP_1)
	v_cvt_u32_f32_e32 v1, v1
	v_readfirstlane_b32 s2, v1
	s_mul_i32 s3, s3, s2
	s_delay_alu instid0(SALU_CYCLE_1) | instskip(NEXT) | instid1(SALU_CYCLE_1)
	s_mul_hi_u32 s3, s2, s3
	s_add_co_i32 s2, s2, s3
	s_delay_alu instid0(SALU_CYCLE_1) | instskip(NEXT) | instid1(SALU_CYCLE_1)
	s_mul_hi_u32 s2, s46, s2
	s_mul_i32 s3, s2, s22
	s_add_co_i32 s12, s2, 1
	s_sub_co_i32 s3, s46, s3
	s_delay_alu instid0(SALU_CYCLE_1)
	s_sub_co_i32 s13, s3, s22
	s_cmp_ge_u32 s3, s22
	s_cselect_b32 s2, s12, s2
	s_cselect_b32 s3, s13, s3
	s_add_co_i32 s12, s2, 1
	s_cmp_ge_u32 s3, s22
	s_cselect_b32 s54, s12, s2
.LBB161_9:
	s_load_b128 s[24:27], s[0:1], 0x378
	v_cmp_lt_u64_e64 s2, s[54:55], s[20:21]
	s_and_b32 vcc_lo, exec_lo, s2
	s_cbranch_vccnz .LBB161_11
; %bb.10:
	v_cvt_f32_u32_e32 v1, s20
	s_sub_co_i32 s3, 0, s20
	s_mov_b32 s57, 0
	s_delay_alu instid0(VALU_DEP_1) | instskip(SKIP_1) | instid1(TRANS32_DEP_1)
	v_rcp_iflag_f32_e32 v1, v1
	v_nop
	v_mul_f32_e32 v1, 0x4f7ffffe, v1
	s_delay_alu instid0(VALU_DEP_1) | instskip(NEXT) | instid1(VALU_DEP_1)
	v_cvt_u32_f32_e32 v1, v1
	v_readfirstlane_b32 s2, v1
	s_mul_i32 s3, s3, s2
	s_delay_alu instid0(SALU_CYCLE_1) | instskip(NEXT) | instid1(SALU_CYCLE_1)
	s_mul_hi_u32 s3, s2, s3
	s_add_co_i32 s2, s2, s3
	s_delay_alu instid0(SALU_CYCLE_1) | instskip(NEXT) | instid1(SALU_CYCLE_1)
	s_mul_hi_u32 s2, s54, s2
	s_mul_i32 s3, s2, s20
	s_add_co_i32 s12, s2, 1
	s_sub_co_i32 s3, s54, s3
	s_delay_alu instid0(SALU_CYCLE_1)
	s_sub_co_i32 s13, s3, s20
	s_cmp_ge_u32 s3, s20
	s_cselect_b32 s2, s12, s2
	s_cselect_b32 s3, s13, s3
	s_add_co_i32 s12, s2, 1
	s_cmp_ge_u32 s3, s20
	s_cselect_b32 s56, s12, s2
.LBB161_11:
	s_wait_kmcnt 0x0
	v_cmp_lt_u64_e64 s2, s[46:47], s[26:27]
	s_mov_b64 s[58:59], 0
	s_mov_b64 s[60:61], 0
	s_and_b32 vcc_lo, exec_lo, s2
	s_cbranch_vccnz .LBB161_13
; %bb.12:
	v_cvt_f32_u32_e32 v1, s26
	s_sub_co_i32 s3, 0, s26
	s_mov_b32 s61, 0
	s_delay_alu instid0(VALU_DEP_1) | instskip(SKIP_1) | instid1(TRANS32_DEP_1)
	v_rcp_iflag_f32_e32 v1, v1
	v_nop
	v_mul_f32_e32 v1, 0x4f7ffffe, v1
	s_delay_alu instid0(VALU_DEP_1) | instskip(NEXT) | instid1(VALU_DEP_1)
	v_cvt_u32_f32_e32 v1, v1
	v_readfirstlane_b32 s2, v1
	s_mul_i32 s3, s3, s2
	s_delay_alu instid0(SALU_CYCLE_1) | instskip(NEXT) | instid1(SALU_CYCLE_1)
	s_mul_hi_u32 s3, s2, s3
	s_add_co_i32 s2, s2, s3
	s_delay_alu instid0(SALU_CYCLE_1) | instskip(NEXT) | instid1(SALU_CYCLE_1)
	s_mul_hi_u32 s2, s46, s2
	s_mul_i32 s3, s2, s26
	s_add_co_i32 s12, s2, 1
	s_sub_co_i32 s3, s46, s3
	s_delay_alu instid0(SALU_CYCLE_1)
	s_sub_co_i32 s13, s3, s26
	s_cmp_ge_u32 s3, s26
	s_cselect_b32 s2, s12, s2
	s_cselect_b32 s3, s13, s3
	s_add_co_i32 s12, s2, 1
	s_cmp_ge_u32 s3, s26
	s_cselect_b32 s60, s12, s2
.LBB161_13:
	s_clause 0x5
	s_load_b64 s[62:63], s[0:1], 0xe0
	s_load_b128 s[36:39], s[0:1], 0xd0
	s_load_b64 s[64:65], s[0:1], 0x2a0
	s_load_b128 s[40:43], s[0:1], 0x290
	;; [unrolled: 2-line block ×3, first 2 shown]
	v_cmp_lt_u64_e64 s2, s[60:61], s[24:25]
	s_and_b32 vcc_lo, exec_lo, s2
	s_cbranch_vccnz .LBB161_15
; %bb.14:
	v_cvt_f32_u32_e32 v1, s24
	s_sub_co_i32 s3, 0, s24
	s_mov_b32 s59, 0
	s_delay_alu instid0(VALU_DEP_1) | instskip(SKIP_1) | instid1(TRANS32_DEP_1)
	v_rcp_iflag_f32_e32 v1, v1
	v_nop
	v_mul_f32_e32 v1, 0x4f7ffffe, v1
	s_delay_alu instid0(VALU_DEP_1) | instskip(NEXT) | instid1(VALU_DEP_1)
	v_cvt_u32_f32_e32 v1, v1
	v_readfirstlane_b32 s2, v1
	s_mul_i32 s3, s3, s2
	s_delay_alu instid0(SALU_CYCLE_1) | instskip(NEXT) | instid1(SALU_CYCLE_1)
	s_mul_hi_u32 s3, s2, s3
	s_add_co_i32 s2, s2, s3
	s_delay_alu instid0(SALU_CYCLE_1) | instskip(NEXT) | instid1(SALU_CYCLE_1)
	s_mul_hi_u32 s2, s60, s2
	s_mul_i32 s3, s2, s24
	s_add_co_i32 s12, s2, 1
	s_sub_co_i32 s3, s60, s3
	s_delay_alu instid0(SALU_CYCLE_1)
	s_sub_co_i32 s13, s3, s24
	s_cmp_ge_u32 s3, s24
	s_cselect_b32 s2, s12, s2
	s_cselect_b32 s3, s13, s3
	s_add_co_i32 s12, s2, 1
	s_cmp_ge_u32 s3, s24
	s_cselect_b32 s58, s12, s2
.LBB161_15:
	s_load_b128 s[12:15], s[0:1], 0x518
	s_lshl_b64 s[2:3], s[46:47], 3
	s_mov_b32 s53, 0
	s_wait_kmcnt 0x0
	s_add_nc_u64 s[2:3], s[12:13], s[2:3]
	s_load_b64 s[44:45], s[2:3], 0x0
	s_wait_xcnt 0x0
	v_cmp_ne_u32_e64 s2, 0, v0
	v_cmp_eq_u32_e64 s3, 0, v0
	s_and_saveexec_b32 s75, s3
	s_cbranch_execz .LBB161_31
; %bb.16:
	s_load_b64 s[68:69], s[0:1], 0x528
	s_lshl_b64 s[70:71], s[52:53], 2
	s_cmp_lt_u32 s35, 4
	s_cbranch_scc1 .LBB161_28
; %bb.17:
	s_mov_b64 s[12:13], 0
	s_mov_b32 s52, 0
.LBB161_18:                             ; =>This Inner Loop Header: Depth=1
	s_add_nc_u64 s[72:73], s[14:15], s[70:71]
	s_cmp_ge_u32 s52, s74
	s_load_b128 s[16:19], s[72:73], 0x0
	s_wait_kmcnt 0x0
	s_add_nc_u64 s[72:73], s[68:69], s[70:71]
	s_cbranch_scc0 .LBB161_25
; %bb.19:                               ;   in Loop: Header=BB161_18 Depth=1
	s_add_co_i32 s76, s52, 1
	s_delay_alu instid0(SALU_CYCLE_1)
	s_cmp_ge_u32 s76, s74
	s_cbranch_scc0 .LBB161_26
.LBB161_20:                             ;   in Loop: Header=BB161_18 Depth=1
	s_add_co_i32 s76, s76, 1
	s_delay_alu instid0(SALU_CYCLE_1)
	s_cmp_ge_u32 s76, s74
	s_cbranch_scc0 .LBB161_27
.LBB161_21:                             ;   in Loop: Header=BB161_18 Depth=1
	s_add_co_i32 s76, s76, 1
	s_delay_alu instid0(SALU_CYCLE_1)
	s_cmp_ge_u32 s76, s74
	s_cbranch_scc1 .LBB161_23
.LBB161_22:                             ;   in Loop: Header=BB161_18 Depth=1
	s_load_b32 s72, s[72:73], 0xc
	s_add_co_i32 s13, s19, s13
	s_wait_kmcnt 0x0
	s_add_co_i32 s12, s72, s12
.LBB161_23:                             ;   in Loop: Header=BB161_18 Depth=1
	s_add_co_i32 s16, s16, s53
	s_add_nc_u64 s[14:15], s[14:15], 16
	s_add_co_i32 s16, s16, s17
	s_add_co_i32 s17, s76, 4
	;; [unrolled: 1-line block ×3, first 2 shown]
	s_add_nc_u64 s[68:69], s[68:69], 16
	s_add_co_i32 s53, s16, s19
	s_add_co_i32 s16, s76, 1
	s_cmp_ge_u32 s17, s35
	s_cbranch_scc1 .LBB161_29
; %bb.24:                               ;   in Loop: Header=BB161_18 Depth=1
	s_mov_b32 s52, s16
	s_branch .LBB161_18
.LBB161_25:                             ;   in Loop: Header=BB161_18 Depth=1
	s_load_b32 s76, s[72:73], 0x0
	s_add_co_i32 s13, s16, s13
	s_wait_kmcnt 0x0
	s_add_co_i32 s12, s76, s12
	s_add_co_i32 s76, s52, 1
	s_delay_alu instid0(SALU_CYCLE_1)
	s_cmp_ge_u32 s76, s74
	s_cbranch_scc1 .LBB161_20
.LBB161_26:                             ;   in Loop: Header=BB161_18 Depth=1
	s_load_b32 s77, s[72:73], 0x4
	s_add_co_i32 s13, s17, s13
	s_wait_kmcnt 0x0
	s_add_co_i32 s12, s77, s12
	s_add_co_i32 s76, s76, 1
	s_delay_alu instid0(SALU_CYCLE_1)
	s_cmp_ge_u32 s76, s74
	s_cbranch_scc1 .LBB161_21
.LBB161_27:                             ;   in Loop: Header=BB161_18 Depth=1
	s_load_b32 s77, s[72:73], 0x8
	s_add_co_i32 s13, s18, s13
	s_wait_kmcnt 0x0
	s_add_co_i32 s12, s77, s12
	s_add_co_i32 s76, s76, 1
	s_delay_alu instid0(SALU_CYCLE_1)
	s_cmp_ge_u32 s76, s74
	s_cbranch_scc0 .LBB161_22
	s_branch .LBB161_23
.LBB161_28:
	s_mov_b64 s[12:13], 0
	s_add_nc_u64 s[14:15], s[14:15], s[70:71]
	s_wait_kmcnt 0x0
	s_add_nc_u64 s[16:17], s[68:69], s[70:71]
	s_mov_b32 s18, 0
	s_delay_alu instid0(SALU_CYCLE_1)
	s_cmp_ge_u32 s18, s35
	s_cbranch_scc0 .LBB161_52
	s_branch .LBB161_30
.LBB161_29:
	s_add_co_i32 s18, s52, 4
	s_add_nc_u64 s[16:17], s[68:69], s[70:71]
	s_add_nc_u64 s[14:15], s[14:15], s[70:71]
	s_cmp_ge_u32 s18, s35
	s_cbranch_scc0 .LBB161_52
.LBB161_30:
	v_dual_mov_b32 v2, s12 :: v_dual_mov_b32 v3, s53
	v_dual_mov_b32 v4, s13 :: v_dual_mov_b32 v1, 0
	ds_store_b96 v1, v[2:4] offset:1056
.LBB161_31:
	s_or_b32 exec_lo, exec_lo, s75
	s_clause 0x2
	s_load_b128 s[12:15], s[0:1], 0x360
	s_load_b128 s[16:19], s[0:1], 0x1b8
	s_load_b64 s[52:53], s[0:1], 0x0
	s_cmp_eq_u32 s34, 0
	s_wait_dscnt 0x0
	s_barrier_signal -1
	s_barrier_wait -1
	s_cbranch_scc1 .LBB161_54
; %bb.32:
	s_mul_u64 s[8:9], s[48:49], s[8:9]
	s_mul_u64 s[36:37], s[48:49], s[36:37]
	s_sub_nc_u64 s[8:9], s[50:51], s[8:9]
	s_mul_u64 s[24:25], s[58:59], s[24:25]
	v_dual_mov_b32 v7, 0 :: v_dual_lshrrev_b32 v1, 3, v0
	s_mul_u64 s[20:21], s[56:57], s[20:21]
	s_mul_u64 s[8:9], s[8:9], s[38:39]
	;; [unrolled: 1-line block ×3, first 2 shown]
	s_sub_nc_u64 s[24:25], s[60:61], s[24:25]
	s_lshl_b64 s[36:37], s[36:37], 3
	s_sub_nc_u64 s[20:21], s[54:55], s[20:21]
	s_mul_u64 s[40:41], s[56:57], s[40:41]
	s_mul_u64 s[22:23], s[54:55], s[22:23]
	s_sub_nc_u64 s[10:11], s[46:47], s[10:11]
	s_mul_u64 s[24:25], s[24:25], s[30:31]
	s_wait_kmcnt 0x0
	s_add_nc_u64 s[30:31], s[52:53], s[36:37]
	s_lshl_b64 s[8:9], s[8:9], 3
	ds_load_b96 v[2:4], v7 offset:1056
	s_mul_u64 s[20:21], s[20:21], s[42:43]
	s_sub_nc_u64 s[22:23], s[46:47], s[22:23]
	s_mul_u64 s[10:11], s[10:11], s[62:63]
	s_add_nc_u64 s[8:9], s[30:31], s[8:9]
	s_lshl_b64 s[30:31], s[40:41], 3
	s_mul_u64 s[22:23], s[22:23], s[64:65]
	s_lshl_b64 s[10:11], s[10:11], 3
	s_add_nc_u64 s[18:19], s[18:19], s[30:31]
	s_lshl_b64 s[20:21], s[20:21], 3
	s_mul_u64 s[28:29], s[58:59], s[28:29]
	s_add_nc_u64 s[8:9], s[8:9], s[10:11]
	s_add_nc_u64 s[10:11], s[18:19], s[20:21]
	s_lshl_b64 s[18:19], s[22:23], 3
	s_lshl_b64 s[20:21], s[28:29], 3
	s_add_nc_u64 s[10:11], s[10:11], s[18:19]
	s_lshl_b64 s[18:19], s[24:25], 3
	s_load_b32 s24, s[0:1], 0x1b0
	s_add_nc_u64 s[14:15], s[14:15], s[20:21]
	v_dual_add_nc_u32 v8, -1, v0 :: v_dual_bitop2_b32 v1, 28, v1 bitop3:0x40
	s_add_nc_u64 s[20:21], s[14:15], s[18:19]
	s_load_b64 s[14:15], s[0:1], 0x508
	s_mul_u64 s[26:27], s[60:61], s[26:27]
	s_wait_dscnt 0x0
	v_dual_lshrrev_b32 v6, 3, v8 :: v_dual_add_nc_u32 v2, v2, v3
	v_lshl_add_u32 v5, v0, 2, v1
	v_and_b32_e32 v1, 0xfc, v0
	v_mbcnt_lo_u32_b32 v10, -1, 0
	s_delay_alu instid0(VALU_DEP_4)
	v_and_b32_e32 v3, 0x1ffffffc, v6
	v_mad_u32 v6, s74, s33, v0
	v_lshlrev_b32_e32 v9, 5, v0
	s_sub_nc_u64 s[26:27], s[46:47], s[26:27]
	s_xor_b64 s[18:19], s[44:45], 0x8000000000000000
	s_mul_u64 s[26:27], s[26:27], s[66:67]
	s_wait_xcnt 0x0
	v_cmp_gt_u32_e64 s0, 32, v0
	s_lshl_b64 s[22:23], s[26:27], 3
	v_lshl_add_u32 v11, v8, 2, v3
	v_dual_add_nc_u32 v12, v1, v9 :: v_dual_bitop2_b32 v13, 15, v10 bitop3:0x40
	v_add_nc_u32_e32 v15, -1, v10
	v_bfe_i32 v14, v10, 4, 1
	s_wait_kmcnt 0x0
	s_bitcmp1_b32 s24, 0
	s_add_nc_u64 s[20:21], s[20:21], s[22:23]
	s_cselect_b32 s1, -1, 0
                                        ; implicit-def: $vgpr0_vgpr1
	s_branch .LBB161_35
.LBB161_33:                             ;   in Loop: Header=BB161_35 Depth=1
	s_wait_xcnt 0x0
	s_or_b32 exec_lo, exec_lo, s22
	v_add_nc_u32_e32 v2, v3, v2
.LBB161_34:                             ;   in Loop: Header=BB161_35 Depth=1
	v_add_nc_u32_e32 v4, v16, v4
	v_add_nc_u32_e32 v6, 0x100, v6
	s_add_co_i32 s34, s34, -1
	s_delay_alu instid0(SALU_CYCLE_1)
	s_cmp_lg_u32 s34, 0
	s_cbranch_scc0 .LBB161_54
.LBB161_35:                             ; =>This Inner Loop Header: Depth=1
	v_dual_mov_b32 v3, v7 :: v_dual_mov_b32 v8, v7
	s_mov_b32 s22, exec_lo
	v_cmpx_gt_u64_e64 s[4:5], v[6:7]
	s_cbranch_execz .LBB161_37
; %bb.36:                               ;   in Loop: Header=BB161_35 Depth=1
	v_mul_u64_e32 v[0:1], s[16:17], v[6:7]
	s_delay_alu instid0(VALU_DEP_1) | instskip(SKIP_4) | instid1(VALU_DEP_1)
	v_lshl_add_u64 v[0:1], v[0:1], 3, s[8:9]
	global_load_b64 v[0:1], v[0:1], off
	s_wait_loadcnt 0x0
	v_xor_b32_e32 v9, 0x80000000, v1
	v_mov_b32_e32 v8, v0
	v_cmp_lt_u64_e32 vcc_lo, s[18:19], v[8:9]
	v_cndmask_b32_e64 v3, 0, 1, vcc_lo
	v_cmp_gt_u64_e32 vcc_lo, s[18:19], v[8:9]
	v_cndmask_b32_e64 v8, 0, 1, vcc_lo
	v_cmp_eq_u64_e32 vcc_lo, s[44:45], v[0:1]
	s_delay_alu instid0(VALU_DEP_2) | instskip(SKIP_1) | instid1(VALU_DEP_2)
	v_cndmask_b32_e64 v3, v8, v3, s1
	v_cndmask_b32_e64 v8, 0, 1, vcc_lo
	v_and_b32_e32 v3, 1, v3
.LBB161_37:                             ;   in Loop: Header=BB161_35 Depth=1
	s_wait_xcnt 0x0
	s_or_b32 exec_lo, exec_lo, s22
	ds_store_b32 v5, v3
	s_wait_dscnt 0x0
	s_barrier_signal -1
	s_barrier_wait -1
	s_and_saveexec_b32 s22, s0
	s_cbranch_execz .LBB161_39
; %bb.38:                               ;   in Loop: Header=BB161_35 Depth=1
	ds_load_2addr_b32 v[16:17], v12 offset1:1
	ds_load_2addr_b32 v[18:19], v12 offset0:2 offset1:3
	ds_load_2addr_b32 v[20:21], v12 offset0:4 offset1:5
	;; [unrolled: 1-line block ×3, first 2 shown]
	v_cmp_ne_u32_e32 vcc_lo, 0, v13
	; wave barrier
	s_wait_dscnt 0x3
	v_add_nc_u32_e32 v9, v17, v16
	s_wait_dscnt 0x2
	s_delay_alu instid0(VALU_DEP_1) | instskip(SKIP_1) | instid1(VALU_DEP_1)
	v_add3_u32 v9, v9, v18, v19
	s_wait_dscnt 0x1
	v_add3_u32 v9, v9, v20, v21
	s_wait_dscnt 0x0
	s_delay_alu instid0(VALU_DEP_1) | instskip(NEXT) | instid1(VALU_DEP_1)
	v_add3_u32 v9, v9, v22, v23
	v_mov_b32_dpp v17, v9 row_shr:1 row_mask:0xf bank_mask:0xf
	s_delay_alu instid0(VALU_DEP_1) | instskip(SKIP_1) | instid1(VALU_DEP_2)
	v_cndmask_b32_e32 v17, 0, v17, vcc_lo
	v_cmp_lt_u32_e32 vcc_lo, 1, v13
	v_add_nc_u32_e32 v9, v17, v9
	s_delay_alu instid0(VALU_DEP_1) | instskip(NEXT) | instid1(VALU_DEP_1)
	v_mov_b32_dpp v17, v9 row_shr:2 row_mask:0xf bank_mask:0xf
	v_cndmask_b32_e32 v17, 0, v17, vcc_lo
	v_cmp_lt_u32_e32 vcc_lo, 3, v13
	s_delay_alu instid0(VALU_DEP_2) | instskip(NEXT) | instid1(VALU_DEP_1)
	v_add_nc_u32_e32 v9, v9, v17
	v_mov_b32_dpp v17, v9 row_shr:4 row_mask:0xf bank_mask:0xf
	s_delay_alu instid0(VALU_DEP_1) | instskip(SKIP_1) | instid1(VALU_DEP_2)
	v_cndmask_b32_e32 v17, 0, v17, vcc_lo
	v_cmp_lt_u32_e32 vcc_lo, 7, v13
	v_add_nc_u32_e32 v9, v9, v17
	s_delay_alu instid0(VALU_DEP_1) | instskip(NEXT) | instid1(VALU_DEP_1)
	v_mov_b32_dpp v17, v9 row_shr:8 row_mask:0xf bank_mask:0xf
	v_cndmask_b32_e32 v17, 0, v17, vcc_lo
	v_cmp_gt_i32_e32 vcc_lo, 0, v15
	s_delay_alu instid0(VALU_DEP_2) | instskip(SKIP_3) | instid1(VALU_DEP_1)
	v_dual_cndmask_b32 v18, v15, v10 :: v_dual_add_nc_u32 v9, v9, v17
	ds_swizzle_b32 v17, v9 offset:swizzle(BROADCAST,32,15)
	s_wait_dscnt 0x0
	v_dual_lshlrev_b32 v18, 2, v18 :: v_dual_bitop2_b32 v17, v14, v17 bitop3:0x40
	v_add_nc_u32_e32 v9, v9, v17
	ds_bpermute_b32 v9, v18, v9
	s_wait_dscnt 0x0
	v_add_nc_u32_e32 v9, v9, v16
	s_delay_alu instid0(VALU_DEP_1)
	v_cndmask_b32_e64 v9, v9, v3, s3
	ds_store_b32 v12, v9
	; wave barrier
	ds_load_2addr_b32 v[16:17], v12 offset0:1 offset1:2
	ds_load_2addr_b32 v[18:19], v12 offset0:3 offset1:4
	;; [unrolled: 1-line block ×3, first 2 shown]
	ds_load_b32 v22, v12 offset:28
	s_wait_dscnt 0x3
	v_add_nc_u32_e32 v9, v16, v9
	s_delay_alu instid0(VALU_DEP_1) | instskip(SKIP_1) | instid1(VALU_DEP_1)
	v_add_nc_u32_e32 v16, v17, v9
	s_wait_dscnt 0x2
	v_add_nc_u32_e32 v17, v18, v16
	s_delay_alu instid0(VALU_DEP_1) | instskip(SKIP_1) | instid1(VALU_DEP_1)
	v_add_nc_u32_e32 v18, v19, v17
	;; [unrolled: 4-line block ×3, first 2 shown]
	s_wait_dscnt 0x0
	v_add_nc_u32_e32 v21, v22, v20
	ds_store_2addr_b32 v12, v9, v16 offset0:1 offset1:2
	ds_store_2addr_b32 v12, v17, v18 offset0:3 offset1:4
	;; [unrolled: 1-line block ×3, first 2 shown]
	ds_store_b32 v12, v21 offset:28
.LBB161_39:                             ;   in Loop: Header=BB161_35 Depth=1
	s_or_b32 exec_lo, exec_lo, s22
	v_mov_b32_e32 v9, 0
	s_wait_dscnt 0x0
	s_barrier_signal -1
	s_barrier_wait -1
	s_and_saveexec_b32 s22, s2
; %bb.40:                               ;   in Loop: Header=BB161_35 Depth=1
	ds_load_b32 v9, v11
; %bb.41:                               ;   in Loop: Header=BB161_35 Depth=1
	s_or_b32 exec_lo, exec_lo, s22
	ds_load_b32 v16, v7 offset:1048
	s_mov_b32 s22, exec_lo
	s_wait_dscnt 0x0
	s_barrier_signal -1
	s_barrier_wait -1
	v_cmpx_ne_u32_e32 0, v3
	s_cbranch_execz .LBB161_43
; %bb.42:                               ;   in Loop: Header=BB161_35 Depth=1
	v_dual_mov_b32 v19, v7 :: v_dual_add_nc_u32 v18, v9, v4
	s_delay_alu instid0(VALU_DEP_1) | instskip(SKIP_1) | instid1(VALU_DEP_2)
	v_mul_u64_e32 v[20:21], s[12:13], v[18:19]
	v_mul_u64_e32 v[18:19], s[14:15], v[18:19]
	v_lshl_add_u64 v[20:21], v[20:21], 3, s[10:11]
	s_delay_alu instid0(VALU_DEP_2)
	v_lshl_add_u64 v[18:19], v[18:19], 3, s[20:21]
	global_store_b64 v[20:21], v[0:1], off
	global_store_b64 v[18:19], v[6:7], off
.LBB161_43:                             ;   in Loop: Header=BB161_35 Depth=1
	s_wait_xcnt 0x0
	s_or_b32 exec_lo, exec_lo, s22
	v_mov_b32_e32 v3, v7
	s_delay_alu instid0(VALU_DEP_1)
	v_cmp_le_u64_e32 vcc_lo, s[6:7], v[2:3]
	s_cbranch_vccnz .LBB161_34
; %bb.44:                               ;   in Loop: Header=BB161_35 Depth=1
	ds_store_b32 v5, v8
	s_wait_storecnt_dscnt 0x0
	s_barrier_signal -1
	s_barrier_wait -1
	s_and_saveexec_b32 s22, s0
	s_cbranch_execz .LBB161_46
; %bb.45:                               ;   in Loop: Header=BB161_35 Depth=1
	ds_load_2addr_b32 v[18:19], v12 offset1:1
	ds_load_2addr_b32 v[20:21], v12 offset0:2 offset1:3
	ds_load_2addr_b32 v[22:23], v12 offset0:4 offset1:5
	;; [unrolled: 1-line block ×3, first 2 shown]
	v_cmp_ne_u32_e32 vcc_lo, 0, v13
	; wave barrier
	s_wait_dscnt 0x3
	v_add_nc_u32_e32 v3, v19, v18
	s_wait_dscnt 0x2
	s_delay_alu instid0(VALU_DEP_1) | instskip(SKIP_1) | instid1(VALU_DEP_1)
	v_add3_u32 v3, v3, v20, v21
	s_wait_dscnt 0x1
	v_add3_u32 v3, v3, v22, v23
	s_wait_dscnt 0x0
	s_delay_alu instid0(VALU_DEP_1) | instskip(NEXT) | instid1(VALU_DEP_1)
	v_add3_u32 v3, v3, v24, v25
	v_mov_b32_dpp v9, v3 row_shr:1 row_mask:0xf bank_mask:0xf
	s_delay_alu instid0(VALU_DEP_1) | instskip(SKIP_1) | instid1(VALU_DEP_2)
	v_cndmask_b32_e32 v9, 0, v9, vcc_lo
	v_cmp_lt_u32_e32 vcc_lo, 1, v13
	v_add_nc_u32_e32 v3, v9, v3
	s_delay_alu instid0(VALU_DEP_1) | instskip(NEXT) | instid1(VALU_DEP_1)
	v_mov_b32_dpp v9, v3 row_shr:2 row_mask:0xf bank_mask:0xf
	v_cndmask_b32_e32 v9, 0, v9, vcc_lo
	v_cmp_lt_u32_e32 vcc_lo, 3, v13
	s_delay_alu instid0(VALU_DEP_2) | instskip(NEXT) | instid1(VALU_DEP_1)
	v_add_nc_u32_e32 v3, v3, v9
	v_mov_b32_dpp v9, v3 row_shr:4 row_mask:0xf bank_mask:0xf
	s_delay_alu instid0(VALU_DEP_1) | instskip(SKIP_1) | instid1(VALU_DEP_2)
	v_cndmask_b32_e32 v9, 0, v9, vcc_lo
	v_cmp_lt_u32_e32 vcc_lo, 7, v13
	v_add_nc_u32_e32 v3, v3, v9
	s_delay_alu instid0(VALU_DEP_1) | instskip(NEXT) | instid1(VALU_DEP_1)
	v_mov_b32_dpp v9, v3 row_shr:8 row_mask:0xf bank_mask:0xf
	v_cndmask_b32_e32 v9, 0, v9, vcc_lo
	v_cmp_gt_i32_e32 vcc_lo, 0, v15
	s_delay_alu instid0(VALU_DEP_2)
	v_add_nc_u32_e32 v3, v3, v9
	v_cndmask_b32_e32 v17, v15, v10, vcc_lo
	ds_swizzle_b32 v9, v3 offset:swizzle(BROADCAST,32,15)
	v_lshlrev_b32_e32 v17, 2, v17
	s_wait_dscnt 0x0
	v_and_b32_e32 v9, v14, v9
	s_delay_alu instid0(VALU_DEP_1) | instskip(SKIP_3) | instid1(VALU_DEP_1)
	v_add_nc_u32_e32 v3, v3, v9
	ds_bpermute_b32 v3, v17, v3
	s_wait_dscnt 0x0
	v_add_nc_u32_e32 v3, v3, v18
	v_cndmask_b32_e64 v3, v3, v8, s3
	ds_store_b32 v12, v3
	; wave barrier
	ds_load_2addr_b32 v[18:19], v12 offset0:1 offset1:2
	ds_load_2addr_b32 v[20:21], v12 offset0:3 offset1:4
	;; [unrolled: 1-line block ×3, first 2 shown]
	ds_load_b32 v9, v12 offset:28
	s_wait_dscnt 0x3
	v_add_nc_u32_e32 v3, v18, v3
	s_delay_alu instid0(VALU_DEP_1) | instskip(SKIP_1) | instid1(VALU_DEP_1)
	v_add_nc_u32_e32 v17, v19, v3
	s_wait_dscnt 0x2
	v_add_nc_u32_e32 v18, v20, v17
	s_delay_alu instid0(VALU_DEP_1) | instskip(SKIP_1) | instid1(VALU_DEP_1)
	v_add_nc_u32_e32 v19, v21, v18
	;; [unrolled: 4-line block ×3, first 2 shown]
	s_wait_dscnt 0x0
	v_add_nc_u32_e32 v9, v9, v21
	ds_store_2addr_b32 v12, v3, v17 offset0:1 offset1:2
	ds_store_2addr_b32 v12, v18, v19 offset0:3 offset1:4
	;; [unrolled: 1-line block ×3, first 2 shown]
	ds_store_b32 v12, v9 offset:28
.LBB161_46:                             ;   in Loop: Header=BB161_35 Depth=1
	s_or_b32 exec_lo, exec_lo, s22
	v_mov_b32_e32 v9, 0
	s_wait_dscnt 0x0
	s_barrier_signal -1
	s_barrier_wait -1
	s_and_saveexec_b32 s22, s2
; %bb.47:                               ;   in Loop: Header=BB161_35 Depth=1
	ds_load_b32 v9, v11
; %bb.48:                               ;   in Loop: Header=BB161_35 Depth=1
	s_or_b32 exec_lo, exec_lo, s22
	ds_load_b32 v3, v7 offset:1048
	s_mov_b32 s22, exec_lo
	s_wait_dscnt 0x0
	s_barrier_signal -1
	s_barrier_wait -1
	v_cmpx_ne_u32_e32 0, v8
	s_cbranch_execz .LBB161_33
; %bb.49:                               ;   in Loop: Header=BB161_35 Depth=1
	v_dual_mov_b32 v9, v7 :: v_dual_add_nc_u32 v8, v9, v2
	s_delay_alu instid0(VALU_DEP_1)
	v_cmp_gt_u64_e32 vcc_lo, s[6:7], v[8:9]
	s_and_b32 exec_lo, exec_lo, vcc_lo
	s_cbranch_execz .LBB161_33
; %bb.50:                               ;   in Loop: Header=BB161_35 Depth=1
	v_mul_u64_e32 v[18:19], s[12:13], v[8:9]
	v_mul_u64_e32 v[8:9], s[14:15], v[8:9]
	s_delay_alu instid0(VALU_DEP_2) | instskip(NEXT) | instid1(VALU_DEP_2)
	v_lshl_add_u64 v[18:19], v[18:19], 3, s[10:11]
	v_lshl_add_u64 v[8:9], v[8:9], 3, s[20:21]
	global_store_b64 v[18:19], v[0:1], off
	global_store_b64 v[8:9], v[6:7], off
	s_branch .LBB161_33
.LBB161_51:                             ;   in Loop: Header=BB161_52 Depth=1
	s_add_co_i32 s18, s18, 1
	s_wait_kmcnt 0x0
	s_add_co_i32 s53, s19, s53
	s_add_nc_u64 s[14:15], s[14:15], 4
	s_cmp_lt_u32 s18, s35
	s_add_nc_u64 s[16:17], s[16:17], 4
	s_cbranch_scc0 .LBB161_30
.LBB161_52:                             ; =>This Inner Loop Header: Depth=1
	s_load_b32 s19, s[14:15], 0x0
	s_cmp_ge_u32 s18, s74
	s_cbranch_scc1 .LBB161_51
; %bb.53:                               ;   in Loop: Header=BB161_52 Depth=1
	s_load_b32 s52, s[16:17], 0x0
	s_wait_kmcnt 0x0
	s_add_co_i32 s13, s19, s13
	s_add_co_i32 s12, s52, s12
	s_branch .LBB161_51
.LBB161_54:
	s_endpgm
	.section	.rodata,"a",@progbits
	.p2align	6, 0x0
	.amdhsa_kernel _ZN2at6native6mbtopk10gatherTopKIlmLi3EEEvNS_4cuda6detail10TensorInfoIKT_T0_EES8_S8_bjS8_NS5_IS6_S8_EES8_NS5_IlS8_EES8_jjPS6_PjSD_j
		.amdhsa_group_segment_fixed_size 1068
		.amdhsa_private_segment_fixed_size 0
		.amdhsa_kernarg_size 1592
		.amdhsa_user_sgpr_count 2
		.amdhsa_user_sgpr_dispatch_ptr 0
		.amdhsa_user_sgpr_queue_ptr 0
		.amdhsa_user_sgpr_kernarg_segment_ptr 1
		.amdhsa_user_sgpr_dispatch_id 0
		.amdhsa_user_sgpr_kernarg_preload_length 0
		.amdhsa_user_sgpr_kernarg_preload_offset 0
		.amdhsa_user_sgpr_private_segment_size 0
		.amdhsa_wavefront_size32 1
		.amdhsa_uses_dynamic_stack 0
		.amdhsa_enable_private_segment 0
		.amdhsa_system_sgpr_workgroup_id_x 1
		.amdhsa_system_sgpr_workgroup_id_y 1
		.amdhsa_system_sgpr_workgroup_id_z 1
		.amdhsa_system_sgpr_workgroup_info 0
		.amdhsa_system_vgpr_workitem_id 0
		.amdhsa_next_free_vgpr 26
		.amdhsa_next_free_sgpr 78
		.amdhsa_named_barrier_count 0
		.amdhsa_reserve_vcc 1
		.amdhsa_float_round_mode_32 0
		.amdhsa_float_round_mode_16_64 0
		.amdhsa_float_denorm_mode_32 3
		.amdhsa_float_denorm_mode_16_64 3
		.amdhsa_fp16_overflow 0
		.amdhsa_memory_ordered 1
		.amdhsa_forward_progress 1
		.amdhsa_inst_pref_size 27
		.amdhsa_round_robin_scheduling 0
		.amdhsa_exception_fp_ieee_invalid_op 0
		.amdhsa_exception_fp_denorm_src 0
		.amdhsa_exception_fp_ieee_div_zero 0
		.amdhsa_exception_fp_ieee_overflow 0
		.amdhsa_exception_fp_ieee_underflow 0
		.amdhsa_exception_fp_ieee_inexact 0
		.amdhsa_exception_int_div_zero 0
	.end_amdhsa_kernel
	.section	.text._ZN2at6native6mbtopk10gatherTopKIlmLi3EEEvNS_4cuda6detail10TensorInfoIKT_T0_EES8_S8_bjS8_NS5_IS6_S8_EES8_NS5_IlS8_EES8_jjPS6_PjSD_j,"axG",@progbits,_ZN2at6native6mbtopk10gatherTopKIlmLi3EEEvNS_4cuda6detail10TensorInfoIKT_T0_EES8_S8_bjS8_NS5_IS6_S8_EES8_NS5_IlS8_EES8_jjPS6_PjSD_j,comdat
.Lfunc_end161:
	.size	_ZN2at6native6mbtopk10gatherTopKIlmLi3EEEvNS_4cuda6detail10TensorInfoIKT_T0_EES8_S8_bjS8_NS5_IS6_S8_EES8_NS5_IlS8_EES8_jjPS6_PjSD_j, .Lfunc_end161-_ZN2at6native6mbtopk10gatherTopKIlmLi3EEEvNS_4cuda6detail10TensorInfoIKT_T0_EES8_S8_bjS8_NS5_IS6_S8_EES8_NS5_IlS8_EES8_jjPS6_PjSD_j
                                        ; -- End function
	.set _ZN2at6native6mbtopk10gatherTopKIlmLi3EEEvNS_4cuda6detail10TensorInfoIKT_T0_EES8_S8_bjS8_NS5_IS6_S8_EES8_NS5_IlS8_EES8_jjPS6_PjSD_j.num_vgpr, 26
	.set _ZN2at6native6mbtopk10gatherTopKIlmLi3EEEvNS_4cuda6detail10TensorInfoIKT_T0_EES8_S8_bjS8_NS5_IS6_S8_EES8_NS5_IlS8_EES8_jjPS6_PjSD_j.num_agpr, 0
	.set _ZN2at6native6mbtopk10gatherTopKIlmLi3EEEvNS_4cuda6detail10TensorInfoIKT_T0_EES8_S8_bjS8_NS5_IS6_S8_EES8_NS5_IlS8_EES8_jjPS6_PjSD_j.numbered_sgpr, 78
	.set _ZN2at6native6mbtopk10gatherTopKIlmLi3EEEvNS_4cuda6detail10TensorInfoIKT_T0_EES8_S8_bjS8_NS5_IS6_S8_EES8_NS5_IlS8_EES8_jjPS6_PjSD_j.num_named_barrier, 0
	.set _ZN2at6native6mbtopk10gatherTopKIlmLi3EEEvNS_4cuda6detail10TensorInfoIKT_T0_EES8_S8_bjS8_NS5_IS6_S8_EES8_NS5_IlS8_EES8_jjPS6_PjSD_j.private_seg_size, 0
	.set _ZN2at6native6mbtopk10gatherTopKIlmLi3EEEvNS_4cuda6detail10TensorInfoIKT_T0_EES8_S8_bjS8_NS5_IS6_S8_EES8_NS5_IlS8_EES8_jjPS6_PjSD_j.uses_vcc, 1
	.set _ZN2at6native6mbtopk10gatherTopKIlmLi3EEEvNS_4cuda6detail10TensorInfoIKT_T0_EES8_S8_bjS8_NS5_IS6_S8_EES8_NS5_IlS8_EES8_jjPS6_PjSD_j.uses_flat_scratch, 0
	.set _ZN2at6native6mbtopk10gatherTopKIlmLi3EEEvNS_4cuda6detail10TensorInfoIKT_T0_EES8_S8_bjS8_NS5_IS6_S8_EES8_NS5_IlS8_EES8_jjPS6_PjSD_j.has_dyn_sized_stack, 0
	.set _ZN2at6native6mbtopk10gatherTopKIlmLi3EEEvNS_4cuda6detail10TensorInfoIKT_T0_EES8_S8_bjS8_NS5_IS6_S8_EES8_NS5_IlS8_EES8_jjPS6_PjSD_j.has_recursion, 0
	.set _ZN2at6native6mbtopk10gatherTopKIlmLi3EEEvNS_4cuda6detail10TensorInfoIKT_T0_EES8_S8_bjS8_NS5_IS6_S8_EES8_NS5_IlS8_EES8_jjPS6_PjSD_j.has_indirect_call, 0
	.section	.AMDGPU.csdata,"",@progbits
; Kernel info:
; codeLenInByte = 3444
; TotalNumSgprs: 80
; NumVgprs: 26
; ScratchSize: 0
; MemoryBound: 0
; FloatMode: 240
; IeeeMode: 1
; LDSByteSize: 1068 bytes/workgroup (compile time only)
; SGPRBlocks: 0
; VGPRBlocks: 1
; NumSGPRsForWavesPerEU: 80
; NumVGPRsForWavesPerEU: 26
; NamedBarCnt: 0
; Occupancy: 16
; WaveLimiterHint : 1
; COMPUTE_PGM_RSRC2:SCRATCH_EN: 0
; COMPUTE_PGM_RSRC2:USER_SGPR: 2
; COMPUTE_PGM_RSRC2:TRAP_HANDLER: 0
; COMPUTE_PGM_RSRC2:TGID_X_EN: 1
; COMPUTE_PGM_RSRC2:TGID_Y_EN: 1
; COMPUTE_PGM_RSRC2:TGID_Z_EN: 1
; COMPUTE_PGM_RSRC2:TIDIG_COMP_CNT: 0
	.section	.text._ZN2at6native6sbtopk10gatherTopKIlmLi3ELb0EEEvNS_4cuda6detail10TensorInfoIKT_T0_EES8_S8_bS8_S8_NS5_IS6_S8_EES8_NS5_IlS8_EES8_PS6_,"axG",@progbits,_ZN2at6native6sbtopk10gatherTopKIlmLi3ELb0EEEvNS_4cuda6detail10TensorInfoIKT_T0_EES8_S8_bS8_S8_NS5_IS6_S8_EES8_NS5_IlS8_EES8_PS6_,comdat
	.protected	_ZN2at6native6sbtopk10gatherTopKIlmLi3ELb0EEEvNS_4cuda6detail10TensorInfoIKT_T0_EES8_S8_bS8_S8_NS5_IS6_S8_EES8_NS5_IlS8_EES8_PS6_ ; -- Begin function _ZN2at6native6sbtopk10gatherTopKIlmLi3ELb0EEEvNS_4cuda6detail10TensorInfoIKT_T0_EES8_S8_bS8_S8_NS5_IS6_S8_EES8_NS5_IlS8_EES8_PS6_
	.globl	_ZN2at6native6sbtopk10gatherTopKIlmLi3ELb0EEEvNS_4cuda6detail10TensorInfoIKT_T0_EES8_S8_bS8_S8_NS5_IS6_S8_EES8_NS5_IlS8_EES8_PS6_
	.p2align	8
	.type	_ZN2at6native6sbtopk10gatherTopKIlmLi3ELb0EEEvNS_4cuda6detail10TensorInfoIKT_T0_EES8_S8_bS8_S8_NS5_IS6_S8_EES8_NS5_IlS8_EES8_PS6_,@function
_ZN2at6native6sbtopk10gatherTopKIlmLi3ELb0EEEvNS_4cuda6detail10TensorInfoIKT_T0_EES8_S8_bS8_S8_NS5_IS6_S8_EES8_NS5_IlS8_EES8_PS6_: ; @_ZN2at6native6sbtopk10gatherTopKIlmLi3ELb0EEEvNS_4cuda6detail10TensorInfoIKT_T0_EES8_S8_bS8_S8_NS5_IS6_S8_EES8_NS5_IlS8_EES8_PS6_
; %bb.0:
	s_clause 0x1
	s_load_b128 s[28:31], s[0:1], 0x1b8
	s_load_b64 s[16:17], s[0:1], 0x520
	s_bfe_u32 s2, ttmp6, 0x40010
	s_and_b32 s3, ttmp7, 0xffff
	s_add_co_i32 s2, s2, 1
	s_bfe_u32 s5, ttmp6, 0x4000c
	s_mul_i32 s2, s3, s2
	s_bfe_u32 s4, ttmp6, 0x40004
	s_add_co_i32 s5, s5, 1
	s_bfe_u32 s6, ttmp6, 0x40014
	s_add_co_i32 s4, s4, s2
	s_and_b32 s2, ttmp6, 15
	s_mul_i32 s5, ttmp9, s5
	s_lshr_b32 s7, ttmp7, 16
	s_add_co_i32 s6, s6, 1
	s_add_co_i32 s2, s2, s5
	s_mul_i32 s5, s7, s6
	s_bfe_u32 s6, ttmp6, 0x40008
	s_getreg_b32 s8, hwreg(HW_REG_IB_STS2, 6, 4)
	s_add_co_i32 s6, s6, s5
	s_cmp_eq_u32 s8, 0
	s_mov_b32 s57, 0
	s_cselect_b32 s5, s7, s6
	s_cselect_b32 s3, s3, s4
	s_wait_kmcnt 0x0
	s_mul_i32 s5, s17, s5
	s_cselect_b32 s17, ttmp9, s2
	s_add_co_i32 s2, s5, s3
	s_delay_alu instid0(SALU_CYCLE_1) | instskip(NEXT) | instid1(SALU_CYCLE_1)
	s_mul_i32 s2, s2, s16
	s_add_co_i32 s56, s2, s17
	s_delay_alu instid0(SALU_CYCLE_1)
	v_cmp_le_u64_e64 s2, s[28:29], s[56:57]
	s_and_b32 vcc_lo, exec_lo, s2
	s_cbranch_vccnz .LBB162_479
; %bb.1:
	s_load_b128 s[8:11], s[0:1], 0x10
	s_mov_b64 s[6:7], 0
	s_wait_kmcnt 0x0
	v_cmp_lt_u64_e64 s2, s[56:57], s[10:11]
	s_and_b32 vcc_lo, exec_lo, s2
	s_mov_b64 s[2:3], 0
	s_cbranch_vccnz .LBB162_3
; %bb.2:
	v_cvt_f32_u32_e32 v1, s10
	s_sub_co_i32 s3, 0, s10
	s_delay_alu instid0(VALU_DEP_1) | instskip(SKIP_1) | instid1(TRANS32_DEP_1)
	v_rcp_iflag_f32_e32 v1, v1
	v_nop
	v_mul_f32_e32 v1, 0x4f7ffffe, v1
	s_delay_alu instid0(VALU_DEP_1) | instskip(NEXT) | instid1(VALU_DEP_1)
	v_cvt_u32_f32_e32 v1, v1
	v_readfirstlane_b32 s2, v1
	s_mul_i32 s3, s3, s2
	s_delay_alu instid0(SALU_CYCLE_1) | instskip(NEXT) | instid1(SALU_CYCLE_1)
	s_mul_hi_u32 s3, s2, s3
	s_add_co_i32 s2, s2, s3
	s_delay_alu instid0(SALU_CYCLE_1) | instskip(NEXT) | instid1(SALU_CYCLE_1)
	s_mul_hi_u32 s2, s56, s2
	s_mul_i32 s3, s2, s10
	s_add_co_i32 s4, s2, 1
	s_sub_co_i32 s3, s56, s3
	s_delay_alu instid0(SALU_CYCLE_1)
	s_sub_co_i32 s5, s3, s10
	s_cmp_ge_u32 s3, s10
	s_cselect_b32 s2, s4, s2
	s_cselect_b32 s3, s5, s3
	s_add_co_i32 s4, s2, 1
	s_cmp_ge_u32 s3, s10
	s_mov_b32 s3, 0
	s_cselect_b32 s2, s4, s2
.LBB162_3:
	s_load_b128 s[20:23], s[0:1], 0x1d8
	v_cmp_lt_u64_e64 s4, s[2:3], s[8:9]
	s_and_b32 vcc_lo, exec_lo, s4
	s_cbranch_vccnz .LBB162_5
; %bb.4:
	v_cvt_f32_u32_e32 v1, s8
	s_sub_co_i32 s5, 0, s8
	s_delay_alu instid0(VALU_DEP_1) | instskip(SKIP_1) | instid1(TRANS32_DEP_1)
	v_rcp_iflag_f32_e32 v1, v1
	v_nop
	v_mul_f32_e32 v1, 0x4f7ffffe, v1
	s_delay_alu instid0(VALU_DEP_1) | instskip(NEXT) | instid1(VALU_DEP_1)
	v_cvt_u32_f32_e32 v1, v1
	v_readfirstlane_b32 s4, v1
	s_mul_i32 s5, s5, s4
	s_delay_alu instid0(SALU_CYCLE_1) | instskip(NEXT) | instid1(SALU_CYCLE_1)
	s_mul_hi_u32 s5, s4, s5
	s_add_co_i32 s4, s4, s5
	s_delay_alu instid0(SALU_CYCLE_1) | instskip(NEXT) | instid1(SALU_CYCLE_1)
	s_mul_hi_u32 s4, s2, s4
	s_mul_i32 s5, s4, s8
	s_add_co_i32 s6, s4, 1
	s_sub_co_i32 s5, s2, s5
	s_delay_alu instid0(SALU_CYCLE_1)
	s_sub_co_i32 s7, s5, s8
	s_cmp_ge_u32 s5, s8
	s_cselect_b32 s4, s6, s4
	s_cselect_b32 s5, s7, s5
	s_add_co_i32 s6, s4, 1
	s_cmp_ge_u32 s5, s8
	s_mov_b32 s7, 0
	s_cselect_b32 s6, s6, s4
.LBB162_5:
	s_wait_kmcnt 0x0
	v_cmp_lt_u64_e64 s4, s[56:57], s[22:23]
	s_mov_b64 s[14:15], 0
	s_mov_b64 s[58:59], 0
	s_and_b32 vcc_lo, exec_lo, s4
	s_cbranch_vccnz .LBB162_7
; %bb.6:
	v_cvt_f32_u32_e32 v1, s22
	s_sub_co_i32 s5, 0, s22
	s_mov_b32 s59, 0
	s_delay_alu instid0(VALU_DEP_1) | instskip(SKIP_1) | instid1(TRANS32_DEP_1)
	v_rcp_iflag_f32_e32 v1, v1
	v_nop
	v_mul_f32_e32 v1, 0x4f7ffffe, v1
	s_delay_alu instid0(VALU_DEP_1) | instskip(NEXT) | instid1(VALU_DEP_1)
	v_cvt_u32_f32_e32 v1, v1
	v_readfirstlane_b32 s4, v1
	s_mul_i32 s5, s5, s4
	s_delay_alu instid0(SALU_CYCLE_1) | instskip(NEXT) | instid1(SALU_CYCLE_1)
	s_mul_hi_u32 s5, s4, s5
	s_add_co_i32 s4, s4, s5
	s_delay_alu instid0(SALU_CYCLE_1) | instskip(NEXT) | instid1(SALU_CYCLE_1)
	s_mul_hi_u32 s4, s56, s4
	s_mul_i32 s5, s4, s22
	s_add_co_i32 s12, s4, 1
	s_sub_co_i32 s5, s56, s5
	s_delay_alu instid0(SALU_CYCLE_1)
	s_sub_co_i32 s13, s5, s22
	s_cmp_ge_u32 s5, s22
	s_cselect_b32 s4, s12, s4
	s_cselect_b32 s5, s13, s5
	s_add_co_i32 s12, s4, 1
	s_cmp_ge_u32 s5, s22
	s_cselect_b32 s58, s12, s4
.LBB162_7:
	s_load_b128 s[44:47], s[0:1], 0x380
	v_cmp_lt_u64_e64 s4, s[58:59], s[20:21]
	s_and_b32 vcc_lo, exec_lo, s4
	s_cbranch_vccnz .LBB162_9
; %bb.8:
	v_cvt_f32_u32_e32 v1, s20
	s_sub_co_i32 s5, 0, s20
	s_mov_b32 s15, 0
	s_delay_alu instid0(VALU_DEP_1) | instskip(SKIP_1) | instid1(TRANS32_DEP_1)
	v_rcp_iflag_f32_e32 v1, v1
	v_nop
	v_mul_f32_e32 v1, 0x4f7ffffe, v1
	s_delay_alu instid0(VALU_DEP_1) | instskip(NEXT) | instid1(VALU_DEP_1)
	v_cvt_u32_f32_e32 v1, v1
	v_readfirstlane_b32 s4, v1
	s_mul_i32 s5, s5, s4
	s_delay_alu instid0(SALU_CYCLE_1) | instskip(NEXT) | instid1(SALU_CYCLE_1)
	s_mul_hi_u32 s5, s4, s5
	s_add_co_i32 s4, s4, s5
	s_delay_alu instid0(SALU_CYCLE_1) | instskip(NEXT) | instid1(SALU_CYCLE_1)
	s_mul_hi_u32 s4, s58, s4
	s_mul_i32 s5, s4, s20
	s_add_co_i32 s12, s4, 1
	s_sub_co_i32 s5, s58, s5
	s_delay_alu instid0(SALU_CYCLE_1)
	s_sub_co_i32 s13, s5, s20
	s_cmp_ge_u32 s5, s20
	s_cselect_b32 s4, s12, s4
	s_cselect_b32 s5, s13, s5
	s_add_co_i32 s12, s4, 1
	s_cmp_ge_u32 s5, s20
	s_cselect_b32 s14, s12, s4
.LBB162_9:
                                        ; implicit-def: $vgpr56 : SGPR spill to VGPR lane
	s_wait_kmcnt 0x0
	v_cmp_lt_u64_e64 s4, s[56:57], s[46:47]
	v_writelane_b32 v56, s14, 0
	s_mov_b64 s[22:23], 0
	s_mov_b64 s[64:65], 0
	v_writelane_b32 v56, s15, 1
	s_clause 0x1
	s_load_b64 s[18:19], s[0:1], 0xe0
	s_load_b128 s[12:15], s[0:1], 0xd0
	s_and_b32 vcc_lo, exec_lo, s4
	s_cbranch_vccnz .LBB162_11
; %bb.10:
	v_cvt_f32_u32_e32 v1, s46
	s_sub_co_i32 s5, 0, s46
	s_mov_b32 s65, 0
	s_delay_alu instid0(VALU_DEP_1) | instskip(SKIP_1) | instid1(TRANS32_DEP_1)
	v_rcp_iflag_f32_e32 v1, v1
	v_nop
	v_mul_f32_e32 v1, 0x4f7ffffe, v1
	s_delay_alu instid0(VALU_DEP_1) | instskip(NEXT) | instid1(VALU_DEP_1)
	v_cvt_u32_f32_e32 v1, v1
	v_readfirstlane_b32 s4, v1
	s_mul_i32 s5, s5, s4
	s_delay_alu instid0(SALU_CYCLE_1) | instskip(NEXT) | instid1(SALU_CYCLE_1)
	s_mul_hi_u32 s5, s4, s5
	s_add_co_i32 s4, s4, s5
	s_delay_alu instid0(SALU_CYCLE_1) | instskip(NEXT) | instid1(SALU_CYCLE_1)
	s_mul_hi_u32 s4, s56, s4
	s_mul_i32 s5, s4, s46
	s_add_co_i32 s20, s4, 1
	s_sub_co_i32 s5, s56, s5
	s_delay_alu instid0(SALU_CYCLE_1)
	s_sub_co_i32 s21, s5, s46
	s_cmp_ge_u32 s5, s46
	s_cselect_b32 s4, s20, s4
	s_cselect_b32 s5, s21, s5
	s_add_co_i32 s20, s4, 1
	s_cmp_ge_u32 s5, s46
	s_cselect_b32 s64, s20, s4
.LBB162_11:
	s_load_b128 s[24:27], s[0:1], 0x440
	v_cmp_lt_u64_e64 s4, s[64:65], s[44:45]
	s_and_b32 vcc_lo, exec_lo, s4
	s_wait_kmcnt 0x0
	v_writelane_b32 v56, s24, 2
	v_writelane_b32 v56, s25, 3
	;; [unrolled: 1-line block ×4, first 2 shown]
	s_cbranch_vccnz .LBB162_13
; %bb.12:
	v_cvt_f32_u32_e32 v1, s44
	s_sub_co_i32 s5, 0, s44
	s_mov_b32 s23, 0
	s_delay_alu instid0(VALU_DEP_1) | instskip(SKIP_1) | instid1(TRANS32_DEP_1)
	v_rcp_iflag_f32_e32 v1, v1
	v_nop
	v_mul_f32_e32 v1, 0x4f7ffffe, v1
	s_delay_alu instid0(VALU_DEP_1) | instskip(NEXT) | instid1(VALU_DEP_1)
	v_cvt_u32_f32_e32 v1, v1
	v_readfirstlane_b32 s4, v1
	s_mul_i32 s5, s5, s4
	s_delay_alu instid0(SALU_CYCLE_1) | instskip(NEXT) | instid1(SALU_CYCLE_1)
	s_mul_hi_u32 s5, s4, s5
	s_add_co_i32 s4, s4, s5
	s_delay_alu instid0(SALU_CYCLE_1) | instskip(NEXT) | instid1(SALU_CYCLE_1)
	s_mul_hi_u32 s4, s64, s4
	s_mul_i32 s5, s4, s44
	s_add_co_i32 s20, s4, 1
	s_sub_co_i32 s5, s64, s5
	s_delay_alu instid0(SALU_CYCLE_1)
	s_sub_co_i32 s21, s5, s44
	s_cmp_ge_u32 s5, s44
	s_cselect_b32 s4, s20, s4
	s_cselect_b32 s5, s21, s5
	s_add_co_i32 s20, s4, 1
	s_cmp_ge_u32 s5, s44
	s_cselect_b32 s22, s20, s4
.LBB162_13:
	s_delay_alu instid0(SALU_CYCLE_1)
	v_writelane_b32 v56, s22, 6
	v_cmp_eq_u32_e64 s5, 0, v0
	s_add_nc_u64 s[20:21], s[0:1], 0x520
	s_mov_b32 s27, 0
	v_writelane_b32 v56, s23, 7
	s_clause 0x1
	s_load_b64 s[22:23], s[0:1], 0x0
	s_load_b128 s[36:39], s[0:1], 0x1a0
	s_and_saveexec_b32 s4, s5
	s_cbranch_execz .LBB162_15
; %bb.14:
	s_wait_kmcnt 0x0
	v_dual_mov_b32 v2, 0 :: v_dual_mov_b32 v4, s36
	s_delay_alu instid0(VALU_DEP_1)
	v_dual_mov_b32 v5, s37 :: v_dual_mov_b32 v3, v2
	ds_store_b32 v2, v2 offset:5144
	ds_store_b128 v2, v[2:5] offset:5120
.LBB162_15:
	s_or_b32 exec_lo, exec_lo, s4
	s_mul_u64 s[8:9], s[6:7], s[8:9]
	s_mul_u64 s[12:13], s[6:7], s[12:13]
	s_load_b64 s[6:7], s[0:1], 0x370
	v_dual_mov_b32 v21, 0 :: v_dual_lshlrev_b32 v22, 2, v0
	s_wait_dscnt 0x0
	s_barrier_signal -1
	s_barrier_wait -1
	s_delay_alu instid0(VALU_DEP_1) | instskip(SKIP_2) | instid1(VALU_DEP_1)
	v_dual_mov_b32 v1, v21 :: v_dual_lshlrev_b32 v38, 3, v0
	s_load_b32 s24, s[20:21], 0xc
	s_mul_u64 s[10:11], s[2:3], s[10:11]
	v_mul_u64_e32 v[2:3], s[30:31], v[0:1]
	v_mbcnt_lo_u32_b32 v17, -1, 0
	s_sub_nc_u64 s[2:3], s[2:3], s[8:9]
	s_sub_nc_u64 s[8:9], s[56:57], s[10:11]
	s_lshl_b64 s[10:11], s[12:13], 3
	s_mul_u64 s[12:13], s[2:3], s[14:15]
	s_mul_u64 s[8:9], s[8:9], s[18:19]
	v_cmp_gt_u32_e32 vcc_lo, 32, v0
	s_lshl_b64 s[12:13], s[12:13], 3
	s_wait_kmcnt 0x0
	v_writelane_b32 v56, s6, 8
	s_lshl_b64 s[8:9], s[8:9], 3
	s_add_nc_u64 s[10:11], s[22:23], s[10:11]
	s_load_b32 s4, s[0:1], 0x1b0
	s_add_nc_u64 s[10:11], s[10:11], s[12:13]
	v_writelane_b32 v56, s7, 9
	s_load_b64 s[6:7], s[0:1], 0x1c8
	v_lshlrev_b64_e64 v[4:5], v17, -1
	s_add_nc_u64 s[28:29], s[10:11], s[8:9]
	v_cmp_lt_u64_e64 s33, 0x180, s[36:37]
	v_cmp_gt_u64_e64 s3, s[36:37], v[0:1]
	v_mov_b64_e32 v[26:27], 0
	v_mov_b64_e32 v[30:31], s[38:39]
	;; [unrolled: 1-line block ×5, first 2 shown]
	s_mov_b32 s35, s27
	v_cmp_eq_u32_e64 s2, 0, v17
	v_dual_mov_b32 v23, v21 :: v_dual_lshlrev_b32 v41, 5, v0
	v_add_nc_u32_e32 v39, 0xc00, v38
	v_not_b32_e32 v16, v4
	v_lshl_or_b32 v42, v17, 3, 0xc00
	s_wait_kmcnt 0x0
	s_bitcmp1_b32 s4, 0
	v_lshl_add_u64 v[18:19], v[2:3], 3, s[28:29]
	s_cselect_b32 s4, -1, 0
	v_writelane_b32 v56, s6, 10
	s_and_b32 s34, s24, 0xffff
	s_xor_b32 s93, s4, -1
	v_mov_b32_e32 v2, 1
	s_add_nc_u64 s[70:71], s[34:35], -1
	v_writelane_b32 v56, s7, 11
	v_cmp_gt_i32_e64 s7, 4, v17
	v_cmp_gt_u32_e64 s6, 2, v0
	s_add_nc_u64 s[72:73], s[70:71], s[36:37]
	s_mov_b32 s100, 62
	s_mov_b32 s102, 0x4f800000
	s_and_b32 s92, vcc_lo, s7
	s_bfe_u32 s7, s24, 0xb0005
	s_cmp_gt_u32 s34, 31
	s_mov_b32 s101, 0
	s_cselect_b32 s94, -1, 0
	s_cmp_lt_u32 s17, s16
	s_mov_b32 s104, 0
	s_cselect_b32 s26, 12, 18
	s_add_co_i32 s8, s7, -1
	s_bfe_u32 s95, s34, 0x30005
	s_and_b32 s8, s8, 0xffff
	s_add_nc_u64 s[74:75], s[20:21], s[26:27]
	s_cmp_gt_u32 s8, 6
	s_movk_i32 s8, 0x3e0
	s_cselect_b32 s96, -1, 0
	s_and_b32 s97, s7, 0x7f8
	v_and_or_b32 v40, v0, s8, 0xc00
	s_cmp_lg_u32 s95, 0
                                        ; implicit-def: $sgpr103
                                        ; implicit-def: $sgpr67
                                        ; implicit-def: $sgpr66
                                        ; implicit-def: $sgpr68
                                        ; implicit-def: $vcc_hi
                                        ; implicit-def: $sgpr50
                                        ; implicit-def: $sgpr51
                                        ; implicit-def: $sgpr69
                                        ; implicit-def: $sgpr49
                                        ; implicit-def: $sgpr48
	s_cselect_b32 s98, -1, 0
	s_lshl_b32 s99, s34, 3
	s_and_b64 s[76:77], s[36:37], 0xffffffff00000000
	s_branch .LBB162_18
.LBB162_16:                             ;   in Loop: Header=BB162_18 Depth=1
	s_or_b32 exec_lo, exec_lo, s10
	v_mov_b64_e32 v[30:31], v[32:33]
	s_and_not1_b32 s10, s48, exec_lo
	s_and_b32 s9, s9, exec_lo
	s_and_not1_b32 s49, s49, exec_lo
	s_or_b32 s48, s10, s9
	s_and_not1_b32 s69, s69, exec_lo
	s_and_not1_b32 s51, s51, exec_lo
	;; [unrolled: 1-line block ×3, first 2 shown]
	s_or_not1_b32 s8, s8, exec_lo
.LBB162_17:                             ;   in Loop: Header=BB162_18 Depth=1
	s_or_b32 exec_lo, exec_lo, s7
	s_delay_alu instid0(SALU_CYCLE_1) | instskip(NEXT) | instid1(SALU_CYCLE_1)
	s_and_b32 s7, exec_lo, s8
	s_or_b32 s101, s7, s101
	s_and_not1_b32 s7, vcc_hi, exec_lo
	s_and_b32 s8, s48, exec_lo
	s_and_not1_b32 s9, s68, exec_lo
	s_or_b32 vcc_hi, s7, s8
	s_and_b32 s7, s49, exec_lo
	s_and_not1_b32 s8, s66, exec_lo
	s_and_b32 s10, s69, exec_lo
	s_or_b32 s68, s9, s7
	s_or_b32 s66, s8, s10
	s_and_not1_b32 s7, s67, exec_lo
	s_and_b32 s8, s51, exec_lo
	s_and_not1_b32 s9, s103, exec_lo
	s_and_b32 s10, s50, exec_lo
	s_or_b32 s67, s7, s8
	s_or_b32 s103, s9, s10
	s_and_not1_b32 exec_lo, exec_lo, s101
	s_cbranch_execz .LBB162_475
.LBB162_18:                             ; =>This Loop Header: Depth=1
                                        ;     Child Loop BB162_24 Depth 2
                                        ;     Child Loop BB162_37 Depth 2
	;; [unrolled: 1-line block ×24, first 2 shown]
	ds_load_b128 v[8:11], v21 offset:5120
	s_wait_dscnt 0x0
	v_readfirstlane_b32 s79, v9
	v_readfirstlane_b32 s78, v8
	s_cmp_lg_u64 s[78:79], 0
	s_cbranch_scc1 .LBB162_45
; %bb.19:                               ;   in Loop: Header=BB162_18 Depth=1
	s_and_b32 vcc_lo, exec_lo, s33
	s_cbranch_vccz .LBB162_32
; %bb.20:                               ;   in Loop: Header=BB162_18 Depth=1
	v_cmp_gt_u64_e32 vcc_lo, 0x181, v[10:11]
	s_mov_b32 s9, 0
	s_mov_b32 s7, 0
	s_cbranch_vccz .LBB162_33
; %bb.21:                               ;   in Loop: Header=BB162_18 Depth=1
	s_and_saveexec_b32 s10, s3
	s_cbranch_execz .LBB162_99
; %bb.22:                               ;   in Loop: Header=BB162_18 Depth=1
	global_load_u16 v3, v21, s[74:75]
	global_load_b64 v[4:5], v[18:19], off
	v_mov_b64_e32 v[8:9], v[0:1]
	s_mov_b32 s11, 0
	s_wait_loadcnt 0x1
	v_and_b32_e32 v20, 0xffff, v3
	s_branch .LBB162_24
.LBB162_23:                             ;   in Loop: Header=BB162_24 Depth=2
	s_or_b32 exec_lo, exec_lo, s8
	v_mov_b64_e32 v[4:5], v[10:11]
	s_and_not1_b32 exec_lo, exec_lo, s11
	s_cbranch_execz .LBB162_99
.LBB162_24:                             ;   Parent Loop BB162_18 Depth=1
                                        ; =>  This Inner Loop Header: Depth=2
	s_delay_alu instid0(VALU_DEP_1) | instskip(SKIP_2) | instid1(VALU_DEP_2)
	v_add_nc_u64_e32 v[8:9], v[8:9], v[20:21]
	v_mov_b64_e32 v[10:11], 0
	s_mov_b32 s8, exec_lo
	v_cmp_le_u64_e32 vcc_lo, s[36:37], v[8:9]
	s_wait_xcnt 0x0
	v_cmpx_gt_u64_e64 s[36:37], v[8:9]
	s_cbranch_execz .LBB162_26
; %bb.25:                               ;   in Loop: Header=BB162_24 Depth=2
	v_mul_u64_e32 v[10:11], s[30:31], v[8:9]
	s_delay_alu instid0(VALU_DEP_1)
	v_lshl_add_u64 v[10:11], v[10:11], 3, s[28:29]
	global_load_b64 v[10:11], v[10:11], off
.LBB162_26:                             ;   in Loop: Header=BB162_24 Depth=2
	s_wait_xcnt 0x0
	s_or_b32 exec_lo, exec_lo, s8
	s_wait_loadcnt_dscnt 0x0
	v_xor_b32_e32 v3, 0x80000000, v5
	v_and_b32_e32 v12, v4, v28
	s_delay_alu instid0(VALU_DEP_2) | instskip(NEXT) | instid1(VALU_DEP_1)
	v_dual_mov_b32 v3, 0 :: v_dual_bitop2_b32 v13, v3, v29 bitop3:0x40
	v_cmp_eq_u64_e64 s7, v[12:13], v[24:25]
	s_cmp_lg_u32 s7, 0
	s_cselect_b32 s8, -1, 0
	s_delay_alu instid0(SALU_CYCLE_1) | instskip(NEXT) | instid1(SALU_CYCLE_1)
	s_and_b32 s8, s2, s8
	s_and_saveexec_b32 s12, s8
	s_cbranch_execz .LBB162_30
; %bb.27:                               ;   in Loop: Header=BB162_24 Depth=2
	s_mov_b32 s15, exec_lo
	s_bcnt1_i32_b32 s13, s7
	v_mbcnt_lo_u32_b32 v3, s15, 0
	s_mov_b32 s14, exec_lo
                                        ; implicit-def: $vgpr12
	s_delay_alu instid0(VALU_DEP_1)
	v_cmpx_eq_u32_e32 0, v3
; %bb.28:                               ;   in Loop: Header=BB162_24 Depth=2
	s_bcnt1_i32_b32 s8, s15
	s_delay_alu instid0(SALU_CYCLE_1) | instskip(NEXT) | instid1(SALU_CYCLE_1)
	s_mul_i32 s8, s13, s8
	v_mov_b32_e32 v12, s8
	ds_add_rtn_u32 v12, v21, v12 offset:5144
; %bb.29:                               ;   in Loop: Header=BB162_24 Depth=2
	s_or_b32 exec_lo, exec_lo, s14
	s_wait_dscnt 0x0
	v_readfirstlane_b32 s8, v12
	s_delay_alu instid0(VALU_DEP_1)
	v_mad_u32_u24 v3, s13, v3, s8
.LBB162_30:                             ;   in Loop: Header=BB162_24 Depth=2
	s_or_b32 exec_lo, exec_lo, s12
	ds_bpermute_b32 v3, v21, v3
	s_and_b32 s8, exec_lo, vcc_lo
	s_delay_alu instid0(SALU_CYCLE_1)
	s_or_b32 s11, s8, s11
	s_and_saveexec_b32 s8, s7
	s_cbranch_execz .LBB162_23
; %bb.31:                               ;   in Loop: Header=BB162_24 Depth=2
	v_and_b32_e32 v12, s7, v16
	s_delay_alu instid0(VALU_DEP_1) | instskip(NEXT) | instid1(VALU_DEP_1)
	v_bcnt_u32_b32 v12, v12, 0
	v_lshlrev_b32_e32 v12, 3, v12
	s_wait_dscnt 0x0
	s_delay_alu instid0(VALU_DEP_1)
	v_lshl_add_u32 v3, v3, 3, v12
	ds_store_b64 v3, v[4:5]
	s_branch .LBB162_23
.LBB162_32:                             ;   in Loop: Header=BB162_18 Depth=1
	s_mov_b32 s9, -1
	s_mov_b32 s7, 0
.LBB162_33:                             ;   in Loop: Header=BB162_18 Depth=1
	s_and_b32 vcc_lo, exec_lo, s9
	s_cbranch_vccz .LBB162_43
.LBB162_34:                             ;   in Loop: Header=BB162_18 Depth=1
	s_and_saveexec_b32 s7, s3
	s_cbranch_execz .LBB162_40
; %bb.35:                               ;   in Loop: Header=BB162_18 Depth=1
	global_load_u16 v3, v21, s[74:75]
	global_load_b64 v[4:5], v[18:19], off
	s_mov_b32 s8, exec_lo
	s_wait_loadcnt 0x1
	v_and_b32_e32 v8, 0xffff, v3
	v_mov_b32_e32 v3, v0
	s_delay_alu instid0(VALU_DEP_2) | instskip(SKIP_1) | instid1(VALU_DEP_1)
	v_add_nc_u32_e32 v20, v8, v0
	s_wait_xcnt 0x0
	v_cmpx_gt_u64_e64 s[36:37], v[20:21]
	s_cbranch_execz .LBB162_39
; %bb.36:                               ;   in Loop: Header=BB162_18 Depth=1
	v_mov_b64_e32 v[10:11], v[20:21]
	v_mov_b64_e32 v[14:15], v[0:1]
	v_mov_b32_e32 v9, v21
	s_mov_b32 s9, 0
.LBB162_37:                             ;   Parent Loop BB162_18 Depth=1
                                        ; =>  This Inner Loop Header: Depth=2
	s_delay_alu instid0(VALU_DEP_3) | instskip(NEXT) | instid1(VALU_DEP_3)
	v_mov_b64_e32 v[32:33], v[10:11]
	v_lshlrev_b32_e32 v3, 3, v14
	s_wait_loadcnt 0x0
	ds_store_b64 v3, v[4:5]
	v_mul_u64_e32 v[10:11], s[30:31], v[32:33]
	v_mov_b64_e32 v[14:15], v[32:33]
	s_delay_alu instid0(VALU_DEP_2) | instskip(SKIP_3) | instid1(VALU_DEP_1)
	v_lshl_add_u64 v[10:11], v[10:11], 3, s[28:29]
	global_load_b64 v[12:13], v[10:11], off
	s_wait_xcnt 0x0
	v_add_nc_u64_e32 v[10:11], v[32:33], v[8:9]
	v_cmp_le_u64_e32 vcc_lo, s[36:37], v[10:11]
	s_or_b32 s9, vcc_lo, s9
	s_wait_loadcnt 0x0
	v_mov_b64_e32 v[4:5], v[12:13]
	s_and_not1_b32 exec_lo, exec_lo, s9
	s_cbranch_execnz .LBB162_37
; %bb.38:                               ;   in Loop: Header=BB162_18 Depth=1
	s_or_b32 exec_lo, exec_lo, s9
	v_mov_b64_e32 v[4:5], v[12:13]
	v_sub_nc_u32_e32 v3, v10, v8
.LBB162_39:                             ;   in Loop: Header=BB162_18 Depth=1
	s_or_b32 exec_lo, exec_lo, s8
	s_delay_alu instid0(VALU_DEP_1)
	v_lshlrev_b32_e32 v3, 3, v3
	s_wait_loadcnt 0x0
	ds_store_b64 v3, v[4:5]
.LBB162_40:                             ;   in Loop: Header=BB162_18 Depth=1
	s_or_b32 exec_lo, exec_lo, s7
	s_wait_dscnt 0x0
	s_barrier_signal -1
	s_barrier_wait -1
	s_and_saveexec_b32 s7, s5
; %bb.41:                               ;   in Loop: Header=BB162_18 Depth=1
	v_mov_b64_e32 v[4:5], s[36:37]
	ds_store_b64 v21, v[4:5] offset:5120
; %bb.42:                               ;   in Loop: Header=BB162_18 Depth=1
	s_or_b32 exec_lo, exec_lo, s7
	s_mov_b32 s7, -1
	s_wait_dscnt 0x0
	s_barrier_signal -1
	s_barrier_wait -1
.LBB162_43:                             ;   in Loop: Header=BB162_18 Depth=1
	s_and_b32 vcc_lo, exec_lo, s7
	s_mov_b64 s[78:79], 0
	s_cbranch_vccz .LBB162_45
; %bb.44:                               ;   in Loop: Header=BB162_18 Depth=1
	ds_load_b64 v[4:5], v21 offset:5120
	s_wait_dscnt 0x0
	v_readfirstlane_b32 s78, v4
	v_readfirstlane_b32 s79, v5
.LBB162_45:                             ;   in Loop: Header=BB162_18 Depth=1
	s_delay_alu instid0(VALU_DEP_2)
	s_cmp_lt_i32 s78, 1
	s_mov_b32 s7, -1
                                        ; implicit-def: $vgpr14_vgpr15
                                        ; implicit-def: $vgpr10_vgpr11
	s_cbranch_scc1 .LBB162_55
; %bb.46:                               ;   in Loop: Header=BB162_18 Depth=1
	s_and_b32 vcc_lo, exec_lo, s7
	s_cbranch_vccnz .LBB162_69
.LBB162_47:                             ;   in Loop: Header=BB162_18 Depth=1
	s_lshl_b32 s7, s104, 7
	s_and_saveexec_b32 s8, s2
	s_cbranch_execz .LBB162_49
.LBB162_48:                             ;   in Loop: Header=BB162_18 Depth=1
	v_lshl_add_u32 v3, s7, 3, v40
	ds_store_b128 v3, v[8:11]
	ds_store_b128 v3, v[12:15] offset:16
.LBB162_49:                             ;   in Loop: Header=BB162_18 Depth=1
	s_or_b32 exec_lo, exec_lo, s8
	s_wait_dscnt 0x0
	s_barrier_signal -1
	s_barrier_wait -1
	s_and_saveexec_b32 s8, s92
	s_cbranch_execz .LBB162_83
; %bb.50:                               ;   in Loop: Header=BB162_18 Depth=1
	v_mov_b64_e32 v[4:5], 0
	s_and_not1_b32 vcc_lo, exec_lo, s94
	s_cbranch_vccnz .LBB162_82
; %bb.51:                               ;   in Loop: Header=BB162_18 Depth=1
	v_mov_b64_e32 v[4:5], 0
	s_and_not1_b32 vcc_lo, exec_lo, s96
	s_cbranch_vccnz .LBB162_79
; %bb.52:                               ;   in Loop: Header=BB162_18 Depth=1
	v_lshl_add_u32 v3, s104, 10, v42
	s_mov_b32 s9, 0
.LBB162_53:                             ;   Parent Loop BB162_18 Depth=1
                                        ; =>  This Inner Loop Header: Depth=2
	ds_load_2addr_b64 v[8:11], v3 offset1:4
	ds_load_2addr_b64 v[12:15], v3 offset0:8 offset1:12
	s_add_co_i32 s9, s9, 8
	s_delay_alu instid0(SALU_CYCLE_1) | instskip(SKIP_2) | instid1(VALU_DEP_1)
	s_cmp_eq_u32 s97, s9
	s_wait_dscnt 0x1
	v_add_nc_u64_e32 v[4:5], v[8:9], v[4:5]
	v_add_nc_u64_e32 v[4:5], v[10:11], v[4:5]
	ds_load_2addr_b64 v[8:11], v3 offset0:16 offset1:20
	s_wait_dscnt 0x1
	v_add_nc_u64_e32 v[4:5], v[12:13], v[4:5]
	s_delay_alu instid0(VALU_DEP_1) | instskip(SKIP_4) | instid1(VALU_DEP_1)
	v_add_nc_u64_e32 v[4:5], v[14:15], v[4:5]
	ds_load_2addr_b64 v[12:15], v3 offset0:24 offset1:28
	v_add_nc_u32_e32 v3, 0x100, v3
	s_wait_dscnt 0x1
	v_add_nc_u64_e32 v[4:5], v[8:9], v[4:5]
	v_add_nc_u64_e32 v[4:5], v[10:11], v[4:5]
	s_wait_dscnt 0x0
	s_delay_alu instid0(VALU_DEP_1) | instskip(NEXT) | instid1(VALU_DEP_1)
	v_add_nc_u64_e32 v[4:5], v[12:13], v[4:5]
	v_add_nc_u64_e32 v[4:5], v[14:15], v[4:5]
	s_cbranch_scc0 .LBB162_53
; %bb.54:                               ;   in Loop: Header=BB162_18 Depth=1
	s_mov_b32 s9, s97
	s_and_not1_b32 vcc_lo, exec_lo, s98
	s_cbranch_vccz .LBB162_80
	s_branch .LBB162_82
.LBB162_55:                             ;   in Loop: Header=BB162_18 Depth=1
	global_load_u16 v3, v21, s[74:75]
	s_mov_b32 s23, s27
	s_wait_loadcnt 0x0
	v_readfirstlane_b32 s7, v3
	s_and_b32 s7, 0xffff, s7
	s_delay_alu instid0(SALU_CYCLE_1)
	s_lshl_b32 s22, s7, 2
	s_cmp_lg_u64 s[76:77], 0
	s_cbranch_scc0 .LBB162_78
; %bb.56:                               ;   in Loop: Header=BB162_18 Depth=1
	s_cvt_f32_u32 s7, s22
	s_sub_nc_u64 s[10:11], 0, s[22:23]
	s_delay_alu instid0(SALU_CYCLE_2) | instskip(NEXT) | instid1(SALU_CYCLE_3)
	s_fmamk_f32 s7, s102, 0x0, s7
	v_s_rcp_f32 s7, s7
	s_delay_alu instid0(TRANS32_DEP_1) | instskip(NEXT) | instid1(SALU_CYCLE_3)
	s_mul_f32 s7, s7, 0x5f7ffffc
	s_mul_f32 s8, s7, 0x2f800000
	s_delay_alu instid0(SALU_CYCLE_3) | instskip(NEXT) | instid1(SALU_CYCLE_3)
	s_trunc_f32 s8, s8
	s_fmamk_f32 s7, s8, 0xcf800000, s7
	s_cvt_u32_f32 s9, s8
	s_delay_alu instid0(SALU_CYCLE_2) | instskip(NEXT) | instid1(SALU_CYCLE_3)
	s_cvt_u32_f32 s8, s7
	s_mul_u64 s[12:13], s[10:11], s[8:9]
	s_delay_alu instid0(SALU_CYCLE_1)
	s_mul_hi_u32 s15, s8, s13
	s_mul_i32 s14, s8, s13
	s_mul_hi_u32 s26, s8, s12
	s_mul_i32 s16, s9, s12
	s_add_nc_u64 s[14:15], s[26:27], s[14:15]
	s_mul_hi_u32 s7, s9, s12
	s_mul_hi_u32 s17, s9, s13
	s_mul_i32 s12, s9, s13
	s_add_co_u32 s13, s14, s16
	s_add_co_ci_u32 s26, s15, s7
	s_add_co_ci_u32 s13, s17, 0
	s_delay_alu instid0(SALU_CYCLE_1) | instskip(NEXT) | instid1(SALU_CYCLE_1)
	s_add_nc_u64 s[12:13], s[26:27], s[12:13]
	s_add_co_u32 s8, s8, s12
	s_cselect_b32 s7, -1, 0
	s_delay_alu instid0(SALU_CYCLE_1) | instskip(SKIP_1) | instid1(SALU_CYCLE_1)
	s_cmp_lg_u32 s7, 0
	s_add_co_ci_u32 s9, s9, s13
	s_mul_u64 s[10:11], s[10:11], s[8:9]
	s_delay_alu instid0(SALU_CYCLE_1)
	s_mul_hi_u32 s13, s8, s11
	s_mul_i32 s12, s8, s11
	s_mul_hi_u32 s26, s8, s10
	s_mul_i32 s14, s9, s10
	s_add_nc_u64 s[12:13], s[26:27], s[12:13]
	s_mul_hi_u32 s7, s9, s10
	s_mul_hi_u32 s15, s9, s11
	s_mul_i32 s10, s9, s11
	s_add_co_u32 s11, s12, s14
	s_add_co_ci_u32 s26, s13, s7
	s_add_co_ci_u32 s11, s15, 0
	s_delay_alu instid0(SALU_CYCLE_1) | instskip(NEXT) | instid1(SALU_CYCLE_1)
	s_add_nc_u64 s[10:11], s[26:27], s[10:11]
	s_add_co_u32 s7, s8, s10
	s_cselect_b32 s8, -1, 0
	s_mul_hi_u32 s26, s36, s7
	s_cmp_lg_u32 s8, 0
	s_mul_hi_u32 s12, s37, s7
	s_add_co_ci_u32 s10, s9, s11
	s_mul_i32 s7, s37, s7
	s_mul_hi_u32 s9, s36, s10
	s_mul_i32 s8, s36, s10
	s_mul_hi_u32 s11, s37, s10
	s_add_nc_u64 s[8:9], s[26:27], s[8:9]
	s_mul_i32 s10, s37, s10
	s_add_co_u32 s7, s8, s7
	s_add_co_ci_u32 s26, s9, s12
	s_add_co_ci_u32 s11, s11, 0
	s_delay_alu instid0(SALU_CYCLE_1) | instskip(NEXT) | instid1(SALU_CYCLE_1)
	s_add_nc_u64 s[8:9], s[26:27], s[10:11]
	s_and_b64 s[10:11], s[8:9], 0xffffffff00000000
	s_delay_alu instid0(SALU_CYCLE_1) | instskip(NEXT) | instid1(SALU_CYCLE_1)
	s_or_b32 s10, s10, s8
	s_mul_u64 s[8:9], s[22:23], s[10:11]
	s_delay_alu instid0(SALU_CYCLE_1) | instskip(SKIP_1) | instid1(SALU_CYCLE_1)
	s_sub_co_u32 s7, s36, s8
	s_cselect_b32 s8, -1, 0
	s_cmp_lg_u32 s8, 0
	s_sub_co_ci_u32 s8, s37, s9
	s_sub_co_u32 s9, s7, s22
	s_cselect_b32 s10, -1, 0
	s_delay_alu instid0(SALU_CYCLE_1) | instskip(SKIP_3) | instid1(SALU_CYCLE_1)
	s_cmp_lg_u32 s10, 0
	s_sub_co_ci_u32 s10, s8, 0
	s_sub_co_u32 s11, s9, s22
	s_cselect_b32 s12, -1, 0
	s_cmp_lg_u32 s12, 0
	s_sub_co_ci_u32 s12, s10, 0
	s_cmp_ge_u32 s9, s22
	s_cselect_b32 s13, -1, 0
	s_cmp_eq_u32 s10, 0
	s_cselect_b32 s13, s13, -1
	s_delay_alu instid0(SALU_CYCLE_1)
	s_cmp_lg_u32 s13, 0
	s_cselect_b32 s10, s12, s10
	s_cselect_b32 s11, s11, s9
	s_cmp_ge_u32 s7, s22
	s_cselect_b32 s9, -1, 0
	s_cmp_eq_u32 s8, 0
	s_cselect_b32 s9, s9, -1
	s_delay_alu instid0(SALU_CYCLE_1)
	s_cmp_lg_u32 s9, 0
	s_cselect_b32 s9, s10, s8
	s_cselect_b32 s8, s11, s7
	s_cbranch_execnz .LBB162_58
.LBB162_57:                             ;   in Loop: Header=BB162_18 Depth=1
	v_cvt_f32_u32_e32 v4, s22
	s_sub_co_i32 s8, 0, s22
	s_delay_alu instid0(VALU_DEP_1) | instskip(SKIP_1) | instid1(TRANS32_DEP_1)
	v_rcp_iflag_f32_e32 v4, v4
	v_nop
	v_mul_f32_e32 v4, 0x4f7ffffe, v4
	s_delay_alu instid0(VALU_DEP_1) | instskip(NEXT) | instid1(VALU_DEP_1)
	v_cvt_u32_f32_e32 v4, v4
	v_readfirstlane_b32 s7, v4
	s_mul_i32 s8, s8, s7
	s_delay_alu instid0(SALU_CYCLE_1) | instskip(NEXT) | instid1(SALU_CYCLE_1)
	s_mul_hi_u32 s8, s7, s8
	s_add_co_i32 s7, s7, s8
	s_delay_alu instid0(SALU_CYCLE_1) | instskip(NEXT) | instid1(SALU_CYCLE_1)
	s_mul_hi_u32 s7, s36, s7
	s_mul_i32 s7, s7, s22
	s_delay_alu instid0(SALU_CYCLE_1) | instskip(NEXT) | instid1(SALU_CYCLE_1)
	s_sub_co_i32 s7, s36, s7
	s_sub_co_i32 s8, s7, s22
	s_cmp_ge_u32 s7, s22
	s_cselect_b32 s7, s8, s7
	s_delay_alu instid0(SALU_CYCLE_1) | instskip(SKIP_2) | instid1(SALU_CYCLE_1)
	s_sub_co_i32 s8, s7, s22
	s_cmp_ge_u32 s7, s22
	s_cselect_b32 s26, s8, s7
	s_mov_b64 s[8:9], s[26:27]
.LBB162_58:                             ;   in Loop: Header=BB162_18 Depth=1
	v_mov_b64_e32 v[8:9], 0
	v_mov_b64_e32 v[10:11], 0
	;; [unrolled: 1-line block ×4, first 2 shown]
	s_sub_nc_u64 s[24:25], s[36:37], s[8:9]
	s_mov_b32 s52, exec_lo
	v_cmpx_gt_u64_e64 s[24:25], v[22:23]
	s_cbranch_execz .LBB162_62
; %bb.59:                               ;   in Loop: Header=BB162_18 Depth=1
	v_mov_b64_e32 v[4:5], v[22:23]
	s_mov_b64 s[80:81], 0
	s_mov_b32 s53, 0
	s_mov_b64 s[82:83], 0
	s_mov_b64 s[84:85], 0
	;; [unrolled: 1-line block ×3, first 2 shown]
.LBB162_60:                             ;   Parent Loop BB162_18 Depth=1
                                        ; =>  This Inner Loop Header: Depth=2
	s_delay_alu instid0(VALU_DEP_1) | instskip(SKIP_3) | instid1(VALU_DEP_1)
	v_mul_u64_e32 v[8:9], s[30:31], v[4:5]
	s_lshl_b64 s[8:9], s[30:31], 3
	v_dual_mov_b32 v33, v21 :: v_dual_mov_b32 v35, v21
	v_add_nc_u64_e32 v[4:5], s[22:23], v[4:5]
	v_cmp_le_u64_e32 vcc_lo, s[24:25], v[4:5]
	s_delay_alu instid0(VALU_DEP_4) | instskip(NEXT) | instid1(VALU_DEP_1)
	v_lshl_add_u64 v[8:9], v[8:9], 3, s[28:29]
	v_add_nc_u64_e32 v[10:11], s[8:9], v[8:9]
	s_clause 0x1
	global_load_b64 v[14:15], v[8:9], off
	global_load_b64 v[12:13], v[10:11], off
	s_wait_xcnt 0x1
	v_add_nc_u64_e32 v[8:9], s[8:9], v[10:11]
	v_mov_b32_e32 v37, v21
	global_load_b64 v[10:11], v[8:9], off
	s_wait_xcnt 0x0
	v_add_nc_u64_e32 v[8:9], s[8:9], v[8:9]
	global_load_b64 v[8:9], v[8:9], off
	s_wait_loadcnt 0x3
	v_xor_b32_e32 v15, 0x80000000, v15
	v_and_b32_e32 v44, v14, v28
	s_wait_loadcnt 0x2
	v_xor_b32_e32 v13, 0x80000000, v13
	v_and_b32_e32 v46, v12, v28
	v_and_b32_e32 v45, v15, v29
	v_lshrrev_b64 v[14:15], s100, v[14:15]
	s_delay_alu instid0(VALU_DEP_4)
	v_and_b32_e32 v47, v13, v29
	v_lshrrev_b64 v[12:13], s100, v[12:13]
	s_wait_loadcnt 0x1
	v_xor_b32_e32 v11, 0x80000000, v11
	v_cmp_eq_u64_e64 s7, v[44:45], v[24:25]
	v_cmp_eq_u64_e64 s8, v[46:47], v[24:25]
	v_and_b32_e32 v20, 3, v14
	v_and_b32_e32 v14, v10, v28
	;; [unrolled: 1-line block ×4, first 2 shown]
	v_lshrrev_b64 v[10:11], s100, v[10:11]
	v_cmp_eq_u64_e64 s9, 0, v[20:21]
	v_cmp_eq_u64_e64 s10, 1, v[20:21]
	;; [unrolled: 1-line block ×4, first 2 shown]
	s_wait_loadcnt 0x0
	v_xor_b32_e32 v9, 0x80000000, v9
	v_cmp_eq_u64_e64 s14, 0, v[32:33]
	v_and_b32_e32 v12, v8, v28
	s_and_b32 s9, s7, s9
	v_cmp_eq_u64_e64 s13, v[14:15], v[24:25]
	v_cndmask_b32_e64 v11, 0, 1, s9
	s_and_b32 s9, s7, s10
	v_cmp_eq_u64_e64 s15, 1, v[32:33]
	v_cndmask_b32_e64 v14, 0, 1, s9
	s_and_b32 s9, s7, s11
	s_and_b32 s7, s7, s12
	v_and_b32_e32 v13, v9, v29
	v_and_b32_e32 v34, 3, v10
	v_lshrrev_b64 v[8:9], s100, v[8:9]
	v_cmp_eq_u64_e64 s16, 2, v[32:33]
	v_cndmask_b32_e64 v20, 0, 1, s7
	v_cmp_eq_u64_e64 s17, 3, v[32:33]
	v_cmp_eq_u64_e64 s18, 0, v[34:35]
	s_and_b32 s14, s8, s14
	v_cmp_ne_u32_e64 s7, 0, v11
	v_cmp_ne_u32_e64 s11, 0, v20
	v_cmp_eq_u64_e64 s19, 1, v[34:35]
	v_cndmask_b32_e64 v9, 0, 1, s14
	s_and_b32 s14, s8, s15
	v_and_b32_e32 v36, 3, v8
	v_cmp_eq_u64_e64 s20, 2, v[34:35]
	v_cndmask_b32_e64 v10, 0, 1, s14
	s_and_b32 s14, s8, s16
	v_cndmask_b32_e64 v15, 0, 1, s9
	v_cmp_eq_u64_e64 s21, 3, v[34:35]
	v_cmp_ne_u32_e64 s9, 0, v14
	v_cndmask_b32_e64 v11, 0, 1, s14
	v_cmp_eq_u64_e64 s12, v[12:13], v[24:25]
	s_and_b32 s8, s8, s17
	s_bcnt1_i32_b32 s17, s7
	s_bcnt1_i32_b32 s41, s11
	v_cmp_ne_u32_e64 s7, 0, v9
	v_cmp_eq_u64_e64 s11, 0, v[36:37]
	s_and_b32 s18, s13, s18
	v_cndmask_b32_e64 v12, 0, 1, s8
	v_cmp_ne_u32_e64 s8, 0, v10
	v_cmp_eq_u64_e64 s14, 1, v[36:37]
	v_cndmask_b32_e64 v8, 0, 1, s18
	s_and_b32 s18, s13, s19
	v_cmp_ne_u32_e64 s10, 0, v15
	s_bcnt1_i32_b32 s26, s9
	v_cmp_ne_u32_e64 s9, 0, v11
	v_cmp_eq_u64_e64 s15, 2, v[36:37]
	v_cndmask_b32_e64 v9, 0, 1, s18
	s_and_b32 s18, s13, s20
	s_and_b32 s13, s13, s21
	s_bcnt1_i32_b32 s7, s7
	v_cmp_eq_u64_e64 s16, 3, v[36:37]
	v_cndmask_b32_e64 v10, 0, 1, s18
	v_cndmask_b32_e64 v11, 0, 1, s13
	s_bcnt1_i32_b32 s8, s8
	s_add_co_i32 s13, s7, s17
	v_cmp_ne_u32_e64 s7, 0, v8
	s_and_b32 s11, s12, s11
	s_bcnt1_i32_b32 s40, s10
	v_cmp_ne_u32_e64 s10, 0, v12
	s_bcnt1_i32_b32 s9, s9
	s_add_co_i32 s17, s8, s26
	v_cmp_ne_u32_e64 s8, 0, v9
	v_cndmask_b32_e64 v8, 0, 1, s11
	s_and_b32 s11, s12, s14
	s_add_co_i32 s18, s9, s40
	v_cmp_ne_u32_e64 s9, 0, v10
	v_cndmask_b32_e64 v9, 0, 1, s11
	s_and_b32 s11, s12, s15
	s_bcnt1_i32_b32 s7, s7
	s_bcnt1_i32_b32 s10, s10
	v_cndmask_b32_e64 v10, 0, 1, s11
	s_and_b32 s11, s12, s16
	s_bcnt1_i32_b32 s8, s8
	s_add_co_i32 s12, s13, s7
	v_cmp_ne_u32_e64 s7, 0, v8
	s_add_co_i32 s19, s10, s41
	v_cmp_ne_u32_e64 s10, 0, v11
	v_cndmask_b32_e64 v11, 0, 1, s11
	s_bcnt1_i32_b32 s9, s9
	s_add_co_i32 s13, s17, s8
	v_cmp_ne_u32_e64 s8, 0, v9
	s_add_co_i32 s14, s18, s9
	v_cmp_ne_u32_e64 s9, 0, v10
	s_bcnt1_i32_b32 s7, s7
	s_bcnt1_i32_b32 s11, s10
	v_cmp_ne_u32_e64 s10, 0, v11
	s_bcnt1_i32_b32 s8, s8
	s_add_co_i32 s26, s12, s7
	s_bcnt1_i32_b32 s9, s9
	s_add_nc_u64 s[86:87], s[86:87], s[26:27]
	s_add_co_i32 s26, s13, s8
	s_add_co_i32 s11, s19, s11
	s_bcnt1_i32_b32 s10, s10
	s_add_nc_u64 s[84:85], s[84:85], s[26:27]
	s_add_co_i32 s26, s14, s9
	v_mov_b64_e32 v[8:9], s[86:87]
	s_add_nc_u64 s[82:83], s[82:83], s[26:27]
	s_add_co_i32 s26, s11, s10
	v_mov_b64_e32 v[10:11], s[84:85]
	s_add_nc_u64 s[80:81], s[80:81], s[26:27]
	v_mov_b64_e32 v[12:13], s[82:83]
	v_mov_b64_e32 v[14:15], s[80:81]
	s_or_b32 s53, vcc_lo, s53
	s_delay_alu instid0(SALU_CYCLE_1)
	s_and_not1_b32 exec_lo, exec_lo, s53
	s_cbranch_execnz .LBB162_60
; %bb.61:                               ;   in Loop: Header=BB162_18 Depth=1
	s_or_b32 exec_lo, exec_lo, s53
.LBB162_62:                             ;   in Loop: Header=BB162_18 Depth=1
	s_delay_alu instid0(SALU_CYCLE_1) | instskip(SKIP_4) | instid1(VALU_DEP_3)
	s_or_b32 exec_lo, exec_lo, s52
	v_add_nc_u64_e32 v[32:33], s[24:25], v[0:1]
	v_and_b32_e32 v4, 0xffff, v3
	v_mov_b32_e32 v5, v21
	s_mov_b32 s10, exec_lo
	v_cmpx_gt_u64_e64 s[36:37], v[32:33]
	s_cbranch_execz .LBB162_68
; %bb.63:                               ;   in Loop: Header=BB162_18 Depth=1
	v_mul_u64_e32 v[34:35], s[30:31], v[32:33]
	s_mov_b32 s11, 0
	s_delay_alu instid0(VALU_DEP_1)
	v_lshl_add_u64 v[34:35], v[34:35], 3, s[28:29]
	global_load_b64 v[36:37], v[34:35], off
	s_branch .LBB162_65
.LBB162_64:                             ;   in Loop: Header=BB162_65 Depth=2
	s_wait_xcnt 0x0
	s_or_b32 exec_lo, exec_lo, s8
	s_wait_loadcnt 0x0
	v_xor_b32_e32 v37, 0x80000000, v37
	s_and_b32 s9, exec_lo, vcc_lo
	s_delay_alu instid0(SALU_CYCLE_1) | instskip(NEXT) | instid1(VALU_DEP_1)
	s_or_b32 s11, s9, s11
	v_lshrrev_b64 v[44:45], s100, v[36:37]
	v_and_b32_e32 v36, v36, v28
	v_and_b32_e32 v37, v37, v29
	s_delay_alu instid0(VALU_DEP_1) | instskip(NEXT) | instid1(VALU_DEP_4)
	v_cmp_eq_u64_e64 s7, v[36:37], v[24:25]
	v_and_b32_e32 v20, 3, v44
	v_mov_b64_e32 v[36:37], v[34:35]
	s_delay_alu instid0(VALU_DEP_2)
	v_cmp_eq_u64_e64 s8, 0, v[20:21]
	v_cmp_eq_u64_e32 vcc_lo, 1, v[20:21]
	v_cmp_eq_u64_e64 s9, 2, v[20:21]
	s_and_b32 s8, s7, s8
	s_and_b32 s12, s7, vcc_lo
	v_cndmask_b32_e64 v3, 0, 1, s8
	v_cmp_eq_u64_e64 s8, 3, v[20:21]
	v_cndmask_b32_e64 v20, 0, 1, s12
	s_and_b32 s9, s7, s9
	v_cmp_ne_u32_e32 vcc_lo, 0, v3
	v_cndmask_b32_e64 v3, 0, 1, s9
	s_delay_alu instid0(VALU_DEP_3) | instskip(SKIP_1) | instid1(SALU_CYCLE_1)
	v_cmp_ne_u32_e64 s9, 0, v20
	s_and_b32 s7, s7, s8
	v_cndmask_b32_e64 v20, 0, 1, s7
	s_bcnt1_i32_b32 s26, vcc_lo
	v_cmp_ne_u32_e32 vcc_lo, 0, v3
	v_add_nc_u64_e32 v[8:9], s[26:27], v[8:9]
	s_bcnt1_i32_b32 s26, s9
	v_cmp_ne_u32_e64 s7, 0, v20
	v_add_nc_u64_e32 v[10:11], s[26:27], v[10:11]
	s_bcnt1_i32_b32 s26, vcc_lo
	s_delay_alu instid0(SALU_CYCLE_1) | instskip(SKIP_1) | instid1(SALU_CYCLE_1)
	v_add_nc_u64_e32 v[12:13], s[26:27], v[12:13]
	s_bcnt1_i32_b32 s26, s7
	v_add_nc_u64_e32 v[14:15], s[26:27], v[14:15]
	s_and_not1_b32 exec_lo, exec_lo, s11
	s_cbranch_execz .LBB162_67
.LBB162_65:                             ;   Parent Loop BB162_18 Depth=1
                                        ; =>  This Inner Loop Header: Depth=2
	v_add_nc_u64_e32 v[32:33], v[32:33], v[4:5]
	s_wait_xcnt 0x0
	v_mov_b64_e32 v[34:35], 0
	s_mov_b32 s8, exec_lo
	s_delay_alu instid0(VALU_DEP_2)
	v_cmp_le_u64_e32 vcc_lo, s[36:37], v[32:33]
	v_cmpx_gt_u64_e64 s[36:37], v[32:33]
	s_cbranch_execz .LBB162_64
; %bb.66:                               ;   in Loop: Header=BB162_65 Depth=2
	v_mul_u64_e32 v[34:35], s[30:31], v[32:33]
	s_delay_alu instid0(VALU_DEP_1)
	v_lshl_add_u64 v[34:35], v[34:35], 3, s[28:29]
	global_load_b64 v[34:35], v[34:35], off
	s_branch .LBB162_64
.LBB162_67:                             ;   in Loop: Header=BB162_18 Depth=1
	s_or_b32 exec_lo, exec_lo, s11
.LBB162_68:                             ;   in Loop: Header=BB162_18 Depth=1
	s_delay_alu instid0(SALU_CYCLE_1)
	s_or_b32 exec_lo, exec_lo, s10
	s_branch .LBB162_47
.LBB162_69:                             ;   in Loop: Header=BB162_18 Depth=1
	global_load_u16 v3, v21, s[74:75]
	v_mov_b32_e32 v5, v21
	s_mov_b32 s83, s27
	v_mov_b64_e32 v[10:11], 0
	v_mov_b64_e32 v[12:13], 0
	;; [unrolled: 1-line block ×3, first 2 shown]
	s_mov_b32 s53, exec_lo
	s_wait_loadcnt 0x0
	v_readfirstlane_b32 s7, v3
	s_and_b32 s52, 0xffff, s7
	s_delay_alu instid0(SALU_CYCLE_1) | instskip(NEXT) | instid1(SALU_CYCLE_1)
	s_lshl_b32 s80, s52, 2
	s_cvt_f32_u32 s7, s80
	s_sub_co_i32 s8, 0, s80
	s_delay_alu instid0(SALU_CYCLE_2) | instskip(SKIP_1) | instid1(TRANS32_DEP_1)
	v_rcp_iflag_f32_e32 v4, s7
	v_nop
	v_readfirstlane_b32 s7, v4
	v_and_b32_e32 v4, 0xffff, v3
	s_mul_f32 s7, s7, 0x4f7ffffe
	s_delay_alu instid0(SALU_CYCLE_3) | instskip(NEXT) | instid1(SALU_CYCLE_3)
	s_cvt_u32_f32 s7, s7
	s_mul_i32 s8, s8, s7
	s_delay_alu instid0(SALU_CYCLE_1) | instskip(NEXT) | instid1(SALU_CYCLE_1)
	s_mul_hi_u32 s8, s7, s8
	s_add_co_i32 s7, s7, s8
	s_delay_alu instid0(SALU_CYCLE_1) | instskip(NEXT) | instid1(SALU_CYCLE_1)
	s_mul_hi_u32 s7, s78, s7
	s_mul_i32 s8, s7, s80
	s_add_co_i32 s9, s7, 1
	s_sub_co_i32 s8, s78, s8
	s_delay_alu instid0(SALU_CYCLE_1)
	s_sub_co_i32 s10, s8, s80
	s_cmp_ge_u32 s8, s80
	s_cselect_b32 s7, s9, s7
	s_cselect_b32 s8, s10, s8
	s_add_co_i32 s9, s7, 1
	s_cmp_ge_u32 s8, s80
	s_cselect_b32 s82, s9, s7
	s_delay_alu instid0(SALU_CYCLE_1) | instskip(NEXT) | instid1(VALU_DEP_1)
	v_mul_u64_e32 v[8:9], s[82:83], v[4:5]
	v_lshlrev_b64_e32 v[32:33], 2, v[8:9]
	v_mov_b64_e32 v[8:9], 0
	s_delay_alu instid0(VALU_DEP_2)
	v_cmpx_gt_u64_e64 v[32:33], v[22:23]
	s_cbranch_execz .LBB162_73
; %bb.70:                               ;   in Loop: Header=BB162_18 Depth=1
	v_mov_b64_e32 v[34:35], v[22:23]
	v_mov_b32_e32 v3, v41
	s_mov_b32 s81, s27
	s_lshl_b32 s54, s52, 5
	s_mov_b64 s[84:85], 0
	s_mov_b32 s55, 0
	s_mov_b64 s[86:87], 0
	s_mov_b64 s[88:89], 0
	;; [unrolled: 1-line block ×3, first 2 shown]
.LBB162_71:                             ;   Parent Loop BB162_18 Depth=1
                                        ; =>  This Inner Loop Header: Depth=2
	ds_load_b128 v[12:15], v3
	ds_load_b128 v[8:11], v3 offset:16
	v_dual_mov_b32 v37, v21 :: v_dual_mov_b32 v45, v21
	v_dual_mov_b32 v47, v21 :: v_dual_add_nc_u32 v3, s54, v3
	v_add_nc_u64_e32 v[34:35], s[80:81], v[34:35]
	s_delay_alu instid0(VALU_DEP_1)
	v_cmp_ge_u64_e32 vcc_lo, v[34:35], v[32:33]
	s_wait_dscnt 0x1
	v_xor_b32_e32 v13, 0x80000000, v13
	v_xor_b32_e32 v15, 0x80000000, v15
	s_wait_dscnt 0x0
	v_xor_b32_e32 v9, 0x80000000, v9
	v_and_b32_e32 v48, v12, v28
	v_xor_b32_e32 v11, 0x80000000, v11
	v_and_b32_e32 v49, v13, v29
	v_lshrrev_b64 v[12:13], s100, v[12:13]
	v_and_b32_e32 v50, v14, v28
	v_and_b32_e32 v51, v15, v29
	v_lshrrev_b64 v[14:15], s100, v[14:15]
	v_and_b32_e32 v52, v8, v28
	;; [unrolled: 3-line block ×4, first 2 shown]
	v_and_b32_e32 v36, 3, v14
	v_cmp_eq_u64_e64 s7, v[48:49], v[24:25]
	v_and_b32_e32 v44, 3, v8
	v_cmp_eq_u64_e64 s8, v[50:51], v[24:25]
	v_cmp_eq_u64_e64 s11, 0, v[20:21]
	v_and_b32_e32 v46, 3, v10
	v_cmp_eq_u64_e64 s12, 0, v[36:37]
	v_cmp_eq_u64_e64 s9, v[52:53], v[24:25]
	;; [unrolled: 1-line block ×5, first 2 shown]
	s_and_b32 s11, s7, s11
	v_cmp_eq_u64_e64 s15, 1, v[20:21]
	v_cndmask_b32_e64 v8, 0, 1, s11
	s_and_b32 s11, s8, s12
	v_cmp_eq_u64_e64 s16, 1, v[36:37]
	v_cndmask_b32_e64 v9, 0, 1, s11
	;; [unrolled: 3-line block ×4, first 2 shown]
	s_and_b32 s11, s7, s15
	v_cmp_eq_u64_e64 s19, 2, v[20:21]
	v_cmp_eq_u64_e64 s23, 3, v[20:21]
	v_cndmask_b32_e64 v12, 0, 1, s11
	s_and_b32 s11, s8, s16
	v_cmp_eq_u64_e64 s24, 3, v[36:37]
	v_cndmask_b32_e64 v13, 0, 1, s11
	s_and_b32 s11, s9, s17
	v_cmp_eq_u64_e64 s20, 2, v[36:37]
	v_cmp_eq_u64_e64 s25, 3, v[44:45]
	v_cndmask_b32_e64 v14, 0, 1, s11
	s_and_b32 s11, s10, s18
	v_cmp_eq_u64_e64 s21, 2, v[44:45]
	v_cmp_eq_u64_e64 s26, 3, v[46:47]
	v_cndmask_b32_e64 v15, 0, 1, s11
	s_and_b32 s11, s7, s19
	s_and_b32 s7, s7, s23
	v_cmp_eq_u64_e64 s22, 2, v[46:47]
	v_cndmask_b32_e64 v44, 0, 1, s7
	s_and_b32 s7, s8, s24
	v_cndmask_b32_e64 v20, 0, 1, s11
	s_and_b32 s11, s8, s20
	;; [unrolled: 2-line block ×6, first 2 shown]
	v_cndmask_b32_e64 v47, 0, 1, s7
	v_cmp_ne_u32_e64 s7, 0, v8
	v_cmp_ne_u32_e64 s8, 0, v9
	v_cndmask_b32_e64 v43, 0, 1, s11
	v_cmp_ne_u32_e64 s9, 0, v10
	v_cmp_ne_u32_e64 s11, 0, v12
	;; [unrolled: 1-line block ×7, first 2 shown]
	s_bcnt1_i32_b32 s7, s7
	s_bcnt1_i32_b32 s8, s8
	v_cmp_ne_u32_e64 s14, 0, v15
	v_cmp_ne_u32_e64 s17, 0, v37
	;; [unrolled: 1-line block ×4, first 2 shown]
	s_bcnt1_i32_b32 s9, s9
	s_bcnt1_i32_b32 s11, s11
	;; [unrolled: 1-line block ×3, first 2 shown]
	s_add_co_i32 s7, s8, s7
	v_cmp_ne_u32_e64 s18, 0, v43
	v_cmp_ne_u32_e64 s21, 0, v46
	s_bcnt1_i32_b32 s10, s10
	s_bcnt1_i32_b32 s13, s13
	;; [unrolled: 1-line block ×4, first 2 shown]
	s_add_co_i32 s8, s12, s11
	s_add_co_i32 s7, s7, s9
	v_cmp_ne_u32_e64 s22, 0, v47
	s_bcnt1_i32_b32 s14, s14
	s_bcnt1_i32_b32 s17, s17
	;; [unrolled: 1-line block ×4, first 2 shown]
	s_add_co_i32 s11, s16, s15
	s_add_co_i32 s8, s8, s13
	;; [unrolled: 1-line block ×3, first 2 shown]
	s_bcnt1_i32_b32 s18, s18
	s_bcnt1_i32_b32 s21, s21
	s_add_co_i32 s12, s20, s19
	s_add_co_i32 s9, s11, s17
	s_add_nc_u64 s[90:91], s[90:91], s[26:27]
	s_add_co_i32 s26, s8, s14
	s_bcnt1_i32_b32 s22, s22
	s_add_co_i32 s11, s12, s21
	s_add_nc_u64 s[88:89], s[88:89], s[26:27]
	s_add_co_i32 s26, s9, s18
	v_mov_b64_e32 v[8:9], s[90:91]
	s_add_nc_u64 s[86:87], s[86:87], s[26:27]
	s_add_co_i32 s26, s11, s22
	v_mov_b64_e32 v[10:11], s[88:89]
	s_add_nc_u64 s[84:85], s[84:85], s[26:27]
	v_mov_b64_e32 v[12:13], s[86:87]
	v_mov_b64_e32 v[14:15], s[84:85]
	s_or_b32 s55, vcc_lo, s55
	s_delay_alu instid0(SALU_CYCLE_1)
	s_and_not1_b32 exec_lo, exec_lo, s55
	s_cbranch_execnz .LBB162_71
; %bb.72:                               ;   in Loop: Header=BB162_18 Depth=1
	s_or_b32 exec_lo, exec_lo, s55
.LBB162_73:                             ;   in Loop: Header=BB162_18 Depth=1
	s_delay_alu instid0(SALU_CYCLE_1) | instskip(SKIP_3) | instid1(VALU_DEP_1)
	s_or_b32 exec_lo, exec_lo, s53
	v_add_nc_u64_e32 v[32:33], v[32:33], v[0:1]
	s_and_b64 s[12:13], s[78:79], 0x7fffffff
	s_mov_b32 s14, exec_lo
	v_cmpx_gt_u64_e64 s[12:13], v[32:33]
	s_cbranch_execz .LBB162_77
; %bb.74:                               ;   in Loop: Header=BB162_18 Depth=1
	s_mul_i32 s7, s82, s52
	s_lshl_b32 s16, s52, 3
	v_lshl_add_u32 v3, s7, 5, v38
	s_mov_b32 s15, 0
.LBB162_75:                             ;   Parent Loop BB162_18 Depth=1
                                        ; =>  This Inner Loop Header: Depth=2
	ds_load_b64 v[34:35], v3
	v_add_nc_u64_e32 v[32:33], v[32:33], v[4:5]
	v_add_nc_u32_e32 v3, s16, v3
	s_delay_alu instid0(VALU_DEP_2) | instskip(SKIP_3) | instid1(VALU_DEP_2)
	v_cmp_le_u64_e32 vcc_lo, s[12:13], v[32:33]
	s_wait_dscnt 0x0
	v_xor_b32_e32 v35, 0x80000000, v35
	v_and_b32_e32 v36, v34, v28
	v_lshrrev_b64 v[44:45], s100, v[34:35]
	v_and_b32_e32 v37, v35, v29
	s_delay_alu instid0(VALU_DEP_1) | instskip(NEXT) | instid1(VALU_DEP_3)
	v_cmp_eq_u64_e64 s7, v[36:37], v[24:25]
	v_and_b32_e32 v20, 3, v44
	s_delay_alu instid0(VALU_DEP_1) | instskip(SKIP_4) | instid1(SALU_CYCLE_1)
	v_cmp_eq_u64_e64 s8, 0, v[20:21]
	v_cmp_eq_u64_e64 s9, 1, v[20:21]
	v_cmp_eq_u64_e64 s10, 2, v[20:21]
	v_cmp_eq_u64_e64 s11, 3, v[20:21]
	s_and_b32 s8, s7, s8
	v_cndmask_b32_e64 v20, 0, 1, s8
	s_and_b32 s8, s7, s9
	s_delay_alu instid0(SALU_CYCLE_1)
	v_cndmask_b32_e64 v34, 0, 1, s8
	s_and_b32 s8, s7, s10
	s_and_b32 s7, s7, s11
	v_cndmask_b32_e64 v35, 0, 1, s8
	v_cndmask_b32_e64 v36, 0, 1, s7
	v_cmp_ne_u32_e64 s7, 0, v20
	v_cmp_ne_u32_e64 s8, 0, v34
	s_delay_alu instid0(VALU_DEP_4) | instskip(NEXT) | instid1(VALU_DEP_4)
	v_cmp_ne_u32_e64 s9, 0, v35
	v_cmp_ne_u32_e64 s10, 0, v36
	s_bcnt1_i32_b32 s26, s7
	s_delay_alu instid0(SALU_CYCLE_1) | instskip(SKIP_1) | instid1(SALU_CYCLE_1)
	v_add_nc_u64_e32 v[8:9], s[26:27], v[8:9]
	s_bcnt1_i32_b32 s26, s8
	v_add_nc_u64_e32 v[10:11], s[26:27], v[10:11]
	s_bcnt1_i32_b32 s26, s9
	s_delay_alu instid0(SALU_CYCLE_1)
	v_add_nc_u64_e32 v[12:13], s[26:27], v[12:13]
	s_bcnt1_i32_b32 s26, s10
	s_or_b32 s15, vcc_lo, s15
	v_add_nc_u64_e32 v[14:15], s[26:27], v[14:15]
	s_and_not1_b32 exec_lo, exec_lo, s15
	s_cbranch_execnz .LBB162_75
; %bb.76:                               ;   in Loop: Header=BB162_18 Depth=1
	s_or_b32 exec_lo, exec_lo, s15
.LBB162_77:                             ;   in Loop: Header=BB162_18 Depth=1
	s_delay_alu instid0(SALU_CYCLE_1)
	s_or_b32 exec_lo, exec_lo, s14
	s_lshl_b32 s7, s104, 7
	s_and_saveexec_b32 s8, s2
	s_cbranch_execnz .LBB162_48
	s_branch .LBB162_49
.LBB162_78:                             ;   in Loop: Header=BB162_18 Depth=1
                                        ; implicit-def: $sgpr8_sgpr9
	s_branch .LBB162_57
.LBB162_79:                             ;   in Loop: Header=BB162_18 Depth=1
	s_mov_b32 s9, 0
	s_and_not1_b32 vcc_lo, exec_lo, s98
	s_cbranch_vccnz .LBB162_82
.LBB162_80:                             ;   in Loop: Header=BB162_18 Depth=1
	s_lshl_b32 s10, s104, 10
	s_lshl_b32 s9, s9, 5
	s_delay_alu instid0(SALU_CYCLE_1)
	v_add3_u32 v3, s10, s9, v42
	s_mov_b32 s9, s95
.LBB162_81:                             ;   Parent Loop BB162_18 Depth=1
                                        ; =>  This Inner Loop Header: Depth=2
	ds_load_b64 v[8:9], v3
	v_add_nc_u32_e32 v3, 32, v3
	s_add_co_i32 s9, s9, -1
	s_delay_alu instid0(SALU_CYCLE_1)
	s_cmp_lg_u32 s9, 0
	s_wait_dscnt 0x0
	v_add_nc_u64_e32 v[4:5], v[8:9], v[4:5]
	s_cbranch_scc1 .LBB162_81
.LBB162_82:                             ;   in Loop: Header=BB162_18 Depth=1
	v_add_lshl_u32 v3, s7, v17, 3
	ds_store_b64 v3, v[4:5] offset:3072
.LBB162_83:                             ;   in Loop: Header=BB162_18 Depth=1
	s_or_b32 exec_lo, exec_lo, s8
	s_lshl_b32 s7, s7, 3
	s_wait_dscnt 0x0
	v_mov_b32_e32 v3, s7
	s_barrier_signal -1
	s_barrier_wait -1
	v_cmp_eq_u64_e64 s7, 1, v[30:31]
	ds_load_b128 v[8:11], v3 offset:3072
	ds_load_b128 v[12:15], v3 offset:3088
	s_lshl_b64 s[12:13], 3, s100
	s_mov_b32 s83, -1
	s_not_b64 s[14:15], s[12:13]
	s_mov_b32 s78, 0
	s_and_not1_b32 vcc_lo, exec_lo, s93
	s_mov_b32 s80, 0
	s_mov_b32 s79, 0
                                        ; implicit-def: $sgpr81
                                        ; implicit-def: $sgpr82
                                        ; implicit-def: $vgpr32_vgpr33
                                        ; implicit-def: $vgpr20
	s_wait_dscnt 0x1
	v_readfirstlane_b32 s11, v9
	v_readfirstlane_b32 s10, v8
	;; [unrolled: 1-line block ×4, first 2 shown]
	s_wait_dscnt 0x0
	v_readfirstlane_b32 s19, v13
	v_readfirstlane_b32 s18, v12
	;; [unrolled: 1-line block ×4, first 2 shown]
                                        ; implicit-def: $vgpr14_vgpr15
                                        ; implicit-def: $vgpr12_vgpr13
                                        ; implicit-def: $vgpr10_vgpr11
	s_cbranch_vccnz .LBB162_278
; %bb.84:                               ;   in Loop: Header=BB162_18 Depth=1
	v_mov_b64_e32 v[14:15], v[24:25]
	v_mov_b64_e32 v[12:13], v[28:29]
	;; [unrolled: 1-line block ×3, first 2 shown]
	s_cmp_eq_u64 s[10:11], 1
                                        ; implicit-def: $sgpr82
                                        ; implicit-def: $sgpr81
	s_cselect_b32 s8, -1, 0
	s_delay_alu instid0(SALU_CYCLE_1)
	s_and_b32 s85, s8, s7
	s_mov_b32 s8, -1
	s_and_saveexec_b32 s52, s85
	s_cbranch_execz .LBB162_119
; %bb.85:                               ;   in Loop: Header=BB162_18 Depth=1
	ds_load_b64 v[4:5], v21 offset:5120
	s_wait_dscnt 0x0
	s_barrier_signal -1
	s_barrier_wait -1
	v_readfirstlane_b32 s8, v4
	v_readfirstlane_b32 s9, v5
	s_and_saveexec_b32 s22, s6
; %bb.86:                               ;   in Loop: Header=BB162_18 Depth=1
	ds_store_b64 v39, v[26:27]
; %bb.87:                               ;   in Loop: Header=BB162_18 Depth=1
	s_or_b32 exec_lo, exec_lo, s22
	v_and_b32_e32 v15, s15, v25
	v_and_b32_e32 v14, s14, v24
	v_or_b32_e32 v13, s13, v29
	v_or_b32_e32 v12, s12, v28
	s_mov_b32 s81, -1
	s_mov_b32 s82, 0
	s_cmp_eq_u64 s[8:9], 0
	s_mov_b32 s24, 0
	s_mov_b32 s25, -1
	s_wait_dscnt 0x0
	s_barrier_signal -1
	s_barrier_wait -1
                                        ; implicit-def: $vgpr10_vgpr11
	s_cbranch_scc1 .LBB162_104
; %bb.88:                               ;   in Loop: Header=BB162_18 Depth=1
	s_add_nc_u64 s[22:23], s[8:9], s[70:71]
	s_delay_alu instid0(SALU_CYCLE_1) | instskip(NEXT) | instid1(SALU_CYCLE_1)
	s_and_b64 s[24:25], s[22:23], 0xffffffff00000000
	s_cmp_lg_u64 s[24:25], 0
	s_cbranch_scc0 .LBB162_145
; %bb.89:                               ;   in Loop: Header=BB162_18 Depth=1
	s_cvt_f32_u32 s24, s34
	s_sub_nc_u64 s[40:41], 0, s[34:35]
	s_delay_alu instid0(SALU_CYCLE_2) | instskip(NEXT) | instid1(SALU_CYCLE_3)
	s_fmamk_f32 s24, s102, 0x0, s24
	v_s_rcp_f32 s24, s24
	s_delay_alu instid0(TRANS32_DEP_1) | instskip(NEXT) | instid1(SALU_CYCLE_3)
	s_mul_f32 s24, s24, 0x5f7ffffc
	s_mul_f32 s25, s24, 0x2f800000
	s_delay_alu instid0(SALU_CYCLE_3) | instskip(NEXT) | instid1(SALU_CYCLE_3)
	s_trunc_f32 s25, s25
	s_fmamk_f32 s24, s25, 0xcf800000, s24
	s_cvt_u32_f32 s25, s25
	s_delay_alu instid0(SALU_CYCLE_2) | instskip(NEXT) | instid1(SALU_CYCLE_3)
	s_cvt_u32_f32 s24, s24
	s_mul_u64 s[42:43], s[40:41], s[24:25]
	s_delay_alu instid0(SALU_CYCLE_1)
	s_mul_hi_u32 s55, s24, s43
	s_mul_i32 s54, s24, s43
	s_mul_hi_u32 s26, s24, s42
	s_mul_i32 s60, s25, s42
	s_add_nc_u64 s[54:55], s[26:27], s[54:55]
	s_mul_hi_u32 s53, s25, s42
	s_mul_hi_u32 s61, s25, s43
	s_add_co_u32 s26, s54, s60
	s_add_co_ci_u32 s26, s55, s53
	s_mul_i32 s42, s25, s43
	s_add_co_ci_u32 s43, s61, 0
	s_delay_alu instid0(SALU_CYCLE_1) | instskip(NEXT) | instid1(SALU_CYCLE_1)
	s_add_nc_u64 s[42:43], s[26:27], s[42:43]
	s_add_co_u32 s24, s24, s42
	s_cselect_b32 s26, -1, 0
	s_delay_alu instid0(SALU_CYCLE_1) | instskip(SKIP_1) | instid1(SALU_CYCLE_1)
	s_cmp_lg_u32 s26, 0
	s_add_co_ci_u32 s25, s25, s43
	s_mul_u64 s[40:41], s[40:41], s[24:25]
	s_delay_alu instid0(SALU_CYCLE_1)
	s_mul_hi_u32 s43, s24, s41
	s_mul_i32 s42, s24, s41
	s_mul_hi_u32 s26, s24, s40
	s_mul_i32 s54, s25, s40
	s_add_nc_u64 s[42:43], s[26:27], s[42:43]
	s_mul_hi_u32 s53, s25, s40
	s_mul_hi_u32 s55, s25, s41
	s_add_co_u32 s26, s42, s54
	s_add_co_ci_u32 s26, s43, s53
	s_mul_i32 s40, s25, s41
	s_add_co_ci_u32 s41, s55, 0
	s_delay_alu instid0(SALU_CYCLE_1) | instskip(NEXT) | instid1(SALU_CYCLE_1)
	s_add_nc_u64 s[40:41], s[26:27], s[40:41]
	s_add_co_u32 s24, s24, s40
	s_cselect_b32 s40, -1, 0
	s_mul_hi_u32 s26, s22, s24
	s_cmp_lg_u32 s40, 0
	s_mul_hi_u32 s42, s23, s24
	s_add_co_ci_u32 s40, s25, s41
	s_mul_i32 s41, s23, s24
	s_mul_hi_u32 s25, s22, s40
	s_mul_i32 s24, s22, s40
	s_mul_hi_u32 s43, s23, s40
	s_add_nc_u64 s[24:25], s[26:27], s[24:25]
	s_mul_i32 s40, s23, s40
	s_add_co_u32 s24, s24, s41
	s_add_co_ci_u32 s26, s25, s42
	s_add_co_ci_u32 s41, s43, 0
	s_delay_alu instid0(SALU_CYCLE_1) | instskip(NEXT) | instid1(SALU_CYCLE_1)
	s_add_nc_u64 s[24:25], s[26:27], s[40:41]
	s_and_b64 s[40:41], s[24:25], 0xffffffff00000000
	s_delay_alu instid0(SALU_CYCLE_1) | instskip(NEXT) | instid1(SALU_CYCLE_1)
	s_or_b32 s40, s40, s24
	s_mul_u64 s[24:25], s[34:35], s[40:41]
	s_delay_alu instid0(SALU_CYCLE_1) | instskip(SKIP_1) | instid1(SALU_CYCLE_1)
	s_sub_co_u32 s24, s22, s24
	s_cselect_b32 s26, -1, 0
	s_cmp_lg_u32 s26, 0
	s_sub_co_ci_u32 s25, s23, s25
	s_sub_co_u32 s26, s24, s34
	s_cselect_b32 s40, -1, 0
	s_delay_alu instid0(SALU_CYCLE_1) | instskip(SKIP_3) | instid1(SALU_CYCLE_1)
	s_cmp_lg_u32 s40, 0
	s_sub_co_ci_u32 s40, s25, 0
	s_sub_co_u32 s41, s26, s34
	s_cselect_b32 s42, -1, 0
	s_cmp_lg_u32 s42, 0
	s_sub_co_ci_u32 s42, s40, 0
	s_cmp_ge_u32 s26, s34
	s_cselect_b32 s43, -1, 0
	s_cmp_eq_u32 s40, 0
	s_cselect_b32 s43, s43, -1
	s_delay_alu instid0(SALU_CYCLE_1)
	s_cmp_lg_u32 s43, 0
	s_cselect_b32 s40, s42, s40
	s_cselect_b32 s26, s41, s26
	s_cmp_ge_u32 s24, s34
	s_cselect_b32 s41, -1, 0
	s_cmp_eq_u32 s25, 0
	s_cselect_b32 s41, s41, -1
	s_delay_alu instid0(SALU_CYCLE_1)
	s_cmp_lg_u32 s41, 0
	s_cselect_b32 s25, s40, s25
	s_cselect_b32 s24, s26, s24
	s_cbranch_execnz .LBB162_91
.LBB162_90:                             ;   in Loop: Header=BB162_18 Depth=1
	v_cvt_f32_u32_e32 v3, s34
	s_sub_co_i32 s25, 0, s34
	s_delay_alu instid0(VALU_DEP_1) | instskip(SKIP_1) | instid1(TRANS32_DEP_1)
	v_rcp_iflag_f32_e32 v3, v3
	v_nop
	v_mul_f32_e32 v3, 0x4f7ffffe, v3
	s_delay_alu instid0(VALU_DEP_1) | instskip(NEXT) | instid1(VALU_DEP_1)
	v_cvt_u32_f32_e32 v3, v3
	v_readfirstlane_b32 s24, v3
	s_mul_i32 s25, s25, s24
	s_delay_alu instid0(SALU_CYCLE_1) | instskip(NEXT) | instid1(SALU_CYCLE_1)
	s_mul_hi_u32 s25, s24, s25
	s_add_co_i32 s24, s24, s25
	s_delay_alu instid0(SALU_CYCLE_1) | instskip(NEXT) | instid1(SALU_CYCLE_1)
	s_mul_hi_u32 s24, s22, s24
	s_mul_i32 s24, s24, s34
	s_delay_alu instid0(SALU_CYCLE_1) | instskip(NEXT) | instid1(SALU_CYCLE_1)
	s_sub_co_i32 s24, s22, s24
	s_sub_co_i32 s25, s24, s34
	s_cmp_ge_u32 s24, s34
	s_cselect_b32 s24, s25, s24
	s_delay_alu instid0(SALU_CYCLE_1) | instskip(SKIP_2) | instid1(SALU_CYCLE_1)
	s_sub_co_i32 s25, s24, s34
	s_cmp_ge_u32 s24, s34
	s_cselect_b32 s26, s25, s24
	s_mov_b64 s[24:25], s[26:27]
.LBB162_91:                             ;   in Loop: Header=BB162_18 Depth=1
	s_delay_alu instid0(SALU_CYCLE_1)
	s_sub_nc_u64 s[22:23], s[22:23], s[24:25]
	s_mov_b32 s25, 0
	s_mov_b32 s24, 0
	s_mov_b32 s26, exec_lo
                                        ; implicit-def: $vgpr10_vgpr11
	v_cmpx_gt_u64_e64 s[22:23], v[0:1]
	s_cbranch_execz .LBB162_103
; %bb.92:                               ;   in Loop: Header=BB162_18 Depth=1
	v_mov_b64_e32 v[32:33], v[0:1]
	v_mov_b32_e32 v20, v38
                                        ; implicit-def: $sgpr53
	s_branch .LBB162_95
.LBB162_93:                             ;   in Loop: Header=BB162_95 Depth=2
	s_or_b32 exec_lo, exec_lo, s54
	s_wait_dscnt 0x0
	s_barrier_signal -1
	s_barrier_wait -1
	ds_load_b128 v[8:11], v21 offset:3072
	s_mov_b32 s54, -1
	s_mov_b32 s55, -1
	s_wait_dscnt 0x0
	s_barrier_signal -1
	s_barrier_wait -1
	v_cmp_ne_u64_e32 vcc_lo, 0, v[8:9]
	s_cbranch_vccz .LBB162_98
.LBB162_94:                             ;   in Loop: Header=BB162_95 Depth=2
	s_and_b32 s40, exec_lo, s54
	s_delay_alu instid0(SALU_CYCLE_1) | instskip(SKIP_2) | instid1(SALU_CYCLE_1)
	s_or_b32 s24, s40, s24
	s_and_not1_b32 s40, s53, exec_lo
	s_and_b32 s41, s55, exec_lo
	s_or_b32 s53, s40, s41
	s_and_not1_b32 exec_lo, exec_lo, s24
	s_cbranch_execz .LBB162_102
.LBB162_95:                             ;   Parent Loop BB162_18 Depth=1
                                        ; =>  This Inner Loop Header: Depth=2
	s_mov_b32 s54, exec_lo
	s_delay_alu instid0(VALU_DEP_2)
	v_cmpx_gt_u64_e64 s[8:9], v[32:33]
	s_cbranch_execz .LBB162_93
; %bb.96:                               ;   in Loop: Header=BB162_95 Depth=2
	ds_load_b64 v[4:5], v20
	s_wait_dscnt 0x0
	v_xor_b32_e32 v3, 0x80000000, v5
	v_and_b32_e32 v8, v4, v12
	s_delay_alu instid0(VALU_DEP_2) | instskip(NEXT) | instid1(VALU_DEP_1)
	v_and_b32_e32 v9, v3, v13
	v_cmp_eq_u64_e32 vcc_lo, v[8:9], v[14:15]
	s_and_b32 exec_lo, exec_lo, vcc_lo
	s_cbranch_execz .LBB162_93
; %bb.97:                               ;   in Loop: Header=BB162_95 Depth=2
	v_mov_b32_e32 v3, v21
	ds_store_b128 v21, v[2:5] offset:3072
	s_branch .LBB162_93
.LBB162_98:                             ;   in Loop: Header=BB162_95 Depth=2
	v_add_nc_u64_e32 v[32:33], s[34:35], v[32:33]
	v_add_nc_u32_e32 v20, s99, v20
	s_mov_b32 s55, 0
	s_delay_alu instid0(VALU_DEP_2)
	v_cmp_le_u64_e32 vcc_lo, s[22:23], v[32:33]
	s_or_not1_b32 s54, vcc_lo, exec_lo
	s_branch .LBB162_94
.LBB162_99:                             ;   in Loop: Header=BB162_18 Depth=1
	s_or_b32 exec_lo, exec_lo, s10
	s_wait_dscnt 0x0
	s_barrier_signal -1
	s_barrier_wait -1
	s_and_saveexec_b32 s7, s5
	s_cbranch_execz .LBB162_101
; %bb.100:                              ;   in Loop: Header=BB162_18 Depth=1
	ds_load_b32 v4, v21 offset:5144
	s_wait_dscnt 0x0
	v_ashrrev_i32_e32 v5, 31, v4
	ds_store_b64 v21, v[4:5] offset:5120
.LBB162_101:                            ;   in Loop: Header=BB162_18 Depth=1
	s_or_b32 exec_lo, exec_lo, s7
	s_wait_dscnt 0x0
	s_barrier_signal -1
	s_mov_b32 s7, -1
	s_barrier_wait -1
	s_and_b32 vcc_lo, exec_lo, s9
	s_cbranch_vccnz .LBB162_34
	s_branch .LBB162_43
.LBB162_102:                            ;   in Loop: Header=BB162_18 Depth=1
	s_or_b32 exec_lo, exec_lo, s24
	s_delay_alu instid0(SALU_CYCLE_1)
	s_and_b32 s24, s53, exec_lo
.LBB162_103:                            ;   in Loop: Header=BB162_18 Depth=1
	s_or_b32 exec_lo, exec_lo, s26
.LBB162_104:                            ;   in Loop: Header=BB162_18 Depth=1
	s_delay_alu instid0(SALU_CYCLE_1)
	s_and_b32 vcc_lo, exec_lo, s25
	s_cbranch_vccz .LBB162_118
; %bb.105:                              ;   in Loop: Header=BB162_18 Depth=1
	s_and_b64 s[8:9], s[72:73], 0xffffffff00000000
	s_delay_alu instid0(SALU_CYCLE_1)
	s_cmp_lg_u64 s[8:9], 0
	s_cbranch_scc0 .LBB162_146
; %bb.106:                              ;   in Loop: Header=BB162_18 Depth=1
	s_cvt_f32_u32 s8, s34
	s_sub_nc_u64 s[22:23], 0, s[34:35]
	s_delay_alu instid0(SALU_CYCLE_2) | instskip(NEXT) | instid1(SALU_CYCLE_3)
	s_fmamk_f32 s8, s102, 0x0, s8
	v_s_rcp_f32 s8, s8
	s_delay_alu instid0(TRANS32_DEP_1) | instskip(NEXT) | instid1(SALU_CYCLE_3)
	s_mul_f32 s8, s8, 0x5f7ffffc
	s_mul_f32 s9, s8, 0x2f800000
	s_delay_alu instid0(SALU_CYCLE_3) | instskip(NEXT) | instid1(SALU_CYCLE_3)
	s_trunc_f32 s9, s9
	s_fmamk_f32 s8, s9, 0xcf800000, s8
	s_cvt_u32_f32 s9, s9
	s_delay_alu instid0(SALU_CYCLE_2) | instskip(NEXT) | instid1(SALU_CYCLE_3)
	s_cvt_u32_f32 s8, s8
	s_mul_u64 s[40:41], s[22:23], s[8:9]
	s_delay_alu instid0(SALU_CYCLE_1)
	s_mul_hi_u32 s43, s8, s41
	s_mul_i32 s42, s8, s41
	s_mul_hi_u32 s26, s8, s40
	s_mul_i32 s53, s9, s40
	s_add_nc_u64 s[42:43], s[26:27], s[42:43]
	s_mul_hi_u32 s25, s9, s40
	s_mul_hi_u32 s54, s9, s41
	s_add_co_u32 s26, s42, s53
	s_add_co_ci_u32 s26, s43, s25
	s_mul_i32 s40, s9, s41
	s_add_co_ci_u32 s41, s54, 0
	s_delay_alu instid0(SALU_CYCLE_1) | instskip(NEXT) | instid1(SALU_CYCLE_1)
	s_add_nc_u64 s[40:41], s[26:27], s[40:41]
	s_add_co_u32 s8, s8, s40
	s_cselect_b32 s25, -1, 0
	s_delay_alu instid0(SALU_CYCLE_1) | instskip(SKIP_1) | instid1(SALU_CYCLE_1)
	s_cmp_lg_u32 s25, 0
	s_add_co_ci_u32 s9, s9, s41
	s_mul_u64 s[22:23], s[22:23], s[8:9]
	s_delay_alu instid0(SALU_CYCLE_1)
	s_mul_hi_u32 s41, s8, s23
	s_mul_i32 s40, s8, s23
	s_mul_hi_u32 s26, s8, s22
	s_mul_i32 s42, s9, s22
	s_add_nc_u64 s[40:41], s[26:27], s[40:41]
	s_mul_hi_u32 s25, s9, s22
	s_mul_hi_u32 s43, s9, s23
	s_mul_i32 s22, s9, s23
	s_add_co_u32 s23, s40, s42
	s_add_co_ci_u32 s26, s41, s25
	s_add_co_ci_u32 s23, s43, 0
	s_delay_alu instid0(SALU_CYCLE_1) | instskip(NEXT) | instid1(SALU_CYCLE_1)
	s_add_nc_u64 s[22:23], s[26:27], s[22:23]
	s_add_co_u32 s8, s8, s22
	s_cselect_b32 s22, -1, 0
	s_mul_hi_u32 s26, s72, s8
	s_cmp_lg_u32 s22, 0
	s_mul_hi_u32 s25, s73, s8
	s_add_co_ci_u32 s22, s9, s23
	s_mul_i32 s23, s73, s8
	s_mul_hi_u32 s9, s72, s22
	s_mul_i32 s8, s72, s22
	s_mul_hi_u32 s40, s73, s22
	s_add_nc_u64 s[8:9], s[26:27], s[8:9]
	s_mul_i32 s22, s73, s22
	s_add_co_u32 s8, s8, s23
	s_add_co_ci_u32 s26, s9, s25
	s_add_co_ci_u32 s23, s40, 0
	s_delay_alu instid0(SALU_CYCLE_1) | instskip(NEXT) | instid1(SALU_CYCLE_1)
	s_add_nc_u64 s[8:9], s[26:27], s[22:23]
	s_and_b64 s[22:23], s[8:9], 0xffffffff00000000
	s_delay_alu instid0(SALU_CYCLE_1) | instskip(NEXT) | instid1(SALU_CYCLE_1)
	s_or_b32 s22, s22, s8
	s_mul_u64 s[8:9], s[34:35], s[22:23]
	s_delay_alu instid0(SALU_CYCLE_1) | instskip(SKIP_1) | instid1(SALU_CYCLE_1)
	s_sub_co_u32 s8, s72, s8
	s_cselect_b32 s22, -1, 0
	s_cmp_lg_u32 s22, 0
	s_sub_co_ci_u32 s9, s73, s9
	s_sub_co_u32 s22, s8, s34
	s_cselect_b32 s23, -1, 0
	s_delay_alu instid0(SALU_CYCLE_1) | instskip(SKIP_3) | instid1(SALU_CYCLE_1)
	s_cmp_lg_u32 s23, 0
	s_sub_co_ci_u32 s23, s9, 0
	s_sub_co_u32 s25, s22, s34
	s_cselect_b32 s26, -1, 0
	s_cmp_lg_u32 s26, 0
	s_sub_co_ci_u32 s26, s23, 0
	s_cmp_ge_u32 s22, s34
	s_cselect_b32 s40, -1, 0
	s_cmp_eq_u32 s23, 0
	s_cselect_b32 s40, s40, -1
	s_delay_alu instid0(SALU_CYCLE_1)
	s_cmp_lg_u32 s40, 0
	s_cselect_b32 s23, s26, s23
	s_cselect_b32 s22, s25, s22
	s_cmp_ge_u32 s8, s34
	s_cselect_b32 s25, -1, 0
	s_cmp_eq_u32 s9, 0
	s_cselect_b32 s25, s25, -1
	s_delay_alu instid0(SALU_CYCLE_1)
	s_cmp_lg_u32 s25, 0
	s_cselect_b32 s9, s23, s9
	s_cselect_b32 s8, s22, s8
	s_cbranch_execnz .LBB162_108
.LBB162_107:                            ;   in Loop: Header=BB162_18 Depth=1
	v_cvt_f32_u32_e32 v3, s34
	s_sub_co_i32 s9, 0, s34
	s_delay_alu instid0(VALU_DEP_1) | instskip(SKIP_1) | instid1(TRANS32_DEP_1)
	v_rcp_iflag_f32_e32 v3, v3
	v_nop
	v_mul_f32_e32 v3, 0x4f7ffffe, v3
	s_delay_alu instid0(VALU_DEP_1) | instskip(NEXT) | instid1(VALU_DEP_1)
	v_cvt_u32_f32_e32 v3, v3
	v_readfirstlane_b32 s8, v3
	s_mul_i32 s9, s9, s8
	s_delay_alu instid0(SALU_CYCLE_1) | instskip(NEXT) | instid1(SALU_CYCLE_1)
	s_mul_hi_u32 s9, s8, s9
	s_add_co_i32 s8, s8, s9
	s_delay_alu instid0(SALU_CYCLE_1) | instskip(NEXT) | instid1(SALU_CYCLE_1)
	s_mul_hi_u32 s8, s72, s8
	s_mul_i32 s8, s8, s34
	s_delay_alu instid0(SALU_CYCLE_1) | instskip(NEXT) | instid1(SALU_CYCLE_1)
	s_sub_co_i32 s8, s72, s8
	s_sub_co_i32 s9, s8, s34
	s_cmp_ge_u32 s8, s34
	s_cselect_b32 s8, s9, s8
	s_delay_alu instid0(SALU_CYCLE_1) | instskip(SKIP_2) | instid1(SALU_CYCLE_1)
	s_sub_co_i32 s9, s8, s34
	s_cmp_ge_u32 s8, s34
	s_cselect_b32 s26, s9, s8
	s_mov_b64 s[8:9], s[26:27]
.LBB162_108:                            ;   in Loop: Header=BB162_18 Depth=1
	s_delay_alu instid0(SALU_CYCLE_1)
	s_sub_nc_u64 s[8:9], s[72:73], s[8:9]
	s_mov_b32 s22, exec_lo
                                        ; implicit-def: $vgpr10_vgpr11
	v_nop
	v_cmpx_gt_u64_e64 s[8:9], v[0:1]
	s_cbranch_execz .LBB162_117
; %bb.109:                              ;   in Loop: Header=BB162_18 Depth=1
	v_mov_b64_e32 v[32:33], v[0:1]
	s_mov_b32 s25, 0
                                        ; implicit-def: $sgpr23
	s_branch .LBB162_112
.LBB162_110:                            ;   in Loop: Header=BB162_112 Depth=2
	s_or_b32 exec_lo, exec_lo, s26
	s_wait_dscnt 0x0
	s_barrier_signal -1
	s_barrier_wait -1
	ds_load_b128 v[8:11], v21 offset:3072
	s_mov_b32 s53, -1
	s_mov_b32 s26, -1
	s_wait_dscnt 0x0
	s_barrier_signal -1
	s_barrier_wait -1
	v_cmp_ne_u64_e32 vcc_lo, 0, v[8:9]
	s_cbranch_vccz .LBB162_115
.LBB162_111:                            ;   in Loop: Header=BB162_112 Depth=2
	s_and_b32 s40, exec_lo, s53
	s_delay_alu instid0(SALU_CYCLE_1) | instskip(SKIP_2) | instid1(SALU_CYCLE_1)
	s_or_b32 s25, s40, s25
	s_and_not1_b32 s23, s23, exec_lo
	s_and_b32 s26, s26, exec_lo
	s_or_b32 s23, s23, s26
	s_and_not1_b32 exec_lo, exec_lo, s25
	s_cbranch_execz .LBB162_116
.LBB162_112:                            ;   Parent Loop BB162_18 Depth=1
                                        ; =>  This Inner Loop Header: Depth=2
	s_mov_b32 s26, exec_lo
	s_delay_alu instid0(VALU_DEP_1)
	v_cmpx_gt_u64_e64 s[36:37], v[32:33]
	s_cbranch_execz .LBB162_110
; %bb.113:                              ;   in Loop: Header=BB162_112 Depth=2
	v_mul_u64_e32 v[4:5], s[30:31], v[32:33]
	s_delay_alu instid0(VALU_DEP_1) | instskip(SKIP_4) | instid1(VALU_DEP_2)
	v_lshl_add_u64 v[4:5], v[4:5], 3, s[28:29]
	global_load_b64 v[4:5], v[4:5], off
	s_wait_loadcnt 0x0
	v_xor_b32_e32 v3, 0x80000000, v5
	v_and_b32_e32 v8, v4, v12
	v_and_b32_e32 v9, v3, v13
	s_delay_alu instid0(VALU_DEP_1)
	v_cmp_eq_u64_e32 vcc_lo, v[8:9], v[14:15]
	s_and_b32 exec_lo, exec_lo, vcc_lo
	s_cbranch_execz .LBB162_110
; %bb.114:                              ;   in Loop: Header=BB162_112 Depth=2
	v_mov_b32_e32 v3, v21
	ds_store_b128 v21, v[2:5] offset:3072
	s_branch .LBB162_110
.LBB162_115:                            ;   in Loop: Header=BB162_112 Depth=2
	v_add_nc_u64_e32 v[32:33], s[34:35], v[32:33]
	s_mov_b32 s26, 0
	s_delay_alu instid0(VALU_DEP_1)
	v_cmp_le_u64_e32 vcc_lo, s[8:9], v[32:33]
	s_or_not1_b32 s53, vcc_lo, exec_lo
	s_branch .LBB162_111
.LBB162_116:                            ;   in Loop: Header=BB162_18 Depth=1
	s_or_b32 exec_lo, exec_lo, s25
	s_delay_alu instid0(SALU_CYCLE_1) | instskip(SKIP_1) | instid1(SALU_CYCLE_1)
	s_and_not1_b32 s8, s24, exec_lo
	s_and_b32 s9, s23, exec_lo
	s_or_b32 s24, s8, s9
.LBB162_117:                            ;   in Loop: Header=BB162_18 Depth=1
	s_or_b32 exec_lo, exec_lo, s22
	s_mov_b32 s81, 0
	s_mov_b32 s82, -1
.LBB162_118:                            ;   in Loop: Header=BB162_18 Depth=1
	s_or_not1_b32 s8, s24, exec_lo
.LBB162_119:                            ;   in Loop: Header=BB162_18 Depth=1
	s_or_b32 exec_lo, exec_lo, s52
	s_mov_b32 s83, 0
	s_mov_b32 s80, 0
	;; [unrolled: 1-line block ×3, first 2 shown]
                                        ; implicit-def: $vgpr32_vgpr33
                                        ; implicit-def: $vgpr20
	s_and_saveexec_b32 s84, s8
	s_cbranch_execz .LBB162_277
; %bb.120:                              ;   in Loop: Header=BB162_18 Depth=1
	v_mov_b64_e32 v[32:33], 1
	v_mov_b32_e32 v20, 1
	s_xor_b32 s22, s85, -1
	s_mov_b32 s9, 0
	s_and_saveexec_b32 s8, s22
	s_cbranch_execz .LBB162_129
; %bb.121:                              ;   in Loop: Header=BB162_18 Depth=1
	s_mov_b32 s9, exec_lo
	v_cmpx_ge_u64_e64 s[10:11], v[30:31]
	s_xor_b32 s9, exec_lo, s9
	s_cbranch_execz .LBB162_126
; %bb.122:                              ;   in Loop: Header=BB162_18 Depth=1
	ds_load_b64 v[4:5], v21 offset:5120
	v_and_b32_e32 v15, s15, v15
	v_and_b32_e32 v14, s14, v14
	v_or_b32_e32 v13, s13, v13
	v_or_b32_e32 v12, s12, v12
	s_wait_dscnt 0x0
	v_cmp_ne_u64_e32 vcc_lo, 0, v[4:5]
	s_cbranch_vccnz .LBB162_126
; %bb.123:                              ;   in Loop: Header=BB162_18 Depth=1
	s_and_saveexec_b32 s22, s5
; %bb.124:                              ;   in Loop: Header=BB162_18 Depth=1
	v_mov_b64_e32 v[4:5], s[10:11]
	ds_store_b64 v21, v[4:5] offset:5128
; %bb.125:                              ;   in Loop: Header=BB162_18 Depth=1
	s_or_b32 exec_lo, exec_lo, s22
	s_wait_dscnt 0x0
	s_barrier_signal -1
	s_barrier_wait -1
.LBB162_126:                            ;   in Loop: Header=BB162_18 Depth=1
	s_or_saveexec_b32 s9, s9
	v_mov_b64_e32 v[32:33], v[30:31]
	v_mov_b32_e32 v20, 8
	s_mov_b32 s22, 0
	s_xor_b32 exec_lo, exec_lo, s9
; %bb.127:                              ;   in Loop: Header=BB162_18 Depth=1
	v_sub_nc_u64_e64 v[32:33], v[30:31], s[10:11]
	v_mov_b32_e32 v20, 0
	s_mov_b32 s22, exec_lo
; %bb.128:                              ;   in Loop: Header=BB162_18 Depth=1
	s_or_b32 exec_lo, exec_lo, s9
	s_delay_alu instid0(SALU_CYCLE_1)
	s_and_b32 s9, s22, exec_lo
.LBB162_129:                            ;   in Loop: Header=BB162_18 Depth=1
	s_or_b32 exec_lo, exec_lo, s8
	s_mov_b32 s8, -1
                                        ; implicit-def: $sgpr80
                                        ; implicit-def: $sgpr85
	s_and_saveexec_b32 s22, s9
	s_delay_alu instid0(SALU_CYCLE_1)
	s_xor_b32 s79, exec_lo, s22
	s_cbranch_execz .LBB162_274
; %bb.130:                              ;   in Loop: Header=BB162_18 Depth=1
	v_cmp_eq_u64_e32 vcc_lo, 1, v[32:33]
	s_cmp_eq_u64 s[16:17], 1
                                        ; implicit-def: $sgpr85
                                        ; implicit-def: $sgpr80
	s_cselect_b32 s8, -1, 0
	s_delay_alu instid0(SALU_CYCLE_1)
	s_and_b32 s87, s8, vcc_lo
	s_mov_b32 s8, -1
	s_and_saveexec_b32 s52, s87
	s_cbranch_execz .LBB162_164
; %bb.131:                              ;   in Loop: Header=BB162_18 Depth=1
	ds_load_b64 v[4:5], v21 offset:5120
	s_wait_dscnt 0x0
	s_barrier_signal -1
	s_barrier_wait -1
	v_readfirstlane_b32 s8, v4
	v_readfirstlane_b32 s9, v5
	s_and_saveexec_b32 s22, s6
; %bb.132:                              ;   in Loop: Header=BB162_18 Depth=1
	ds_store_b64 v39, v[26:27]
; %bb.133:                              ;   in Loop: Header=BB162_18 Depth=1
	s_or_b32 exec_lo, exec_lo, s22
	v_and_b32_e32 v3, s15, v15
	v_and_b32_e32 v4, s14, v14
	s_lshl_b64 s[22:23], 1, s100
	v_or_b32_e32 v13, s13, v13
	v_or_b32_e32 v12, s12, v12
	;; [unrolled: 1-line block ×4, first 2 shown]
	s_mov_b32 s80, -1
	s_mov_b32 s85, 0
	s_cmp_eq_u64 s[8:9], 0
	s_mov_b32 s24, 0
	s_mov_b32 s25, -1
	s_wait_dscnt 0x0
	s_barrier_signal -1
	s_barrier_wait -1
                                        ; implicit-def: $vgpr10_vgpr11
	s_cbranch_scc1 .LBB162_149
; %bb.134:                              ;   in Loop: Header=BB162_18 Depth=1
	s_add_nc_u64 s[22:23], s[8:9], s[70:71]
	s_delay_alu instid0(SALU_CYCLE_1) | instskip(NEXT) | instid1(SALU_CYCLE_1)
	s_and_b64 s[24:25], s[22:23], 0xffffffff00000000
	s_cmp_lg_u64 s[24:25], 0
	s_cbranch_scc0 .LBB162_190
; %bb.135:                              ;   in Loop: Header=BB162_18 Depth=1
	s_cvt_f32_u32 s24, s34
	s_sub_nc_u64 s[54:55], 0, s[34:35]
	s_delay_alu instid0(SALU_CYCLE_2) | instskip(NEXT) | instid1(SALU_CYCLE_3)
	s_fmamk_f32 s24, s102, 0x0, s24
	v_s_rcp_f32 s24, s24
	s_delay_alu instid0(TRANS32_DEP_1) | instskip(NEXT) | instid1(SALU_CYCLE_3)
	s_mul_f32 s24, s24, 0x5f7ffffc
	s_mul_f32 s25, s24, 0x2f800000
	s_delay_alu instid0(SALU_CYCLE_3) | instskip(NEXT) | instid1(SALU_CYCLE_3)
	s_trunc_f32 s25, s25
	s_fmamk_f32 s24, s25, 0xcf800000, s24
	s_cvt_u32_f32 s25, s25
	s_delay_alu instid0(SALU_CYCLE_2) | instskip(NEXT) | instid1(SALU_CYCLE_3)
	s_cvt_u32_f32 s24, s24
	s_mul_u64 s[60:61], s[54:55], s[24:25]
	s_delay_alu instid0(SALU_CYCLE_1)
	s_mul_hi_u32 s63, s24, s61
	s_mul_i32 s62, s24, s61
	s_mul_hi_u32 s26, s24, s60
	s_mul_i32 s41, s25, s60
	s_add_nc_u64 s[62:63], s[26:27], s[62:63]
	s_mul_hi_u32 s40, s25, s60
	s_mul_hi_u32 s42, s25, s61
	s_add_co_u32 s26, s62, s41
	s_add_co_ci_u32 s26, s63, s40
	s_mul_i32 s60, s25, s61
	s_add_co_ci_u32 s61, s42, 0
	s_delay_alu instid0(SALU_CYCLE_1) | instskip(NEXT) | instid1(SALU_CYCLE_1)
	s_add_nc_u64 s[60:61], s[26:27], s[60:61]
	s_add_co_u32 s24, s24, s60
	s_cselect_b32 s26, -1, 0
	s_delay_alu instid0(SALU_CYCLE_1) | instskip(SKIP_1) | instid1(SALU_CYCLE_1)
	s_cmp_lg_u32 s26, 0
	s_add_co_ci_u32 s25, s25, s61
	s_mul_u64 s[54:55], s[54:55], s[24:25]
	s_delay_alu instid0(SALU_CYCLE_1)
	s_mul_hi_u32 s61, s24, s55
	s_mul_i32 s60, s24, s55
	s_mul_hi_u32 s26, s24, s54
	s_mul_i32 s41, s25, s54
	s_add_nc_u64 s[60:61], s[26:27], s[60:61]
	s_mul_hi_u32 s40, s25, s54
	s_mul_hi_u32 s42, s25, s55
	s_add_co_u32 s26, s60, s41
	s_add_co_ci_u32 s26, s61, s40
	s_mul_i32 s54, s25, s55
	s_add_co_ci_u32 s55, s42, 0
	s_delay_alu instid0(SALU_CYCLE_1) | instskip(NEXT) | instid1(SALU_CYCLE_1)
	s_add_nc_u64 s[54:55], s[26:27], s[54:55]
	s_add_co_u32 s24, s24, s54
	s_cselect_b32 s40, -1, 0
	s_mul_hi_u32 s26, s22, s24
	s_cmp_lg_u32 s40, 0
	s_mul_hi_u32 s40, s23, s24
	s_add_co_ci_u32 s41, s25, s55
	s_mul_i32 s42, s23, s24
	s_mul_hi_u32 s25, s22, s41
	s_mul_i32 s24, s22, s41
	s_mul_hi_u32 s43, s23, s41
	s_add_nc_u64 s[24:25], s[26:27], s[24:25]
	s_mul_i32 s54, s23, s41
	s_add_co_u32 s24, s24, s42
	s_add_co_ci_u32 s26, s25, s40
	s_add_co_ci_u32 s55, s43, 0
	s_delay_alu instid0(SALU_CYCLE_1) | instskip(NEXT) | instid1(SALU_CYCLE_1)
	s_add_nc_u64 s[24:25], s[26:27], s[54:55]
	s_and_b64 s[54:55], s[24:25], 0xffffffff00000000
	s_delay_alu instid0(SALU_CYCLE_1) | instskip(NEXT) | instid1(SALU_CYCLE_1)
	s_or_b32 s54, s54, s24
	s_mul_u64 s[24:25], s[34:35], s[54:55]
	s_delay_alu instid0(SALU_CYCLE_1) | instskip(SKIP_1) | instid1(SALU_CYCLE_1)
	s_sub_co_u32 s24, s22, s24
	s_cselect_b32 s26, -1, 0
	s_cmp_lg_u32 s26, 0
	s_sub_co_ci_u32 s25, s23, s25
	s_sub_co_u32 s26, s24, s34
	s_cselect_b32 s40, -1, 0
	s_delay_alu instid0(SALU_CYCLE_1) | instskip(SKIP_3) | instid1(SALU_CYCLE_1)
	s_cmp_lg_u32 s40, 0
	s_sub_co_ci_u32 s40, s25, 0
	s_sub_co_u32 s41, s26, s34
	s_cselect_b32 s42, -1, 0
	s_cmp_lg_u32 s42, 0
	s_sub_co_ci_u32 s42, s40, 0
	s_cmp_ge_u32 s26, s34
	s_cselect_b32 s43, -1, 0
	s_cmp_eq_u32 s40, 0
	s_cselect_b32 s43, s43, -1
	s_delay_alu instid0(SALU_CYCLE_1)
	s_cmp_lg_u32 s43, 0
	s_cselect_b32 s40, s42, s40
	s_cselect_b32 s26, s41, s26
	s_cmp_ge_u32 s24, s34
	s_cselect_b32 s41, -1, 0
	s_cmp_eq_u32 s25, 0
	s_cselect_b32 s41, s41, -1
	s_delay_alu instid0(SALU_CYCLE_1)
	s_cmp_lg_u32 s41, 0
	s_cselect_b32 s25, s40, s25
	s_cselect_b32 s24, s26, s24
	s_cbranch_execnz .LBB162_137
.LBB162_136:                            ;   in Loop: Header=BB162_18 Depth=1
	v_cvt_f32_u32_e32 v3, s34
	s_sub_co_i32 s25, 0, s34
	s_delay_alu instid0(VALU_DEP_1) | instskip(SKIP_1) | instid1(TRANS32_DEP_1)
	v_rcp_iflag_f32_e32 v3, v3
	v_nop
	v_mul_f32_e32 v3, 0x4f7ffffe, v3
	s_delay_alu instid0(VALU_DEP_1) | instskip(NEXT) | instid1(VALU_DEP_1)
	v_cvt_u32_f32_e32 v3, v3
	v_readfirstlane_b32 s24, v3
	s_mul_i32 s25, s25, s24
	s_delay_alu instid0(SALU_CYCLE_1) | instskip(NEXT) | instid1(SALU_CYCLE_1)
	s_mul_hi_u32 s25, s24, s25
	s_add_co_i32 s24, s24, s25
	s_delay_alu instid0(SALU_CYCLE_1) | instskip(NEXT) | instid1(SALU_CYCLE_1)
	s_mul_hi_u32 s24, s22, s24
	s_mul_i32 s24, s24, s34
	s_delay_alu instid0(SALU_CYCLE_1) | instskip(NEXT) | instid1(SALU_CYCLE_1)
	s_sub_co_i32 s24, s22, s24
	s_sub_co_i32 s25, s24, s34
	s_cmp_ge_u32 s24, s34
	s_cselect_b32 s24, s25, s24
	s_delay_alu instid0(SALU_CYCLE_1) | instskip(SKIP_2) | instid1(SALU_CYCLE_1)
	s_sub_co_i32 s25, s24, s34
	s_cmp_ge_u32 s24, s34
	s_cselect_b32 s26, s25, s24
	s_mov_b64 s[24:25], s[26:27]
.LBB162_137:                            ;   in Loop: Header=BB162_18 Depth=1
	s_delay_alu instid0(SALU_CYCLE_1)
	s_sub_nc_u64 s[22:23], s[22:23], s[24:25]
	s_mov_b32 s25, 0
	s_mov_b32 s24, 0
	s_mov_b32 s26, exec_lo
                                        ; implicit-def: $vgpr10_vgpr11
	v_cmpx_gt_u64_e64 s[22:23], v[0:1]
	s_cbranch_execz .LBB162_148
; %bb.138:                              ;   in Loop: Header=BB162_18 Depth=1
	v_mov_b64_e32 v[34:35], v[0:1]
	v_mov_b32_e32 v36, v38
                                        ; implicit-def: $sgpr53
	s_branch .LBB162_141
.LBB162_139:                            ;   in Loop: Header=BB162_141 Depth=2
	s_or_b32 exec_lo, exec_lo, s54
	s_wait_dscnt 0x0
	s_barrier_signal -1
	s_barrier_wait -1
	ds_load_b128 v[8:11], v21 offset:3072
	s_mov_b32 s54, -1
	s_mov_b32 s55, -1
	s_wait_dscnt 0x0
	s_barrier_signal -1
	s_barrier_wait -1
	v_cmp_ne_u64_e32 vcc_lo, 0, v[8:9]
	s_cbranch_vccz .LBB162_144
.LBB162_140:                            ;   in Loop: Header=BB162_141 Depth=2
	s_and_b32 s40, exec_lo, s54
	s_delay_alu instid0(SALU_CYCLE_1) | instskip(SKIP_2) | instid1(SALU_CYCLE_1)
	s_or_b32 s24, s40, s24
	s_and_not1_b32 s40, s53, exec_lo
	s_and_b32 s41, s55, exec_lo
	s_or_b32 s53, s40, s41
	s_and_not1_b32 exec_lo, exec_lo, s24
	s_cbranch_execz .LBB162_147
.LBB162_141:                            ;   Parent Loop BB162_18 Depth=1
                                        ; =>  This Inner Loop Header: Depth=2
	s_mov_b32 s54, exec_lo
	s_delay_alu instid0(VALU_DEP_2)
	v_cmpx_gt_u64_e64 s[8:9], v[34:35]
	s_cbranch_execz .LBB162_139
; %bb.142:                              ;   in Loop: Header=BB162_141 Depth=2
	ds_load_b64 v[4:5], v36
	s_wait_dscnt 0x0
	v_xor_b32_e32 v3, 0x80000000, v5
	v_and_b32_e32 v8, v4, v12
	s_delay_alu instid0(VALU_DEP_2) | instskip(NEXT) | instid1(VALU_DEP_1)
	v_and_b32_e32 v9, v3, v13
	v_cmp_eq_u64_e32 vcc_lo, v[8:9], v[14:15]
	s_and_b32 exec_lo, exec_lo, vcc_lo
	s_cbranch_execz .LBB162_139
; %bb.143:                              ;   in Loop: Header=BB162_141 Depth=2
	v_mov_b32_e32 v3, v21
	ds_store_b128 v21, v[2:5] offset:3072
	s_branch .LBB162_139
.LBB162_144:                            ;   in Loop: Header=BB162_141 Depth=2
	v_add_nc_u64_e32 v[34:35], s[34:35], v[34:35]
	v_add_nc_u32_e32 v36, s99, v36
	s_mov_b32 s55, 0
	s_delay_alu instid0(VALU_DEP_2)
	v_cmp_le_u64_e32 vcc_lo, s[22:23], v[34:35]
	s_or_not1_b32 s54, vcc_lo, exec_lo
	s_branch .LBB162_140
.LBB162_145:                            ;   in Loop: Header=BB162_18 Depth=1
                                        ; implicit-def: $sgpr24_sgpr25
	s_branch .LBB162_90
.LBB162_146:                            ;   in Loop: Header=BB162_18 Depth=1
                                        ; implicit-def: $sgpr8_sgpr9
	s_branch .LBB162_107
.LBB162_147:                            ;   in Loop: Header=BB162_18 Depth=1
	s_or_b32 exec_lo, exec_lo, s24
	s_delay_alu instid0(SALU_CYCLE_1)
	s_and_b32 s24, s53, exec_lo
.LBB162_148:                            ;   in Loop: Header=BB162_18 Depth=1
	s_or_b32 exec_lo, exec_lo, s26
.LBB162_149:                            ;   in Loop: Header=BB162_18 Depth=1
	s_delay_alu instid0(SALU_CYCLE_1)
	s_and_b32 vcc_lo, exec_lo, s25
	s_cbranch_vccz .LBB162_163
; %bb.150:                              ;   in Loop: Header=BB162_18 Depth=1
	s_and_b64 s[8:9], s[72:73], 0xffffffff00000000
	s_delay_alu instid0(SALU_CYCLE_1)
	s_cmp_lg_u64 s[8:9], 0
	s_cbranch_scc0 .LBB162_191
; %bb.151:                              ;   in Loop: Header=BB162_18 Depth=1
	s_cvt_f32_u32 s8, s34
	s_sub_nc_u64 s[22:23], 0, s[34:35]
	s_delay_alu instid0(SALU_CYCLE_2) | instskip(NEXT) | instid1(SALU_CYCLE_3)
	s_fmamk_f32 s8, s102, 0x0, s8
	v_s_rcp_f32 s8, s8
	s_delay_alu instid0(TRANS32_DEP_1) | instskip(NEXT) | instid1(SALU_CYCLE_3)
	s_mul_f32 s8, s8, 0x5f7ffffc
	s_mul_f32 s9, s8, 0x2f800000
	s_delay_alu instid0(SALU_CYCLE_3) | instskip(NEXT) | instid1(SALU_CYCLE_3)
	s_trunc_f32 s9, s9
	s_fmamk_f32 s8, s9, 0xcf800000, s8
	s_cvt_u32_f32 s9, s9
	s_delay_alu instid0(SALU_CYCLE_2) | instskip(NEXT) | instid1(SALU_CYCLE_3)
	s_cvt_u32_f32 s8, s8
	s_mul_u64 s[54:55], s[22:23], s[8:9]
	s_delay_alu instid0(SALU_CYCLE_1)
	s_mul_hi_u32 s61, s8, s55
	s_mul_i32 s60, s8, s55
	s_mul_hi_u32 s26, s8, s54
	s_mul_i32 s40, s9, s54
	s_add_nc_u64 s[60:61], s[26:27], s[60:61]
	s_mul_hi_u32 s25, s9, s54
	s_mul_hi_u32 s41, s9, s55
	s_add_co_u32 s26, s60, s40
	s_add_co_ci_u32 s26, s61, s25
	s_mul_i32 s54, s9, s55
	s_add_co_ci_u32 s55, s41, 0
	s_delay_alu instid0(SALU_CYCLE_1) | instskip(NEXT) | instid1(SALU_CYCLE_1)
	s_add_nc_u64 s[54:55], s[26:27], s[54:55]
	s_add_co_u32 s8, s8, s54
	s_cselect_b32 s25, -1, 0
	s_delay_alu instid0(SALU_CYCLE_1) | instskip(SKIP_1) | instid1(SALU_CYCLE_1)
	s_cmp_lg_u32 s25, 0
	s_add_co_ci_u32 s9, s9, s55
	s_mul_u64 s[22:23], s[22:23], s[8:9]
	s_delay_alu instid0(SALU_CYCLE_1)
	s_mul_hi_u32 s55, s8, s23
	s_mul_i32 s54, s8, s23
	s_mul_hi_u32 s26, s8, s22
	s_mul_i32 s40, s9, s22
	s_add_nc_u64 s[54:55], s[26:27], s[54:55]
	s_mul_hi_u32 s25, s9, s22
	s_mul_hi_u32 s41, s9, s23
	s_mul_i32 s22, s9, s23
	s_add_co_u32 s23, s54, s40
	s_add_co_ci_u32 s26, s55, s25
	s_add_co_ci_u32 s23, s41, 0
	s_delay_alu instid0(SALU_CYCLE_1) | instskip(NEXT) | instid1(SALU_CYCLE_1)
	s_add_nc_u64 s[22:23], s[26:27], s[22:23]
	s_add_co_u32 s8, s8, s22
	s_cselect_b32 s22, -1, 0
	s_mul_hi_u32 s26, s72, s8
	s_cmp_lg_u32 s22, 0
	s_mul_hi_u32 s25, s73, s8
	s_add_co_ci_u32 s22, s9, s23
	s_mul_i32 s23, s73, s8
	s_mul_hi_u32 s9, s72, s22
	s_mul_i32 s8, s72, s22
	s_mul_hi_u32 s40, s73, s22
	s_add_nc_u64 s[8:9], s[26:27], s[8:9]
	s_mul_i32 s22, s73, s22
	s_add_co_u32 s8, s8, s23
	s_add_co_ci_u32 s26, s9, s25
	s_add_co_ci_u32 s23, s40, 0
	s_delay_alu instid0(SALU_CYCLE_1) | instskip(NEXT) | instid1(SALU_CYCLE_1)
	s_add_nc_u64 s[8:9], s[26:27], s[22:23]
	s_and_b64 s[22:23], s[8:9], 0xffffffff00000000
	s_delay_alu instid0(SALU_CYCLE_1) | instskip(NEXT) | instid1(SALU_CYCLE_1)
	s_or_b32 s22, s22, s8
	s_mul_u64 s[8:9], s[34:35], s[22:23]
	s_delay_alu instid0(SALU_CYCLE_1) | instskip(SKIP_1) | instid1(SALU_CYCLE_1)
	s_sub_co_u32 s8, s72, s8
	s_cselect_b32 s22, -1, 0
	s_cmp_lg_u32 s22, 0
	s_sub_co_ci_u32 s9, s73, s9
	s_sub_co_u32 s22, s8, s34
	s_cselect_b32 s23, -1, 0
	s_delay_alu instid0(SALU_CYCLE_1) | instskip(SKIP_3) | instid1(SALU_CYCLE_1)
	s_cmp_lg_u32 s23, 0
	s_sub_co_ci_u32 s23, s9, 0
	s_sub_co_u32 s25, s22, s34
	s_cselect_b32 s26, -1, 0
	s_cmp_lg_u32 s26, 0
	s_sub_co_ci_u32 s26, s23, 0
	s_cmp_ge_u32 s22, s34
	s_cselect_b32 s40, -1, 0
	s_cmp_eq_u32 s23, 0
	s_cselect_b32 s40, s40, -1
	s_delay_alu instid0(SALU_CYCLE_1)
	s_cmp_lg_u32 s40, 0
	s_cselect_b32 s23, s26, s23
	s_cselect_b32 s22, s25, s22
	s_cmp_ge_u32 s8, s34
	s_cselect_b32 s25, -1, 0
	s_cmp_eq_u32 s9, 0
	s_cselect_b32 s25, s25, -1
	s_delay_alu instid0(SALU_CYCLE_1)
	s_cmp_lg_u32 s25, 0
	s_cselect_b32 s9, s23, s9
	s_cselect_b32 s8, s22, s8
	s_cbranch_execnz .LBB162_153
.LBB162_152:                            ;   in Loop: Header=BB162_18 Depth=1
	v_cvt_f32_u32_e32 v3, s34
	s_sub_co_i32 s9, 0, s34
	s_delay_alu instid0(VALU_DEP_1) | instskip(SKIP_1) | instid1(TRANS32_DEP_1)
	v_rcp_iflag_f32_e32 v3, v3
	v_nop
	v_mul_f32_e32 v3, 0x4f7ffffe, v3
	s_delay_alu instid0(VALU_DEP_1) | instskip(NEXT) | instid1(VALU_DEP_1)
	v_cvt_u32_f32_e32 v3, v3
	v_readfirstlane_b32 s8, v3
	s_mul_i32 s9, s9, s8
	s_delay_alu instid0(SALU_CYCLE_1) | instskip(NEXT) | instid1(SALU_CYCLE_1)
	s_mul_hi_u32 s9, s8, s9
	s_add_co_i32 s8, s8, s9
	s_delay_alu instid0(SALU_CYCLE_1) | instskip(NEXT) | instid1(SALU_CYCLE_1)
	s_mul_hi_u32 s8, s72, s8
	s_mul_i32 s8, s8, s34
	s_delay_alu instid0(SALU_CYCLE_1) | instskip(NEXT) | instid1(SALU_CYCLE_1)
	s_sub_co_i32 s8, s72, s8
	s_sub_co_i32 s9, s8, s34
	s_cmp_ge_u32 s8, s34
	s_cselect_b32 s8, s9, s8
	s_delay_alu instid0(SALU_CYCLE_1) | instskip(SKIP_2) | instid1(SALU_CYCLE_1)
	s_sub_co_i32 s9, s8, s34
	s_cmp_ge_u32 s8, s34
	s_cselect_b32 s26, s9, s8
	s_mov_b64 s[8:9], s[26:27]
.LBB162_153:                            ;   in Loop: Header=BB162_18 Depth=1
	s_delay_alu instid0(SALU_CYCLE_1)
	s_sub_nc_u64 s[8:9], s[72:73], s[8:9]
	s_mov_b32 s22, exec_lo
                                        ; implicit-def: $vgpr10_vgpr11
	v_nop
	v_cmpx_gt_u64_e64 s[8:9], v[0:1]
	s_cbranch_execz .LBB162_162
; %bb.154:                              ;   in Loop: Header=BB162_18 Depth=1
	v_mov_b64_e32 v[34:35], v[0:1]
	s_mov_b32 s23, 0
                                        ; implicit-def: $sgpr25
	s_branch .LBB162_157
.LBB162_155:                            ;   in Loop: Header=BB162_157 Depth=2
	s_or_b32 exec_lo, exec_lo, s26
	s_wait_dscnt 0x0
	s_barrier_signal -1
	s_barrier_wait -1
	ds_load_b128 v[8:11], v21 offset:3072
	s_mov_b32 s53, -1
	s_mov_b32 s26, -1
	s_wait_dscnt 0x0
	s_barrier_signal -1
	s_barrier_wait -1
	v_cmp_eq_u64_e32 vcc_lo, 0, v[8:9]
	s_cbranch_vccnz .LBB162_160
.LBB162_156:                            ;   in Loop: Header=BB162_157 Depth=2
	s_and_b32 s40, exec_lo, s53
	s_delay_alu instid0(SALU_CYCLE_1) | instskip(SKIP_2) | instid1(SALU_CYCLE_1)
	s_or_b32 s23, s40, s23
	s_and_not1_b32 s25, s25, exec_lo
	s_and_b32 s26, s26, exec_lo
	s_or_b32 s25, s25, s26
	s_and_not1_b32 exec_lo, exec_lo, s23
	s_cbranch_execz .LBB162_161
.LBB162_157:                            ;   Parent Loop BB162_18 Depth=1
                                        ; =>  This Inner Loop Header: Depth=2
	s_mov_b32 s26, exec_lo
	s_delay_alu instid0(VALU_DEP_1)
	v_cmpx_gt_u64_e64 s[36:37], v[34:35]
	s_cbranch_execz .LBB162_155
; %bb.158:                              ;   in Loop: Header=BB162_157 Depth=2
	v_mul_u64_e32 v[4:5], s[30:31], v[34:35]
	s_delay_alu instid0(VALU_DEP_1) | instskip(SKIP_4) | instid1(VALU_DEP_2)
	v_lshl_add_u64 v[4:5], v[4:5], 3, s[28:29]
	global_load_b64 v[4:5], v[4:5], off
	s_wait_loadcnt 0x0
	v_xor_b32_e32 v3, 0x80000000, v5
	v_and_b32_e32 v8, v4, v12
	v_and_b32_e32 v9, v3, v13
	s_delay_alu instid0(VALU_DEP_1)
	v_cmp_eq_u64_e32 vcc_lo, v[8:9], v[14:15]
	s_and_b32 exec_lo, exec_lo, vcc_lo
	s_cbranch_execz .LBB162_155
; %bb.159:                              ;   in Loop: Header=BB162_157 Depth=2
	v_mov_b32_e32 v3, v21
	ds_store_b128 v21, v[2:5] offset:3072
	s_branch .LBB162_155
.LBB162_160:                            ;   in Loop: Header=BB162_157 Depth=2
	v_add_nc_u64_e32 v[34:35], s[34:35], v[34:35]
	s_mov_b32 s26, 0
	s_delay_alu instid0(VALU_DEP_1)
	v_cmp_le_u64_e32 vcc_lo, s[8:9], v[34:35]
	s_or_not1_b32 s53, vcc_lo, exec_lo
	s_branch .LBB162_156
.LBB162_161:                            ;   in Loop: Header=BB162_18 Depth=1
	s_or_b32 exec_lo, exec_lo, s23
	s_delay_alu instid0(SALU_CYCLE_1) | instskip(SKIP_1) | instid1(SALU_CYCLE_1)
	s_and_not1_b32 s8, s24, exec_lo
	s_and_b32 s9, s25, exec_lo
	s_or_b32 s24, s8, s9
.LBB162_162:                            ;   in Loop: Header=BB162_18 Depth=1
	s_or_b32 exec_lo, exec_lo, s22
	s_mov_b32 s80, 0
	s_mov_b32 s85, -1
.LBB162_163:                            ;   in Loop: Header=BB162_18 Depth=1
	s_or_not1_b32 s8, s24, exec_lo
.LBB162_164:                            ;   in Loop: Header=BB162_18 Depth=1
	s_or_b32 exec_lo, exec_lo, s52
	s_mov_b32 s9, 0
	s_and_saveexec_b32 s86, s8
	s_cbranch_execz .LBB162_273
; %bb.165:                              ;   in Loop: Header=BB162_18 Depth=1
	v_mov_b64_e32 v[34:35], 1
	v_mov_b32_e32 v20, 1
	s_xor_b32 s22, s87, -1
	s_delay_alu instid0(SALU_CYCLE_1)
	s_and_saveexec_b32 s8, s22
	s_cbranch_execz .LBB162_174
; %bb.166:                              ;   in Loop: Header=BB162_18 Depth=1
	s_mov_b32 s9, exec_lo
	v_cmpx_ge_u64_e64 s[16:17], v[32:33]
	s_xor_b32 s9, exec_lo, s9
	s_cbranch_execz .LBB162_171
; %bb.167:                              ;   in Loop: Header=BB162_18 Depth=1
	ds_load_b64 v[4:5], v21 offset:5120
	v_and_b32_e32 v3, s15, v15
	v_and_b32_e32 v8, s14, v14
	s_lshl_b64 s[22:23], 1, s100
	v_or_b32_e32 v13, s13, v13
	v_or_b32_e32 v12, s12, v12
	;; [unrolled: 1-line block ×4, first 2 shown]
	s_wait_dscnt 0x0
	v_cmp_ne_u64_e32 vcc_lo, 0, v[4:5]
	s_cbranch_vccnz .LBB162_171
; %bb.168:                              ;   in Loop: Header=BB162_18 Depth=1
	s_and_saveexec_b32 s22, s5
; %bb.169:                              ;   in Loop: Header=BB162_18 Depth=1
	v_mov_b64_e32 v[4:5], s[16:17]
	ds_store_b64 v21, v[4:5] offset:5128
; %bb.170:                              ;   in Loop: Header=BB162_18 Depth=1
	s_or_b32 exec_lo, exec_lo, s22
	s_wait_dscnt 0x0
	s_barrier_signal -1
	s_barrier_wait -1
.LBB162_171:                            ;   in Loop: Header=BB162_18 Depth=1
	s_or_saveexec_b32 s9, s9
	v_mov_b32_e32 v20, 8
	s_mov_b32 s22, 0
	s_xor_b32 exec_lo, exec_lo, s9
; %bb.172:                              ;   in Loop: Header=BB162_18 Depth=1
	v_sub_nc_u64_e64 v[32:33], v[32:33], s[16:17]
	v_mov_b32_e32 v20, 0
	s_mov_b32 s22, exec_lo
; %bb.173:                              ;   in Loop: Header=BB162_18 Depth=1
	s_or_b32 exec_lo, exec_lo, s9
	s_delay_alu instid0(VALU_DEP_2)
	v_mov_b64_e32 v[34:35], v[32:33]
	s_and_b32 s9, s22, exec_lo
.LBB162_174:                            ;   in Loop: Header=BB162_18 Depth=1
	s_or_b32 exec_lo, exec_lo, s8
	s_mov_b32 s8, -1
                                        ; implicit-def: $sgpr88
                                        ; implicit-def: $sgpr89
	s_and_saveexec_b32 s87, s9
	s_cbranch_execz .LBB162_272
; %bb.175:                              ;   in Loop: Header=BB162_18 Depth=1
	s_delay_alu instid0(VALU_DEP_1) | instskip(SKIP_2) | instid1(SALU_CYCLE_1)
	v_cmp_eq_u64_e32 vcc_lo, 1, v[34:35]
	s_cmp_eq_u64 s[18:19], 1
                                        ; implicit-def: $sgpr89
                                        ; implicit-def: $sgpr88
	s_cselect_b32 s8, -1, 0
	s_and_b32 s91, s8, vcc_lo
	s_mov_b32 s8, -1
	s_and_saveexec_b32 s52, s91
	s_cbranch_execz .LBB162_209
; %bb.176:                              ;   in Loop: Header=BB162_18 Depth=1
	ds_load_b64 v[4:5], v21 offset:5120
	s_wait_dscnt 0x0
	s_barrier_signal -1
	s_barrier_wait -1
	v_readfirstlane_b32 s8, v4
	v_readfirstlane_b32 s9, v5
	s_and_saveexec_b32 s22, s6
; %bb.177:                              ;   in Loop: Header=BB162_18 Depth=1
	ds_store_b64 v39, v[26:27]
; %bb.178:                              ;   in Loop: Header=BB162_18 Depth=1
	s_or_b32 exec_lo, exec_lo, s22
	v_and_b32_e32 v3, s15, v15
	v_and_b32_e32 v4, s14, v14
	s_lshl_b64 s[22:23], 2, s100
	v_or_b32_e32 v13, s13, v13
	v_or_b32_e32 v12, s12, v12
	;; [unrolled: 1-line block ×4, first 2 shown]
	s_mov_b32 s88, -1
	s_mov_b32 s89, 0
	s_cmp_eq_u64 s[8:9], 0
	s_mov_b32 s24, 0
	s_mov_b32 s25, -1
	s_wait_dscnt 0x0
	s_barrier_signal -1
	s_barrier_wait -1
                                        ; implicit-def: $vgpr10_vgpr11
	s_cbranch_scc1 .LBB162_194
; %bb.179:                              ;   in Loop: Header=BB162_18 Depth=1
	s_add_nc_u64 s[22:23], s[8:9], s[70:71]
	s_delay_alu instid0(SALU_CYCLE_1) | instskip(NEXT) | instid1(SALU_CYCLE_1)
	s_and_b64 s[24:25], s[22:23], 0xffffffff00000000
	s_cmp_lg_u64 s[24:25], 0
	s_cbranch_scc0 .LBB162_226
; %bb.180:                              ;   in Loop: Header=BB162_18 Depth=1
	s_cvt_f32_u32 s24, s34
	s_sub_nc_u64 s[54:55], 0, s[34:35]
	s_delay_alu instid0(SALU_CYCLE_2) | instskip(NEXT) | instid1(SALU_CYCLE_3)
	s_fmamk_f32 s24, s102, 0x0, s24
	v_s_rcp_f32 s24, s24
	s_delay_alu instid0(TRANS32_DEP_1) | instskip(NEXT) | instid1(SALU_CYCLE_3)
	s_mul_f32 s24, s24, 0x5f7ffffc
	s_mul_f32 s25, s24, 0x2f800000
	s_delay_alu instid0(SALU_CYCLE_3) | instskip(NEXT) | instid1(SALU_CYCLE_3)
	s_trunc_f32 s25, s25
	s_fmamk_f32 s24, s25, 0xcf800000, s24
	s_cvt_u32_f32 s25, s25
	s_delay_alu instid0(SALU_CYCLE_2) | instskip(NEXT) | instid1(SALU_CYCLE_3)
	s_cvt_u32_f32 s24, s24
	s_mul_u64 s[60:61], s[54:55], s[24:25]
	s_delay_alu instid0(SALU_CYCLE_1)
	s_mul_hi_u32 s63, s24, s61
	s_mul_i32 s62, s24, s61
	s_mul_hi_u32 s26, s24, s60
	s_mul_i32 s41, s25, s60
	s_add_nc_u64 s[62:63], s[26:27], s[62:63]
	s_mul_hi_u32 s40, s25, s60
	s_mul_hi_u32 s42, s25, s61
	s_add_co_u32 s26, s62, s41
	s_add_co_ci_u32 s26, s63, s40
	s_mul_i32 s60, s25, s61
	s_add_co_ci_u32 s61, s42, 0
	s_delay_alu instid0(SALU_CYCLE_1) | instskip(NEXT) | instid1(SALU_CYCLE_1)
	s_add_nc_u64 s[60:61], s[26:27], s[60:61]
	s_add_co_u32 s24, s24, s60
	s_cselect_b32 s26, -1, 0
	s_delay_alu instid0(SALU_CYCLE_1) | instskip(SKIP_1) | instid1(SALU_CYCLE_1)
	s_cmp_lg_u32 s26, 0
	s_add_co_ci_u32 s25, s25, s61
	s_mul_u64 s[54:55], s[54:55], s[24:25]
	s_delay_alu instid0(SALU_CYCLE_1)
	s_mul_hi_u32 s61, s24, s55
	s_mul_i32 s60, s24, s55
	s_mul_hi_u32 s26, s24, s54
	s_mul_i32 s41, s25, s54
	s_add_nc_u64 s[60:61], s[26:27], s[60:61]
	s_mul_hi_u32 s40, s25, s54
	s_mul_hi_u32 s42, s25, s55
	s_add_co_u32 s26, s60, s41
	s_add_co_ci_u32 s26, s61, s40
	s_mul_i32 s54, s25, s55
	s_add_co_ci_u32 s55, s42, 0
	s_delay_alu instid0(SALU_CYCLE_1) | instskip(NEXT) | instid1(SALU_CYCLE_1)
	s_add_nc_u64 s[54:55], s[26:27], s[54:55]
	s_add_co_u32 s24, s24, s54
	s_cselect_b32 s40, -1, 0
	s_mul_hi_u32 s26, s22, s24
	s_cmp_lg_u32 s40, 0
	s_mul_hi_u32 s40, s23, s24
	s_add_co_ci_u32 s41, s25, s55
	s_mul_i32 s42, s23, s24
	s_mul_hi_u32 s25, s22, s41
	s_mul_i32 s24, s22, s41
	s_mul_hi_u32 s43, s23, s41
	s_add_nc_u64 s[24:25], s[26:27], s[24:25]
	s_mul_i32 s54, s23, s41
	s_add_co_u32 s24, s24, s42
	s_add_co_ci_u32 s26, s25, s40
	s_add_co_ci_u32 s55, s43, 0
	s_delay_alu instid0(SALU_CYCLE_1) | instskip(NEXT) | instid1(SALU_CYCLE_1)
	s_add_nc_u64 s[24:25], s[26:27], s[54:55]
	s_and_b64 s[54:55], s[24:25], 0xffffffff00000000
	s_delay_alu instid0(SALU_CYCLE_1) | instskip(NEXT) | instid1(SALU_CYCLE_1)
	s_or_b32 s54, s54, s24
	s_mul_u64 s[24:25], s[34:35], s[54:55]
	s_delay_alu instid0(SALU_CYCLE_1) | instskip(SKIP_1) | instid1(SALU_CYCLE_1)
	s_sub_co_u32 s24, s22, s24
	s_cselect_b32 s26, -1, 0
	s_cmp_lg_u32 s26, 0
	s_sub_co_ci_u32 s25, s23, s25
	s_sub_co_u32 s26, s24, s34
	s_cselect_b32 s40, -1, 0
	s_delay_alu instid0(SALU_CYCLE_1) | instskip(SKIP_3) | instid1(SALU_CYCLE_1)
	s_cmp_lg_u32 s40, 0
	s_sub_co_ci_u32 s40, s25, 0
	s_sub_co_u32 s41, s26, s34
	s_cselect_b32 s42, -1, 0
	s_cmp_lg_u32 s42, 0
	s_sub_co_ci_u32 s42, s40, 0
	s_cmp_ge_u32 s26, s34
	s_cselect_b32 s43, -1, 0
	s_cmp_eq_u32 s40, 0
	s_cselect_b32 s43, s43, -1
	s_delay_alu instid0(SALU_CYCLE_1)
	s_cmp_lg_u32 s43, 0
	s_cselect_b32 s40, s42, s40
	s_cselect_b32 s26, s41, s26
	s_cmp_ge_u32 s24, s34
	s_cselect_b32 s41, -1, 0
	s_cmp_eq_u32 s25, 0
	s_cselect_b32 s41, s41, -1
	s_delay_alu instid0(SALU_CYCLE_1)
	s_cmp_lg_u32 s41, 0
	s_cselect_b32 s25, s40, s25
	s_cselect_b32 s24, s26, s24
	s_cbranch_execnz .LBB162_182
.LBB162_181:                            ;   in Loop: Header=BB162_18 Depth=1
	v_cvt_f32_u32_e32 v3, s34
	s_sub_co_i32 s25, 0, s34
	s_delay_alu instid0(VALU_DEP_1) | instskip(SKIP_1) | instid1(TRANS32_DEP_1)
	v_rcp_iflag_f32_e32 v3, v3
	v_nop
	v_mul_f32_e32 v3, 0x4f7ffffe, v3
	s_delay_alu instid0(VALU_DEP_1) | instskip(NEXT) | instid1(VALU_DEP_1)
	v_cvt_u32_f32_e32 v3, v3
	v_readfirstlane_b32 s24, v3
	s_mul_i32 s25, s25, s24
	s_delay_alu instid0(SALU_CYCLE_1) | instskip(NEXT) | instid1(SALU_CYCLE_1)
	s_mul_hi_u32 s25, s24, s25
	s_add_co_i32 s24, s24, s25
	s_delay_alu instid0(SALU_CYCLE_1) | instskip(NEXT) | instid1(SALU_CYCLE_1)
	s_mul_hi_u32 s24, s22, s24
	s_mul_i32 s24, s24, s34
	s_delay_alu instid0(SALU_CYCLE_1) | instskip(NEXT) | instid1(SALU_CYCLE_1)
	s_sub_co_i32 s24, s22, s24
	s_sub_co_i32 s25, s24, s34
	s_cmp_ge_u32 s24, s34
	s_cselect_b32 s24, s25, s24
	s_delay_alu instid0(SALU_CYCLE_1) | instskip(SKIP_2) | instid1(SALU_CYCLE_1)
	s_sub_co_i32 s25, s24, s34
	s_cmp_ge_u32 s24, s34
	s_cselect_b32 s26, s25, s24
	s_mov_b64 s[24:25], s[26:27]
.LBB162_182:                            ;   in Loop: Header=BB162_18 Depth=1
	s_delay_alu instid0(SALU_CYCLE_1)
	s_sub_nc_u64 s[22:23], s[22:23], s[24:25]
	s_mov_b32 s25, 0
	s_mov_b32 s24, 0
	s_mov_b32 s26, exec_lo
                                        ; implicit-def: $vgpr10_vgpr11
	v_cmpx_gt_u64_e64 s[22:23], v[0:1]
	s_cbranch_execz .LBB162_193
; %bb.183:                              ;   in Loop: Header=BB162_18 Depth=1
	v_mov_b64_e32 v[32:33], v[0:1]
	v_mov_b32_e32 v36, v38
                                        ; implicit-def: $sgpr53
	s_branch .LBB162_186
.LBB162_184:                            ;   in Loop: Header=BB162_186 Depth=2
	s_or_b32 exec_lo, exec_lo, s54
	s_wait_dscnt 0x0
	s_barrier_signal -1
	s_barrier_wait -1
	ds_load_b128 v[8:11], v21 offset:3072
	s_mov_b32 s54, -1
	s_mov_b32 s55, -1
	s_wait_dscnt 0x0
	s_barrier_signal -1
	s_barrier_wait -1
	v_cmp_ne_u64_e32 vcc_lo, 0, v[8:9]
	s_cbranch_vccz .LBB162_189
.LBB162_185:                            ;   in Loop: Header=BB162_186 Depth=2
	s_and_b32 s40, exec_lo, s54
	s_delay_alu instid0(SALU_CYCLE_1) | instskip(SKIP_2) | instid1(SALU_CYCLE_1)
	s_or_b32 s24, s40, s24
	s_and_not1_b32 s40, s53, exec_lo
	s_and_b32 s41, s55, exec_lo
	s_or_b32 s53, s40, s41
	s_and_not1_b32 exec_lo, exec_lo, s24
	s_cbranch_execz .LBB162_192
.LBB162_186:                            ;   Parent Loop BB162_18 Depth=1
                                        ; =>  This Inner Loop Header: Depth=2
	s_mov_b32 s54, exec_lo
	s_delay_alu instid0(VALU_DEP_2)
	v_cmpx_gt_u64_e64 s[8:9], v[32:33]
	s_cbranch_execz .LBB162_184
; %bb.187:                              ;   in Loop: Header=BB162_186 Depth=2
	ds_load_b64 v[4:5], v36
	s_wait_dscnt 0x0
	v_xor_b32_e32 v3, 0x80000000, v5
	v_and_b32_e32 v8, v4, v12
	s_delay_alu instid0(VALU_DEP_2) | instskip(NEXT) | instid1(VALU_DEP_1)
	v_and_b32_e32 v9, v3, v13
	v_cmp_eq_u64_e32 vcc_lo, v[8:9], v[14:15]
	s_and_b32 exec_lo, exec_lo, vcc_lo
	s_cbranch_execz .LBB162_184
; %bb.188:                              ;   in Loop: Header=BB162_186 Depth=2
	v_mov_b32_e32 v3, v21
	ds_store_b128 v21, v[2:5] offset:3072
	s_branch .LBB162_184
.LBB162_189:                            ;   in Loop: Header=BB162_186 Depth=2
	v_add_nc_u64_e32 v[32:33], s[34:35], v[32:33]
	v_add_nc_u32_e32 v36, s99, v36
	s_mov_b32 s55, 0
	s_delay_alu instid0(VALU_DEP_2)
	v_cmp_le_u64_e32 vcc_lo, s[22:23], v[32:33]
	s_or_not1_b32 s54, vcc_lo, exec_lo
	s_branch .LBB162_185
.LBB162_190:                            ;   in Loop: Header=BB162_18 Depth=1
                                        ; implicit-def: $sgpr24_sgpr25
	s_branch .LBB162_136
.LBB162_191:                            ;   in Loop: Header=BB162_18 Depth=1
                                        ; implicit-def: $sgpr8_sgpr9
	s_branch .LBB162_152
.LBB162_192:                            ;   in Loop: Header=BB162_18 Depth=1
	s_or_b32 exec_lo, exec_lo, s24
	s_delay_alu instid0(SALU_CYCLE_1)
	s_and_b32 s24, s53, exec_lo
.LBB162_193:                            ;   in Loop: Header=BB162_18 Depth=1
	s_or_b32 exec_lo, exec_lo, s26
.LBB162_194:                            ;   in Loop: Header=BB162_18 Depth=1
	s_delay_alu instid0(SALU_CYCLE_1)
	s_and_b32 vcc_lo, exec_lo, s25
	s_cbranch_vccz .LBB162_208
; %bb.195:                              ;   in Loop: Header=BB162_18 Depth=1
	s_and_b64 s[8:9], s[72:73], 0xffffffff00000000
	s_delay_alu instid0(SALU_CYCLE_1)
	s_cmp_lg_u64 s[8:9], 0
	s_cbranch_scc0 .LBB162_227
; %bb.196:                              ;   in Loop: Header=BB162_18 Depth=1
	s_cvt_f32_u32 s8, s34
	s_sub_nc_u64 s[22:23], 0, s[34:35]
	s_delay_alu instid0(SALU_CYCLE_2) | instskip(NEXT) | instid1(SALU_CYCLE_3)
	s_fmamk_f32 s8, s102, 0x0, s8
	v_s_rcp_f32 s8, s8
	s_delay_alu instid0(TRANS32_DEP_1) | instskip(NEXT) | instid1(SALU_CYCLE_3)
	s_mul_f32 s8, s8, 0x5f7ffffc
	s_mul_f32 s9, s8, 0x2f800000
	s_delay_alu instid0(SALU_CYCLE_3) | instskip(NEXT) | instid1(SALU_CYCLE_3)
	s_trunc_f32 s9, s9
	s_fmamk_f32 s8, s9, 0xcf800000, s8
	s_cvt_u32_f32 s9, s9
	s_delay_alu instid0(SALU_CYCLE_2) | instskip(NEXT) | instid1(SALU_CYCLE_3)
	s_cvt_u32_f32 s8, s8
	s_mul_u64 s[54:55], s[22:23], s[8:9]
	s_delay_alu instid0(SALU_CYCLE_1)
	s_mul_hi_u32 s61, s8, s55
	s_mul_i32 s60, s8, s55
	s_mul_hi_u32 s26, s8, s54
	s_mul_i32 s40, s9, s54
	s_add_nc_u64 s[60:61], s[26:27], s[60:61]
	s_mul_hi_u32 s25, s9, s54
	s_mul_hi_u32 s41, s9, s55
	s_add_co_u32 s26, s60, s40
	s_add_co_ci_u32 s26, s61, s25
	s_mul_i32 s54, s9, s55
	s_add_co_ci_u32 s55, s41, 0
	s_delay_alu instid0(SALU_CYCLE_1) | instskip(NEXT) | instid1(SALU_CYCLE_1)
	s_add_nc_u64 s[54:55], s[26:27], s[54:55]
	s_add_co_u32 s8, s8, s54
	s_cselect_b32 s25, -1, 0
	s_delay_alu instid0(SALU_CYCLE_1) | instskip(SKIP_1) | instid1(SALU_CYCLE_1)
	s_cmp_lg_u32 s25, 0
	s_add_co_ci_u32 s9, s9, s55
	s_mul_u64 s[22:23], s[22:23], s[8:9]
	s_delay_alu instid0(SALU_CYCLE_1)
	s_mul_hi_u32 s55, s8, s23
	s_mul_i32 s54, s8, s23
	s_mul_hi_u32 s26, s8, s22
	s_mul_i32 s40, s9, s22
	s_add_nc_u64 s[54:55], s[26:27], s[54:55]
	s_mul_hi_u32 s25, s9, s22
	s_mul_hi_u32 s41, s9, s23
	s_mul_i32 s22, s9, s23
	s_add_co_u32 s23, s54, s40
	s_add_co_ci_u32 s26, s55, s25
	s_add_co_ci_u32 s23, s41, 0
	s_delay_alu instid0(SALU_CYCLE_1) | instskip(NEXT) | instid1(SALU_CYCLE_1)
	s_add_nc_u64 s[22:23], s[26:27], s[22:23]
	s_add_co_u32 s8, s8, s22
	s_cselect_b32 s22, -1, 0
	s_mul_hi_u32 s26, s72, s8
	s_cmp_lg_u32 s22, 0
	s_mul_hi_u32 s25, s73, s8
	s_add_co_ci_u32 s22, s9, s23
	s_mul_i32 s23, s73, s8
	s_mul_hi_u32 s9, s72, s22
	s_mul_i32 s8, s72, s22
	s_mul_hi_u32 s40, s73, s22
	s_add_nc_u64 s[8:9], s[26:27], s[8:9]
	s_mul_i32 s22, s73, s22
	s_add_co_u32 s8, s8, s23
	s_add_co_ci_u32 s26, s9, s25
	s_add_co_ci_u32 s23, s40, 0
	s_delay_alu instid0(SALU_CYCLE_1) | instskip(NEXT) | instid1(SALU_CYCLE_1)
	s_add_nc_u64 s[8:9], s[26:27], s[22:23]
	s_and_b64 s[22:23], s[8:9], 0xffffffff00000000
	s_delay_alu instid0(SALU_CYCLE_1) | instskip(NEXT) | instid1(SALU_CYCLE_1)
	s_or_b32 s22, s22, s8
	s_mul_u64 s[8:9], s[34:35], s[22:23]
	s_delay_alu instid0(SALU_CYCLE_1) | instskip(SKIP_1) | instid1(SALU_CYCLE_1)
	s_sub_co_u32 s8, s72, s8
	s_cselect_b32 s22, -1, 0
	s_cmp_lg_u32 s22, 0
	s_sub_co_ci_u32 s9, s73, s9
	s_sub_co_u32 s22, s8, s34
	s_cselect_b32 s23, -1, 0
	s_delay_alu instid0(SALU_CYCLE_1) | instskip(SKIP_3) | instid1(SALU_CYCLE_1)
	s_cmp_lg_u32 s23, 0
	s_sub_co_ci_u32 s23, s9, 0
	s_sub_co_u32 s25, s22, s34
	s_cselect_b32 s26, -1, 0
	s_cmp_lg_u32 s26, 0
	s_sub_co_ci_u32 s26, s23, 0
	s_cmp_ge_u32 s22, s34
	s_cselect_b32 s40, -1, 0
	s_cmp_eq_u32 s23, 0
	s_cselect_b32 s40, s40, -1
	s_delay_alu instid0(SALU_CYCLE_1)
	s_cmp_lg_u32 s40, 0
	s_cselect_b32 s23, s26, s23
	s_cselect_b32 s22, s25, s22
	s_cmp_ge_u32 s8, s34
	s_cselect_b32 s25, -1, 0
	s_cmp_eq_u32 s9, 0
	s_cselect_b32 s25, s25, -1
	s_delay_alu instid0(SALU_CYCLE_1)
	s_cmp_lg_u32 s25, 0
	s_cselect_b32 s9, s23, s9
	s_cselect_b32 s8, s22, s8
	s_cbranch_execnz .LBB162_198
.LBB162_197:                            ;   in Loop: Header=BB162_18 Depth=1
	v_cvt_f32_u32_e32 v3, s34
	s_sub_co_i32 s9, 0, s34
	s_delay_alu instid0(VALU_DEP_1) | instskip(SKIP_1) | instid1(TRANS32_DEP_1)
	v_rcp_iflag_f32_e32 v3, v3
	v_nop
	v_mul_f32_e32 v3, 0x4f7ffffe, v3
	s_delay_alu instid0(VALU_DEP_1) | instskip(NEXT) | instid1(VALU_DEP_1)
	v_cvt_u32_f32_e32 v3, v3
	v_readfirstlane_b32 s8, v3
	s_mul_i32 s9, s9, s8
	s_delay_alu instid0(SALU_CYCLE_1) | instskip(NEXT) | instid1(SALU_CYCLE_1)
	s_mul_hi_u32 s9, s8, s9
	s_add_co_i32 s8, s8, s9
	s_delay_alu instid0(SALU_CYCLE_1) | instskip(NEXT) | instid1(SALU_CYCLE_1)
	s_mul_hi_u32 s8, s72, s8
	s_mul_i32 s8, s8, s34
	s_delay_alu instid0(SALU_CYCLE_1) | instskip(NEXT) | instid1(SALU_CYCLE_1)
	s_sub_co_i32 s8, s72, s8
	s_sub_co_i32 s9, s8, s34
	s_cmp_ge_u32 s8, s34
	s_cselect_b32 s8, s9, s8
	s_delay_alu instid0(SALU_CYCLE_1) | instskip(SKIP_2) | instid1(SALU_CYCLE_1)
	s_sub_co_i32 s9, s8, s34
	s_cmp_ge_u32 s8, s34
	s_cselect_b32 s26, s9, s8
	s_mov_b64 s[8:9], s[26:27]
.LBB162_198:                            ;   in Loop: Header=BB162_18 Depth=1
	s_delay_alu instid0(SALU_CYCLE_1)
	s_sub_nc_u64 s[8:9], s[72:73], s[8:9]
	s_mov_b32 s22, exec_lo
                                        ; implicit-def: $vgpr10_vgpr11
	v_nop
	v_cmpx_gt_u64_e64 s[8:9], v[0:1]
	s_cbranch_execz .LBB162_207
; %bb.199:                              ;   in Loop: Header=BB162_18 Depth=1
	v_mov_b64_e32 v[32:33], v[0:1]
	s_mov_b32 s23, 0
                                        ; implicit-def: $sgpr25
	s_branch .LBB162_202
.LBB162_200:                            ;   in Loop: Header=BB162_202 Depth=2
	s_or_b32 exec_lo, exec_lo, s26
	s_wait_dscnt 0x0
	s_barrier_signal -1
	s_barrier_wait -1
	ds_load_b128 v[8:11], v21 offset:3072
	s_mov_b32 s53, -1
	s_mov_b32 s26, -1
	s_wait_dscnt 0x0
	s_barrier_signal -1
	s_barrier_wait -1
	v_cmp_eq_u64_e32 vcc_lo, 0, v[8:9]
	s_cbranch_vccnz .LBB162_205
.LBB162_201:                            ;   in Loop: Header=BB162_202 Depth=2
	s_and_b32 s40, exec_lo, s53
	s_delay_alu instid0(SALU_CYCLE_1) | instskip(SKIP_2) | instid1(SALU_CYCLE_1)
	s_or_b32 s23, s40, s23
	s_and_not1_b32 s25, s25, exec_lo
	s_and_b32 s26, s26, exec_lo
	s_or_b32 s25, s25, s26
	s_and_not1_b32 exec_lo, exec_lo, s23
	s_cbranch_execz .LBB162_206
.LBB162_202:                            ;   Parent Loop BB162_18 Depth=1
                                        ; =>  This Inner Loop Header: Depth=2
	s_mov_b32 s26, exec_lo
	s_delay_alu instid0(VALU_DEP_1)
	v_cmpx_gt_u64_e64 s[36:37], v[32:33]
	s_cbranch_execz .LBB162_200
; %bb.203:                              ;   in Loop: Header=BB162_202 Depth=2
	v_mul_u64_e32 v[4:5], s[30:31], v[32:33]
	s_delay_alu instid0(VALU_DEP_1) | instskip(SKIP_4) | instid1(VALU_DEP_2)
	v_lshl_add_u64 v[4:5], v[4:5], 3, s[28:29]
	global_load_b64 v[4:5], v[4:5], off
	s_wait_loadcnt 0x0
	v_xor_b32_e32 v3, 0x80000000, v5
	v_and_b32_e32 v8, v4, v12
	v_and_b32_e32 v9, v3, v13
	s_delay_alu instid0(VALU_DEP_1)
	v_cmp_eq_u64_e32 vcc_lo, v[8:9], v[14:15]
	s_and_b32 exec_lo, exec_lo, vcc_lo
	s_cbranch_execz .LBB162_200
; %bb.204:                              ;   in Loop: Header=BB162_202 Depth=2
	v_mov_b32_e32 v3, v21
	ds_store_b128 v21, v[2:5] offset:3072
	s_branch .LBB162_200
.LBB162_205:                            ;   in Loop: Header=BB162_202 Depth=2
	v_add_nc_u64_e32 v[32:33], s[34:35], v[32:33]
	s_mov_b32 s26, 0
	s_delay_alu instid0(VALU_DEP_1)
	v_cmp_le_u64_e32 vcc_lo, s[8:9], v[32:33]
	s_or_not1_b32 s53, vcc_lo, exec_lo
	s_branch .LBB162_201
.LBB162_206:                            ;   in Loop: Header=BB162_18 Depth=1
	s_or_b32 exec_lo, exec_lo, s23
	s_delay_alu instid0(SALU_CYCLE_1) | instskip(SKIP_1) | instid1(SALU_CYCLE_1)
	s_and_not1_b32 s8, s24, exec_lo
	s_and_b32 s9, s25, exec_lo
	s_or_b32 s24, s8, s9
.LBB162_207:                            ;   in Loop: Header=BB162_18 Depth=1
	s_or_b32 exec_lo, exec_lo, s22
	s_mov_b32 s88, 0
	s_mov_b32 s89, -1
.LBB162_208:                            ;   in Loop: Header=BB162_18 Depth=1
	s_or_not1_b32 s8, s24, exec_lo
.LBB162_209:                            ;   in Loop: Header=BB162_18 Depth=1
	s_or_b32 exec_lo, exec_lo, s52
	s_mov_b32 s9, 0
	s_and_saveexec_b32 s90, s8
	s_cbranch_execz .LBB162_271
; %bb.210:                              ;   in Loop: Header=BB162_18 Depth=1
	v_mov_b64_e32 v[32:33], 1
	v_mov_b32_e32 v20, 1
	s_xor_b32 s22, s91, -1
	s_delay_alu instid0(SALU_CYCLE_1)
	s_and_saveexec_b32 s8, s22
	s_cbranch_execz .LBB162_219
; %bb.211:                              ;   in Loop: Header=BB162_18 Depth=1
	s_mov_b32 s9, exec_lo
	v_cmpx_ge_u64_e64 s[18:19], v[34:35]
	s_xor_b32 s9, exec_lo, s9
	s_cbranch_execz .LBB162_216
; %bb.212:                              ;   in Loop: Header=BB162_18 Depth=1
	ds_load_b64 v[4:5], v21 offset:5120
	v_and_b32_e32 v3, s15, v15
	v_and_b32_e32 v8, s14, v14
	s_lshl_b64 s[22:23], 2, s100
	v_or_b32_e32 v13, s13, v13
	v_or_b32_e32 v12, s12, v12
	;; [unrolled: 1-line block ×4, first 2 shown]
	s_wait_dscnt 0x0
	v_cmp_ne_u64_e32 vcc_lo, 0, v[4:5]
	s_cbranch_vccnz .LBB162_216
; %bb.213:                              ;   in Loop: Header=BB162_18 Depth=1
	s_and_saveexec_b32 s22, s5
; %bb.214:                              ;   in Loop: Header=BB162_18 Depth=1
	v_mov_b64_e32 v[4:5], s[18:19]
	ds_store_b64 v21, v[4:5] offset:5128
; %bb.215:                              ;   in Loop: Header=BB162_18 Depth=1
	s_or_b32 exec_lo, exec_lo, s22
	s_wait_dscnt 0x0
	s_barrier_signal -1
	s_barrier_wait -1
.LBB162_216:                            ;   in Loop: Header=BB162_18 Depth=1
	s_or_saveexec_b32 s9, s9
	v_mov_b32_e32 v20, 8
	s_mov_b32 s22, 0
	s_xor_b32 exec_lo, exec_lo, s9
; %bb.217:                              ;   in Loop: Header=BB162_18 Depth=1
	v_sub_nc_u64_e64 v[34:35], v[34:35], s[18:19]
	v_mov_b32_e32 v20, 0
	s_mov_b32 s22, exec_lo
; %bb.218:                              ;   in Loop: Header=BB162_18 Depth=1
	s_or_b32 exec_lo, exec_lo, s9
	s_delay_alu instid0(VALU_DEP_2)
	v_mov_b64_e32 v[32:33], v[34:35]
	s_and_b32 s9, s22, exec_lo
.LBB162_219:                            ;   in Loop: Header=BB162_18 Depth=1
	s_or_b32 exec_lo, exec_lo, s8
	s_mov_b32 s8, -1
                                        ; implicit-def: $sgpr55
                                        ; implicit-def: $sgpr54
	s_and_saveexec_b32 s91, s9
	s_cbranch_execz .LBB162_270
; %bb.220:                              ;   in Loop: Header=BB162_18 Depth=1
	s_delay_alu instid0(VALU_DEP_1) | instskip(SKIP_3) | instid1(SALU_CYCLE_1)
	v_cmp_eq_u64_e32 vcc_lo, 1, v[32:33]
	s_cmp_eq_u64 s[20:21], 1
	s_mov_b32 s9, -1
	s_cselect_b32 s8, -1, 0
                                        ; implicit-def: $sgpr55
                                        ; implicit-def: $sgpr54
	s_and_b32 s52, s8, vcc_lo
	s_delay_alu instid0(SALU_CYCLE_1)
	s_and_saveexec_b32 s53, s52
	s_cbranch_execz .LBB162_258
; %bb.221:                              ;   in Loop: Header=BB162_18 Depth=1
	ds_load_b64 v[4:5], v21 offset:5120
	s_wait_dscnt 0x0
	s_barrier_signal -1
	s_barrier_wait -1
	v_readfirstlane_b32 s8, v4
	v_readfirstlane_b32 s9, v5
	s_and_saveexec_b32 s22, s6
; %bb.222:                              ;   in Loop: Header=BB162_18 Depth=1
	ds_store_b64 v39, v[26:27]
; %bb.223:                              ;   in Loop: Header=BB162_18 Depth=1
	s_or_b32 exec_lo, exec_lo, s22
	v_or_b32_e32 v15, s13, v15
	v_or_b32_e32 v14, s12, v14
	;; [unrolled: 1-line block ×4, first 2 shown]
	s_mov_b32 s54, -1
	s_mov_b32 s55, 0
	s_cmp_eq_u64 s[8:9], 0
	s_mov_b32 s24, 0
	s_mov_b32 s25, -1
	s_wait_dscnt 0x0
	s_barrier_signal -1
	s_barrier_wait -1
                                        ; implicit-def: $vgpr10_vgpr11
	s_cbranch_scc1 .LBB162_241
; %bb.224:                              ;   in Loop: Header=BB162_18 Depth=1
	s_add_nc_u64 s[22:23], s[8:9], s[70:71]
	s_delay_alu instid0(SALU_CYCLE_1) | instskip(NEXT) | instid1(SALU_CYCLE_1)
	s_and_b64 s[24:25], s[22:23], 0xffffffff00000000
	s_cmp_lg_u64 s[24:25], 0
	s_cbranch_scc0 .LBB162_228
; %bb.225:                              ;   in Loop: Header=BB162_18 Depth=1
	s_cvt_f32_u32 s24, s34
	s_sub_nc_u64 s[60:61], 0, s[34:35]
	s_delay_alu instid0(SALU_CYCLE_2) | instskip(NEXT) | instid1(SALU_CYCLE_3)
	s_fmamk_f32 s24, s102, 0x0, s24
	v_s_rcp_f32 s24, s24
	s_delay_alu instid0(TRANS32_DEP_1) | instskip(NEXT) | instid1(SALU_CYCLE_3)
	s_mul_f32 s24, s24, 0x5f7ffffc
	s_mul_f32 s25, s24, 0x2f800000
	s_delay_alu instid0(SALU_CYCLE_3) | instskip(NEXT) | instid1(SALU_CYCLE_3)
	s_trunc_f32 s25, s25
	s_fmamk_f32 s24, s25, 0xcf800000, s24
	s_cvt_u32_f32 s25, s25
	s_delay_alu instid0(SALU_CYCLE_2) | instskip(NEXT) | instid1(SALU_CYCLE_3)
	s_cvt_u32_f32 s24, s24
	s_mul_u64 s[62:63], s[60:61], s[24:25]
	s_delay_alu instid0(SALU_CYCLE_1)
	s_mul_hi_u32 s41, s24, s63
	s_mul_i32 s40, s24, s63
	s_mul_hi_u32 s26, s24, s62
	s_mul_hi_u32 s43, s25, s62
	s_mul_i32 s62, s25, s62
	s_add_nc_u64 s[40:41], s[26:27], s[40:41]
	s_mul_hi_u32 vcc_lo, s25, s63
	s_add_co_u32 s26, s40, s62
	s_add_co_ci_u32 s26, s41, s43
	s_mul_i32 s42, s25, s63
	s_add_co_ci_u32 s43, vcc_lo, 0
	s_delay_alu instid0(SALU_CYCLE_1) | instskip(NEXT) | instid1(SALU_CYCLE_1)
	s_add_nc_u64 s[40:41], s[26:27], s[42:43]
	s_add_co_u32 s24, s24, s40
	s_cselect_b32 s26, -1, 0
	s_delay_alu instid0(SALU_CYCLE_1) | instskip(SKIP_1) | instid1(SALU_CYCLE_1)
	s_cmp_lg_u32 s26, 0
	s_add_co_ci_u32 s25, s25, s41
	s_mul_u64 s[40:41], s[60:61], s[24:25]
	s_delay_alu instid0(SALU_CYCLE_1)
	s_mul_hi_u32 s43, s24, s41
	s_mul_i32 s42, s24, s41
	s_mul_hi_u32 s26, s24, s40
	s_mul_i32 s61, s25, s40
	s_add_nc_u64 s[42:43], s[26:27], s[42:43]
	s_mul_hi_u32 s60, s25, s40
	s_mul_hi_u32 s62, s25, s41
	s_add_co_u32 s26, s42, s61
	s_add_co_ci_u32 s26, s43, s60
	s_mul_i32 s40, s25, s41
	s_add_co_ci_u32 s41, s62, 0
	s_delay_alu instid0(SALU_CYCLE_1) | instskip(NEXT) | instid1(SALU_CYCLE_1)
	s_add_nc_u64 s[40:41], s[26:27], s[40:41]
	s_add_co_u32 s24, s24, s40
	s_cselect_b32 s40, -1, 0
	s_mul_hi_u32 s26, s22, s24
	s_cmp_lg_u32 s40, 0
	s_mul_hi_u32 s42, s23, s24
	s_add_co_ci_u32 s40, s25, s41
	s_mul_i32 s41, s23, s24
	s_mul_hi_u32 s25, s22, s40
	s_mul_i32 s24, s22, s40
	s_mul_hi_u32 s43, s23, s40
	s_add_nc_u64 s[24:25], s[26:27], s[24:25]
	s_mul_i32 s40, s23, s40
	s_add_co_u32 s24, s24, s41
	s_add_co_ci_u32 s26, s25, s42
	s_add_co_ci_u32 s41, s43, 0
	s_delay_alu instid0(SALU_CYCLE_1) | instskip(NEXT) | instid1(SALU_CYCLE_1)
	s_add_nc_u64 s[24:25], s[26:27], s[40:41]
	s_and_b64 s[40:41], s[24:25], 0xffffffff00000000
	s_delay_alu instid0(SALU_CYCLE_1) | instskip(NEXT) | instid1(SALU_CYCLE_1)
	s_or_b32 s40, s40, s24
	s_mul_u64 s[24:25], s[34:35], s[40:41]
	s_delay_alu instid0(SALU_CYCLE_1) | instskip(SKIP_1) | instid1(SALU_CYCLE_1)
	s_sub_co_u32 s24, s22, s24
	s_cselect_b32 s26, -1, 0
	s_cmp_lg_u32 s26, 0
	s_sub_co_ci_u32 s25, s23, s25
	s_sub_co_u32 s26, s24, s34
	s_cselect_b32 s40, -1, 0
	s_delay_alu instid0(SALU_CYCLE_1) | instskip(SKIP_3) | instid1(SALU_CYCLE_1)
	s_cmp_lg_u32 s40, 0
	s_sub_co_ci_u32 s40, s25, 0
	s_sub_co_u32 s41, s26, s34
	s_cselect_b32 s42, -1, 0
	s_cmp_lg_u32 s42, 0
	s_sub_co_ci_u32 s42, s40, 0
	s_cmp_ge_u32 s26, s34
	s_cselect_b32 s43, -1, 0
	s_cmp_eq_u32 s40, 0
	s_cselect_b32 s43, s43, -1
	s_delay_alu instid0(SALU_CYCLE_1)
	s_cmp_lg_u32 s43, 0
	s_cselect_b32 s40, s42, s40
	s_cselect_b32 s26, s41, s26
	s_cmp_ge_u32 s24, s34
	s_cselect_b32 s41, -1, 0
	s_cmp_eq_u32 s25, 0
	s_cselect_b32 s41, s41, -1
	s_delay_alu instid0(SALU_CYCLE_1)
	s_cmp_lg_u32 s41, 0
	s_cselect_b32 s25, s40, s25
	s_cselect_b32 s24, s26, s24
	s_mov_b32 s26, 0
	s_branch .LBB162_229
.LBB162_226:                            ;   in Loop: Header=BB162_18 Depth=1
                                        ; implicit-def: $sgpr24_sgpr25
	s_branch .LBB162_181
.LBB162_227:                            ;   in Loop: Header=BB162_18 Depth=1
                                        ; implicit-def: $sgpr8_sgpr9
	s_branch .LBB162_197
.LBB162_228:                            ;   in Loop: Header=BB162_18 Depth=1
	s_mov_b32 s26, -1
                                        ; implicit-def: $sgpr24_sgpr25
.LBB162_229:                            ;   in Loop: Header=BB162_18 Depth=1
	s_delay_alu instid0(SALU_CYCLE_1)
	s_and_not1_b32 vcc_lo, exec_lo, s26
	s_cbranch_vccnz .LBB162_231
; %bb.230:                              ;   in Loop: Header=BB162_18 Depth=1
	v_cvt_f32_u32_e32 v3, s34
	s_sub_co_i32 s25, 0, s34
	s_delay_alu instid0(VALU_DEP_1) | instskip(SKIP_1) | instid1(TRANS32_DEP_1)
	v_rcp_iflag_f32_e32 v3, v3
	v_nop
	v_mul_f32_e32 v3, 0x4f7ffffe, v3
	s_delay_alu instid0(VALU_DEP_1) | instskip(NEXT) | instid1(VALU_DEP_1)
	v_cvt_u32_f32_e32 v3, v3
	v_readfirstlane_b32 s24, v3
	s_mul_i32 s25, s25, s24
	s_delay_alu instid0(SALU_CYCLE_1) | instskip(NEXT) | instid1(SALU_CYCLE_1)
	s_mul_hi_u32 s25, s24, s25
	s_add_co_i32 s24, s24, s25
	s_delay_alu instid0(SALU_CYCLE_1) | instskip(NEXT) | instid1(SALU_CYCLE_1)
	s_mul_hi_u32 s24, s22, s24
	s_mul_i32 s24, s24, s34
	s_delay_alu instid0(SALU_CYCLE_1) | instskip(NEXT) | instid1(SALU_CYCLE_1)
	s_sub_co_i32 s24, s22, s24
	s_sub_co_i32 s25, s24, s34
	s_cmp_ge_u32 s24, s34
	s_cselect_b32 s24, s25, s24
	s_delay_alu instid0(SALU_CYCLE_1) | instskip(SKIP_2) | instid1(SALU_CYCLE_1)
	s_sub_co_i32 s25, s24, s34
	s_cmp_ge_u32 s24, s34
	s_cselect_b32 s26, s25, s24
	s_mov_b64 s[24:25], s[26:27]
.LBB162_231:                            ;   in Loop: Header=BB162_18 Depth=1
	s_delay_alu instid0(SALU_CYCLE_1)
	s_sub_nc_u64 s[22:23], s[22:23], s[24:25]
	s_mov_b32 s25, 0
	s_mov_b32 s24, 0
	s_mov_b32 s26, exec_lo
                                        ; implicit-def: $vgpr10_vgpr11
	v_cmpx_gt_u64_e64 s[22:23], v[0:1]
	s_cbranch_execz .LBB162_240
; %bb.232:                              ;   in Loop: Header=BB162_18 Depth=1
	v_mov_b64_e32 v[34:35], v[0:1]
	v_mov_b32_e32 v36, v38
                                        ; implicit-def: $sgpr60
	s_branch .LBB162_235
.LBB162_233:                            ;   in Loop: Header=BB162_235 Depth=2
	s_or_b32 exec_lo, exec_lo, s61
	s_wait_dscnt 0x0
	s_barrier_signal -1
	s_barrier_wait -1
	ds_load_b128 v[8:11], v21 offset:3072
	s_mov_b32 s61, -1
	s_mov_b32 s62, -1
	s_wait_dscnt 0x0
	s_barrier_signal -1
	s_barrier_wait -1
	v_cmp_ne_u64_e32 vcc_lo, 0, v[8:9]
	s_cbranch_vccz .LBB162_238
.LBB162_234:                            ;   in Loop: Header=BB162_235 Depth=2
	s_and_b32 s40, exec_lo, s61
	s_delay_alu instid0(SALU_CYCLE_1) | instskip(SKIP_2) | instid1(SALU_CYCLE_1)
	s_or_b32 s24, s40, s24
	s_and_not1_b32 s40, s60, exec_lo
	s_and_b32 s41, s62, exec_lo
	s_or_b32 s60, s40, s41
	s_and_not1_b32 exec_lo, exec_lo, s24
	s_cbranch_execz .LBB162_239
.LBB162_235:                            ;   Parent Loop BB162_18 Depth=1
                                        ; =>  This Inner Loop Header: Depth=2
	s_mov_b32 s61, exec_lo
	s_delay_alu instid0(VALU_DEP_2)
	v_cmpx_gt_u64_e64 s[8:9], v[34:35]
	s_cbranch_execz .LBB162_233
; %bb.236:                              ;   in Loop: Header=BB162_235 Depth=2
	ds_load_b64 v[4:5], v36
	s_wait_dscnt 0x0
	v_xor_b32_e32 v3, 0x80000000, v5
	v_and_b32_e32 v8, v4, v12
	s_delay_alu instid0(VALU_DEP_2) | instskip(NEXT) | instid1(VALU_DEP_1)
	v_and_b32_e32 v9, v3, v13
	v_cmp_eq_u64_e32 vcc_lo, v[8:9], v[14:15]
	s_and_b32 exec_lo, exec_lo, vcc_lo
	s_cbranch_execz .LBB162_233
; %bb.237:                              ;   in Loop: Header=BB162_235 Depth=2
	v_mov_b32_e32 v3, v21
	ds_store_b128 v21, v[2:5] offset:3072
	s_branch .LBB162_233
.LBB162_238:                            ;   in Loop: Header=BB162_235 Depth=2
	v_add_nc_u64_e32 v[34:35], s[34:35], v[34:35]
	v_add_nc_u32_e32 v36, s99, v36
	s_mov_b32 s62, 0
	s_delay_alu instid0(VALU_DEP_2)
	v_cmp_le_u64_e32 vcc_lo, s[22:23], v[34:35]
	s_or_not1_b32 s61, vcc_lo, exec_lo
	s_branch .LBB162_234
.LBB162_239:                            ;   in Loop: Header=BB162_18 Depth=1
	s_or_b32 exec_lo, exec_lo, s24
	s_delay_alu instid0(SALU_CYCLE_1)
	s_and_b32 s24, s60, exec_lo
.LBB162_240:                            ;   in Loop: Header=BB162_18 Depth=1
	s_or_b32 exec_lo, exec_lo, s26
.LBB162_241:                            ;   in Loop: Header=BB162_18 Depth=1
	s_delay_alu instid0(SALU_CYCLE_1)
	s_and_b32 vcc_lo, exec_lo, s25
	s_cbranch_vccz .LBB162_257
; %bb.242:                              ;   in Loop: Header=BB162_18 Depth=1
	s_and_b64 s[8:9], s[72:73], 0xffffffff00000000
	s_delay_alu instid0(SALU_CYCLE_1)
	s_cmp_lg_u64 s[8:9], 0
	s_cbranch_scc0 .LBB162_244
; %bb.243:                              ;   in Loop: Header=BB162_18 Depth=1
	s_cvt_f32_u32 s8, s34
	s_sub_nc_u64 s[22:23], 0, s[34:35]
	s_delay_alu instid0(SALU_CYCLE_2) | instskip(NEXT) | instid1(SALU_CYCLE_3)
	s_fmamk_f32 s8, s102, 0x0, s8
	v_s_rcp_f32 s8, s8
	s_delay_alu instid0(TRANS32_DEP_1) | instskip(NEXT) | instid1(SALU_CYCLE_3)
	s_mul_f32 s8, s8, 0x5f7ffffc
	s_mul_f32 s9, s8, 0x2f800000
	s_delay_alu instid0(SALU_CYCLE_3) | instskip(NEXT) | instid1(SALU_CYCLE_3)
	s_trunc_f32 s9, s9
	s_fmamk_f32 s8, s9, 0xcf800000, s8
	s_cvt_u32_f32 s9, s9
	s_delay_alu instid0(SALU_CYCLE_2) | instskip(NEXT) | instid1(SALU_CYCLE_3)
	s_cvt_u32_f32 s8, s8
	s_mul_u64 s[40:41], s[22:23], s[8:9]
	s_delay_alu instid0(SALU_CYCLE_1)
	s_mul_hi_u32 s43, s8, s41
	s_mul_i32 s42, s8, s41
	s_mul_hi_u32 s26, s8, s40
	s_mul_i32 s54, s9, s40
	s_add_nc_u64 s[42:43], s[26:27], s[42:43]
	s_mul_hi_u32 s25, s9, s40
	s_mul_hi_u32 s55, s9, s41
	s_add_co_u32 s26, s42, s54
	s_add_co_ci_u32 s26, s43, s25
	s_mul_i32 s40, s9, s41
	s_add_co_ci_u32 s41, s55, 0
	s_delay_alu instid0(SALU_CYCLE_1) | instskip(NEXT) | instid1(SALU_CYCLE_1)
	s_add_nc_u64 s[40:41], s[26:27], s[40:41]
	s_add_co_u32 s8, s8, s40
	s_cselect_b32 s25, -1, 0
	s_delay_alu instid0(SALU_CYCLE_1) | instskip(SKIP_1) | instid1(SALU_CYCLE_1)
	s_cmp_lg_u32 s25, 0
	s_add_co_ci_u32 s9, s9, s41
	s_mul_u64 s[22:23], s[22:23], s[8:9]
	s_delay_alu instid0(SALU_CYCLE_1)
	s_mul_hi_u32 s41, s8, s23
	s_mul_i32 s40, s8, s23
	s_mul_hi_u32 s26, s8, s22
	s_mul_i32 s42, s9, s22
	s_add_nc_u64 s[40:41], s[26:27], s[40:41]
	s_mul_hi_u32 s25, s9, s22
	s_mul_hi_u32 s43, s9, s23
	s_mul_i32 s22, s9, s23
	s_add_co_u32 s23, s40, s42
	s_add_co_ci_u32 s26, s41, s25
	s_add_co_ci_u32 s23, s43, 0
	s_delay_alu instid0(SALU_CYCLE_1) | instskip(NEXT) | instid1(SALU_CYCLE_1)
	s_add_nc_u64 s[22:23], s[26:27], s[22:23]
	s_add_co_u32 s8, s8, s22
	s_cselect_b32 s22, -1, 0
	s_mul_hi_u32 s26, s72, s8
	s_cmp_lg_u32 s22, 0
	s_mul_hi_u32 s25, s73, s8
	s_add_co_ci_u32 s22, s9, s23
	s_mul_i32 s23, s73, s8
	s_mul_hi_u32 s9, s72, s22
	s_mul_i32 s8, s72, s22
	s_mul_hi_u32 s40, s73, s22
	s_add_nc_u64 s[8:9], s[26:27], s[8:9]
	s_mul_i32 s22, s73, s22
	s_add_co_u32 s8, s8, s23
	s_add_co_ci_u32 s26, s9, s25
	s_add_co_ci_u32 s23, s40, 0
	s_delay_alu instid0(SALU_CYCLE_1) | instskip(NEXT) | instid1(SALU_CYCLE_1)
	s_add_nc_u64 s[8:9], s[26:27], s[22:23]
	s_and_b64 s[22:23], s[8:9], 0xffffffff00000000
	s_delay_alu instid0(SALU_CYCLE_1) | instskip(NEXT) | instid1(SALU_CYCLE_1)
	s_or_b32 s22, s22, s8
	s_mul_u64 s[8:9], s[34:35], s[22:23]
	s_delay_alu instid0(SALU_CYCLE_1) | instskip(SKIP_1) | instid1(SALU_CYCLE_1)
	s_sub_co_u32 s8, s72, s8
	s_cselect_b32 s22, -1, 0
	s_cmp_lg_u32 s22, 0
	s_sub_co_ci_u32 s9, s73, s9
	s_sub_co_u32 s22, s8, s34
	s_cselect_b32 s23, -1, 0
	s_delay_alu instid0(SALU_CYCLE_1) | instskip(SKIP_3) | instid1(SALU_CYCLE_1)
	s_cmp_lg_u32 s23, 0
	s_sub_co_ci_u32 s23, s9, 0
	s_sub_co_u32 s25, s22, s34
	s_cselect_b32 s26, -1, 0
	s_cmp_lg_u32 s26, 0
	s_sub_co_ci_u32 s26, s23, 0
	s_cmp_ge_u32 s22, s34
	s_cselect_b32 s40, -1, 0
	s_cmp_eq_u32 s23, 0
	s_cselect_b32 s40, s40, -1
	s_delay_alu instid0(SALU_CYCLE_1)
	s_cmp_lg_u32 s40, 0
	s_cselect_b32 s23, s26, s23
	s_cselect_b32 s22, s25, s22
	s_cmp_ge_u32 s8, s34
	s_cselect_b32 s25, -1, 0
	s_cmp_eq_u32 s9, 0
	s_cselect_b32 s25, s25, -1
	s_delay_alu instid0(SALU_CYCLE_1)
	s_cmp_lg_u32 s25, 0
	s_cselect_b32 s9, s23, s9
	s_cselect_b32 s8, s22, s8
	s_mov_b32 s22, 0
	s_branch .LBB162_245
.LBB162_244:                            ;   in Loop: Header=BB162_18 Depth=1
	s_mov_b32 s22, -1
                                        ; implicit-def: $sgpr8_sgpr9
.LBB162_245:                            ;   in Loop: Header=BB162_18 Depth=1
	s_delay_alu instid0(SALU_CYCLE_1)
	s_and_not1_b32 vcc_lo, exec_lo, s22
	s_cbranch_vccnz .LBB162_247
; %bb.246:                              ;   in Loop: Header=BB162_18 Depth=1
	v_cvt_f32_u32_e32 v3, s34
	s_sub_co_i32 s9, 0, s34
	s_delay_alu instid0(VALU_DEP_1) | instskip(SKIP_1) | instid1(TRANS32_DEP_1)
	v_rcp_iflag_f32_e32 v3, v3
	v_nop
	v_mul_f32_e32 v3, 0x4f7ffffe, v3
	s_delay_alu instid0(VALU_DEP_1) | instskip(NEXT) | instid1(VALU_DEP_1)
	v_cvt_u32_f32_e32 v3, v3
	v_readfirstlane_b32 s8, v3
	s_mul_i32 s9, s9, s8
	s_delay_alu instid0(SALU_CYCLE_1) | instskip(NEXT) | instid1(SALU_CYCLE_1)
	s_mul_hi_u32 s9, s8, s9
	s_add_co_i32 s8, s8, s9
	s_delay_alu instid0(SALU_CYCLE_1) | instskip(NEXT) | instid1(SALU_CYCLE_1)
	s_mul_hi_u32 s8, s72, s8
	s_mul_i32 s8, s8, s34
	s_delay_alu instid0(SALU_CYCLE_1) | instskip(NEXT) | instid1(SALU_CYCLE_1)
	s_sub_co_i32 s8, s72, s8
	s_sub_co_i32 s9, s8, s34
	s_cmp_ge_u32 s8, s34
	s_cselect_b32 s8, s9, s8
	s_delay_alu instid0(SALU_CYCLE_1) | instskip(SKIP_2) | instid1(SALU_CYCLE_1)
	s_sub_co_i32 s9, s8, s34
	s_cmp_ge_u32 s8, s34
	s_cselect_b32 s26, s9, s8
	s_mov_b64 s[8:9], s[26:27]
.LBB162_247:                            ;   in Loop: Header=BB162_18 Depth=1
	s_delay_alu instid0(SALU_CYCLE_1)
	s_sub_nc_u64 s[8:9], s[72:73], s[8:9]
	s_mov_b32 s22, exec_lo
                                        ; implicit-def: $vgpr10_vgpr11
	v_nop
	v_cmpx_gt_u64_e64 s[8:9], v[0:1]
	s_cbranch_execz .LBB162_256
; %bb.248:                              ;   in Loop: Header=BB162_18 Depth=1
	v_mov_b64_e32 v[34:35], v[0:1]
	s_mov_b32 s23, 0
                                        ; implicit-def: $sgpr25
	s_branch .LBB162_251
.LBB162_249:                            ;   in Loop: Header=BB162_251 Depth=2
	s_or_b32 exec_lo, exec_lo, s26
	s_wait_dscnt 0x0
	s_barrier_signal -1
	s_barrier_wait -1
	ds_load_b128 v[8:11], v21 offset:3072
	s_mov_b32 s54, -1
	s_mov_b32 s26, -1
	s_wait_dscnt 0x0
	s_barrier_signal -1
	s_barrier_wait -1
	v_cmp_eq_u64_e32 vcc_lo, 0, v[8:9]
	s_cbranch_vccnz .LBB162_254
.LBB162_250:                            ;   in Loop: Header=BB162_251 Depth=2
	s_and_b32 s40, exec_lo, s54
	s_delay_alu instid0(SALU_CYCLE_1) | instskip(SKIP_2) | instid1(SALU_CYCLE_1)
	s_or_b32 s23, s40, s23
	s_and_not1_b32 s25, s25, exec_lo
	s_and_b32 s26, s26, exec_lo
	s_or_b32 s25, s25, s26
	s_and_not1_b32 exec_lo, exec_lo, s23
	s_cbranch_execz .LBB162_255
.LBB162_251:                            ;   Parent Loop BB162_18 Depth=1
                                        ; =>  This Inner Loop Header: Depth=2
	s_mov_b32 s26, exec_lo
	s_delay_alu instid0(VALU_DEP_1)
	v_cmpx_gt_u64_e64 s[36:37], v[34:35]
	s_cbranch_execz .LBB162_249
; %bb.252:                              ;   in Loop: Header=BB162_251 Depth=2
	v_mul_u64_e32 v[4:5], s[30:31], v[34:35]
	s_delay_alu instid0(VALU_DEP_1) | instskip(SKIP_4) | instid1(VALU_DEP_2)
	v_lshl_add_u64 v[4:5], v[4:5], 3, s[28:29]
	global_load_b64 v[4:5], v[4:5], off
	s_wait_loadcnt 0x0
	v_xor_b32_e32 v3, 0x80000000, v5
	v_and_b32_e32 v8, v4, v12
	v_and_b32_e32 v9, v3, v13
	s_delay_alu instid0(VALU_DEP_1)
	v_cmp_eq_u64_e32 vcc_lo, v[8:9], v[14:15]
	s_and_b32 exec_lo, exec_lo, vcc_lo
	s_cbranch_execz .LBB162_249
; %bb.253:                              ;   in Loop: Header=BB162_251 Depth=2
	v_mov_b32_e32 v3, v21
	ds_store_b128 v21, v[2:5] offset:3072
	s_branch .LBB162_249
.LBB162_254:                            ;   in Loop: Header=BB162_251 Depth=2
	v_add_nc_u64_e32 v[34:35], s[34:35], v[34:35]
	s_mov_b32 s26, 0
	s_delay_alu instid0(VALU_DEP_1)
	v_cmp_le_u64_e32 vcc_lo, s[8:9], v[34:35]
	s_or_not1_b32 s54, vcc_lo, exec_lo
	s_branch .LBB162_250
.LBB162_255:                            ;   in Loop: Header=BB162_18 Depth=1
	s_or_b32 exec_lo, exec_lo, s23
	s_delay_alu instid0(SALU_CYCLE_1) | instskip(SKIP_1) | instid1(SALU_CYCLE_1)
	s_and_not1_b32 s8, s24, exec_lo
	s_and_b32 s9, s25, exec_lo
	s_or_b32 s24, s8, s9
.LBB162_256:                            ;   in Loop: Header=BB162_18 Depth=1
	s_or_b32 exec_lo, exec_lo, s22
	s_mov_b32 s54, 0
	s_mov_b32 s55, -1
.LBB162_257:                            ;   in Loop: Header=BB162_18 Depth=1
	s_or_not1_b32 s9, s24, exec_lo
.LBB162_258:                            ;   in Loop: Header=BB162_18 Depth=1
	s_or_b32 exec_lo, exec_lo, s53
	s_mov_b32 s22, 0
	s_and_saveexec_b32 s8, s9
	s_cbranch_execz .LBB162_269
; %bb.259:                              ;   in Loop: Header=BB162_18 Depth=1
	v_mov_b64_e32 v[4:5], 1
	v_mov_b32_e32 v20, 1
	s_xor_b32 s22, s52, -1
	s_delay_alu instid0(SALU_CYCLE_1)
	s_and_saveexec_b32 s9, s22
	s_cbranch_execz .LBB162_268
; %bb.260:                              ;   in Loop: Header=BB162_18 Depth=1
	s_mov_b32 s22, exec_lo
	v_cmpx_ge_u64_e64 s[20:21], v[32:33]
	s_xor_b32 s22, exec_lo, s22
	s_cbranch_execz .LBB162_265
; %bb.261:                              ;   in Loop: Header=BB162_18 Depth=1
	ds_load_b64 v[4:5], v21 offset:5120
	v_or_b32_e32 v15, s13, v15
	v_or_b32_e32 v14, s12, v14
	;; [unrolled: 1-line block ×4, first 2 shown]
	s_wait_dscnt 0x0
	v_cmp_ne_u64_e32 vcc_lo, 0, v[4:5]
	s_cbranch_vccnz .LBB162_265
; %bb.262:                              ;   in Loop: Header=BB162_18 Depth=1
	s_and_saveexec_b32 s23, s5
; %bb.263:                              ;   in Loop: Header=BB162_18 Depth=1
	v_mov_b64_e32 v[4:5], s[20:21]
	ds_store_b64 v21, v[4:5] offset:5128
; %bb.264:                              ;   in Loop: Header=BB162_18 Depth=1
	s_or_b32 exec_lo, exec_lo, s23
	s_wait_dscnt 0x0
	s_barrier_signal -1
	s_barrier_wait -1
.LBB162_265:                            ;   in Loop: Header=BB162_18 Depth=1
	s_and_not1_saveexec_b32 s22, s22
; %bb.266:                              ;   in Loop: Header=BB162_18 Depth=1
	v_sub_nc_u64_e64 v[32:33], v[32:33], s[20:21]
; %bb.267:                              ;   in Loop: Header=BB162_18 Depth=1
	s_or_b32 exec_lo, exec_lo, s22
	s_delay_alu instid0(VALU_DEP_1)
	v_mov_b64_e32 v[4:5], v[32:33]
	v_mov_b32_e32 v20, 8
.LBB162_268:                            ;   in Loop: Header=BB162_18 Depth=1
	s_or_b32 exec_lo, exec_lo, s9
	s_delay_alu instid0(VALU_DEP_2)
	v_mov_b64_e32 v[32:33], v[4:5]
	s_mov_b32 s22, exec_lo
.LBB162_269:                            ;   in Loop: Header=BB162_18 Depth=1
	s_or_b32 exec_lo, exec_lo, s8
	s_delay_alu instid0(SALU_CYCLE_1)
	s_or_not1_b32 s8, s22, exec_lo
.LBB162_270:                            ;   in Loop: Header=BB162_18 Depth=1
	s_or_b32 exec_lo, exec_lo, s91
	s_delay_alu instid0(VALU_DEP_1)
	v_mov_b64_e32 v[34:35], v[32:33]
	s_and_not1_b32 s9, s89, exec_lo
	s_and_b32 s22, s55, exec_lo
	s_and_not1_b32 s23, s88, exec_lo
	s_and_b32 s24, s54, exec_lo
	s_or_b32 s89, s9, s22
	s_or_b32 s88, s23, s24
	s_and_b32 s9, s8, exec_lo
.LBB162_271:                            ;   in Loop: Header=BB162_18 Depth=1
	s_or_b32 exec_lo, exec_lo, s90
	s_delay_alu instid0(SALU_CYCLE_1)
	s_or_not1_b32 s8, s9, exec_lo
.LBB162_272:                            ;   in Loop: Header=BB162_18 Depth=1
	s_or_b32 exec_lo, exec_lo, s87
	v_mov_b64_e32 v[32:33], v[34:35]
	s_and_not1_b32 s9, s85, exec_lo
	s_and_b32 s22, s89, exec_lo
	s_and_not1_b32 s23, s80, exec_lo
	s_and_b32 s24, s88, exec_lo
	s_or_b32 s85, s9, s22
	s_or_b32 s80, s23, s24
	s_and_b32 s9, s8, exec_lo
.LBB162_273:                            ;   in Loop: Header=BB162_18 Depth=1
	s_or_b32 exec_lo, exec_lo, s86
	s_delay_alu instid0(SALU_CYCLE_1)
	s_or_not1_b32 s8, s9, exec_lo
.LBB162_274:                            ;   in Loop: Header=BB162_18 Depth=1
	s_or_b32 exec_lo, exec_lo, s79
	s_mov_b32 s9, 0
	s_mov_b32 s22, 0
	s_and_saveexec_b32 s23, s8
	s_delay_alu instid0(SALU_CYCLE_1)
	s_xor_b32 s23, exec_lo, s23
; %bb.275:                              ;   in Loop: Header=BB162_18 Depth=1
	v_cmp_ne_u32_e32 vcc_lo, 8, v20
	v_cmp_eq_u32_e64 s8, 8, v20
	s_and_b32 s22, vcc_lo, exec_lo
	s_and_b32 s9, s8, exec_lo
; %bb.276:                              ;   in Loop: Header=BB162_18 Depth=1
	s_or_b32 exec_lo, exec_lo, s23
	s_delay_alu instid0(SALU_CYCLE_1)
	s_and_not1_b32 s8, s82, exec_lo
	s_and_b32 s23, s85, exec_lo
	s_and_not1_b32 s24, s81, exec_lo
	s_and_b32 s25, s80, exec_lo
	s_or_b32 s82, s8, s23
	s_or_b32 s81, s24, s25
	s_and_b32 s79, s22, exec_lo
	s_and_b32 s80, s9, exec_lo
.LBB162_277:                            ;   in Loop: Header=BB162_18 Depth=1
	s_or_b32 exec_lo, exec_lo, s84
.LBB162_278:                            ;   in Loop: Header=BB162_18 Depth=1
	s_delay_alu instid0(SALU_CYCLE_1)
	s_and_b32 vcc_lo, exec_lo, s83
	s_cbranch_vccz .LBB162_294
; %bb.279:                              ;   in Loop: Header=BB162_18 Depth=1
	s_cmp_eq_u64 s[20:21], 1
                                        ; implicit-def: $sgpr83
                                        ; implicit-def: $sgpr78
	s_cselect_b32 s8, -1, 0
	s_delay_alu instid0(SALU_CYCLE_1)
	s_and_b32 s7, s8, s7
	s_mov_b32 s8, -1
	s_and_saveexec_b32 s52, s7
	s_cbranch_execz .LBB162_312
; %bb.280:                              ;   in Loop: Header=BB162_18 Depth=1
	ds_load_b64 v[4:5], v21 offset:5120
	s_wait_dscnt 0x0
	s_barrier_signal -1
	s_barrier_wait -1
	v_readfirstlane_b32 s8, v4
	v_readfirstlane_b32 s9, v5
	s_and_saveexec_b32 s22, s6
; %bb.281:                              ;   in Loop: Header=BB162_18 Depth=1
	ds_store_b64 v39, v[26:27]
; %bb.282:                              ;   in Loop: Header=BB162_18 Depth=1
	s_or_b32 exec_lo, exec_lo, s22
	v_or_b32_e32 v25, s13, v25
	v_or_b32_e32 v24, s12, v24
	;; [unrolled: 1-line block ×4, first 2 shown]
	s_mov_b32 s78, -1
	s_mov_b32 s83, 0
	s_cmp_eq_u64 s[8:9], 0
	s_mov_b32 s24, 0
	s_mov_b32 s25, -1
	s_wait_dscnt 0x0
	s_barrier_signal -1
	s_barrier_wait -1
                                        ; implicit-def: $vgpr6_vgpr7
	s_cbranch_scc1 .LBB162_297
; %bb.283:                              ;   in Loop: Header=BB162_18 Depth=1
	s_add_nc_u64 s[22:23], s[8:9], s[70:71]
	s_delay_alu instid0(SALU_CYCLE_1) | instskip(NEXT) | instid1(SALU_CYCLE_1)
	s_and_b64 s[24:25], s[22:23], 0xffffffff00000000
	s_cmp_lg_u64 s[24:25], 0
	s_cbranch_scc0 .LBB162_338
; %bb.284:                              ;   in Loop: Header=BB162_18 Depth=1
	s_cvt_f32_u32 s24, s34
	s_sub_nc_u64 s[54:55], 0, s[34:35]
	s_delay_alu instid0(SALU_CYCLE_2) | instskip(NEXT) | instid1(SALU_CYCLE_3)
	s_fmamk_f32 s24, s102, 0x0, s24
	v_s_rcp_f32 s24, s24
	s_delay_alu instid0(TRANS32_DEP_1) | instskip(NEXT) | instid1(SALU_CYCLE_3)
	s_mul_f32 s24, s24, 0x5f7ffffc
	s_mul_f32 s25, s24, 0x2f800000
	s_delay_alu instid0(SALU_CYCLE_3) | instskip(NEXT) | instid1(SALU_CYCLE_3)
	s_trunc_f32 s25, s25
	s_fmamk_f32 s24, s25, 0xcf800000, s24
	s_cvt_u32_f32 s25, s25
	s_delay_alu instid0(SALU_CYCLE_2) | instskip(NEXT) | instid1(SALU_CYCLE_3)
	s_cvt_u32_f32 s24, s24
	s_mul_u64 s[60:61], s[54:55], s[24:25]
	s_delay_alu instid0(SALU_CYCLE_1)
	s_mul_hi_u32 s63, s24, s61
	s_mul_i32 s62, s24, s61
	s_mul_hi_u32 s26, s24, s60
	s_mul_i32 s41, s25, s60
	s_add_nc_u64 s[62:63], s[26:27], s[62:63]
	s_mul_hi_u32 s40, s25, s60
	s_mul_hi_u32 s42, s25, s61
	s_add_co_u32 s26, s62, s41
	s_add_co_ci_u32 s26, s63, s40
	s_mul_i32 s60, s25, s61
	s_add_co_ci_u32 s61, s42, 0
	s_delay_alu instid0(SALU_CYCLE_1) | instskip(NEXT) | instid1(SALU_CYCLE_1)
	s_add_nc_u64 s[60:61], s[26:27], s[60:61]
	s_add_co_u32 s24, s24, s60
	s_cselect_b32 s26, -1, 0
	s_delay_alu instid0(SALU_CYCLE_1) | instskip(SKIP_1) | instid1(SALU_CYCLE_1)
	s_cmp_lg_u32 s26, 0
	s_add_co_ci_u32 s25, s25, s61
	s_mul_u64 s[54:55], s[54:55], s[24:25]
	s_delay_alu instid0(SALU_CYCLE_1)
	s_mul_hi_u32 s61, s24, s55
	s_mul_i32 s60, s24, s55
	s_mul_hi_u32 s26, s24, s54
	s_mul_i32 s41, s25, s54
	s_add_nc_u64 s[60:61], s[26:27], s[60:61]
	s_mul_hi_u32 s40, s25, s54
	s_mul_hi_u32 s42, s25, s55
	s_add_co_u32 s26, s60, s41
	s_add_co_ci_u32 s26, s61, s40
	s_mul_i32 s54, s25, s55
	s_add_co_ci_u32 s55, s42, 0
	s_delay_alu instid0(SALU_CYCLE_1) | instskip(NEXT) | instid1(SALU_CYCLE_1)
	s_add_nc_u64 s[54:55], s[26:27], s[54:55]
	s_add_co_u32 s24, s24, s54
	s_cselect_b32 s40, -1, 0
	s_mul_hi_u32 s26, s22, s24
	s_cmp_lg_u32 s40, 0
	s_mul_hi_u32 s40, s23, s24
	s_add_co_ci_u32 s41, s25, s55
	s_mul_i32 s42, s23, s24
	s_mul_hi_u32 s25, s22, s41
	s_mul_i32 s24, s22, s41
	s_mul_hi_u32 s43, s23, s41
	s_add_nc_u64 s[24:25], s[26:27], s[24:25]
	s_mul_i32 s54, s23, s41
	s_add_co_u32 s24, s24, s42
	s_add_co_ci_u32 s26, s25, s40
	s_add_co_ci_u32 s55, s43, 0
	s_delay_alu instid0(SALU_CYCLE_1) | instskip(NEXT) | instid1(SALU_CYCLE_1)
	s_add_nc_u64 s[24:25], s[26:27], s[54:55]
	s_and_b64 s[54:55], s[24:25], 0xffffffff00000000
	s_delay_alu instid0(SALU_CYCLE_1) | instskip(NEXT) | instid1(SALU_CYCLE_1)
	s_or_b32 s54, s54, s24
	s_mul_u64 s[24:25], s[34:35], s[54:55]
	s_delay_alu instid0(SALU_CYCLE_1) | instskip(SKIP_1) | instid1(SALU_CYCLE_1)
	s_sub_co_u32 s24, s22, s24
	s_cselect_b32 s26, -1, 0
	s_cmp_lg_u32 s26, 0
	s_sub_co_ci_u32 s25, s23, s25
	s_sub_co_u32 s26, s24, s34
	s_cselect_b32 s40, -1, 0
	s_delay_alu instid0(SALU_CYCLE_1) | instskip(SKIP_3) | instid1(SALU_CYCLE_1)
	s_cmp_lg_u32 s40, 0
	s_sub_co_ci_u32 s40, s25, 0
	s_sub_co_u32 s41, s26, s34
	s_cselect_b32 s42, -1, 0
	s_cmp_lg_u32 s42, 0
	s_sub_co_ci_u32 s42, s40, 0
	s_cmp_ge_u32 s26, s34
	s_cselect_b32 s43, -1, 0
	s_cmp_eq_u32 s40, 0
	s_cselect_b32 s43, s43, -1
	s_delay_alu instid0(SALU_CYCLE_1)
	s_cmp_lg_u32 s43, 0
	s_cselect_b32 s40, s42, s40
	s_cselect_b32 s26, s41, s26
	s_cmp_ge_u32 s24, s34
	s_cselect_b32 s41, -1, 0
	s_cmp_eq_u32 s25, 0
	s_cselect_b32 s41, s41, -1
	s_delay_alu instid0(SALU_CYCLE_1)
	s_cmp_lg_u32 s41, 0
	s_cselect_b32 s25, s40, s25
	s_cselect_b32 s24, s26, s24
	s_cbranch_execnz .LBB162_286
.LBB162_285:                            ;   in Loop: Header=BB162_18 Depth=1
	v_cvt_f32_u32_e32 v3, s34
	s_sub_co_i32 s25, 0, s34
	s_delay_alu instid0(VALU_DEP_1) | instskip(SKIP_1) | instid1(TRANS32_DEP_1)
	v_rcp_iflag_f32_e32 v3, v3
	v_nop
	v_mul_f32_e32 v3, 0x4f7ffffe, v3
	s_delay_alu instid0(VALU_DEP_1) | instskip(NEXT) | instid1(VALU_DEP_1)
	v_cvt_u32_f32_e32 v3, v3
	v_readfirstlane_b32 s24, v3
	s_mul_i32 s25, s25, s24
	s_delay_alu instid0(SALU_CYCLE_1) | instskip(NEXT) | instid1(SALU_CYCLE_1)
	s_mul_hi_u32 s25, s24, s25
	s_add_co_i32 s24, s24, s25
	s_delay_alu instid0(SALU_CYCLE_1) | instskip(NEXT) | instid1(SALU_CYCLE_1)
	s_mul_hi_u32 s24, s22, s24
	s_mul_i32 s24, s24, s34
	s_delay_alu instid0(SALU_CYCLE_1) | instskip(NEXT) | instid1(SALU_CYCLE_1)
	s_sub_co_i32 s24, s22, s24
	s_sub_co_i32 s25, s24, s34
	s_cmp_ge_u32 s24, s34
	s_cselect_b32 s24, s25, s24
	s_delay_alu instid0(SALU_CYCLE_1) | instskip(SKIP_2) | instid1(SALU_CYCLE_1)
	s_sub_co_i32 s25, s24, s34
	s_cmp_ge_u32 s24, s34
	s_cselect_b32 s26, s25, s24
	s_mov_b64 s[24:25], s[26:27]
.LBB162_286:                            ;   in Loop: Header=BB162_18 Depth=1
	s_delay_alu instid0(SALU_CYCLE_1)
	s_sub_nc_u64 s[22:23], s[22:23], s[24:25]
	s_mov_b32 s25, 0
	s_mov_b32 s24, 0
	s_mov_b32 s26, exec_lo
                                        ; implicit-def: $vgpr6_vgpr7
	v_cmpx_gt_u64_e64 s[22:23], v[0:1]
	s_cbranch_execz .LBB162_296
; %bb.287:                              ;   in Loop: Header=BB162_18 Depth=1
	v_mov_b64_e32 v[8:9], v[0:1]
	v_mov_b32_e32 v10, v38
                                        ; implicit-def: $sgpr53
	s_branch .LBB162_290
.LBB162_288:                            ;   in Loop: Header=BB162_290 Depth=2
	s_or_b32 exec_lo, exec_lo, s54
	s_wait_dscnt 0x0
	s_barrier_signal -1
	s_barrier_wait -1
	ds_load_b128 v[4:7], v21 offset:3072
	s_mov_b32 s54, -1
	s_mov_b32 s55, -1
	s_wait_dscnt 0x0
	s_barrier_signal -1
	s_barrier_wait -1
	v_cmp_ne_u64_e32 vcc_lo, 0, v[4:5]
	s_cbranch_vccz .LBB162_293
.LBB162_289:                            ;   in Loop: Header=BB162_290 Depth=2
	s_and_b32 s40, exec_lo, s54
	s_delay_alu instid0(SALU_CYCLE_1) | instskip(SKIP_2) | instid1(SALU_CYCLE_1)
	s_or_b32 s24, s40, s24
	s_and_not1_b32 s40, s53, exec_lo
	s_and_b32 s41, s55, exec_lo
	s_or_b32 s53, s40, s41
	s_and_not1_b32 exec_lo, exec_lo, s24
	s_cbranch_execz .LBB162_295
.LBB162_290:                            ;   Parent Loop BB162_18 Depth=1
                                        ; =>  This Inner Loop Header: Depth=2
	s_mov_b32 s54, exec_lo
	s_delay_alu instid0(VALU_DEP_2)
	v_cmpx_gt_u64_e64 s[8:9], v[8:9]
	s_cbranch_execz .LBB162_288
; %bb.291:                              ;   in Loop: Header=BB162_290 Depth=2
	ds_load_b64 v[4:5], v10
	s_wait_dscnt 0x0
	v_xor_b32_e32 v3, 0x80000000, v5
	v_and_b32_e32 v6, v4, v28
	s_delay_alu instid0(VALU_DEP_2) | instskip(NEXT) | instid1(VALU_DEP_1)
	v_and_b32_e32 v7, v3, v29
	v_cmp_eq_u64_e32 vcc_lo, v[6:7], v[24:25]
	s_and_b32 exec_lo, exec_lo, vcc_lo
	s_cbranch_execz .LBB162_288
; %bb.292:                              ;   in Loop: Header=BB162_290 Depth=2
	v_mov_b32_e32 v3, v21
	ds_store_b128 v21, v[2:5] offset:3072
	s_branch .LBB162_288
.LBB162_293:                            ;   in Loop: Header=BB162_290 Depth=2
	v_add_nc_u64_e32 v[8:9], s[34:35], v[8:9]
	v_add_nc_u32_e32 v10, s99, v10
	s_mov_b32 s55, 0
	s_delay_alu instid0(VALU_DEP_2)
	v_cmp_le_u64_e32 vcc_lo, s[22:23], v[8:9]
	s_or_not1_b32 s54, vcc_lo, exec_lo
	s_branch .LBB162_289
.LBB162_294:                            ;   in Loop: Header=BB162_18 Depth=1
	v_mov_b64_e32 v[24:25], v[14:15]
	v_mov_b64_e32 v[28:29], v[12:13]
	;; [unrolled: 1-line block ×3, first 2 shown]
	s_mov_b32 s83, 0
	s_and_saveexec_b32 s7, s80
	s_cbranch_execnz .LBB162_471
	s_branch .LBB162_472
.LBB162_295:                            ;   in Loop: Header=BB162_18 Depth=1
	s_or_b32 exec_lo, exec_lo, s24
	s_delay_alu instid0(SALU_CYCLE_1)
	s_and_b32 s24, s53, exec_lo
.LBB162_296:                            ;   in Loop: Header=BB162_18 Depth=1
	s_or_b32 exec_lo, exec_lo, s26
.LBB162_297:                            ;   in Loop: Header=BB162_18 Depth=1
	s_delay_alu instid0(SALU_CYCLE_1)
	s_and_b32 vcc_lo, exec_lo, s25
	s_cbranch_vccz .LBB162_311
; %bb.298:                              ;   in Loop: Header=BB162_18 Depth=1
	s_and_b64 s[8:9], s[72:73], 0xffffffff00000000
	s_delay_alu instid0(SALU_CYCLE_1)
	s_cmp_lg_u64 s[8:9], 0
	s_cbranch_scc0 .LBB162_339
; %bb.299:                              ;   in Loop: Header=BB162_18 Depth=1
	s_cvt_f32_u32 s8, s34
	s_sub_nc_u64 s[22:23], 0, s[34:35]
	s_delay_alu instid0(SALU_CYCLE_2) | instskip(NEXT) | instid1(SALU_CYCLE_3)
	s_fmamk_f32 s8, s102, 0x0, s8
	v_s_rcp_f32 s8, s8
	s_delay_alu instid0(TRANS32_DEP_1) | instskip(NEXT) | instid1(SALU_CYCLE_3)
	s_mul_f32 s8, s8, 0x5f7ffffc
	s_mul_f32 s9, s8, 0x2f800000
	s_delay_alu instid0(SALU_CYCLE_3) | instskip(NEXT) | instid1(SALU_CYCLE_3)
	s_trunc_f32 s9, s9
	s_fmamk_f32 s8, s9, 0xcf800000, s8
	s_cvt_u32_f32 s9, s9
	s_delay_alu instid0(SALU_CYCLE_2) | instskip(NEXT) | instid1(SALU_CYCLE_3)
	s_cvt_u32_f32 s8, s8
	s_mul_u64 s[54:55], s[22:23], s[8:9]
	s_delay_alu instid0(SALU_CYCLE_1)
	s_mul_hi_u32 s61, s8, s55
	s_mul_i32 s60, s8, s55
	s_mul_hi_u32 s26, s8, s54
	s_mul_i32 s40, s9, s54
	s_add_nc_u64 s[60:61], s[26:27], s[60:61]
	s_mul_hi_u32 s25, s9, s54
	s_mul_hi_u32 s41, s9, s55
	s_add_co_u32 s26, s60, s40
	s_add_co_ci_u32 s26, s61, s25
	s_mul_i32 s54, s9, s55
	s_add_co_ci_u32 s55, s41, 0
	s_delay_alu instid0(SALU_CYCLE_1) | instskip(NEXT) | instid1(SALU_CYCLE_1)
	s_add_nc_u64 s[54:55], s[26:27], s[54:55]
	s_add_co_u32 s8, s8, s54
	s_cselect_b32 s25, -1, 0
	s_delay_alu instid0(SALU_CYCLE_1) | instskip(SKIP_1) | instid1(SALU_CYCLE_1)
	s_cmp_lg_u32 s25, 0
	s_add_co_ci_u32 s9, s9, s55
	s_mul_u64 s[22:23], s[22:23], s[8:9]
	s_delay_alu instid0(SALU_CYCLE_1)
	s_mul_hi_u32 s55, s8, s23
	s_mul_i32 s54, s8, s23
	s_mul_hi_u32 s26, s8, s22
	s_mul_i32 s40, s9, s22
	s_add_nc_u64 s[54:55], s[26:27], s[54:55]
	s_mul_hi_u32 s25, s9, s22
	s_mul_hi_u32 s41, s9, s23
	s_mul_i32 s22, s9, s23
	s_add_co_u32 s23, s54, s40
	s_add_co_ci_u32 s26, s55, s25
	s_add_co_ci_u32 s23, s41, 0
	s_delay_alu instid0(SALU_CYCLE_1) | instskip(NEXT) | instid1(SALU_CYCLE_1)
	s_add_nc_u64 s[22:23], s[26:27], s[22:23]
	s_add_co_u32 s8, s8, s22
	s_cselect_b32 s22, -1, 0
	s_mul_hi_u32 s26, s72, s8
	s_cmp_lg_u32 s22, 0
	s_mul_hi_u32 s25, s73, s8
	s_add_co_ci_u32 s22, s9, s23
	s_mul_i32 s23, s73, s8
	s_mul_hi_u32 s9, s72, s22
	s_mul_i32 s8, s72, s22
	s_mul_hi_u32 s40, s73, s22
	s_add_nc_u64 s[8:9], s[26:27], s[8:9]
	s_mul_i32 s22, s73, s22
	s_add_co_u32 s8, s8, s23
	s_add_co_ci_u32 s26, s9, s25
	s_add_co_ci_u32 s23, s40, 0
	s_delay_alu instid0(SALU_CYCLE_1) | instskip(NEXT) | instid1(SALU_CYCLE_1)
	s_add_nc_u64 s[8:9], s[26:27], s[22:23]
	s_and_b64 s[22:23], s[8:9], 0xffffffff00000000
	s_delay_alu instid0(SALU_CYCLE_1) | instskip(NEXT) | instid1(SALU_CYCLE_1)
	s_or_b32 s22, s22, s8
	s_mul_u64 s[8:9], s[34:35], s[22:23]
	s_delay_alu instid0(SALU_CYCLE_1) | instskip(SKIP_1) | instid1(SALU_CYCLE_1)
	s_sub_co_u32 s8, s72, s8
	s_cselect_b32 s22, -1, 0
	s_cmp_lg_u32 s22, 0
	s_sub_co_ci_u32 s9, s73, s9
	s_sub_co_u32 s22, s8, s34
	s_cselect_b32 s23, -1, 0
	s_delay_alu instid0(SALU_CYCLE_1) | instskip(SKIP_3) | instid1(SALU_CYCLE_1)
	s_cmp_lg_u32 s23, 0
	s_sub_co_ci_u32 s23, s9, 0
	s_sub_co_u32 s25, s22, s34
	s_cselect_b32 s26, -1, 0
	s_cmp_lg_u32 s26, 0
	s_sub_co_ci_u32 s26, s23, 0
	s_cmp_ge_u32 s22, s34
	s_cselect_b32 s40, -1, 0
	s_cmp_eq_u32 s23, 0
	s_cselect_b32 s40, s40, -1
	s_delay_alu instid0(SALU_CYCLE_1)
	s_cmp_lg_u32 s40, 0
	s_cselect_b32 s23, s26, s23
	s_cselect_b32 s22, s25, s22
	s_cmp_ge_u32 s8, s34
	s_cselect_b32 s25, -1, 0
	s_cmp_eq_u32 s9, 0
	s_cselect_b32 s25, s25, -1
	s_delay_alu instid0(SALU_CYCLE_1)
	s_cmp_lg_u32 s25, 0
	s_cselect_b32 s9, s23, s9
	s_cselect_b32 s8, s22, s8
	s_cbranch_execnz .LBB162_301
.LBB162_300:                            ;   in Loop: Header=BB162_18 Depth=1
	v_cvt_f32_u32_e32 v3, s34
	s_sub_co_i32 s9, 0, s34
	s_delay_alu instid0(VALU_DEP_1) | instskip(SKIP_1) | instid1(TRANS32_DEP_1)
	v_rcp_iflag_f32_e32 v3, v3
	v_nop
	v_mul_f32_e32 v3, 0x4f7ffffe, v3
	s_delay_alu instid0(VALU_DEP_1) | instskip(NEXT) | instid1(VALU_DEP_1)
	v_cvt_u32_f32_e32 v3, v3
	v_readfirstlane_b32 s8, v3
	s_mul_i32 s9, s9, s8
	s_delay_alu instid0(SALU_CYCLE_1) | instskip(NEXT) | instid1(SALU_CYCLE_1)
	s_mul_hi_u32 s9, s8, s9
	s_add_co_i32 s8, s8, s9
	s_delay_alu instid0(SALU_CYCLE_1) | instskip(NEXT) | instid1(SALU_CYCLE_1)
	s_mul_hi_u32 s8, s72, s8
	s_mul_i32 s8, s8, s34
	s_delay_alu instid0(SALU_CYCLE_1) | instskip(NEXT) | instid1(SALU_CYCLE_1)
	s_sub_co_i32 s8, s72, s8
	s_sub_co_i32 s9, s8, s34
	s_cmp_ge_u32 s8, s34
	s_cselect_b32 s8, s9, s8
	s_delay_alu instid0(SALU_CYCLE_1) | instskip(SKIP_2) | instid1(SALU_CYCLE_1)
	s_sub_co_i32 s9, s8, s34
	s_cmp_ge_u32 s8, s34
	s_cselect_b32 s26, s9, s8
	s_mov_b64 s[8:9], s[26:27]
.LBB162_301:                            ;   in Loop: Header=BB162_18 Depth=1
	s_delay_alu instid0(SALU_CYCLE_1)
	s_sub_nc_u64 s[8:9], s[72:73], s[8:9]
	s_mov_b32 s22, exec_lo
                                        ; implicit-def: $vgpr6_vgpr7
	v_nop
	v_cmpx_gt_u64_e64 s[8:9], v[0:1]
	s_cbranch_execz .LBB162_310
; %bb.302:                              ;   in Loop: Header=BB162_18 Depth=1
	v_mov_b64_e32 v[8:9], v[0:1]
	s_mov_b32 s25, 0
                                        ; implicit-def: $sgpr23
	s_branch .LBB162_305
.LBB162_303:                            ;   in Loop: Header=BB162_305 Depth=2
	s_or_b32 exec_lo, exec_lo, s26
	s_wait_dscnt 0x0
	s_barrier_signal -1
	s_barrier_wait -1
	ds_load_b128 v[4:7], v21 offset:3072
	s_mov_b32 s53, -1
	s_mov_b32 s26, -1
	s_wait_dscnt 0x0
	s_barrier_signal -1
	s_barrier_wait -1
	v_cmp_ne_u64_e32 vcc_lo, 0, v[4:5]
	s_cbranch_vccz .LBB162_308
.LBB162_304:                            ;   in Loop: Header=BB162_305 Depth=2
	s_and_b32 s40, exec_lo, s53
	s_delay_alu instid0(SALU_CYCLE_1) | instskip(SKIP_2) | instid1(SALU_CYCLE_1)
	s_or_b32 s25, s40, s25
	s_and_not1_b32 s23, s23, exec_lo
	s_and_b32 s26, s26, exec_lo
	s_or_b32 s23, s23, s26
	s_and_not1_b32 exec_lo, exec_lo, s25
	s_cbranch_execz .LBB162_309
.LBB162_305:                            ;   Parent Loop BB162_18 Depth=1
                                        ; =>  This Inner Loop Header: Depth=2
	s_mov_b32 s26, exec_lo
	s_delay_alu instid0(VALU_DEP_1)
	v_cmpx_gt_u64_e64 s[36:37], v[8:9]
	s_cbranch_execz .LBB162_303
; %bb.306:                              ;   in Loop: Header=BB162_305 Depth=2
	v_mul_u64_e32 v[4:5], s[30:31], v[8:9]
	s_delay_alu instid0(VALU_DEP_1) | instskip(SKIP_4) | instid1(VALU_DEP_2)
	v_lshl_add_u64 v[4:5], v[4:5], 3, s[28:29]
	global_load_b64 v[4:5], v[4:5], off
	s_wait_loadcnt 0x0
	v_xor_b32_e32 v3, 0x80000000, v5
	v_and_b32_e32 v6, v4, v28
	v_and_b32_e32 v7, v3, v29
	s_delay_alu instid0(VALU_DEP_1)
	v_cmp_eq_u64_e32 vcc_lo, v[6:7], v[24:25]
	s_and_b32 exec_lo, exec_lo, vcc_lo
	s_cbranch_execz .LBB162_303
; %bb.307:                              ;   in Loop: Header=BB162_305 Depth=2
	v_mov_b32_e32 v3, v21
	ds_store_b128 v21, v[2:5] offset:3072
	s_branch .LBB162_303
.LBB162_308:                            ;   in Loop: Header=BB162_305 Depth=2
	v_add_nc_u64_e32 v[8:9], s[34:35], v[8:9]
	s_mov_b32 s26, 0
	s_delay_alu instid0(VALU_DEP_1)
	v_cmp_le_u64_e32 vcc_lo, s[8:9], v[8:9]
	s_or_not1_b32 s53, vcc_lo, exec_lo
	s_branch .LBB162_304
.LBB162_309:                            ;   in Loop: Header=BB162_18 Depth=1
	s_or_b32 exec_lo, exec_lo, s25
	s_delay_alu instid0(SALU_CYCLE_1) | instskip(SKIP_1) | instid1(SALU_CYCLE_1)
	s_and_not1_b32 s8, s24, exec_lo
	s_and_b32 s9, s23, exec_lo
	s_or_b32 s24, s8, s9
.LBB162_310:                            ;   in Loop: Header=BB162_18 Depth=1
	s_or_b32 exec_lo, exec_lo, s22
	s_mov_b32 s78, 0
	s_mov_b32 s83, -1
.LBB162_311:                            ;   in Loop: Header=BB162_18 Depth=1
	s_or_not1_b32 s8, s24, exec_lo
.LBB162_312:                            ;   in Loop: Header=BB162_18 Depth=1
	s_or_b32 exec_lo, exec_lo, s52
                                        ; implicit-def: $vgpr32_vgpr33
                                        ; implicit-def: $vgpr20
	s_and_saveexec_b32 s24, s8
	s_cbranch_execz .LBB162_470
; %bb.313:                              ;   in Loop: Header=BB162_18 Depth=1
	v_mov_b64_e32 v[32:33], 1
	v_mov_b32_e32 v20, 1
	s_xor_b32 s8, s7, -1
	s_mov_b32 s9, 0
	s_and_saveexec_b32 s7, s8
	s_cbranch_execz .LBB162_322
; %bb.314:                              ;   in Loop: Header=BB162_18 Depth=1
	s_mov_b32 s8, exec_lo
	v_cmpx_ge_u64_e64 s[20:21], v[30:31]
	s_xor_b32 s8, exec_lo, s8
	s_cbranch_execz .LBB162_319
; %bb.315:                              ;   in Loop: Header=BB162_18 Depth=1
	ds_load_b64 v[4:5], v21 offset:5120
	v_or_b32_e32 v25, s13, v25
	v_or_b32_e32 v24, s12, v24
	;; [unrolled: 1-line block ×4, first 2 shown]
	s_wait_dscnt 0x0
	v_cmp_ne_u64_e32 vcc_lo, 0, v[4:5]
	s_cbranch_vccnz .LBB162_319
; %bb.316:                              ;   in Loop: Header=BB162_18 Depth=1
	s_and_saveexec_b32 s9, s5
; %bb.317:                              ;   in Loop: Header=BB162_18 Depth=1
	v_mov_b64_e32 v[4:5], s[20:21]
	ds_store_b64 v21, v[4:5] offset:5128
; %bb.318:                              ;   in Loop: Header=BB162_18 Depth=1
	s_or_b32 exec_lo, exec_lo, s9
	s_wait_dscnt 0x0
	s_barrier_signal -1
	s_barrier_wait -1
.LBB162_319:                            ;   in Loop: Header=BB162_18 Depth=1
	s_or_saveexec_b32 s8, s8
	v_mov_b32_e32 v20, 5
	s_mov_b32 s9, 0
	s_xor_b32 exec_lo, exec_lo, s8
; %bb.320:                              ;   in Loop: Header=BB162_18 Depth=1
	v_sub_nc_u64_e64 v[30:31], v[30:31], s[20:21]
	v_mov_b32_e32 v20, 0
	s_mov_b32 s9, exec_lo
; %bb.321:                              ;   in Loop: Header=BB162_18 Depth=1
	s_or_b32 exec_lo, exec_lo, s8
	s_delay_alu instid0(VALU_DEP_2)
	v_mov_b64_e32 v[32:33], v[30:31]
	s_and_b32 s9, s9, exec_lo
.LBB162_322:                            ;   in Loop: Header=BB162_18 Depth=1
	s_or_b32 exec_lo, exec_lo, s7
	s_mov_b32 s8, -1
                                        ; implicit-def: $sgpr25
                                        ; implicit-def: $sgpr81
	s_and_saveexec_b32 s7, s9
	s_delay_alu instid0(SALU_CYCLE_1)
	s_xor_b32 s7, exec_lo, s7
	s_cbranch_execz .LBB162_467
; %bb.323:                              ;   in Loop: Header=BB162_18 Depth=1
	v_cmp_eq_u64_e32 vcc_lo, 1, v[32:33]
	s_cmp_eq_u64 s[18:19], 1
                                        ; implicit-def: $sgpr81
                                        ; implicit-def: $sgpr25
	s_cselect_b32 s8, -1, 0
	s_delay_alu instid0(SALU_CYCLE_1)
	s_and_b32 s82, s8, vcc_lo
	s_mov_b32 s8, -1
	s_and_saveexec_b32 s52, s82
	s_cbranch_execz .LBB162_357
; %bb.324:                              ;   in Loop: Header=BB162_18 Depth=1
	ds_load_b64 v[4:5], v21 offset:5120
	s_wait_dscnt 0x0
	s_barrier_signal -1
	s_barrier_wait -1
	v_readfirstlane_b32 s8, v4
	v_readfirstlane_b32 s9, v5
	s_and_saveexec_b32 s20, s6
; %bb.325:                              ;   in Loop: Header=BB162_18 Depth=1
	ds_store_b64 v39, v[26:27]
; %bb.326:                              ;   in Loop: Header=BB162_18 Depth=1
	s_or_b32 exec_lo, exec_lo, s20
	v_and_b32_e32 v3, s15, v25
	v_and_b32_e32 v4, s14, v24
	s_lshl_b64 s[20:21], 2, s100
	v_or_b32_e32 v29, s13, v29
	v_or_b32_e32 v28, s12, v28
	;; [unrolled: 1-line block ×4, first 2 shown]
	s_mov_b32 s25, -1
	s_mov_b32 s81, 0
	s_cmp_eq_u64 s[8:9], 0
	s_mov_b32 s22, 0
	s_mov_b32 s23, -1
	s_wait_dscnt 0x0
	s_barrier_signal -1
	s_barrier_wait -1
                                        ; implicit-def: $vgpr6_vgpr7
	s_cbranch_scc1 .LBB162_342
; %bb.327:                              ;   in Loop: Header=BB162_18 Depth=1
	s_add_nc_u64 s[20:21], s[8:9], s[70:71]
	s_delay_alu instid0(SALU_CYCLE_1) | instskip(NEXT) | instid1(SALU_CYCLE_1)
	s_and_b64 s[22:23], s[20:21], 0xffffffff00000000
	s_cmp_lg_u64 s[22:23], 0
	s_cbranch_scc0 .LBB162_383
; %bb.328:                              ;   in Loop: Header=BB162_18 Depth=1
	s_cvt_f32_u32 s22, s34
	s_sub_nc_u64 s[54:55], 0, s[34:35]
	s_delay_alu instid0(SALU_CYCLE_2) | instskip(NEXT) | instid1(SALU_CYCLE_3)
	s_fmamk_f32 s22, s102, 0x0, s22
	v_s_rcp_f32 s22, s22
	s_delay_alu instid0(TRANS32_DEP_1) | instskip(NEXT) | instid1(SALU_CYCLE_3)
	s_mul_f32 s22, s22, 0x5f7ffffc
	s_mul_f32 s23, s22, 0x2f800000
	s_delay_alu instid0(SALU_CYCLE_3) | instskip(NEXT) | instid1(SALU_CYCLE_3)
	s_trunc_f32 s23, s23
	s_fmamk_f32 s22, s23, 0xcf800000, s22
	s_cvt_u32_f32 s23, s23
	s_delay_alu instid0(SALU_CYCLE_2) | instskip(NEXT) | instid1(SALU_CYCLE_3)
	s_cvt_u32_f32 s22, s22
	s_mul_u64 s[60:61], s[54:55], s[22:23]
	s_delay_alu instid0(SALU_CYCLE_1)
	s_mul_hi_u32 s63, s22, s61
	s_mul_i32 s62, s22, s61
	s_mul_hi_u32 s26, s22, s60
	s_mul_i32 s41, s23, s60
	s_add_nc_u64 s[62:63], s[26:27], s[62:63]
	s_mul_hi_u32 s40, s23, s60
	s_mul_hi_u32 s42, s23, s61
	s_add_co_u32 s26, s62, s41
	s_add_co_ci_u32 s26, s63, s40
	s_mul_i32 s60, s23, s61
	s_add_co_ci_u32 s61, s42, 0
	s_delay_alu instid0(SALU_CYCLE_1) | instskip(NEXT) | instid1(SALU_CYCLE_1)
	s_add_nc_u64 s[60:61], s[26:27], s[60:61]
	s_add_co_u32 s22, s22, s60
	s_cselect_b32 s26, -1, 0
	s_delay_alu instid0(SALU_CYCLE_1) | instskip(SKIP_1) | instid1(SALU_CYCLE_1)
	s_cmp_lg_u32 s26, 0
	s_add_co_ci_u32 s23, s23, s61
	s_mul_u64 s[54:55], s[54:55], s[22:23]
	s_delay_alu instid0(SALU_CYCLE_1)
	s_mul_hi_u32 s61, s22, s55
	s_mul_i32 s60, s22, s55
	s_mul_hi_u32 s26, s22, s54
	s_mul_i32 s41, s23, s54
	s_add_nc_u64 s[60:61], s[26:27], s[60:61]
	s_mul_hi_u32 s40, s23, s54
	s_mul_hi_u32 s42, s23, s55
	s_add_co_u32 s26, s60, s41
	s_add_co_ci_u32 s26, s61, s40
	s_mul_i32 s54, s23, s55
	s_add_co_ci_u32 s55, s42, 0
	s_delay_alu instid0(SALU_CYCLE_1) | instskip(NEXT) | instid1(SALU_CYCLE_1)
	s_add_nc_u64 s[54:55], s[26:27], s[54:55]
	s_add_co_u32 s22, s22, s54
	s_cselect_b32 s40, -1, 0
	s_mul_hi_u32 s26, s20, s22
	s_cmp_lg_u32 s40, 0
	s_mul_hi_u32 s40, s21, s22
	s_add_co_ci_u32 s41, s23, s55
	s_mul_i32 s42, s21, s22
	s_mul_hi_u32 s23, s20, s41
	s_mul_i32 s22, s20, s41
	s_mul_hi_u32 s43, s21, s41
	s_add_nc_u64 s[22:23], s[26:27], s[22:23]
	s_mul_i32 s54, s21, s41
	s_add_co_u32 s22, s22, s42
	s_add_co_ci_u32 s26, s23, s40
	s_add_co_ci_u32 s55, s43, 0
	s_delay_alu instid0(SALU_CYCLE_1) | instskip(NEXT) | instid1(SALU_CYCLE_1)
	s_add_nc_u64 s[22:23], s[26:27], s[54:55]
	s_and_b64 s[54:55], s[22:23], 0xffffffff00000000
	s_delay_alu instid0(SALU_CYCLE_1) | instskip(NEXT) | instid1(SALU_CYCLE_1)
	s_or_b32 s54, s54, s22
	s_mul_u64 s[22:23], s[34:35], s[54:55]
	s_delay_alu instid0(SALU_CYCLE_1) | instskip(SKIP_1) | instid1(SALU_CYCLE_1)
	s_sub_co_u32 s22, s20, s22
	s_cselect_b32 s26, -1, 0
	s_cmp_lg_u32 s26, 0
	s_sub_co_ci_u32 s23, s21, s23
	s_sub_co_u32 s26, s22, s34
	s_cselect_b32 s40, -1, 0
	s_delay_alu instid0(SALU_CYCLE_1) | instskip(SKIP_3) | instid1(SALU_CYCLE_1)
	s_cmp_lg_u32 s40, 0
	s_sub_co_ci_u32 s40, s23, 0
	s_sub_co_u32 s41, s26, s34
	s_cselect_b32 s42, -1, 0
	s_cmp_lg_u32 s42, 0
	s_sub_co_ci_u32 s42, s40, 0
	s_cmp_ge_u32 s26, s34
	s_cselect_b32 s43, -1, 0
	s_cmp_eq_u32 s40, 0
	s_cselect_b32 s43, s43, -1
	s_delay_alu instid0(SALU_CYCLE_1)
	s_cmp_lg_u32 s43, 0
	s_cselect_b32 s40, s42, s40
	s_cselect_b32 s26, s41, s26
	s_cmp_ge_u32 s22, s34
	s_cselect_b32 s41, -1, 0
	s_cmp_eq_u32 s23, 0
	s_cselect_b32 s41, s41, -1
	s_delay_alu instid0(SALU_CYCLE_1)
	s_cmp_lg_u32 s41, 0
	s_cselect_b32 s23, s40, s23
	s_cselect_b32 s22, s26, s22
	s_cbranch_execnz .LBB162_330
.LBB162_329:                            ;   in Loop: Header=BB162_18 Depth=1
	v_cvt_f32_u32_e32 v3, s34
	s_sub_co_i32 s23, 0, s34
	s_delay_alu instid0(VALU_DEP_1) | instskip(SKIP_1) | instid1(TRANS32_DEP_1)
	v_rcp_iflag_f32_e32 v3, v3
	v_nop
	v_mul_f32_e32 v3, 0x4f7ffffe, v3
	s_delay_alu instid0(VALU_DEP_1) | instskip(NEXT) | instid1(VALU_DEP_1)
	v_cvt_u32_f32_e32 v3, v3
	v_readfirstlane_b32 s22, v3
	s_mul_i32 s23, s23, s22
	s_delay_alu instid0(SALU_CYCLE_1) | instskip(NEXT) | instid1(SALU_CYCLE_1)
	s_mul_hi_u32 s23, s22, s23
	s_add_co_i32 s22, s22, s23
	s_delay_alu instid0(SALU_CYCLE_1) | instskip(NEXT) | instid1(SALU_CYCLE_1)
	s_mul_hi_u32 s22, s20, s22
	s_mul_i32 s22, s22, s34
	s_delay_alu instid0(SALU_CYCLE_1) | instskip(NEXT) | instid1(SALU_CYCLE_1)
	s_sub_co_i32 s22, s20, s22
	s_sub_co_i32 s23, s22, s34
	s_cmp_ge_u32 s22, s34
	s_cselect_b32 s22, s23, s22
	s_delay_alu instid0(SALU_CYCLE_1) | instskip(SKIP_2) | instid1(SALU_CYCLE_1)
	s_sub_co_i32 s23, s22, s34
	s_cmp_ge_u32 s22, s34
	s_cselect_b32 s26, s23, s22
	s_mov_b64 s[22:23], s[26:27]
.LBB162_330:                            ;   in Loop: Header=BB162_18 Depth=1
	s_delay_alu instid0(SALU_CYCLE_1)
	s_sub_nc_u64 s[20:21], s[20:21], s[22:23]
	s_mov_b32 s23, 0
	s_mov_b32 s22, 0
	s_mov_b32 s26, exec_lo
                                        ; implicit-def: $vgpr6_vgpr7
	v_cmpx_gt_u64_e64 s[20:21], v[0:1]
	s_cbranch_execz .LBB162_341
; %bb.331:                              ;   in Loop: Header=BB162_18 Depth=1
	v_mov_b64_e32 v[8:9], v[0:1]
	v_mov_b32_e32 v10, v38
                                        ; implicit-def: $sgpr53
	s_branch .LBB162_334
.LBB162_332:                            ;   in Loop: Header=BB162_334 Depth=2
	s_or_b32 exec_lo, exec_lo, s54
	s_wait_dscnt 0x0
	s_barrier_signal -1
	s_barrier_wait -1
	ds_load_b128 v[4:7], v21 offset:3072
	s_mov_b32 s54, -1
	s_mov_b32 s55, -1
	s_wait_dscnt 0x0
	s_barrier_signal -1
	s_barrier_wait -1
	v_cmp_ne_u64_e32 vcc_lo, 0, v[4:5]
	s_cbranch_vccz .LBB162_337
.LBB162_333:                            ;   in Loop: Header=BB162_334 Depth=2
	s_and_b32 s40, exec_lo, s54
	s_delay_alu instid0(SALU_CYCLE_1) | instskip(SKIP_2) | instid1(SALU_CYCLE_1)
	s_or_b32 s22, s40, s22
	s_and_not1_b32 s40, s53, exec_lo
	s_and_b32 s41, s55, exec_lo
	s_or_b32 s53, s40, s41
	s_and_not1_b32 exec_lo, exec_lo, s22
	s_cbranch_execz .LBB162_340
.LBB162_334:                            ;   Parent Loop BB162_18 Depth=1
                                        ; =>  This Inner Loop Header: Depth=2
	s_mov_b32 s54, exec_lo
	s_delay_alu instid0(VALU_DEP_2)
	v_cmpx_gt_u64_e64 s[8:9], v[8:9]
	s_cbranch_execz .LBB162_332
; %bb.335:                              ;   in Loop: Header=BB162_334 Depth=2
	ds_load_b64 v[4:5], v10
	s_wait_dscnt 0x0
	v_xor_b32_e32 v3, 0x80000000, v5
	v_and_b32_e32 v6, v4, v28
	s_delay_alu instid0(VALU_DEP_2) | instskip(NEXT) | instid1(VALU_DEP_1)
	v_and_b32_e32 v7, v3, v29
	v_cmp_eq_u64_e32 vcc_lo, v[6:7], v[24:25]
	s_and_b32 exec_lo, exec_lo, vcc_lo
	s_cbranch_execz .LBB162_332
; %bb.336:                              ;   in Loop: Header=BB162_334 Depth=2
	v_mov_b32_e32 v3, v21
	ds_store_b128 v21, v[2:5] offset:3072
	s_branch .LBB162_332
.LBB162_337:                            ;   in Loop: Header=BB162_334 Depth=2
	v_add_nc_u64_e32 v[8:9], s[34:35], v[8:9]
	v_add_nc_u32_e32 v10, s99, v10
	s_mov_b32 s55, 0
	s_delay_alu instid0(VALU_DEP_2)
	v_cmp_le_u64_e32 vcc_lo, s[20:21], v[8:9]
	s_or_not1_b32 s54, vcc_lo, exec_lo
	s_branch .LBB162_333
.LBB162_338:                            ;   in Loop: Header=BB162_18 Depth=1
                                        ; implicit-def: $sgpr24_sgpr25
	s_branch .LBB162_285
.LBB162_339:                            ;   in Loop: Header=BB162_18 Depth=1
                                        ; implicit-def: $sgpr8_sgpr9
	s_branch .LBB162_300
.LBB162_340:                            ;   in Loop: Header=BB162_18 Depth=1
	s_or_b32 exec_lo, exec_lo, s22
	s_delay_alu instid0(SALU_CYCLE_1)
	s_and_b32 s22, s53, exec_lo
.LBB162_341:                            ;   in Loop: Header=BB162_18 Depth=1
	s_or_b32 exec_lo, exec_lo, s26
.LBB162_342:                            ;   in Loop: Header=BB162_18 Depth=1
	s_delay_alu instid0(SALU_CYCLE_1)
	s_and_b32 vcc_lo, exec_lo, s23
	s_cbranch_vccz .LBB162_356
; %bb.343:                              ;   in Loop: Header=BB162_18 Depth=1
	s_and_b64 s[8:9], s[72:73], 0xffffffff00000000
	s_delay_alu instid0(SALU_CYCLE_1)
	s_cmp_lg_u64 s[8:9], 0
	s_cbranch_scc0 .LBB162_384
; %bb.344:                              ;   in Loop: Header=BB162_18 Depth=1
	s_cvt_f32_u32 s8, s34
	s_sub_nc_u64 s[20:21], 0, s[34:35]
	s_delay_alu instid0(SALU_CYCLE_2) | instskip(NEXT) | instid1(SALU_CYCLE_3)
	s_fmamk_f32 s8, s102, 0x0, s8
	v_s_rcp_f32 s8, s8
	s_delay_alu instid0(TRANS32_DEP_1) | instskip(NEXT) | instid1(SALU_CYCLE_3)
	s_mul_f32 s8, s8, 0x5f7ffffc
	s_mul_f32 s9, s8, 0x2f800000
	s_delay_alu instid0(SALU_CYCLE_3) | instskip(NEXT) | instid1(SALU_CYCLE_3)
	s_trunc_f32 s9, s9
	s_fmamk_f32 s8, s9, 0xcf800000, s8
	s_cvt_u32_f32 s9, s9
	s_delay_alu instid0(SALU_CYCLE_2) | instskip(NEXT) | instid1(SALU_CYCLE_3)
	s_cvt_u32_f32 s8, s8
	s_mul_u64 s[54:55], s[20:21], s[8:9]
	s_delay_alu instid0(SALU_CYCLE_1)
	s_mul_hi_u32 s61, s8, s55
	s_mul_i32 s60, s8, s55
	s_mul_hi_u32 s26, s8, s54
	s_mul_i32 s25, s9, s54
	s_add_nc_u64 s[60:61], s[26:27], s[60:61]
	s_mul_hi_u32 s23, s9, s54
	s_mul_hi_u32 s40, s9, s55
	s_add_co_u32 s25, s60, s25
	s_add_co_ci_u32 s26, s61, s23
	s_mul_i32 s54, s9, s55
	s_add_co_ci_u32 s55, s40, 0
	s_delay_alu instid0(SALU_CYCLE_1) | instskip(NEXT) | instid1(SALU_CYCLE_1)
	s_add_nc_u64 s[54:55], s[26:27], s[54:55]
	s_add_co_u32 s8, s8, s54
	s_cselect_b32 s23, -1, 0
	s_delay_alu instid0(SALU_CYCLE_1) | instskip(SKIP_1) | instid1(SALU_CYCLE_1)
	s_cmp_lg_u32 s23, 0
	s_add_co_ci_u32 s9, s9, s55
	s_mul_u64 s[20:21], s[20:21], s[8:9]
	s_delay_alu instid0(SALU_CYCLE_1)
	s_mul_hi_u32 s55, s8, s21
	s_mul_i32 s54, s8, s21
	s_mul_hi_u32 s26, s8, s20
	s_mul_i32 s25, s9, s20
	s_add_nc_u64 s[54:55], s[26:27], s[54:55]
	s_mul_hi_u32 s23, s9, s20
	s_mul_hi_u32 s40, s9, s21
	s_mul_i32 s20, s9, s21
	s_add_co_u32 s21, s54, s25
	s_add_co_ci_u32 s26, s55, s23
	s_add_co_ci_u32 s21, s40, 0
	s_delay_alu instid0(SALU_CYCLE_1) | instskip(NEXT) | instid1(SALU_CYCLE_1)
	s_add_nc_u64 s[20:21], s[26:27], s[20:21]
	s_add_co_u32 s8, s8, s20
	s_cselect_b32 s20, -1, 0
	s_mul_hi_u32 s26, s72, s8
	s_cmp_lg_u32 s20, 0
	s_mul_hi_u32 s23, s73, s8
	s_add_co_ci_u32 s20, s9, s21
	s_mul_i32 s21, s73, s8
	s_mul_hi_u32 s9, s72, s20
	s_mul_i32 s8, s72, s20
	s_mul_hi_u32 s25, s73, s20
	s_add_nc_u64 s[8:9], s[26:27], s[8:9]
	s_mul_i32 s20, s73, s20
	s_add_co_u32 s8, s8, s21
	s_add_co_ci_u32 s26, s9, s23
	s_add_co_ci_u32 s21, s25, 0
	s_delay_alu instid0(SALU_CYCLE_1) | instskip(NEXT) | instid1(SALU_CYCLE_1)
	s_add_nc_u64 s[8:9], s[26:27], s[20:21]
	s_and_b64 s[20:21], s[8:9], 0xffffffff00000000
	s_delay_alu instid0(SALU_CYCLE_1) | instskip(NEXT) | instid1(SALU_CYCLE_1)
	s_or_b32 s20, s20, s8
	s_mul_u64 s[8:9], s[34:35], s[20:21]
	s_delay_alu instid0(SALU_CYCLE_1) | instskip(SKIP_1) | instid1(SALU_CYCLE_1)
	s_sub_co_u32 s8, s72, s8
	s_cselect_b32 s20, -1, 0
	s_cmp_lg_u32 s20, 0
	s_sub_co_ci_u32 s9, s73, s9
	s_sub_co_u32 s20, s8, s34
	s_cselect_b32 s21, -1, 0
	s_delay_alu instid0(SALU_CYCLE_1) | instskip(SKIP_3) | instid1(SALU_CYCLE_1)
	s_cmp_lg_u32 s21, 0
	s_sub_co_ci_u32 s21, s9, 0
	s_sub_co_u32 s23, s20, s34
	s_cselect_b32 s25, -1, 0
	s_cmp_lg_u32 s25, 0
	s_sub_co_ci_u32 s25, s21, 0
	s_cmp_ge_u32 s20, s34
	s_cselect_b32 s26, -1, 0
	s_cmp_eq_u32 s21, 0
	s_cselect_b32 s26, s26, -1
	s_delay_alu instid0(SALU_CYCLE_1)
	s_cmp_lg_u32 s26, 0
	s_cselect_b32 s21, s25, s21
	s_cselect_b32 s20, s23, s20
	s_cmp_ge_u32 s8, s34
	s_cselect_b32 s23, -1, 0
	s_cmp_eq_u32 s9, 0
	s_cselect_b32 s23, s23, -1
	s_delay_alu instid0(SALU_CYCLE_1)
	s_cmp_lg_u32 s23, 0
	s_cselect_b32 s9, s21, s9
	s_cselect_b32 s8, s20, s8
	s_cbranch_execnz .LBB162_346
.LBB162_345:                            ;   in Loop: Header=BB162_18 Depth=1
	v_cvt_f32_u32_e32 v3, s34
	s_sub_co_i32 s9, 0, s34
	s_delay_alu instid0(VALU_DEP_1) | instskip(SKIP_1) | instid1(TRANS32_DEP_1)
	v_rcp_iflag_f32_e32 v3, v3
	v_nop
	v_mul_f32_e32 v3, 0x4f7ffffe, v3
	s_delay_alu instid0(VALU_DEP_1) | instskip(NEXT) | instid1(VALU_DEP_1)
	v_cvt_u32_f32_e32 v3, v3
	v_readfirstlane_b32 s8, v3
	s_mul_i32 s9, s9, s8
	s_delay_alu instid0(SALU_CYCLE_1) | instskip(NEXT) | instid1(SALU_CYCLE_1)
	s_mul_hi_u32 s9, s8, s9
	s_add_co_i32 s8, s8, s9
	s_delay_alu instid0(SALU_CYCLE_1) | instskip(NEXT) | instid1(SALU_CYCLE_1)
	s_mul_hi_u32 s8, s72, s8
	s_mul_i32 s8, s8, s34
	s_delay_alu instid0(SALU_CYCLE_1) | instskip(NEXT) | instid1(SALU_CYCLE_1)
	s_sub_co_i32 s8, s72, s8
	s_sub_co_i32 s9, s8, s34
	s_cmp_ge_u32 s8, s34
	s_cselect_b32 s8, s9, s8
	s_delay_alu instid0(SALU_CYCLE_1) | instskip(SKIP_2) | instid1(SALU_CYCLE_1)
	s_sub_co_i32 s9, s8, s34
	s_cmp_ge_u32 s8, s34
	s_cselect_b32 s26, s9, s8
	s_mov_b64 s[8:9], s[26:27]
.LBB162_346:                            ;   in Loop: Header=BB162_18 Depth=1
	s_delay_alu instid0(SALU_CYCLE_1)
	s_sub_nc_u64 s[8:9], s[72:73], s[8:9]
	s_mov_b32 s20, exec_lo
                                        ; implicit-def: $vgpr6_vgpr7
	v_nop
	v_cmpx_gt_u64_e64 s[8:9], v[0:1]
	s_cbranch_execz .LBB162_355
; %bb.347:                              ;   in Loop: Header=BB162_18 Depth=1
	v_mov_b64_e32 v[8:9], v[0:1]
	s_mov_b32 s21, 0
                                        ; implicit-def: $sgpr23
	s_branch .LBB162_350
.LBB162_348:                            ;   in Loop: Header=BB162_350 Depth=2
	s_or_b32 exec_lo, exec_lo, s25
	s_wait_dscnt 0x0
	s_barrier_signal -1
	s_barrier_wait -1
	ds_load_b128 v[4:7], v21 offset:3072
	s_mov_b32 s26, -1
	s_mov_b32 s25, -1
	s_wait_dscnt 0x0
	s_barrier_signal -1
	s_barrier_wait -1
	v_cmp_eq_u64_e32 vcc_lo, 0, v[4:5]
	s_cbranch_vccnz .LBB162_353
.LBB162_349:                            ;   in Loop: Header=BB162_350 Depth=2
	s_and_b32 s26, exec_lo, s26
	s_delay_alu instid0(SALU_CYCLE_1) | instskip(SKIP_2) | instid1(SALU_CYCLE_1)
	s_or_b32 s21, s26, s21
	s_and_not1_b32 s23, s23, exec_lo
	s_and_b32 s25, s25, exec_lo
	s_or_b32 s23, s23, s25
	s_and_not1_b32 exec_lo, exec_lo, s21
	s_cbranch_execz .LBB162_354
.LBB162_350:                            ;   Parent Loop BB162_18 Depth=1
                                        ; =>  This Inner Loop Header: Depth=2
	s_mov_b32 s25, exec_lo
	s_delay_alu instid0(VALU_DEP_1)
	v_cmpx_gt_u64_e64 s[36:37], v[8:9]
	s_cbranch_execz .LBB162_348
; %bb.351:                              ;   in Loop: Header=BB162_350 Depth=2
	v_mul_u64_e32 v[4:5], s[30:31], v[8:9]
	s_delay_alu instid0(VALU_DEP_1) | instskip(SKIP_4) | instid1(VALU_DEP_2)
	v_lshl_add_u64 v[4:5], v[4:5], 3, s[28:29]
	global_load_b64 v[4:5], v[4:5], off
	s_wait_loadcnt 0x0
	v_xor_b32_e32 v3, 0x80000000, v5
	v_and_b32_e32 v6, v4, v28
	v_and_b32_e32 v7, v3, v29
	s_delay_alu instid0(VALU_DEP_1)
	v_cmp_eq_u64_e32 vcc_lo, v[6:7], v[24:25]
	s_and_b32 exec_lo, exec_lo, vcc_lo
	s_cbranch_execz .LBB162_348
; %bb.352:                              ;   in Loop: Header=BB162_350 Depth=2
	v_mov_b32_e32 v3, v21
	ds_store_b128 v21, v[2:5] offset:3072
	s_branch .LBB162_348
.LBB162_353:                            ;   in Loop: Header=BB162_350 Depth=2
	v_add_nc_u64_e32 v[8:9], s[34:35], v[8:9]
	s_mov_b32 s25, 0
	s_delay_alu instid0(VALU_DEP_1)
	v_cmp_le_u64_e32 vcc_lo, s[8:9], v[8:9]
	s_or_not1_b32 s26, vcc_lo, exec_lo
	s_branch .LBB162_349
.LBB162_354:                            ;   in Loop: Header=BB162_18 Depth=1
	s_or_b32 exec_lo, exec_lo, s21
	s_delay_alu instid0(SALU_CYCLE_1) | instskip(SKIP_1) | instid1(SALU_CYCLE_1)
	s_and_not1_b32 s8, s22, exec_lo
	s_and_b32 s9, s23, exec_lo
	s_or_b32 s22, s8, s9
.LBB162_355:                            ;   in Loop: Header=BB162_18 Depth=1
	s_or_b32 exec_lo, exec_lo, s20
	s_mov_b32 s25, 0
	s_mov_b32 s81, -1
.LBB162_356:                            ;   in Loop: Header=BB162_18 Depth=1
	s_or_not1_b32 s8, s22, exec_lo
.LBB162_357:                            ;   in Loop: Header=BB162_18 Depth=1
	s_or_b32 exec_lo, exec_lo, s52
	s_mov_b32 s9, 0
	s_and_saveexec_b32 s22, s8
	s_cbranch_execz .LBB162_466
; %bb.358:                              ;   in Loop: Header=BB162_18 Depth=1
	v_mov_b64_e32 v[8:9], 1
	v_mov_b32_e32 v20, 1
	s_xor_b32 s20, s82, -1
	s_delay_alu instid0(SALU_CYCLE_1)
	s_and_saveexec_b32 s8, s20
	s_cbranch_execz .LBB162_367
; %bb.359:                              ;   in Loop: Header=BB162_18 Depth=1
	s_mov_b32 s9, exec_lo
	v_cmpx_ge_u64_e64 s[18:19], v[32:33]
	s_xor_b32 s9, exec_lo, s9
	s_cbranch_execz .LBB162_364
; %bb.360:                              ;   in Loop: Header=BB162_18 Depth=1
	ds_load_b64 v[4:5], v21 offset:5120
	v_and_b32_e32 v3, s15, v25
	v_and_b32_e32 v8, s14, v24
	s_lshl_b64 s[20:21], 2, s100
	v_or_b32_e32 v29, s13, v29
	v_or_b32_e32 v28, s12, v28
	;; [unrolled: 1-line block ×4, first 2 shown]
	s_wait_dscnt 0x0
	v_cmp_ne_u64_e32 vcc_lo, 0, v[4:5]
	s_cbranch_vccnz .LBB162_364
; %bb.361:                              ;   in Loop: Header=BB162_18 Depth=1
	s_and_saveexec_b32 s20, s5
; %bb.362:                              ;   in Loop: Header=BB162_18 Depth=1
	v_mov_b64_e32 v[4:5], s[18:19]
	ds_store_b64 v21, v[4:5] offset:5128
; %bb.363:                              ;   in Loop: Header=BB162_18 Depth=1
	s_or_b32 exec_lo, exec_lo, s20
	s_wait_dscnt 0x0
	s_barrier_signal -1
	s_barrier_wait -1
.LBB162_364:                            ;   in Loop: Header=BB162_18 Depth=1
	s_or_saveexec_b32 s9, s9
	v_mov_b32_e32 v20, 5
	s_mov_b32 s20, 0
	s_xor_b32 exec_lo, exec_lo, s9
; %bb.365:                              ;   in Loop: Header=BB162_18 Depth=1
	v_sub_nc_u64_e64 v[32:33], v[32:33], s[18:19]
	v_mov_b32_e32 v20, 0
	s_mov_b32 s20, exec_lo
; %bb.366:                              ;   in Loop: Header=BB162_18 Depth=1
	s_or_b32 exec_lo, exec_lo, s9
	s_delay_alu instid0(VALU_DEP_2)
	v_mov_b64_e32 v[8:9], v[32:33]
	s_and_b32 s9, s20, exec_lo
.LBB162_367:                            ;   in Loop: Header=BB162_18 Depth=1
	s_or_b32 exec_lo, exec_lo, s8
	s_mov_b32 s8, -1
                                        ; implicit-def: $sgpr82
                                        ; implicit-def: $sgpr84
	s_and_saveexec_b32 s23, s9
	s_cbranch_execz .LBB162_465
; %bb.368:                              ;   in Loop: Header=BB162_18 Depth=1
	s_delay_alu instid0(VALU_DEP_1) | instskip(SKIP_2) | instid1(SALU_CYCLE_1)
	v_cmp_eq_u64_e32 vcc_lo, 1, v[8:9]
	s_cmp_eq_u64 s[16:17], 1
                                        ; implicit-def: $sgpr84
                                        ; implicit-def: $sgpr82
	s_cselect_b32 s8, -1, 0
	s_and_b32 s85, s8, vcc_lo
	s_mov_b32 s8, -1
	s_and_saveexec_b32 s52, s85
	s_cbranch_execz .LBB162_402
; %bb.369:                              ;   in Loop: Header=BB162_18 Depth=1
	ds_load_b64 v[4:5], v21 offset:5120
	s_wait_dscnt 0x0
	s_barrier_signal -1
	s_barrier_wait -1
	v_readfirstlane_b32 s8, v4
	v_readfirstlane_b32 s9, v5
	s_and_saveexec_b32 s18, s6
; %bb.370:                              ;   in Loop: Header=BB162_18 Depth=1
	ds_store_b64 v39, v[26:27]
; %bb.371:                              ;   in Loop: Header=BB162_18 Depth=1
	s_or_b32 exec_lo, exec_lo, s18
	v_and_b32_e32 v3, s15, v25
	v_and_b32_e32 v4, s14, v24
	s_lshl_b64 s[18:19], 1, s100
	v_or_b32_e32 v29, s13, v29
	v_or_b32_e32 v28, s12, v28
	;; [unrolled: 1-line block ×4, first 2 shown]
	s_mov_b32 s82, -1
	s_mov_b32 s84, 0
	s_cmp_eq_u64 s[8:9], 0
	s_mov_b32 s20, 0
	s_mov_b32 s21, -1
	s_wait_dscnt 0x0
	s_barrier_signal -1
	s_barrier_wait -1
                                        ; implicit-def: $vgpr6_vgpr7
	s_cbranch_scc1 .LBB162_387
; %bb.372:                              ;   in Loop: Header=BB162_18 Depth=1
	s_add_nc_u64 s[18:19], s[8:9], s[70:71]
	s_delay_alu instid0(SALU_CYCLE_1) | instskip(NEXT) | instid1(SALU_CYCLE_1)
	s_and_b64 s[20:21], s[18:19], 0xffffffff00000000
	s_cmp_lg_u64 s[20:21], 0
	s_cbranch_scc0 .LBB162_419
; %bb.373:                              ;   in Loop: Header=BB162_18 Depth=1
	s_cvt_f32_u32 s20, s34
	s_sub_nc_u64 s[54:55], 0, s[34:35]
	s_delay_alu instid0(SALU_CYCLE_2) | instskip(NEXT) | instid1(SALU_CYCLE_3)
	s_fmamk_f32 s20, s102, 0x0, s20
	v_s_rcp_f32 s20, s20
	s_delay_alu instid0(TRANS32_DEP_1) | instskip(NEXT) | instid1(SALU_CYCLE_3)
	s_mul_f32 s20, s20, 0x5f7ffffc
	s_mul_f32 s21, s20, 0x2f800000
	s_delay_alu instid0(SALU_CYCLE_3) | instskip(NEXT) | instid1(SALU_CYCLE_3)
	s_trunc_f32 s21, s21
	s_fmamk_f32 s20, s21, 0xcf800000, s20
	s_cvt_u32_f32 s21, s21
	s_delay_alu instid0(SALU_CYCLE_2) | instskip(NEXT) | instid1(SALU_CYCLE_3)
	s_cvt_u32_f32 s20, s20
	s_mul_u64 s[60:61], s[54:55], s[20:21]
	s_delay_alu instid0(SALU_CYCLE_1)
	s_mul_hi_u32 s63, s20, s61
	s_mul_i32 s62, s20, s61
	s_mul_hi_u32 s26, s20, s60
	s_mul_i32 s41, s21, s60
	s_add_nc_u64 s[62:63], s[26:27], s[62:63]
	s_mul_hi_u32 s40, s21, s60
	s_mul_hi_u32 s42, s21, s61
	s_add_co_u32 s26, s62, s41
	s_add_co_ci_u32 s26, s63, s40
	s_mul_i32 s60, s21, s61
	s_add_co_ci_u32 s61, s42, 0
	s_delay_alu instid0(SALU_CYCLE_1) | instskip(NEXT) | instid1(SALU_CYCLE_1)
	s_add_nc_u64 s[60:61], s[26:27], s[60:61]
	s_add_co_u32 s20, s20, s60
	s_cselect_b32 s26, -1, 0
	s_delay_alu instid0(SALU_CYCLE_1) | instskip(SKIP_1) | instid1(SALU_CYCLE_1)
	s_cmp_lg_u32 s26, 0
	s_add_co_ci_u32 s21, s21, s61
	s_mul_u64 s[54:55], s[54:55], s[20:21]
	s_delay_alu instid0(SALU_CYCLE_1)
	s_mul_hi_u32 s61, s20, s55
	s_mul_i32 s60, s20, s55
	s_mul_hi_u32 s26, s20, s54
	s_mul_i32 s41, s21, s54
	s_add_nc_u64 s[60:61], s[26:27], s[60:61]
	s_mul_hi_u32 s40, s21, s54
	s_mul_hi_u32 s42, s21, s55
	s_add_co_u32 s26, s60, s41
	s_add_co_ci_u32 s26, s61, s40
	s_mul_i32 s54, s21, s55
	s_add_co_ci_u32 s55, s42, 0
	s_delay_alu instid0(SALU_CYCLE_1) | instskip(NEXT) | instid1(SALU_CYCLE_1)
	s_add_nc_u64 s[54:55], s[26:27], s[54:55]
	s_add_co_u32 s20, s20, s54
	s_cselect_b32 s40, -1, 0
	s_mul_hi_u32 s26, s18, s20
	s_cmp_lg_u32 s40, 0
	s_mul_hi_u32 s40, s19, s20
	s_add_co_ci_u32 s41, s21, s55
	s_mul_i32 s42, s19, s20
	s_mul_hi_u32 s21, s18, s41
	s_mul_i32 s20, s18, s41
	s_mul_hi_u32 s43, s19, s41
	s_add_nc_u64 s[20:21], s[26:27], s[20:21]
	s_mul_i32 s54, s19, s41
	s_add_co_u32 s20, s20, s42
	s_add_co_ci_u32 s26, s21, s40
	s_add_co_ci_u32 s55, s43, 0
	s_delay_alu instid0(SALU_CYCLE_1) | instskip(NEXT) | instid1(SALU_CYCLE_1)
	s_add_nc_u64 s[20:21], s[26:27], s[54:55]
	s_and_b64 s[54:55], s[20:21], 0xffffffff00000000
	s_delay_alu instid0(SALU_CYCLE_1) | instskip(NEXT) | instid1(SALU_CYCLE_1)
	s_or_b32 s54, s54, s20
	s_mul_u64 s[20:21], s[34:35], s[54:55]
	s_delay_alu instid0(SALU_CYCLE_1) | instskip(SKIP_1) | instid1(SALU_CYCLE_1)
	s_sub_co_u32 s20, s18, s20
	s_cselect_b32 s26, -1, 0
	s_cmp_lg_u32 s26, 0
	s_sub_co_ci_u32 s21, s19, s21
	s_sub_co_u32 s26, s20, s34
	s_cselect_b32 s40, -1, 0
	s_delay_alu instid0(SALU_CYCLE_1) | instskip(SKIP_3) | instid1(SALU_CYCLE_1)
	s_cmp_lg_u32 s40, 0
	s_sub_co_ci_u32 s40, s21, 0
	s_sub_co_u32 s41, s26, s34
	s_cselect_b32 s42, -1, 0
	s_cmp_lg_u32 s42, 0
	s_sub_co_ci_u32 s42, s40, 0
	s_cmp_ge_u32 s26, s34
	s_cselect_b32 s43, -1, 0
	s_cmp_eq_u32 s40, 0
	s_cselect_b32 s43, s43, -1
	s_delay_alu instid0(SALU_CYCLE_1)
	s_cmp_lg_u32 s43, 0
	s_cselect_b32 s40, s42, s40
	s_cselect_b32 s26, s41, s26
	s_cmp_ge_u32 s20, s34
	s_cselect_b32 s41, -1, 0
	s_cmp_eq_u32 s21, 0
	s_cselect_b32 s41, s41, -1
	s_delay_alu instid0(SALU_CYCLE_1)
	s_cmp_lg_u32 s41, 0
	s_cselect_b32 s21, s40, s21
	s_cselect_b32 s20, s26, s20
	s_cbranch_execnz .LBB162_375
.LBB162_374:                            ;   in Loop: Header=BB162_18 Depth=1
	v_cvt_f32_u32_e32 v3, s34
	s_sub_co_i32 s21, 0, s34
	s_delay_alu instid0(VALU_DEP_1) | instskip(SKIP_1) | instid1(TRANS32_DEP_1)
	v_rcp_iflag_f32_e32 v3, v3
	v_nop
	v_mul_f32_e32 v3, 0x4f7ffffe, v3
	s_delay_alu instid0(VALU_DEP_1) | instskip(NEXT) | instid1(VALU_DEP_1)
	v_cvt_u32_f32_e32 v3, v3
	v_readfirstlane_b32 s20, v3
	s_mul_i32 s21, s21, s20
	s_delay_alu instid0(SALU_CYCLE_1) | instskip(NEXT) | instid1(SALU_CYCLE_1)
	s_mul_hi_u32 s21, s20, s21
	s_add_co_i32 s20, s20, s21
	s_delay_alu instid0(SALU_CYCLE_1) | instskip(NEXT) | instid1(SALU_CYCLE_1)
	s_mul_hi_u32 s20, s18, s20
	s_mul_i32 s20, s20, s34
	s_delay_alu instid0(SALU_CYCLE_1) | instskip(NEXT) | instid1(SALU_CYCLE_1)
	s_sub_co_i32 s20, s18, s20
	s_sub_co_i32 s21, s20, s34
	s_cmp_ge_u32 s20, s34
	s_cselect_b32 s20, s21, s20
	s_delay_alu instid0(SALU_CYCLE_1) | instskip(SKIP_2) | instid1(SALU_CYCLE_1)
	s_sub_co_i32 s21, s20, s34
	s_cmp_ge_u32 s20, s34
	s_cselect_b32 s26, s21, s20
	s_mov_b64 s[20:21], s[26:27]
.LBB162_375:                            ;   in Loop: Header=BB162_18 Depth=1
	s_delay_alu instid0(SALU_CYCLE_1)
	s_sub_nc_u64 s[18:19], s[18:19], s[20:21]
	s_mov_b32 s21, 0
	s_mov_b32 s20, 0
	s_mov_b32 s26, exec_lo
                                        ; implicit-def: $vgpr6_vgpr7
	v_cmpx_gt_u64_e64 s[18:19], v[0:1]
	s_cbranch_execz .LBB162_386
; %bb.376:                              ;   in Loop: Header=BB162_18 Depth=1
	v_mov_b64_e32 v[10:11], v[0:1]
	v_mov_b32_e32 v12, v38
                                        ; implicit-def: $sgpr53
	s_branch .LBB162_379
.LBB162_377:                            ;   in Loop: Header=BB162_379 Depth=2
	s_or_b32 exec_lo, exec_lo, s54
	s_wait_dscnt 0x0
	s_barrier_signal -1
	s_barrier_wait -1
	ds_load_b128 v[4:7], v21 offset:3072
	s_mov_b32 s54, -1
	s_mov_b32 s55, -1
	s_wait_dscnt 0x0
	s_barrier_signal -1
	s_barrier_wait -1
	v_cmp_ne_u64_e32 vcc_lo, 0, v[4:5]
	s_cbranch_vccz .LBB162_382
.LBB162_378:                            ;   in Loop: Header=BB162_379 Depth=2
	s_and_b32 s40, exec_lo, s54
	s_delay_alu instid0(SALU_CYCLE_1) | instskip(SKIP_2) | instid1(SALU_CYCLE_1)
	s_or_b32 s20, s40, s20
	s_and_not1_b32 s40, s53, exec_lo
	s_and_b32 s41, s55, exec_lo
	s_or_b32 s53, s40, s41
	s_and_not1_b32 exec_lo, exec_lo, s20
	s_cbranch_execz .LBB162_385
.LBB162_379:                            ;   Parent Loop BB162_18 Depth=1
                                        ; =>  This Inner Loop Header: Depth=2
	s_mov_b32 s54, exec_lo
	s_delay_alu instid0(VALU_DEP_2)
	v_cmpx_gt_u64_e64 s[8:9], v[10:11]
	s_cbranch_execz .LBB162_377
; %bb.380:                              ;   in Loop: Header=BB162_379 Depth=2
	ds_load_b64 v[4:5], v12
	s_wait_dscnt 0x0
	v_xor_b32_e32 v3, 0x80000000, v5
	v_and_b32_e32 v6, v4, v28
	s_delay_alu instid0(VALU_DEP_2) | instskip(NEXT) | instid1(VALU_DEP_1)
	v_and_b32_e32 v7, v3, v29
	v_cmp_eq_u64_e32 vcc_lo, v[6:7], v[24:25]
	s_and_b32 exec_lo, exec_lo, vcc_lo
	s_cbranch_execz .LBB162_377
; %bb.381:                              ;   in Loop: Header=BB162_379 Depth=2
	v_mov_b32_e32 v3, v21
	ds_store_b128 v21, v[2:5] offset:3072
	s_branch .LBB162_377
.LBB162_382:                            ;   in Loop: Header=BB162_379 Depth=2
	v_add_nc_u64_e32 v[10:11], s[34:35], v[10:11]
	v_add_nc_u32_e32 v12, s99, v12
	s_mov_b32 s55, 0
	s_delay_alu instid0(VALU_DEP_2)
	v_cmp_le_u64_e32 vcc_lo, s[18:19], v[10:11]
	s_or_not1_b32 s54, vcc_lo, exec_lo
	s_branch .LBB162_378
.LBB162_383:                            ;   in Loop: Header=BB162_18 Depth=1
                                        ; implicit-def: $sgpr22_sgpr23
	s_branch .LBB162_329
.LBB162_384:                            ;   in Loop: Header=BB162_18 Depth=1
                                        ; implicit-def: $sgpr8_sgpr9
	s_branch .LBB162_345
.LBB162_385:                            ;   in Loop: Header=BB162_18 Depth=1
	s_or_b32 exec_lo, exec_lo, s20
	s_delay_alu instid0(SALU_CYCLE_1)
	s_and_b32 s20, s53, exec_lo
.LBB162_386:                            ;   in Loop: Header=BB162_18 Depth=1
	s_or_b32 exec_lo, exec_lo, s26
.LBB162_387:                            ;   in Loop: Header=BB162_18 Depth=1
	s_delay_alu instid0(SALU_CYCLE_1)
	s_and_b32 vcc_lo, exec_lo, s21
	s_cbranch_vccz .LBB162_401
; %bb.388:                              ;   in Loop: Header=BB162_18 Depth=1
	s_and_b64 s[8:9], s[72:73], 0xffffffff00000000
	s_delay_alu instid0(SALU_CYCLE_1)
	s_cmp_lg_u64 s[8:9], 0
	s_cbranch_scc0 .LBB162_420
; %bb.389:                              ;   in Loop: Header=BB162_18 Depth=1
	s_cvt_f32_u32 s8, s34
	s_sub_nc_u64 s[18:19], 0, s[34:35]
	s_delay_alu instid0(SALU_CYCLE_2) | instskip(NEXT) | instid1(SALU_CYCLE_3)
	s_fmamk_f32 s8, s102, 0x0, s8
	v_s_rcp_f32 s8, s8
	s_delay_alu instid0(TRANS32_DEP_1) | instskip(NEXT) | instid1(SALU_CYCLE_3)
	s_mul_f32 s8, s8, 0x5f7ffffc
	s_mul_f32 s9, s8, 0x2f800000
	s_delay_alu instid0(SALU_CYCLE_3) | instskip(NEXT) | instid1(SALU_CYCLE_3)
	s_trunc_f32 s9, s9
	s_fmamk_f32 s8, s9, 0xcf800000, s8
	s_cvt_u32_f32 s9, s9
	s_delay_alu instid0(SALU_CYCLE_2) | instskip(NEXT) | instid1(SALU_CYCLE_3)
	s_cvt_u32_f32 s8, s8
	s_mul_u64 s[54:55], s[18:19], s[8:9]
	s_delay_alu instid0(SALU_CYCLE_1)
	s_mul_hi_u32 s61, s8, s55
	s_mul_i32 s60, s8, s55
	s_mul_hi_u32 s26, s8, s54
	s_mul_i32 s40, s9, s54
	s_add_nc_u64 s[60:61], s[26:27], s[60:61]
	s_mul_hi_u32 s21, s9, s54
	s_mul_hi_u32 s41, s9, s55
	s_add_co_u32 s26, s60, s40
	s_add_co_ci_u32 s26, s61, s21
	s_mul_i32 s54, s9, s55
	s_add_co_ci_u32 s55, s41, 0
	s_delay_alu instid0(SALU_CYCLE_1) | instskip(NEXT) | instid1(SALU_CYCLE_1)
	s_add_nc_u64 s[54:55], s[26:27], s[54:55]
	s_add_co_u32 s8, s8, s54
	s_cselect_b32 s21, -1, 0
	s_delay_alu instid0(SALU_CYCLE_1) | instskip(SKIP_1) | instid1(SALU_CYCLE_1)
	s_cmp_lg_u32 s21, 0
	s_add_co_ci_u32 s9, s9, s55
	s_mul_u64 s[18:19], s[18:19], s[8:9]
	s_delay_alu instid0(SALU_CYCLE_1)
	s_mul_hi_u32 s55, s8, s19
	s_mul_i32 s54, s8, s19
	s_mul_hi_u32 s26, s8, s18
	s_mul_i32 s40, s9, s18
	s_add_nc_u64 s[54:55], s[26:27], s[54:55]
	s_mul_hi_u32 s21, s9, s18
	s_mul_hi_u32 s41, s9, s19
	s_mul_i32 s18, s9, s19
	s_add_co_u32 s19, s54, s40
	s_add_co_ci_u32 s26, s55, s21
	s_add_co_ci_u32 s19, s41, 0
	s_delay_alu instid0(SALU_CYCLE_1) | instskip(NEXT) | instid1(SALU_CYCLE_1)
	s_add_nc_u64 s[18:19], s[26:27], s[18:19]
	s_add_co_u32 s8, s8, s18
	s_cselect_b32 s18, -1, 0
	s_mul_hi_u32 s26, s72, s8
	s_cmp_lg_u32 s18, 0
	s_mul_hi_u32 s21, s73, s8
	s_add_co_ci_u32 s18, s9, s19
	s_mul_i32 s19, s73, s8
	s_mul_hi_u32 s9, s72, s18
	s_mul_i32 s8, s72, s18
	s_mul_hi_u32 s40, s73, s18
	s_add_nc_u64 s[8:9], s[26:27], s[8:9]
	s_mul_i32 s18, s73, s18
	s_add_co_u32 s8, s8, s19
	s_add_co_ci_u32 s26, s9, s21
	s_add_co_ci_u32 s19, s40, 0
	s_delay_alu instid0(SALU_CYCLE_1) | instskip(NEXT) | instid1(SALU_CYCLE_1)
	s_add_nc_u64 s[8:9], s[26:27], s[18:19]
	s_and_b64 s[18:19], s[8:9], 0xffffffff00000000
	s_delay_alu instid0(SALU_CYCLE_1) | instskip(NEXT) | instid1(SALU_CYCLE_1)
	s_or_b32 s18, s18, s8
	s_mul_u64 s[8:9], s[34:35], s[18:19]
	s_delay_alu instid0(SALU_CYCLE_1) | instskip(SKIP_1) | instid1(SALU_CYCLE_1)
	s_sub_co_u32 s8, s72, s8
	s_cselect_b32 s18, -1, 0
	s_cmp_lg_u32 s18, 0
	s_sub_co_ci_u32 s9, s73, s9
	s_sub_co_u32 s18, s8, s34
	s_cselect_b32 s19, -1, 0
	s_delay_alu instid0(SALU_CYCLE_1) | instskip(SKIP_3) | instid1(SALU_CYCLE_1)
	s_cmp_lg_u32 s19, 0
	s_sub_co_ci_u32 s19, s9, 0
	s_sub_co_u32 s21, s18, s34
	s_cselect_b32 s26, -1, 0
	s_cmp_lg_u32 s26, 0
	s_sub_co_ci_u32 s26, s19, 0
	s_cmp_ge_u32 s18, s34
	s_cselect_b32 s40, -1, 0
	s_cmp_eq_u32 s19, 0
	s_cselect_b32 s40, s40, -1
	s_delay_alu instid0(SALU_CYCLE_1)
	s_cmp_lg_u32 s40, 0
	s_cselect_b32 s19, s26, s19
	s_cselect_b32 s18, s21, s18
	s_cmp_ge_u32 s8, s34
	s_cselect_b32 s21, -1, 0
	s_cmp_eq_u32 s9, 0
	s_cselect_b32 s21, s21, -1
	s_delay_alu instid0(SALU_CYCLE_1)
	s_cmp_lg_u32 s21, 0
	s_cselect_b32 s9, s19, s9
	s_cselect_b32 s8, s18, s8
	s_cbranch_execnz .LBB162_391
.LBB162_390:                            ;   in Loop: Header=BB162_18 Depth=1
	v_cvt_f32_u32_e32 v3, s34
	s_sub_co_i32 s9, 0, s34
	s_delay_alu instid0(VALU_DEP_1) | instskip(SKIP_1) | instid1(TRANS32_DEP_1)
	v_rcp_iflag_f32_e32 v3, v3
	v_nop
	v_mul_f32_e32 v3, 0x4f7ffffe, v3
	s_delay_alu instid0(VALU_DEP_1) | instskip(NEXT) | instid1(VALU_DEP_1)
	v_cvt_u32_f32_e32 v3, v3
	v_readfirstlane_b32 s8, v3
	s_mul_i32 s9, s9, s8
	s_delay_alu instid0(SALU_CYCLE_1) | instskip(NEXT) | instid1(SALU_CYCLE_1)
	s_mul_hi_u32 s9, s8, s9
	s_add_co_i32 s8, s8, s9
	s_delay_alu instid0(SALU_CYCLE_1) | instskip(NEXT) | instid1(SALU_CYCLE_1)
	s_mul_hi_u32 s8, s72, s8
	s_mul_i32 s8, s8, s34
	s_delay_alu instid0(SALU_CYCLE_1) | instskip(NEXT) | instid1(SALU_CYCLE_1)
	s_sub_co_i32 s8, s72, s8
	s_sub_co_i32 s9, s8, s34
	s_cmp_ge_u32 s8, s34
	s_cselect_b32 s8, s9, s8
	s_delay_alu instid0(SALU_CYCLE_1) | instskip(SKIP_2) | instid1(SALU_CYCLE_1)
	s_sub_co_i32 s9, s8, s34
	s_cmp_ge_u32 s8, s34
	s_cselect_b32 s26, s9, s8
	s_mov_b64 s[8:9], s[26:27]
.LBB162_391:                            ;   in Loop: Header=BB162_18 Depth=1
	s_delay_alu instid0(SALU_CYCLE_1)
	s_sub_nc_u64 s[8:9], s[72:73], s[8:9]
	s_mov_b32 s18, exec_lo
                                        ; implicit-def: $vgpr6_vgpr7
	v_nop
	v_cmpx_gt_u64_e64 s[8:9], v[0:1]
	s_cbranch_execz .LBB162_400
; %bb.392:                              ;   in Loop: Header=BB162_18 Depth=1
	v_mov_b64_e32 v[10:11], v[0:1]
	s_mov_b32 s19, 0
                                        ; implicit-def: $sgpr21
	s_branch .LBB162_395
.LBB162_393:                            ;   in Loop: Header=BB162_395 Depth=2
	s_or_b32 exec_lo, exec_lo, s26
	s_wait_dscnt 0x0
	s_barrier_signal -1
	s_barrier_wait -1
	ds_load_b128 v[4:7], v21 offset:3072
	s_mov_b32 s53, -1
	s_mov_b32 s26, -1
	s_wait_dscnt 0x0
	s_barrier_signal -1
	s_barrier_wait -1
	v_cmp_eq_u64_e32 vcc_lo, 0, v[4:5]
	s_cbranch_vccnz .LBB162_398
.LBB162_394:                            ;   in Loop: Header=BB162_395 Depth=2
	s_and_b32 s40, exec_lo, s53
	s_delay_alu instid0(SALU_CYCLE_1) | instskip(SKIP_2) | instid1(SALU_CYCLE_1)
	s_or_b32 s19, s40, s19
	s_and_not1_b32 s21, s21, exec_lo
	s_and_b32 s26, s26, exec_lo
	s_or_b32 s21, s21, s26
	s_and_not1_b32 exec_lo, exec_lo, s19
	s_cbranch_execz .LBB162_399
.LBB162_395:                            ;   Parent Loop BB162_18 Depth=1
                                        ; =>  This Inner Loop Header: Depth=2
	s_mov_b32 s26, exec_lo
	s_delay_alu instid0(VALU_DEP_1)
	v_cmpx_gt_u64_e64 s[36:37], v[10:11]
	s_cbranch_execz .LBB162_393
; %bb.396:                              ;   in Loop: Header=BB162_395 Depth=2
	v_mul_u64_e32 v[4:5], s[30:31], v[10:11]
	s_delay_alu instid0(VALU_DEP_1) | instskip(SKIP_4) | instid1(VALU_DEP_2)
	v_lshl_add_u64 v[4:5], v[4:5], 3, s[28:29]
	global_load_b64 v[4:5], v[4:5], off
	s_wait_loadcnt 0x0
	v_xor_b32_e32 v3, 0x80000000, v5
	v_and_b32_e32 v6, v4, v28
	v_and_b32_e32 v7, v3, v29
	s_delay_alu instid0(VALU_DEP_1)
	v_cmp_eq_u64_e32 vcc_lo, v[6:7], v[24:25]
	s_and_b32 exec_lo, exec_lo, vcc_lo
	s_cbranch_execz .LBB162_393
; %bb.397:                              ;   in Loop: Header=BB162_395 Depth=2
	v_mov_b32_e32 v3, v21
	ds_store_b128 v21, v[2:5] offset:3072
	s_branch .LBB162_393
.LBB162_398:                            ;   in Loop: Header=BB162_395 Depth=2
	v_add_nc_u64_e32 v[10:11], s[34:35], v[10:11]
	s_mov_b32 s26, 0
	s_delay_alu instid0(VALU_DEP_1)
	v_cmp_le_u64_e32 vcc_lo, s[8:9], v[10:11]
	s_or_not1_b32 s53, vcc_lo, exec_lo
	s_branch .LBB162_394
.LBB162_399:                            ;   in Loop: Header=BB162_18 Depth=1
	s_or_b32 exec_lo, exec_lo, s19
	s_delay_alu instid0(SALU_CYCLE_1) | instskip(SKIP_1) | instid1(SALU_CYCLE_1)
	s_and_not1_b32 s8, s20, exec_lo
	s_and_b32 s9, s21, exec_lo
	s_or_b32 s20, s8, s9
.LBB162_400:                            ;   in Loop: Header=BB162_18 Depth=1
	s_or_b32 exec_lo, exec_lo, s18
	s_mov_b32 s82, 0
	s_mov_b32 s84, -1
.LBB162_401:                            ;   in Loop: Header=BB162_18 Depth=1
	s_or_not1_b32 s8, s20, exec_lo
.LBB162_402:                            ;   in Loop: Header=BB162_18 Depth=1
	s_or_b32 exec_lo, exec_lo, s52
	s_mov_b32 s9, 0
	s_and_saveexec_b32 s20, s8
	s_cbranch_execz .LBB162_464
; %bb.403:                              ;   in Loop: Header=BB162_18 Depth=1
	v_mov_b64_e32 v[10:11], 1
	v_mov_b32_e32 v20, 1
	s_xor_b32 s18, s85, -1
	s_delay_alu instid0(SALU_CYCLE_1)
	s_and_saveexec_b32 s8, s18
	s_cbranch_execz .LBB162_412
; %bb.404:                              ;   in Loop: Header=BB162_18 Depth=1
	s_mov_b32 s9, exec_lo
	v_cmpx_ge_u64_e64 s[16:17], v[8:9]
	s_xor_b32 s9, exec_lo, s9
	s_cbranch_execz .LBB162_409
; %bb.405:                              ;   in Loop: Header=BB162_18 Depth=1
	ds_load_b64 v[4:5], v21 offset:5120
	v_and_b32_e32 v3, s15, v25
	v_and_b32_e32 v10, s14, v24
	s_lshl_b64 s[18:19], 1, s100
	v_or_b32_e32 v29, s13, v29
	v_or_b32_e32 v28, s12, v28
	;; [unrolled: 1-line block ×4, first 2 shown]
	s_wait_dscnt 0x0
	v_cmp_ne_u64_e32 vcc_lo, 0, v[4:5]
	s_cbranch_vccnz .LBB162_409
; %bb.406:                              ;   in Loop: Header=BB162_18 Depth=1
	s_and_saveexec_b32 s18, s5
; %bb.407:                              ;   in Loop: Header=BB162_18 Depth=1
	v_mov_b64_e32 v[4:5], s[16:17]
	ds_store_b64 v21, v[4:5] offset:5128
; %bb.408:                              ;   in Loop: Header=BB162_18 Depth=1
	s_or_b32 exec_lo, exec_lo, s18
	s_wait_dscnt 0x0
	s_barrier_signal -1
	s_barrier_wait -1
.LBB162_409:                            ;   in Loop: Header=BB162_18 Depth=1
	s_or_saveexec_b32 s9, s9
	v_mov_b32_e32 v20, 5
	s_mov_b32 s18, 0
	s_xor_b32 exec_lo, exec_lo, s9
; %bb.410:                              ;   in Loop: Header=BB162_18 Depth=1
	v_sub_nc_u64_e64 v[8:9], v[8:9], s[16:17]
	v_mov_b32_e32 v20, 0
	s_mov_b32 s18, exec_lo
; %bb.411:                              ;   in Loop: Header=BB162_18 Depth=1
	s_or_b32 exec_lo, exec_lo, s9
	s_delay_alu instid0(VALU_DEP_2)
	v_mov_b64_e32 v[10:11], v[8:9]
	s_and_b32 s9, s18, exec_lo
.LBB162_412:                            ;   in Loop: Header=BB162_18 Depth=1
	s_or_b32 exec_lo, exec_lo, s8
	s_mov_b32 s8, -1
                                        ; implicit-def: $sgpr55
                                        ; implicit-def: $sgpr54
	s_and_saveexec_b32 s21, s9
	s_cbranch_execz .LBB162_463
; %bb.413:                              ;   in Loop: Header=BB162_18 Depth=1
	s_delay_alu instid0(VALU_DEP_1) | instskip(SKIP_3) | instid1(SALU_CYCLE_1)
	v_cmp_eq_u64_e32 vcc_lo, 1, v[10:11]
	s_cmp_eq_u64 s[10:11], 1
	s_mov_b32 s9, -1
	s_cselect_b32 s8, -1, 0
                                        ; implicit-def: $sgpr55
                                        ; implicit-def: $sgpr54
	s_and_b32 s52, s8, vcc_lo
	s_delay_alu instid0(SALU_CYCLE_1)
	s_and_saveexec_b32 s53, s52
	s_cbranch_execz .LBB162_451
; %bb.414:                              ;   in Loop: Header=BB162_18 Depth=1
	ds_load_b64 v[4:5], v21 offset:5120
	s_wait_dscnt 0x0
	s_barrier_signal -1
	s_barrier_wait -1
	v_readfirstlane_b32 s8, v4
	v_readfirstlane_b32 s9, v5
	s_and_saveexec_b32 s16, s6
; %bb.415:                              ;   in Loop: Header=BB162_18 Depth=1
	ds_store_b64 v39, v[26:27]
; %bb.416:                              ;   in Loop: Header=BB162_18 Depth=1
	s_or_b32 exec_lo, exec_lo, s16
	v_and_b32_e32 v25, s15, v25
	v_and_b32_e32 v24, s14, v24
	v_or_b32_e32 v29, s13, v29
	v_or_b32_e32 v28, s12, v28
	s_mov_b32 s54, -1
	s_mov_b32 s55, 0
	s_cmp_eq_u64 s[8:9], 0
	s_mov_b32 s18, 0
	s_mov_b32 s19, -1
	s_wait_dscnt 0x0
	s_barrier_signal -1
	s_barrier_wait -1
                                        ; implicit-def: $vgpr6_vgpr7
	s_cbranch_scc1 .LBB162_434
; %bb.417:                              ;   in Loop: Header=BB162_18 Depth=1
	s_add_nc_u64 s[16:17], s[8:9], s[70:71]
	s_delay_alu instid0(SALU_CYCLE_1) | instskip(NEXT) | instid1(SALU_CYCLE_1)
	s_and_b64 s[18:19], s[16:17], 0xffffffff00000000
	s_cmp_lg_u64 s[18:19], 0
	s_cbranch_scc0 .LBB162_421
; %bb.418:                              ;   in Loop: Header=BB162_18 Depth=1
	s_cvt_f32_u32 s18, s34
	s_sub_nc_u64 s[60:61], 0, s[34:35]
	s_delay_alu instid0(SALU_CYCLE_2) | instskip(NEXT) | instid1(SALU_CYCLE_3)
	s_fmamk_f32 s18, s102, 0x0, s18
	v_s_rcp_f32 s18, s18
	s_delay_alu instid0(TRANS32_DEP_1) | instskip(NEXT) | instid1(SALU_CYCLE_3)
	s_mul_f32 s18, s18, 0x5f7ffffc
	s_mul_f32 s19, s18, 0x2f800000
	s_delay_alu instid0(SALU_CYCLE_3) | instskip(NEXT) | instid1(SALU_CYCLE_3)
	s_trunc_f32 s19, s19
	s_fmamk_f32 s18, s19, 0xcf800000, s18
	s_cvt_u32_f32 s19, s19
	s_delay_alu instid0(SALU_CYCLE_2) | instskip(NEXT) | instid1(SALU_CYCLE_3)
	s_cvt_u32_f32 s18, s18
	s_mul_u64 s[62:63], s[60:61], s[18:19]
	s_delay_alu instid0(SALU_CYCLE_1)
	s_mul_hi_u32 s87, s18, s63
	s_mul_i32 s86, s18, s63
	s_mul_hi_u32 s26, s18, s62
	s_mul_i32 s41, s19, s62
	s_add_nc_u64 s[86:87], s[26:27], s[86:87]
	s_mul_hi_u32 s40, s19, s62
	s_mul_hi_u32 s42, s19, s63
	s_add_co_u32 s26, s86, s41
	s_add_co_ci_u32 s26, s87, s40
	s_mul_i32 s62, s19, s63
	s_add_co_ci_u32 s63, s42, 0
	s_delay_alu instid0(SALU_CYCLE_1) | instskip(NEXT) | instid1(SALU_CYCLE_1)
	s_add_nc_u64 s[62:63], s[26:27], s[62:63]
	s_add_co_u32 s18, s18, s62
	s_cselect_b32 s26, -1, 0
	s_delay_alu instid0(SALU_CYCLE_1) | instskip(SKIP_1) | instid1(SALU_CYCLE_1)
	s_cmp_lg_u32 s26, 0
	s_add_co_ci_u32 s19, s19, s63
	s_mul_u64 s[60:61], s[60:61], s[18:19]
	s_delay_alu instid0(SALU_CYCLE_1)
	s_mul_hi_u32 s63, s18, s61
	s_mul_i32 s62, s18, s61
	s_mul_hi_u32 s26, s18, s60
	s_mul_i32 s41, s19, s60
	s_add_nc_u64 s[62:63], s[26:27], s[62:63]
	s_mul_hi_u32 s40, s19, s60
	s_mul_hi_u32 s42, s19, s61
	s_add_co_u32 s26, s62, s41
	s_add_co_ci_u32 s26, s63, s40
	s_mul_i32 s60, s19, s61
	s_add_co_ci_u32 s61, s42, 0
	s_delay_alu instid0(SALU_CYCLE_1) | instskip(NEXT) | instid1(SALU_CYCLE_1)
	s_add_nc_u64 s[60:61], s[26:27], s[60:61]
	s_add_co_u32 s18, s18, s60
	s_cselect_b32 s40, -1, 0
	s_mul_hi_u32 s26, s16, s18
	s_cmp_lg_u32 s40, 0
	s_mul_hi_u32 s40, s17, s18
	s_add_co_ci_u32 s41, s19, s61
	s_mul_i32 s42, s17, s18
	s_mul_hi_u32 s19, s16, s41
	s_mul_i32 s18, s16, s41
	s_mul_hi_u32 s43, s17, s41
	s_add_nc_u64 s[18:19], s[26:27], s[18:19]
	s_mul_i32 s60, s17, s41
	s_add_co_u32 s18, s18, s42
	s_add_co_ci_u32 s26, s19, s40
	s_add_co_ci_u32 s61, s43, 0
	s_delay_alu instid0(SALU_CYCLE_1) | instskip(NEXT) | instid1(SALU_CYCLE_1)
	s_add_nc_u64 s[18:19], s[26:27], s[60:61]
	s_and_b64 s[60:61], s[18:19], 0xffffffff00000000
	s_delay_alu instid0(SALU_CYCLE_1) | instskip(NEXT) | instid1(SALU_CYCLE_1)
	s_or_b32 s60, s60, s18
	s_mul_u64 s[18:19], s[34:35], s[60:61]
	s_delay_alu instid0(SALU_CYCLE_1) | instskip(SKIP_1) | instid1(SALU_CYCLE_1)
	s_sub_co_u32 s18, s16, s18
	s_cselect_b32 s26, -1, 0
	s_cmp_lg_u32 s26, 0
	s_sub_co_ci_u32 s19, s17, s19
	s_sub_co_u32 s26, s18, s34
	s_cselect_b32 s40, -1, 0
	s_delay_alu instid0(SALU_CYCLE_1) | instskip(SKIP_3) | instid1(SALU_CYCLE_1)
	s_cmp_lg_u32 s40, 0
	s_sub_co_ci_u32 s40, s19, 0
	s_sub_co_u32 s41, s26, s34
	s_cselect_b32 s42, -1, 0
	s_cmp_lg_u32 s42, 0
	s_sub_co_ci_u32 s42, s40, 0
	s_cmp_ge_u32 s26, s34
	s_cselect_b32 s43, -1, 0
	s_cmp_eq_u32 s40, 0
	s_cselect_b32 s43, s43, -1
	s_delay_alu instid0(SALU_CYCLE_1)
	s_cmp_lg_u32 s43, 0
	s_cselect_b32 s40, s42, s40
	s_cselect_b32 s26, s41, s26
	s_cmp_ge_u32 s18, s34
	s_cselect_b32 s41, -1, 0
	s_cmp_eq_u32 s19, 0
	s_cselect_b32 s41, s41, -1
	s_delay_alu instid0(SALU_CYCLE_1)
	s_cmp_lg_u32 s41, 0
	s_cselect_b32 s19, s40, s19
	s_cselect_b32 s18, s26, s18
	s_mov_b32 s26, 0
	s_branch .LBB162_422
.LBB162_419:                            ;   in Loop: Header=BB162_18 Depth=1
                                        ; implicit-def: $sgpr20_sgpr21
	s_branch .LBB162_374
.LBB162_420:                            ;   in Loop: Header=BB162_18 Depth=1
                                        ; implicit-def: $sgpr8_sgpr9
	s_branch .LBB162_390
.LBB162_421:                            ;   in Loop: Header=BB162_18 Depth=1
	s_mov_b32 s26, -1
                                        ; implicit-def: $sgpr18_sgpr19
.LBB162_422:                            ;   in Loop: Header=BB162_18 Depth=1
	s_delay_alu instid0(SALU_CYCLE_1)
	s_and_not1_b32 vcc_lo, exec_lo, s26
	s_cbranch_vccnz .LBB162_424
; %bb.423:                              ;   in Loop: Header=BB162_18 Depth=1
	v_cvt_f32_u32_e32 v3, s34
	s_sub_co_i32 s19, 0, s34
	s_delay_alu instid0(VALU_DEP_1) | instskip(SKIP_1) | instid1(TRANS32_DEP_1)
	v_rcp_iflag_f32_e32 v3, v3
	v_nop
	v_mul_f32_e32 v3, 0x4f7ffffe, v3
	s_delay_alu instid0(VALU_DEP_1) | instskip(NEXT) | instid1(VALU_DEP_1)
	v_cvt_u32_f32_e32 v3, v3
	v_readfirstlane_b32 s18, v3
	s_mul_i32 s19, s19, s18
	s_delay_alu instid0(SALU_CYCLE_1) | instskip(NEXT) | instid1(SALU_CYCLE_1)
	s_mul_hi_u32 s19, s18, s19
	s_add_co_i32 s18, s18, s19
	s_delay_alu instid0(SALU_CYCLE_1) | instskip(NEXT) | instid1(SALU_CYCLE_1)
	s_mul_hi_u32 s18, s16, s18
	s_mul_i32 s18, s18, s34
	s_delay_alu instid0(SALU_CYCLE_1) | instskip(NEXT) | instid1(SALU_CYCLE_1)
	s_sub_co_i32 s18, s16, s18
	s_sub_co_i32 s19, s18, s34
	s_cmp_ge_u32 s18, s34
	s_cselect_b32 s18, s19, s18
	s_delay_alu instid0(SALU_CYCLE_1) | instskip(SKIP_2) | instid1(SALU_CYCLE_1)
	s_sub_co_i32 s19, s18, s34
	s_cmp_ge_u32 s18, s34
	s_cselect_b32 s26, s19, s18
	s_mov_b64 s[18:19], s[26:27]
.LBB162_424:                            ;   in Loop: Header=BB162_18 Depth=1
	s_delay_alu instid0(SALU_CYCLE_1)
	s_sub_nc_u64 s[16:17], s[16:17], s[18:19]
	s_mov_b32 s19, 0
	s_mov_b32 s18, 0
	s_mov_b32 s26, exec_lo
                                        ; implicit-def: $vgpr6_vgpr7
	v_cmpx_gt_u64_e64 s[16:17], v[0:1]
	s_cbranch_execz .LBB162_433
; %bb.425:                              ;   in Loop: Header=BB162_18 Depth=1
	v_mov_b64_e32 v[8:9], v[0:1]
	v_mov_b32_e32 v12, v38
                                        ; implicit-def: $sgpr85
	s_branch .LBB162_428
.LBB162_426:                            ;   in Loop: Header=BB162_428 Depth=2
	s_or_b32 exec_lo, exec_lo, s60
	s_wait_dscnt 0x0
	s_barrier_signal -1
	s_barrier_wait -1
	ds_load_b128 v[4:7], v21 offset:3072
	s_mov_b32 s60, -1
	s_mov_b32 s61, -1
	s_wait_dscnt 0x0
	s_barrier_signal -1
	s_barrier_wait -1
	v_cmp_ne_u64_e32 vcc_lo, 0, v[4:5]
	s_cbranch_vccz .LBB162_431
.LBB162_427:                            ;   in Loop: Header=BB162_428 Depth=2
	s_and_b32 s40, exec_lo, s60
	s_delay_alu instid0(SALU_CYCLE_1) | instskip(SKIP_2) | instid1(SALU_CYCLE_1)
	s_or_b32 s18, s40, s18
	s_and_not1_b32 s40, s85, exec_lo
	s_and_b32 s41, s61, exec_lo
	s_or_b32 s85, s40, s41
	s_and_not1_b32 exec_lo, exec_lo, s18
	s_cbranch_execz .LBB162_432
.LBB162_428:                            ;   Parent Loop BB162_18 Depth=1
                                        ; =>  This Inner Loop Header: Depth=2
	s_mov_b32 s60, exec_lo
	s_delay_alu instid0(VALU_DEP_2)
	v_cmpx_gt_u64_e64 s[8:9], v[8:9]
	s_cbranch_execz .LBB162_426
; %bb.429:                              ;   in Loop: Header=BB162_428 Depth=2
	ds_load_b64 v[4:5], v12
	s_wait_dscnt 0x0
	v_xor_b32_e32 v3, 0x80000000, v5
	v_and_b32_e32 v6, v4, v28
	s_delay_alu instid0(VALU_DEP_2) | instskip(NEXT) | instid1(VALU_DEP_1)
	v_and_b32_e32 v7, v3, v29
	v_cmp_eq_u64_e32 vcc_lo, v[6:7], v[24:25]
	s_and_b32 exec_lo, exec_lo, vcc_lo
	s_cbranch_execz .LBB162_426
; %bb.430:                              ;   in Loop: Header=BB162_428 Depth=2
	v_mov_b32_e32 v3, v21
	ds_store_b128 v21, v[2:5] offset:3072
	s_branch .LBB162_426
.LBB162_431:                            ;   in Loop: Header=BB162_428 Depth=2
	v_add_nc_u64_e32 v[8:9], s[34:35], v[8:9]
	v_add_nc_u32_e32 v12, s99, v12
	s_mov_b32 s61, 0
	s_delay_alu instid0(VALU_DEP_2)
	v_cmp_le_u64_e32 vcc_lo, s[16:17], v[8:9]
	s_or_not1_b32 s60, vcc_lo, exec_lo
	s_branch .LBB162_427
.LBB162_432:                            ;   in Loop: Header=BB162_18 Depth=1
	s_or_b32 exec_lo, exec_lo, s18
	s_delay_alu instid0(SALU_CYCLE_1)
	s_and_b32 s18, s85, exec_lo
.LBB162_433:                            ;   in Loop: Header=BB162_18 Depth=1
	s_or_b32 exec_lo, exec_lo, s26
.LBB162_434:                            ;   in Loop: Header=BB162_18 Depth=1
	s_delay_alu instid0(SALU_CYCLE_1)
	s_and_b32 vcc_lo, exec_lo, s19
	s_cbranch_vccz .LBB162_450
; %bb.435:                              ;   in Loop: Header=BB162_18 Depth=1
	s_and_b64 s[8:9], s[72:73], 0xffffffff00000000
	s_delay_alu instid0(SALU_CYCLE_1)
	s_cmp_lg_u64 s[8:9], 0
	s_cbranch_scc0 .LBB162_437
; %bb.436:                              ;   in Loop: Header=BB162_18 Depth=1
	s_cvt_f32_u32 s8, s34
	s_sub_nc_u64 s[16:17], 0, s[34:35]
	s_delay_alu instid0(SALU_CYCLE_2) | instskip(NEXT) | instid1(SALU_CYCLE_3)
	s_fmamk_f32 s8, s102, 0x0, s8
	v_s_rcp_f32 s8, s8
	s_delay_alu instid0(TRANS32_DEP_1) | instskip(NEXT) | instid1(SALU_CYCLE_3)
	s_mul_f32 s8, s8, 0x5f7ffffc
	s_mul_f32 s9, s8, 0x2f800000
	s_delay_alu instid0(SALU_CYCLE_3) | instskip(NEXT) | instid1(SALU_CYCLE_3)
	s_trunc_f32 s9, s9
	s_fmamk_f32 s8, s9, 0xcf800000, s8
	s_cvt_u32_f32 s9, s9
	s_delay_alu instid0(SALU_CYCLE_2) | instskip(NEXT) | instid1(SALU_CYCLE_3)
	s_cvt_u32_f32 s8, s8
	s_mul_u64 s[54:55], s[16:17], s[8:9]
	s_delay_alu instid0(SALU_CYCLE_1)
	s_mul_hi_u32 s61, s8, s55
	s_mul_i32 s60, s8, s55
	s_mul_hi_u32 s26, s8, s54
	s_mul_i32 s40, s9, s54
	s_add_nc_u64 s[60:61], s[26:27], s[60:61]
	s_mul_hi_u32 s19, s9, s54
	s_mul_hi_u32 s41, s9, s55
	s_add_co_u32 s26, s60, s40
	s_add_co_ci_u32 s26, s61, s19
	s_mul_i32 s54, s9, s55
	s_add_co_ci_u32 s55, s41, 0
	s_delay_alu instid0(SALU_CYCLE_1) | instskip(NEXT) | instid1(SALU_CYCLE_1)
	s_add_nc_u64 s[54:55], s[26:27], s[54:55]
	s_add_co_u32 s8, s8, s54
	s_cselect_b32 s19, -1, 0
	s_delay_alu instid0(SALU_CYCLE_1) | instskip(SKIP_1) | instid1(SALU_CYCLE_1)
	s_cmp_lg_u32 s19, 0
	s_add_co_ci_u32 s9, s9, s55
	s_mul_u64 s[16:17], s[16:17], s[8:9]
	s_delay_alu instid0(SALU_CYCLE_1)
	s_mul_hi_u32 s55, s8, s17
	s_mul_i32 s54, s8, s17
	s_mul_hi_u32 s26, s8, s16
	s_mul_i32 s40, s9, s16
	s_add_nc_u64 s[54:55], s[26:27], s[54:55]
	s_mul_hi_u32 s19, s9, s16
	s_mul_hi_u32 s41, s9, s17
	s_mul_i32 s16, s9, s17
	s_add_co_u32 s17, s54, s40
	s_add_co_ci_u32 s26, s55, s19
	s_add_co_ci_u32 s17, s41, 0
	s_delay_alu instid0(SALU_CYCLE_1) | instskip(NEXT) | instid1(SALU_CYCLE_1)
	s_add_nc_u64 s[16:17], s[26:27], s[16:17]
	s_add_co_u32 s8, s8, s16
	s_cselect_b32 s16, -1, 0
	s_mul_hi_u32 s26, s72, s8
	s_cmp_lg_u32 s16, 0
	s_mul_hi_u32 s19, s73, s8
	s_add_co_ci_u32 s16, s9, s17
	s_mul_i32 s17, s73, s8
	s_mul_hi_u32 s9, s72, s16
	s_mul_i32 s8, s72, s16
	s_mul_hi_u32 s40, s73, s16
	s_add_nc_u64 s[8:9], s[26:27], s[8:9]
	s_mul_i32 s16, s73, s16
	s_add_co_u32 s8, s8, s17
	s_add_co_ci_u32 s26, s9, s19
	s_add_co_ci_u32 s17, s40, 0
	s_delay_alu instid0(SALU_CYCLE_1) | instskip(NEXT) | instid1(SALU_CYCLE_1)
	s_add_nc_u64 s[8:9], s[26:27], s[16:17]
	s_and_b64 s[16:17], s[8:9], 0xffffffff00000000
	s_delay_alu instid0(SALU_CYCLE_1) | instskip(NEXT) | instid1(SALU_CYCLE_1)
	s_or_b32 s16, s16, s8
	s_mul_u64 s[8:9], s[34:35], s[16:17]
	s_delay_alu instid0(SALU_CYCLE_1) | instskip(SKIP_1) | instid1(SALU_CYCLE_1)
	s_sub_co_u32 s8, s72, s8
	s_cselect_b32 s16, -1, 0
	s_cmp_lg_u32 s16, 0
	s_sub_co_ci_u32 s9, s73, s9
	s_sub_co_u32 s16, s8, s34
	s_cselect_b32 s17, -1, 0
	s_delay_alu instid0(SALU_CYCLE_1) | instskip(SKIP_3) | instid1(SALU_CYCLE_1)
	s_cmp_lg_u32 s17, 0
	s_sub_co_ci_u32 s17, s9, 0
	s_sub_co_u32 s19, s16, s34
	s_cselect_b32 s26, -1, 0
	s_cmp_lg_u32 s26, 0
	s_sub_co_ci_u32 s26, s17, 0
	s_cmp_ge_u32 s16, s34
	s_cselect_b32 s40, -1, 0
	s_cmp_eq_u32 s17, 0
	s_cselect_b32 s40, s40, -1
	s_delay_alu instid0(SALU_CYCLE_1)
	s_cmp_lg_u32 s40, 0
	s_cselect_b32 s17, s26, s17
	s_cselect_b32 s16, s19, s16
	s_cmp_ge_u32 s8, s34
	s_cselect_b32 s19, -1, 0
	s_cmp_eq_u32 s9, 0
	s_cselect_b32 s19, s19, -1
	s_delay_alu instid0(SALU_CYCLE_1)
	s_cmp_lg_u32 s19, 0
	s_cselect_b32 s9, s17, s9
	s_cselect_b32 s8, s16, s8
	s_mov_b32 s16, 0
	s_branch .LBB162_438
.LBB162_437:                            ;   in Loop: Header=BB162_18 Depth=1
	s_mov_b32 s16, -1
                                        ; implicit-def: $sgpr8_sgpr9
.LBB162_438:                            ;   in Loop: Header=BB162_18 Depth=1
	s_delay_alu instid0(SALU_CYCLE_1)
	s_and_not1_b32 vcc_lo, exec_lo, s16
	s_cbranch_vccnz .LBB162_440
; %bb.439:                              ;   in Loop: Header=BB162_18 Depth=1
	v_cvt_f32_u32_e32 v3, s34
	s_sub_co_i32 s9, 0, s34
	s_delay_alu instid0(VALU_DEP_1) | instskip(SKIP_1) | instid1(TRANS32_DEP_1)
	v_rcp_iflag_f32_e32 v3, v3
	v_nop
	v_mul_f32_e32 v3, 0x4f7ffffe, v3
	s_delay_alu instid0(VALU_DEP_1) | instskip(NEXT) | instid1(VALU_DEP_1)
	v_cvt_u32_f32_e32 v3, v3
	v_readfirstlane_b32 s8, v3
	s_mul_i32 s9, s9, s8
	s_delay_alu instid0(SALU_CYCLE_1) | instskip(NEXT) | instid1(SALU_CYCLE_1)
	s_mul_hi_u32 s9, s8, s9
	s_add_co_i32 s8, s8, s9
	s_delay_alu instid0(SALU_CYCLE_1) | instskip(NEXT) | instid1(SALU_CYCLE_1)
	s_mul_hi_u32 s8, s72, s8
	s_mul_i32 s8, s8, s34
	s_delay_alu instid0(SALU_CYCLE_1) | instskip(NEXT) | instid1(SALU_CYCLE_1)
	s_sub_co_i32 s8, s72, s8
	s_sub_co_i32 s9, s8, s34
	s_cmp_ge_u32 s8, s34
	s_cselect_b32 s8, s9, s8
	s_delay_alu instid0(SALU_CYCLE_1) | instskip(SKIP_2) | instid1(SALU_CYCLE_1)
	s_sub_co_i32 s9, s8, s34
	s_cmp_ge_u32 s8, s34
	s_cselect_b32 s26, s9, s8
	s_mov_b64 s[8:9], s[26:27]
.LBB162_440:                            ;   in Loop: Header=BB162_18 Depth=1
	s_delay_alu instid0(SALU_CYCLE_1)
	s_sub_nc_u64 s[8:9], s[72:73], s[8:9]
	s_mov_b32 s16, exec_lo
                                        ; implicit-def: $vgpr6_vgpr7
	v_nop
	v_cmpx_gt_u64_e64 s[8:9], v[0:1]
	s_cbranch_execz .LBB162_449
; %bb.441:                              ;   in Loop: Header=BB162_18 Depth=1
	v_mov_b64_e32 v[8:9], v[0:1]
	s_mov_b32 s17, 0
                                        ; implicit-def: $sgpr19
	s_branch .LBB162_444
.LBB162_442:                            ;   in Loop: Header=BB162_444 Depth=2
	s_or_b32 exec_lo, exec_lo, s26
	s_wait_dscnt 0x0
	s_barrier_signal -1
	s_barrier_wait -1
	ds_load_b128 v[4:7], v21 offset:3072
	s_mov_b32 s54, -1
	s_mov_b32 s26, -1
	s_wait_dscnt 0x0
	s_barrier_signal -1
	s_barrier_wait -1
	v_cmp_eq_u64_e32 vcc_lo, 0, v[4:5]
	s_cbranch_vccnz .LBB162_447
.LBB162_443:                            ;   in Loop: Header=BB162_444 Depth=2
	s_and_b32 s40, exec_lo, s54
	s_delay_alu instid0(SALU_CYCLE_1) | instskip(SKIP_2) | instid1(SALU_CYCLE_1)
	s_or_b32 s17, s40, s17
	s_and_not1_b32 s19, s19, exec_lo
	s_and_b32 s26, s26, exec_lo
	s_or_b32 s19, s19, s26
	s_and_not1_b32 exec_lo, exec_lo, s17
	s_cbranch_execz .LBB162_448
.LBB162_444:                            ;   Parent Loop BB162_18 Depth=1
                                        ; =>  This Inner Loop Header: Depth=2
	s_mov_b32 s26, exec_lo
	s_delay_alu instid0(VALU_DEP_1)
	v_cmpx_gt_u64_e64 s[36:37], v[8:9]
	s_cbranch_execz .LBB162_442
; %bb.445:                              ;   in Loop: Header=BB162_444 Depth=2
	v_mul_u64_e32 v[4:5], s[30:31], v[8:9]
	s_delay_alu instid0(VALU_DEP_1) | instskip(SKIP_4) | instid1(VALU_DEP_2)
	v_lshl_add_u64 v[4:5], v[4:5], 3, s[28:29]
	global_load_b64 v[4:5], v[4:5], off
	s_wait_loadcnt 0x0
	v_xor_b32_e32 v3, 0x80000000, v5
	v_and_b32_e32 v6, v4, v28
	v_and_b32_e32 v7, v3, v29
	s_delay_alu instid0(VALU_DEP_1)
	v_cmp_eq_u64_e32 vcc_lo, v[6:7], v[24:25]
	s_and_b32 exec_lo, exec_lo, vcc_lo
	s_cbranch_execz .LBB162_442
; %bb.446:                              ;   in Loop: Header=BB162_444 Depth=2
	v_mov_b32_e32 v3, v21
	ds_store_b128 v21, v[2:5] offset:3072
	s_branch .LBB162_442
.LBB162_447:                            ;   in Loop: Header=BB162_444 Depth=2
	v_add_nc_u64_e32 v[8:9], s[34:35], v[8:9]
	s_mov_b32 s26, 0
	s_delay_alu instid0(VALU_DEP_1)
	v_cmp_le_u64_e32 vcc_lo, s[8:9], v[8:9]
	s_or_not1_b32 s54, vcc_lo, exec_lo
	s_branch .LBB162_443
.LBB162_448:                            ;   in Loop: Header=BB162_18 Depth=1
	s_or_b32 exec_lo, exec_lo, s17
	s_delay_alu instid0(SALU_CYCLE_1) | instskip(SKIP_1) | instid1(SALU_CYCLE_1)
	s_and_not1_b32 s8, s18, exec_lo
	s_and_b32 s9, s19, exec_lo
	s_or_b32 s18, s8, s9
.LBB162_449:                            ;   in Loop: Header=BB162_18 Depth=1
	s_or_b32 exec_lo, exec_lo, s16
	s_mov_b32 s54, 0
	s_mov_b32 s55, -1
.LBB162_450:                            ;   in Loop: Header=BB162_18 Depth=1
	s_or_not1_b32 s9, s18, exec_lo
.LBB162_451:                            ;   in Loop: Header=BB162_18 Depth=1
	s_or_b32 exec_lo, exec_lo, s53
	s_mov_b32 s16, 0
	s_and_saveexec_b32 s8, s9
	s_cbranch_execz .LBB162_462
; %bb.452:                              ;   in Loop: Header=BB162_18 Depth=1
	v_mov_b64_e32 v[4:5], 1
	v_mov_b32_e32 v20, 1
	s_xor_b32 s16, s52, -1
	s_delay_alu instid0(SALU_CYCLE_1)
	s_and_saveexec_b32 s9, s16
	s_cbranch_execz .LBB162_461
; %bb.453:                              ;   in Loop: Header=BB162_18 Depth=1
	s_mov_b32 s16, exec_lo
	v_cmpx_ge_u64_e64 s[10:11], v[10:11]
	s_xor_b32 s16, exec_lo, s16
	s_cbranch_execz .LBB162_458
; %bb.454:                              ;   in Loop: Header=BB162_18 Depth=1
	ds_load_b64 v[4:5], v21 offset:5120
	v_and_b32_e32 v25, s15, v25
	v_and_b32_e32 v24, s14, v24
	v_or_b32_e32 v29, s13, v29
	v_or_b32_e32 v28, s12, v28
	s_wait_dscnt 0x0
	v_cmp_ne_u64_e32 vcc_lo, 0, v[4:5]
	s_cbranch_vccnz .LBB162_458
; %bb.455:                              ;   in Loop: Header=BB162_18 Depth=1
	s_and_saveexec_b32 s12, s5
; %bb.456:                              ;   in Loop: Header=BB162_18 Depth=1
	v_mov_b64_e32 v[4:5], s[10:11]
	ds_store_b64 v21, v[4:5] offset:5128
; %bb.457:                              ;   in Loop: Header=BB162_18 Depth=1
	s_or_b32 exec_lo, exec_lo, s12
	s_wait_dscnt 0x0
	s_barrier_signal -1
	s_barrier_wait -1
.LBB162_458:                            ;   in Loop: Header=BB162_18 Depth=1
	s_and_not1_saveexec_b32 s12, s16
; %bb.459:                              ;   in Loop: Header=BB162_18 Depth=1
	v_sub_nc_u64_e64 v[10:11], v[10:11], s[10:11]
; %bb.460:                              ;   in Loop: Header=BB162_18 Depth=1
	s_or_b32 exec_lo, exec_lo, s12
	s_delay_alu instid0(VALU_DEP_1)
	v_mov_b64_e32 v[4:5], v[10:11]
	v_mov_b32_e32 v20, 5
.LBB162_461:                            ;   in Loop: Header=BB162_18 Depth=1
	s_or_b32 exec_lo, exec_lo, s9
	s_delay_alu instid0(VALU_DEP_2)
	v_mov_b64_e32 v[10:11], v[4:5]
	s_mov_b32 s16, exec_lo
.LBB162_462:                            ;   in Loop: Header=BB162_18 Depth=1
	s_or_b32 exec_lo, exec_lo, s8
	s_delay_alu instid0(SALU_CYCLE_1)
	s_or_not1_b32 s8, s16, exec_lo
.LBB162_463:                            ;   in Loop: Header=BB162_18 Depth=1
	s_or_b32 exec_lo, exec_lo, s21
	s_delay_alu instid0(VALU_DEP_1)
	v_mov_b64_e32 v[8:9], v[10:11]
	s_and_not1_b32 s9, s84, exec_lo
	s_and_b32 s10, s55, exec_lo
	s_and_not1_b32 s11, s82, exec_lo
	s_and_b32 s12, s54, exec_lo
	s_or_b32 s84, s9, s10
	s_or_b32 s82, s11, s12
	s_and_b32 s9, s8, exec_lo
.LBB162_464:                            ;   in Loop: Header=BB162_18 Depth=1
	s_or_b32 exec_lo, exec_lo, s20
	s_delay_alu instid0(SALU_CYCLE_1)
	s_or_not1_b32 s8, s9, exec_lo
.LBB162_465:                            ;   in Loop: Header=BB162_18 Depth=1
	s_or_b32 exec_lo, exec_lo, s23
	v_mov_b64_e32 v[32:33], v[8:9]
	s_and_not1_b32 s9, s81, exec_lo
	s_and_b32 s10, s84, exec_lo
	s_and_not1_b32 s11, s25, exec_lo
	s_and_b32 s12, s82, exec_lo
	s_or_b32 s81, s9, s10
	s_or_b32 s25, s11, s12
	s_and_b32 s9, s8, exec_lo
.LBB162_466:                            ;   in Loop: Header=BB162_18 Depth=1
	s_or_b32 exec_lo, exec_lo, s22
	s_delay_alu instid0(SALU_CYCLE_1)
	s_or_not1_b32 s8, s9, exec_lo
.LBB162_467:                            ;   in Loop: Header=BB162_18 Depth=1
	s_or_b32 exec_lo, exec_lo, s7
	s_mov_b32 s7, s80
	s_mov_b32 s9, s79
	s_and_saveexec_b32 s10, s8
; %bb.468:                              ;   in Loop: Header=BB162_18 Depth=1
	v_cmp_ne_u32_e32 vcc_lo, 5, v20
	v_cmp_eq_u32_e64 s7, 5, v20
	s_and_not1_b32 s8, s79, exec_lo
	s_and_not1_b32 s11, s80, exec_lo
	s_and_b32 s9, vcc_lo, exec_lo
	s_and_b32 s7, s7, exec_lo
	s_or_b32 s9, s8, s9
	s_or_b32 s7, s11, s7
; %bb.469:                              ;   in Loop: Header=BB162_18 Depth=1
	s_or_b32 exec_lo, exec_lo, s10
	s_delay_alu instid0(SALU_CYCLE_1)
	s_and_not1_b32 s8, s83, exec_lo
	s_and_b32 s10, s81, exec_lo
	s_and_not1_b32 s11, s78, exec_lo
	s_and_b32 s12, s25, exec_lo
	s_or_b32 s83, s8, s10
	s_and_not1_b32 s8, s79, exec_lo
	s_and_b32 s9, s9, exec_lo
	s_and_not1_b32 s10, s80, exec_lo
	s_and_b32 s7, s7, exec_lo
	s_or_b32 s78, s11, s12
	s_or_b32 s79, s8, s9
	;; [unrolled: 1-line block ×3, first 2 shown]
.LBB162_470:                            ;   in Loop: Header=BB162_18 Depth=1
	s_or_b32 exec_lo, exec_lo, s24
	s_mov_b32 s81, 0
	s_mov_b32 s82, 0
	s_and_saveexec_b32 s7, s80
.LBB162_471:                            ;   in Loop: Header=BB162_18 Depth=1
	v_mov_b32_e32 v20, 0
	s_or_b32 s79, s79, exec_lo
.LBB162_472:                            ;   in Loop: Header=BB162_18 Depth=1
	s_or_b32 exec_lo, exec_lo, s7
	v_mov_b64_e32 v[30:31], v[32:33]
	s_and_not1_b32 s7, s49, exec_lo
	s_and_b32 s9, s83, exec_lo
	s_and_not1_b32 s10, s69, exec_lo
	s_and_b32 s11, s78, exec_lo
	s_or_b32 s49, s7, s9
	s_or_b32 s69, s10, s11
	s_and_not1_b32 s7, s51, exec_lo
	s_and_b32 s9, s82, exec_lo
	s_and_not1_b32 s10, s50, exec_lo
	s_and_b32 s11, s81, exec_lo
	s_mov_b32 s8, -1
	s_and_not1_b32 s48, s48, exec_lo
	s_or_b32 s51, s7, s9
	s_or_b32 s50, s10, s11
	s_and_saveexec_b32 s7, s79
	s_delay_alu instid0(SALU_CYCLE_1)
	s_xor_b32 s7, exec_lo, s7
	s_cbranch_execz .LBB162_17
; %bb.473:                              ;   in Loop: Header=BB162_18 Depth=1
	s_mov_b32 s9, -1
	s_mov_b32 s10, exec_lo
	v_cmpx_eq_u32_e32 0, v20
	s_cbranch_execz .LBB162_16
; %bb.474:                              ;   in Loop: Header=BB162_18 Depth=1
	s_xor_b32 s104, s104, 1
	s_add_co_i32 s11, s100, -2
	s_cmp_eq_u32 s100, 0
	s_mov_b32 s100, s11
	s_cselect_b32 s8, -1, 0
	s_xor_b32 s9, exec_lo, -1
	s_or_not1_b32 s8, s8, exec_lo
	s_branch .LBB162_16
.LBB162_475:
	s_or_b32 exec_lo, exec_lo, s101
	s_xor_b32 s7, s68, -1
	s_xor_b32 s9, s66, -1
	;; [unrolled: 1-line block ×4, first 2 shown]
	s_xor_b32 s6, vcc_hi, -1
	s_mov_b32 s8, 0
	s_and_saveexec_b32 s12, s11
	s_delay_alu instid0(SALU_CYCLE_1)
	s_xor_b32 s16, exec_lo, s12
	s_cbranch_execnz .LBB162_480
; %bb.476:
	s_and_not1_saveexec_b32 s0, s16
	s_cbranch_execnz .LBB162_499
.LBB162_477:
	s_or_b32 exec_lo, exec_lo, s0
	s_and_saveexec_b32 s0, s8
.LBB162_478:
	; divergent unreachable
.LBB162_479:
	s_endpgm
.LBB162_480:
	s_and_saveexec_b32 s11, s10
	s_delay_alu instid0(SALU_CYCLE_1)
	s_xor_b32 s17, exec_lo, s11
	s_cbranch_execz .LBB162_497
; %bb.481:
	s_and_saveexec_b32 s10, s9
	s_delay_alu instid0(SALU_CYCLE_1)
	s_xor_b32 s18, exec_lo, s10
	s_cbranch_execz .LBB162_495
; %bb.482:
	;; [unrolled: 5-line block ×3, first 2 shown]
	s_and_saveexec_b32 s7, s6
	s_delay_alu instid0(SALU_CYCLE_1)
	s_xor_b32 s6, exec_lo, s7
; %bb.484:
	v_xor_b32_e32 v25, 0x80000000, v25
	s_delay_alu instid0(VALU_DEP_1)
	v_mov_b64_e32 v[6:7], v[24:25]
; %bb.485:
	s_or_b32 exec_lo, exec_lo, s6
	s_and_saveexec_b32 s6, s5
; %bb.486:
	v_mov_b64_e32 v[2:3], 0
	v_mov_b32_e32 v4, 0
	ds_store_b64 v4, v[2:3] offset:5136
; %bb.487:
	s_or_b32 exec_lo, exec_lo, s6
	v_mov_b64_e32 v[2:3], 0
	s_wait_dscnt 0x0
	s_barrier_signal -1
	s_barrier_wait -1
	s_and_saveexec_b32 s5, s3
	s_cbranch_execz .LBB162_489
; %bb.488:
	global_load_b64 v[2:3], v[18:19], off
.LBB162_489:
	s_wait_xcnt 0x0
	s_or_b32 exec_lo, exec_lo, s5
	s_clause 0x3
	s_load_b128 s[24:27], s[0:1], 0x1d8
	s_load_b128 s[40:43], s[0:1], 0x298
	s_load_b64 s[12:13], s[0:1], 0x450
	s_load_b64 s[14:15], s[0:1], 0x2a8
	v_readlane_b32 s6, v56, 0
	v_readlane_b32 s7, v56, 1
	s_mul_u64 s[22:23], s[64:65], s[46:47]
	s_add_nc_u64 s[10:11], s[36:37], 31
	s_mov_b64 s[20:21], 0xffffffffffffffe0
	v_readlane_b32 s46, v56, 6
	s_and_b64 s[10:11], s[10:11], s[20:21]
	v_readlane_b32 s47, v56, 7
	v_cmp_gt_u64_e32 vcc_lo, s[10:11], v[0:1]
	s_mov_b32 s5, 0
	s_wait_kmcnt 0x0
	s_mul_u64 s[26:27], s[58:59], s[26:27]
	s_mov_b64 s[50:51], s[42:43]
	s_mov_b64 s[48:49], s[40:41]
	s_mul_u64 s[24:25], s[6:7], s[24:25]
	s_mul_u64 s[40:41], s[6:7], s[48:49]
	s_clause 0x1
	s_load_b64 s[6:7], s[0:1], 0x510
	s_load_b64 s[8:9], s[0:1], 0x368
	s_wait_xcnt 0x0
	s_sub_nc_u64 s[0:1], s[56:57], s[22:23]
	s_sub_nc_u64 s[22:23], s[56:57], s[26:27]
	v_readlane_b32 s26, v56, 10
	v_readlane_b32 s27, v56, 11
	s_sub_nc_u64 s[20:21], s[58:59], s[24:25]
	s_mul_u64 s[0:1], s[0:1], s[12:13]
	s_mul_u64 s[20:21], s[20:21], s[50:51]
	v_readlane_b32 s48, v56, 2
	s_mul_u64 s[12:13], s[22:23], s[14:15]
	s_lshl_b64 s[14:15], s[40:41], 3
	v_readlane_b32 s49, v56, 3
	s_add_nc_u64 s[14:15], s[26:27], s[14:15]
	s_lshl_b64 s[20:21], s[20:21], 3
	v_readlane_b32 s50, v56, 4
	v_readlane_b32 s51, v56, 5
	s_mul_u64 s[42:43], s[46:47], s[44:45]
	s_add_nc_u64 s[14:15], s[14:15], s[20:21]
	v_readlane_b32 s20, v56, 8
	v_readlane_b32 s21, v56, 9
	s_sub_nc_u64 s[24:25], s[64:65], s[42:43]
	s_mul_u64 s[22:23], s[46:47], s[48:49]
	s_mul_u64 s[24:25], s[24:25], s[50:51]
	s_lshl_b64 s[22:23], s[22:23], 3
	s_lshl_b64 s[12:13], s[12:13], 3
	s_add_nc_u64 s[20:21], s[20:21], s[22:23]
	s_lshl_b64 s[22:23], s[24:25], 3
	s_lshl_b64 s[0:1], s[0:1], 3
	s_add_nc_u64 s[20:21], s[20:21], s[22:23]
	s_add_nc_u64 s[12:13], s[14:15], s[12:13]
	;; [unrolled: 1-line block ×3, first 2 shown]
	s_mov_b32 s0, -1
	s_mov_b32 s1, 0
	s_and_saveexec_b32 s20, vcc_lo
	s_cbranch_execnz .LBB162_500
; %bb.490:
	s_or_b32 exec_lo, exec_lo, s20
	s_and_saveexec_b32 s4, s0
	s_cbranch_execnz .LBB162_515
.LBB162_491:
	s_or_b32 exec_lo, exec_lo, s4
	s_and_saveexec_b32 s0, s1
	s_delay_alu instid0(SALU_CYCLE_1)
	s_xor_b32 s0, exec_lo, s0
	s_cbranch_execnz .LBB162_538
.LBB162_492:
	s_or_b32 exec_lo, exec_lo, s0
	s_wait_kmcnt 0x0
	s_and_b32 s8, s5, exec_lo
.LBB162_493:
	s_and_not1_saveexec_b32 s0, s19
	s_cbranch_execnz .LBB162_540
.LBB162_494:
	s_or_b32 exec_lo, exec_lo, s0
	s_delay_alu instid0(SALU_CYCLE_1)
	s_and_b32 s8, s8, exec_lo
.LBB162_495:
	s_and_not1_saveexec_b32 s0, s18
	s_cbranch_execnz .LBB162_539
.LBB162_496:
	s_or_b32 exec_lo, exec_lo, s0
	s_delay_alu instid0(SALU_CYCLE_1)
	s_and_b32 s8, s8, exec_lo
.LBB162_497:
	s_and_not1_saveexec_b32 s0, s17
	s_cbranch_execnz .LBB162_534
.LBB162_498:
	s_or_b32 exec_lo, exec_lo, s0
	s_delay_alu instid0(SALU_CYCLE_1)
	s_and_b32 s8, s8, exec_lo
	s_and_not1_saveexec_b32 s0, s16
	s_cbranch_execz .LBB162_477
.LBB162_499:
	s_or_b32 s8, s8, exec_lo
	s_trap 2
	s_or_b32 exec_lo, exec_lo, s0
	s_and_saveexec_b32 s0, s8
	s_cbranch_execnz .LBB162_478
	s_branch .LBB162_479
.LBB162_500:
	v_mov_b64_e32 v[20:21], v[0:1]
	v_xor_b32_e32 v5, 0x80000000, v7
	v_dual_mov_b32 v4, v6 :: v_dual_mov_b32 v9, 0
	s_mov_b32 s21, 0
                                        ; implicit-def: $sgpr22
                                        ; implicit-def: $vgpr14_vgpr15
	s_branch .LBB162_502
.LBB162_501:                            ;   in Loop: Header=BB162_502 Depth=1
	s_or_b32 exec_lo, exec_lo, s24
	s_xor_b32 s0, s23, -1
	s_and_b32 s1, exec_lo, s1
	v_mov_b64_e32 v[2:3], v[12:13]
	v_mov_b64_e32 v[20:21], v[10:11]
	s_or_b32 s21, s1, s21
	s_and_not1_b32 s1, s22, exec_lo
	s_and_b32 s0, s0, exec_lo
	s_delay_alu instid0(SALU_CYCLE_1)
	s_or_b32 s22, s1, s0
	s_and_not1_b32 exec_lo, exec_lo, s21
	s_cbranch_execz .LBB162_514
.LBB162_502:                            ; =>This Inner Loop Header: Depth=1
	s_delay_alu instid0(VALU_DEP_3) | instskip(SKIP_2) | instid1(VALU_DEP_2)
	v_add_nc_u64_e32 v[10:11], s[34:35], v[20:21]
	v_mov_b64_e32 v[12:13], 0
	s_mov_b32 s1, exec_lo
	v_cmpx_gt_u64_e64 s[36:37], v[10:11]
	s_cbranch_execz .LBB162_504
; %bb.503:                              ;   in Loop: Header=BB162_502 Depth=1
	v_mul_u64_e32 v[12:13], s[30:31], v[10:11]
	s_delay_alu instid0(VALU_DEP_1)
	v_lshl_add_u64 v[12:13], v[12:13], 3, s[28:29]
	global_load_b64 v[12:13], v[12:13], off
.LBB162_504:                            ;   in Loop: Header=BB162_502 Depth=1
	s_wait_xcnt 0x0
	s_or_b32 exec_lo, exec_lo, s1
	s_wait_loadcnt 0x0
	v_xor_b32_e32 v23, 0x80000000, v3
	v_mov_b32_e32 v22, v2
	s_delay_alu instid0(VALU_DEP_1) | instskip(NEXT) | instid1(VALU_DEP_1)
	v_cmp_gt_u64_e64 s0, v[22:23], v[4:5]
	v_cndmask_b32_e64 v8, 0, 1, s0
	v_cmp_lt_u64_e64 s0, v[22:23], v[4:5]
	s_delay_alu instid0(VALU_DEP_1) | instskip(SKIP_1) | instid1(VALU_DEP_2)
	v_cndmask_b32_e64 v17, 0, 1, s0
	v_cmp_gt_u64_e64 s0, s[36:37], v[20:21]
	v_cndmask_b32_e64 v8, v17, v8, s4
	s_delay_alu instid0(VALU_DEP_1) | instskip(NEXT) | instid1(VALU_DEP_1)
	v_and_b32_e32 v8, 1, v8
	v_cmp_eq_u32_e64 s1, 1, v8
	s_and_b32 s23, s0, s1
	s_delay_alu instid0(SALU_CYCLE_1) | instskip(NEXT) | instid1(VALU_DEP_1)
	v_cndmask_b32_e64 v8, 0, 1, s23
	v_cmp_ne_u32_e64 s0, 0, v8
	s_cmp_lg_u32 s0, 0
	s_cselect_b32 s1, -1, 0
	s_delay_alu instid0(SALU_CYCLE_1) | instskip(NEXT) | instid1(SALU_CYCLE_1)
	s_and_b32 s1, s2, s1
	s_and_saveexec_b32 s24, s1
	s_cbranch_execz .LBB162_508
; %bb.505:                              ;   in Loop: Header=BB162_502 Depth=1
	s_mov_b32 s27, exec_lo
	s_bcnt1_i32_b32 s25, s0
	v_mbcnt_lo_u32_b32 v17, s27, 0
	s_mov_b32 s26, exec_lo
                                        ; implicit-def: $vgpr14_vgpr15
	s_delay_alu instid0(VALU_DEP_1)
	v_cmpx_eq_u32_e32 0, v17
	s_cbranch_execz .LBB162_507
; %bb.506:                              ;   in Loop: Header=BB162_502 Depth=1
	s_bcnt1_i32_b32 s1, s27
	s_delay_alu instid0(SALU_CYCLE_1) | instskip(NEXT) | instid1(SALU_CYCLE_1)
	s_mul_i32 s1, s25, s1
	v_mov_b32_e32 v8, s1
	s_wait_dscnt 0x0
	ds_add_rtn_u64 v[14:15], v9, v[8:9] offset:5136
.LBB162_507:                            ;   in Loop: Header=BB162_502 Depth=1
	s_or_b32 exec_lo, exec_lo, s26
	s_wait_dscnt 0x0
	v_readfirstlane_b32 s27, v15
	v_readfirstlane_b32 s26, v14
	s_delay_alu instid0(VALU_DEP_1)
	v_mad_nc_u64_u32 v[14:15], s25, v17, s[26:27]
.LBB162_508:                            ;   in Loop: Header=BB162_502 Depth=1
	s_or_b32 exec_lo, exec_lo, s24
	s_wait_dscnt 0x1
	ds_bpermute_b32 v14, v9, v14
	s_wait_dscnt 0x1
	ds_bpermute_b32 v15, v9, v15
	s_mov_b32 s1, -1
	s_mov_b32 s25, -1
	s_and_saveexec_b32 s24, s23
	s_cbranch_execz .LBB162_512
; %bb.509:                              ;   in Loop: Header=BB162_502 Depth=1
	v_and_b32_e32 v8, s0, v16
	s_mov_b32 s23, 0
	s_mov_b32 s25, exec_lo
	s_delay_alu instid0(VALU_DEP_1) | instskip(SKIP_1) | instid1(VALU_DEP_1)
	v_bcnt_u32_b32 v8, v8, 0
	s_wait_dscnt 0x0
	v_add_nc_u64_e32 v[22:23], v[14:15], v[8:9]
	s_delay_alu instid0(VALU_DEP_1)
	v_cmpx_gt_u64_e64 s[38:39], v[22:23]
	s_cbranch_execz .LBB162_511
; %bb.510:                              ;   in Loop: Header=BB162_502 Depth=1
	s_wait_kmcnt 0x0
	v_mul_u64_e32 v[24:25], s[8:9], v[22:23]
	v_mul_u64_e32 v[22:23], s[6:7], v[22:23]
	s_mov_b32 s23, exec_lo
	s_delay_alu instid0(VALU_DEP_2) | instskip(NEXT) | instid1(VALU_DEP_2)
	v_lshl_add_u64 v[24:25], v[24:25], 3, s[12:13]
	v_lshl_add_u64 v[22:23], v[22:23], 3, s[14:15]
	global_store_b64 v[24:25], v[2:3], off
	global_store_b64 v[22:23], v[20:21], off
.LBB162_511:                            ;   in Loop: Header=BB162_502 Depth=1
	s_wait_xcnt 0x0
	s_or_b32 exec_lo, exec_lo, s25
	s_delay_alu instid0(SALU_CYCLE_1)
	s_or_not1_b32 s25, s23, exec_lo
.LBB162_512:                            ;   in Loop: Header=BB162_502 Depth=1
	s_or_b32 exec_lo, exec_lo, s24
	s_mov_b32 s23, -1
	s_and_saveexec_b32 s24, s25
	s_cbranch_execz .LBB162_501
; %bb.513:                              ;   in Loop: Header=BB162_502 Depth=1
	v_cmp_le_u64_e64 s0, s[10:11], v[10:11]
	s_xor_b32 s23, exec_lo, -1
	s_or_not1_b32 s1, s0, exec_lo
	s_branch .LBB162_501
.LBB162_514:
	s_or_b32 exec_lo, exec_lo, s21
	s_delay_alu instid0(SALU_CYCLE_1)
	s_mov_b32 s1, exec_lo
	s_or_not1_b32 s0, s22, exec_lo
	s_or_b32 exec_lo, exec_lo, s20
	s_and_saveexec_b32 s4, s0
	s_cbranch_execz .LBB162_491
.LBB162_515:
	v_mov_b64_e32 v[12:13], 0
	s_wait_storecnt 0x0
	s_wait_loadcnt_dscnt 0x0
	s_barrier_signal -1
	s_barrier_wait -1
	s_and_saveexec_b32 s0, s3
	s_cbranch_execz .LBB162_517
; %bb.516:
	global_load_b64 v[12:13], v[18:19], off
.LBB162_517:
	s_wait_xcnt 0x0
	s_or_b32 exec_lo, exec_lo, s0
	s_mov_b32 s0, 0
	s_and_saveexec_b32 s3, vcc_lo
	s_cbranch_execz .LBB162_537
; %bb.518:
	v_mov_b32_e32 v3, 0
	s_mov_b32 s5, 0
                                        ; implicit-def: $sgpr20
                                        ; implicit-def: $vgpr10_vgpr11
	s_branch .LBB162_521
.LBB162_519:                            ;   in Loop: Header=BB162_521 Depth=1
	s_or_b32 exec_lo, exec_lo, s21
	s_delay_alu instid0(SALU_CYCLE_1)
	s_or_not1_b32 s23, s23, exec_lo
	s_or_not1_b32 s22, s22, exec_lo
.LBB162_520:                            ;   in Loop: Header=BB162_521 Depth=1
	s_or_b32 exec_lo, exec_lo, s0
	s_xor_b32 s0, s23, -1
	s_and_b32 s21, exec_lo, s22
	v_mov_b64_e32 v[0:1], v[4:5]
	v_mov_b64_e32 v[12:13], v[8:9]
	s_or_b32 s5, s21, s5
	s_and_not1_b32 s20, s20, exec_lo
	s_and_b32 s0, s0, exec_lo
	s_delay_alu instid0(SALU_CYCLE_1)
	s_or_b32 s20, s20, s0
	s_and_not1_b32 exec_lo, exec_lo, s5
	s_cbranch_execz .LBB162_535
.LBB162_521:                            ; =>This Inner Loop Header: Depth=1
	v_add_nc_u64_e32 v[4:5], s[34:35], v[0:1]
	v_mov_b64_e32 v[8:9], 0
	s_mov_b32 s0, exec_lo
	s_delay_alu instid0(VALU_DEP_2)
	v_cmpx_gt_u64_e64 s[36:37], v[4:5]
	s_cbranch_execz .LBB162_523
; %bb.522:                              ;   in Loop: Header=BB162_521 Depth=1
	v_mul_u64_e32 v[8:9], s[30:31], v[4:5]
	s_delay_alu instid0(VALU_DEP_1)
	v_lshl_add_u64 v[8:9], v[8:9], 3, s[28:29]
	global_load_b64 v[8:9], v[8:9], off
.LBB162_523:                            ;   in Loop: Header=BB162_521 Depth=1
	s_wait_xcnt 0x0
	s_or_b32 exec_lo, exec_lo, s0
	v_cmp_gt_u64_e32 vcc_lo, s[36:37], v[0:1]
	s_wait_loadcnt 0x0
	v_cmp_eq_u64_e64 s0, v[12:13], v[6:7]
	s_and_b32 s21, vcc_lo, s0
	s_delay_alu instid0(SALU_CYCLE_1) | instskip(NEXT) | instid1(VALU_DEP_1)
	v_cndmask_b32_e64 v2, 0, 1, s21
	v_cmp_ne_u32_e32 vcc_lo, 0, v2
	s_cmp_lg_u32 vcc_lo, 0
	s_cselect_b32 s0, -1, 0
	s_delay_alu instid0(SALU_CYCLE_1) | instskip(NEXT) | instid1(SALU_CYCLE_1)
	s_and_b32 s0, s2, s0
	s_and_saveexec_b32 s22, s0
	s_cbranch_execz .LBB162_527
; %bb.524:                              ;   in Loop: Header=BB162_521 Depth=1
	s_mov_b32 s25, exec_lo
	s_bcnt1_i32_b32 s23, vcc_lo
	v_mbcnt_lo_u32_b32 v12, s25, 0
	s_mov_b32 s24, exec_lo
                                        ; implicit-def: $vgpr10_vgpr11
	s_delay_alu instid0(VALU_DEP_1)
	v_cmpx_eq_u32_e32 0, v12
; %bb.525:                              ;   in Loop: Header=BB162_521 Depth=1
	s_bcnt1_i32_b32 s0, s25
	s_delay_alu instid0(SALU_CYCLE_1) | instskip(NEXT) | instid1(SALU_CYCLE_1)
	s_mul_i32 s0, s23, s0
	v_mov_b32_e32 v2, s0
	ds_add_rtn_u64 v[10:11], v3, v[2:3] offset:5136
; %bb.526:                              ;   in Loop: Header=BB162_521 Depth=1
	s_or_b32 exec_lo, exec_lo, s24
	s_wait_dscnt 0x0
	v_readfirstlane_b32 s25, v11
	v_readfirstlane_b32 s24, v10
	s_delay_alu instid0(VALU_DEP_1)
	v_mad_nc_u64_u32 v[10:11], s23, v12, s[24:25]
.LBB162_527:                            ;   in Loop: Header=BB162_521 Depth=1
	s_or_b32 exec_lo, exec_lo, s22
	ds_bpermute_b32 v10, v3, v10
	ds_bpermute_b32 v11, v3, v11
	s_cmp_eq_u32 vcc_lo, 0
	s_mov_b32 s22, -1
	s_cselect_b32 s23, -1, 0
	s_wait_dscnt 0x0
	v_cmp_gt_u64_e64 s0, s[38:39], v[10:11]
	s_or_b32 s24, s23, s0
	s_mov_b32 s23, -1
	s_and_saveexec_b32 s0, s24
	s_cbranch_execz .LBB162_520
; %bb.528:                              ;   in Loop: Header=BB162_521 Depth=1
	v_and_b32_e32 v2, vcc_lo, v16
	v_sub_nc_u64_e32 v[12:13], s[38:39], v[10:11]
	s_mov_b32 s24, -1
	s_delay_alu instid0(VALU_DEP_2) | instskip(NEXT) | instid1(VALU_DEP_1)
	v_bcnt_u32_b32 v2, v2, 0
	v_bcnt_u32_b32 v2, 0, v2
	s_delay_alu instid0(VALU_DEP_1) | instskip(SKIP_1) | instid1(SALU_CYCLE_1)
	v_cmp_gt_u64_e32 vcc_lo, v[12:13], v[2:3]
	s_and_b32 s25, s21, vcc_lo
	s_and_saveexec_b32 s21, s25
	s_cbranch_execz .LBB162_532
; %bb.529:                              ;   in Loop: Header=BB162_521 Depth=1
	v_add_nc_u64_e32 v[12:13], v[10:11], v[2:3]
	s_mov_b32 s24, 0
	s_mov_b32 s23, exec_lo
	s_delay_alu instid0(VALU_DEP_1)
	v_cmpx_gt_u64_e64 s[38:39], v[12:13]
	s_cbranch_execz .LBB162_531
; %bb.530:                              ;   in Loop: Header=BB162_521 Depth=1
	s_wait_kmcnt 0x0
	v_mul_u64_e32 v[14:15], s[8:9], v[12:13]
	v_mul_u64_e32 v[12:13], s[6:7], v[12:13]
	s_mov_b32 s24, exec_lo
	s_delay_alu instid0(VALU_DEP_2) | instskip(NEXT) | instid1(VALU_DEP_2)
	v_lshl_add_u64 v[14:15], v[14:15], 3, s[12:13]
	v_lshl_add_u64 v[12:13], v[12:13], 3, s[14:15]
	global_store_b64 v[14:15], v[6:7], off
	global_store_b64 v[12:13], v[0:1], off
.LBB162_531:                            ;   in Loop: Header=BB162_521 Depth=1
	s_wait_xcnt 0x0
	s_or_b32 exec_lo, exec_lo, s23
	s_delay_alu instid0(SALU_CYCLE_1)
	s_xor_b32 s23, exec_lo, -1
	s_or_not1_b32 s24, s24, exec_lo
.LBB162_532:                            ;   in Loop: Header=BB162_521 Depth=1
	s_or_b32 exec_lo, exec_lo, s21
	s_and_saveexec_b32 s21, s24
	s_cbranch_execz .LBB162_519
; %bb.533:                              ;   in Loop: Header=BB162_521 Depth=1
	v_cmp_le_u64_e32 vcc_lo, s[10:11], v[4:5]
	s_or_b32 s23, s23, exec_lo
	s_or_not1_b32 s22, vcc_lo, exec_lo
	s_branch .LBB162_519
.LBB162_534:
	s_or_b32 s8, s8, exec_lo
	s_trap 2
	s_branch .LBB162_498
.LBB162_535:
	s_or_b32 exec_lo, exec_lo, s5
	s_mov_b32 s0, 0
	s_and_saveexec_b32 s2, s20
	s_delay_alu instid0(SALU_CYCLE_1)
	s_xor_b32 s2, exec_lo, s2
	s_cbranch_execnz .LBB162_541
.LBB162_536:
	s_or_b32 exec_lo, exec_lo, s2
	s_delay_alu instid0(SALU_CYCLE_1)
	s_and_b32 s0, s0, exec_lo
.LBB162_537:
	s_or_b32 exec_lo, exec_lo, s3
	s_delay_alu instid0(SALU_CYCLE_1) | instskip(SKIP_3) | instid1(SALU_CYCLE_1)
	s_and_b32 s5, s0, exec_lo
	s_and_not1_b32 s1, s1, exec_lo
	s_or_b32 exec_lo, exec_lo, s4
	s_and_saveexec_b32 s0, s1
	s_xor_b32 s0, exec_lo, s0
	s_cbranch_execz .LBB162_492
.LBB162_538:
	s_or_b32 s5, s5, exec_lo
	s_trap 2
	s_branch .LBB162_492
.LBB162_539:
	s_or_b32 s8, s8, exec_lo
	s_trap 2
	s_branch .LBB162_496
.LBB162_540:
	s_or_b32 s8, s8, exec_lo
	s_trap 2
	s_branch .LBB162_494
.LBB162_541:
	s_mov_b32 s0, exec_lo
	s_trap 2
	s_branch .LBB162_536
	.section	.rodata,"a",@progbits
	.p2align	6, 0x0
	.amdhsa_kernel _ZN2at6native6sbtopk10gatherTopKIlmLi3ELb0EEEvNS_4cuda6detail10TensorInfoIKT_T0_EES8_S8_bS8_S8_NS5_IS6_S8_EES8_NS5_IlS8_EES8_PS6_
		.amdhsa_group_segment_fixed_size 5152
		.amdhsa_private_segment_fixed_size 0
		.amdhsa_kernarg_size 1568
		.amdhsa_user_sgpr_count 2
		.amdhsa_user_sgpr_dispatch_ptr 0
		.amdhsa_user_sgpr_queue_ptr 0
		.amdhsa_user_sgpr_kernarg_segment_ptr 1
		.amdhsa_user_sgpr_dispatch_id 0
		.amdhsa_user_sgpr_kernarg_preload_length 0
		.amdhsa_user_sgpr_kernarg_preload_offset 0
		.amdhsa_user_sgpr_private_segment_size 0
		.amdhsa_wavefront_size32 1
		.amdhsa_uses_dynamic_stack 0
		.amdhsa_enable_private_segment 0
		.amdhsa_system_sgpr_workgroup_id_x 1
		.amdhsa_system_sgpr_workgroup_id_y 1
		.amdhsa_system_sgpr_workgroup_id_z 1
		.amdhsa_system_sgpr_workgroup_info 0
		.amdhsa_system_vgpr_workitem_id 0
		.amdhsa_next_free_vgpr 57
		.amdhsa_next_free_sgpr 105
		.amdhsa_named_barrier_count 0
		.amdhsa_reserve_vcc 1
		.amdhsa_float_round_mode_32 0
		.amdhsa_float_round_mode_16_64 0
		.amdhsa_float_denorm_mode_32 3
		.amdhsa_float_denorm_mode_16_64 3
		.amdhsa_fp16_overflow 0
		.amdhsa_memory_ordered 1
		.amdhsa_forward_progress 1
		.amdhsa_inst_pref_size 197
		.amdhsa_round_robin_scheduling 0
		.amdhsa_exception_fp_ieee_invalid_op 0
		.amdhsa_exception_fp_denorm_src 0
		.amdhsa_exception_fp_ieee_div_zero 0
		.amdhsa_exception_fp_ieee_overflow 0
		.amdhsa_exception_fp_ieee_underflow 0
		.amdhsa_exception_fp_ieee_inexact 0
		.amdhsa_exception_int_div_zero 0
	.end_amdhsa_kernel
	.section	.text._ZN2at6native6sbtopk10gatherTopKIlmLi3ELb0EEEvNS_4cuda6detail10TensorInfoIKT_T0_EES8_S8_bS8_S8_NS5_IS6_S8_EES8_NS5_IlS8_EES8_PS6_,"axG",@progbits,_ZN2at6native6sbtopk10gatherTopKIlmLi3ELb0EEEvNS_4cuda6detail10TensorInfoIKT_T0_EES8_S8_bS8_S8_NS5_IS6_S8_EES8_NS5_IlS8_EES8_PS6_,comdat
.Lfunc_end162:
	.size	_ZN2at6native6sbtopk10gatherTopKIlmLi3ELb0EEEvNS_4cuda6detail10TensorInfoIKT_T0_EES8_S8_bS8_S8_NS5_IS6_S8_EES8_NS5_IlS8_EES8_PS6_, .Lfunc_end162-_ZN2at6native6sbtopk10gatherTopKIlmLi3ELb0EEEvNS_4cuda6detail10TensorInfoIKT_T0_EES8_S8_bS8_S8_NS5_IS6_S8_EES8_NS5_IlS8_EES8_PS6_
                                        ; -- End function
	.set _ZN2at6native6sbtopk10gatherTopKIlmLi3ELb0EEEvNS_4cuda6detail10TensorInfoIKT_T0_EES8_S8_bS8_S8_NS5_IS6_S8_EES8_NS5_IlS8_EES8_PS6_.num_vgpr, 57
	.set _ZN2at6native6sbtopk10gatherTopKIlmLi3ELb0EEEvNS_4cuda6detail10TensorInfoIKT_T0_EES8_S8_bS8_S8_NS5_IS6_S8_EES8_NS5_IlS8_EES8_PS6_.num_agpr, 0
	.set _ZN2at6native6sbtopk10gatherTopKIlmLi3ELb0EEEvNS_4cuda6detail10TensorInfoIKT_T0_EES8_S8_bS8_S8_NS5_IS6_S8_EES8_NS5_IlS8_EES8_PS6_.numbered_sgpr, 105
	.set _ZN2at6native6sbtopk10gatherTopKIlmLi3ELb0EEEvNS_4cuda6detail10TensorInfoIKT_T0_EES8_S8_bS8_S8_NS5_IS6_S8_EES8_NS5_IlS8_EES8_PS6_.num_named_barrier, 0
	.set _ZN2at6native6sbtopk10gatherTopKIlmLi3ELb0EEEvNS_4cuda6detail10TensorInfoIKT_T0_EES8_S8_bS8_S8_NS5_IS6_S8_EES8_NS5_IlS8_EES8_PS6_.private_seg_size, 0
	.set _ZN2at6native6sbtopk10gatherTopKIlmLi3ELb0EEEvNS_4cuda6detail10TensorInfoIKT_T0_EES8_S8_bS8_S8_NS5_IS6_S8_EES8_NS5_IlS8_EES8_PS6_.uses_vcc, 1
	.set _ZN2at6native6sbtopk10gatherTopKIlmLi3ELb0EEEvNS_4cuda6detail10TensorInfoIKT_T0_EES8_S8_bS8_S8_NS5_IS6_S8_EES8_NS5_IlS8_EES8_PS6_.uses_flat_scratch, 0
	.set _ZN2at6native6sbtopk10gatherTopKIlmLi3ELb0EEEvNS_4cuda6detail10TensorInfoIKT_T0_EES8_S8_bS8_S8_NS5_IS6_S8_EES8_NS5_IlS8_EES8_PS6_.has_dyn_sized_stack, 0
	.set _ZN2at6native6sbtopk10gatherTopKIlmLi3ELb0EEEvNS_4cuda6detail10TensorInfoIKT_T0_EES8_S8_bS8_S8_NS5_IS6_S8_EES8_NS5_IlS8_EES8_PS6_.has_recursion, 0
	.set _ZN2at6native6sbtopk10gatherTopKIlmLi3ELb0EEEvNS_4cuda6detail10TensorInfoIKT_T0_EES8_S8_bS8_S8_NS5_IS6_S8_EES8_NS5_IlS8_EES8_PS6_.has_indirect_call, 0
	.section	.AMDGPU.csdata,"",@progbits
; Kernel info:
; codeLenInByte = 25176
; TotalNumSgprs: 107
; NumVgprs: 57
; ScratchSize: 0
; MemoryBound: 0
; FloatMode: 240
; IeeeMode: 1
; LDSByteSize: 5152 bytes/workgroup (compile time only)
; SGPRBlocks: 0
; VGPRBlocks: 3
; NumSGPRsForWavesPerEU: 107
; NumVGPRsForWavesPerEU: 57
; NamedBarCnt: 0
; Occupancy: 16
; WaveLimiterHint : 1
; COMPUTE_PGM_RSRC2:SCRATCH_EN: 0
; COMPUTE_PGM_RSRC2:USER_SGPR: 2
; COMPUTE_PGM_RSRC2:TRAP_HANDLER: 0
; COMPUTE_PGM_RSRC2:TGID_X_EN: 1
; COMPUTE_PGM_RSRC2:TGID_Y_EN: 1
; COMPUTE_PGM_RSRC2:TGID_Z_EN: 1
; COMPUTE_PGM_RSRC2:TIDIG_COMP_CNT: 0
	.section	.text._ZN2at6native6mbtopk23computeBlockDigitCountsIlmmLin1EEEvNS_4cuda6detail10TensorInfoIKT_T0_EEjPjjS8_iijT1_PSB_Ps,"axG",@progbits,_ZN2at6native6mbtopk23computeBlockDigitCountsIlmmLin1EEEvNS_4cuda6detail10TensorInfoIKT_T0_EEjPjjS8_iijT1_PSB_Ps,comdat
	.protected	_ZN2at6native6mbtopk23computeBlockDigitCountsIlmmLin1EEEvNS_4cuda6detail10TensorInfoIKT_T0_EEjPjjS8_iijT1_PSB_Ps ; -- Begin function _ZN2at6native6mbtopk23computeBlockDigitCountsIlmmLin1EEEvNS_4cuda6detail10TensorInfoIKT_T0_EEjPjjS8_iijT1_PSB_Ps
	.globl	_ZN2at6native6mbtopk23computeBlockDigitCountsIlmmLin1EEEvNS_4cuda6detail10TensorInfoIKT_T0_EEjPjjS8_iijT1_PSB_Ps
	.p2align	8
	.type	_ZN2at6native6mbtopk23computeBlockDigitCountsIlmmLin1EEEvNS_4cuda6detail10TensorInfoIKT_T0_EEjPjjS8_iijT1_PSB_Ps,@function
_ZN2at6native6mbtopk23computeBlockDigitCountsIlmmLin1EEEvNS_4cuda6detail10TensorInfoIKT_T0_EEjPjjS8_iijT1_PSB_Ps: ; @_ZN2at6native6mbtopk23computeBlockDigitCountsIlmmLin1EEEvNS_4cuda6detail10TensorInfoIKT_T0_EEjPjjS8_iijT1_PSB_Ps
; %bb.0:
	s_load_b96 s[8:10], s[0:1], 0x1c0
	s_bfe_u32 s2, ttmp6, 0x40010
	s_and_b32 s4, ttmp7, 0xffff
	s_add_co_i32 s5, s2, 1
	s_bfe_u32 s6, ttmp6, 0x40004
	s_mul_i32 s5, s4, s5
	s_load_b64 s[2:3], s[0:1], 0x1e8
	s_add_co_i32 s6, s6, s5
	s_bfe_u32 s7, ttmp6, 0x4000c
	s_bfe_u32 s12, ttmp6, 0x40014
	s_add_co_i32 s7, s7, 1
	s_and_b32 s11, ttmp6, 15
	s_mul_i32 s7, ttmp9, s7
	s_add_co_i32 s12, s12, 1
	s_add_co_i32 s11, s11, s7
	s_getreg_b32 s13, hwreg(HW_REG_IB_STS2, 6, 4)
	s_mov_b32 s15, 0
	s_wait_kmcnt 0x0
	s_cvt_f32_u32 s5, s10
	s_delay_alu instid0(SALU_CYCLE_3) | instskip(SKIP_1) | instid1(SALU_CYCLE_1)
	v_rcp_iflag_f32_e32 v1, s5
	s_lshr_b32 s5, ttmp7, 16
	s_mul_i32 s7, s5, s12
	s_bfe_u32 s12, ttmp6, 0x40008
	s_delay_alu instid0(SALU_CYCLE_1) | instskip(SKIP_1) | instid1(TRANS32_DEP_1)
	s_add_co_i32 s12, s12, s7
	v_nop
	v_readfirstlane_b32 s14, v1
	s_cmp_eq_u32 s13, 0
	s_cselect_b32 s5, s5, s12
	s_load_b32 s12, s[0:1], 0x1b0
	s_mul_f32 s7, s14, 0x4f7ffffe
	s_mul_i32 s3, s3, s5
	s_cselect_b32 s5, ttmp9, s11
	s_cselect_b32 s4, s4, s6
	s_cvt_u32_f32 s7, s7
	s_sub_co_i32 s6, 0, s10
	s_add_co_i32 s3, s3, s4
	s_delay_alu instid0(SALU_CYCLE_1) | instskip(SKIP_3) | instid1(SALU_CYCLE_1)
	s_mul_i32 s26, s3, s2
	s_mul_i32 s6, s6, s7
	s_add_co_i32 s26, s26, s5
	s_mul_hi_u32 s2, s7, s6
	s_add_co_i32 s7, s7, s2
	s_delay_alu instid0(SALU_CYCLE_1) | instskip(NEXT) | instid1(SALU_CYCLE_1)
	s_mul_hi_u32 s2, s26, s7
	s_mul_i32 s3, s2, s10
	s_add_co_i32 s4, s2, 1
	s_sub_co_i32 s3, s26, s3
	s_delay_alu instid0(SALU_CYCLE_1)
	s_sub_co_i32 s5, s3, s10
	s_cmp_ge_u32 s3, s10
	s_cselect_b32 s2, s4, s2
	s_cselect_b32 s3, s5, s3
	s_add_co_i32 s4, s2, 1
	s_cmp_ge_u32 s3, s10
	s_cselect_b32 s14, s4, s2
	s_wait_kmcnt 0x0
	s_cmp_ge_u32 s14, s12
	s_cbranch_scc1 .LBB163_28
; %bb.1:
	s_clause 0x2
	s_load_b128 s[4:7], s[0:1], 0x1d0
	s_load_b32 s11, s[0:1], 0x198
	s_load_b64 s[2:3], s[0:1], 0x1e0
	s_mov_b64 s[12:13], 0
	s_wait_kmcnt 0x0
	s_load_b64 s[6:7], s[6:7], s14 offset:0x0 scale_offset
	s_cmp_lt_i32 s11, 2
	s_cbranch_scc1 .LBB163_7
; %bb.2:
	s_add_co_i32 s18, s11, -1
	s_mov_b32 s19, 0
	s_add_co_i32 s11, s11, 1
	s_lshl_b64 s[12:13], s[18:19], 3
	s_mov_b64 s[22:23], s[14:15]
	s_add_nc_u64 s[16:17], s[0:1], s[12:13]
	s_mov_b64 s[12:13], 0
	s_add_nc_u64 s[20:21], s[16:17], 8
.LBB163_3:                              ; =>This Inner Loop Header: Depth=1
	s_load_b64 s[24:25], s[20:21], 0x0
	s_mov_b64 s[16:17], 0
	s_wait_kmcnt 0x0
	v_cmp_lt_u64_e64 s15, s[22:23], s[24:25]
	s_and_b32 vcc_lo, exec_lo, s15
	s_cbranch_vccnz .LBB163_5
; %bb.4:                                ;   in Loop: Header=BB163_3 Depth=1
	v_cvt_f32_u32_e32 v1, s24
	s_sub_co_i32 s16, 0, s24
	s_delay_alu instid0(VALU_DEP_1) | instskip(SKIP_1) | instid1(TRANS32_DEP_1)
	v_rcp_iflag_f32_e32 v1, v1
	v_nop
	v_mul_f32_e32 v1, 0x4f7ffffe, v1
	s_delay_alu instid0(VALU_DEP_1) | instskip(NEXT) | instid1(VALU_DEP_1)
	v_cvt_u32_f32_e32 v1, v1
	v_readfirstlane_b32 s15, v1
	s_mul_i32 s16, s16, s15
	s_delay_alu instid0(SALU_CYCLE_1) | instskip(NEXT) | instid1(SALU_CYCLE_1)
	s_mul_hi_u32 s16, s15, s16
	s_add_co_i32 s15, s15, s16
	s_delay_alu instid0(SALU_CYCLE_1) | instskip(NEXT) | instid1(SALU_CYCLE_1)
	s_mul_hi_u32 s15, s22, s15
	s_mul_i32 s16, s15, s24
	s_add_co_i32 s17, s15, 1
	s_sub_co_i32 s16, s22, s16
	s_delay_alu instid0(SALU_CYCLE_1)
	s_sub_co_i32 s18, s16, s24
	s_cmp_ge_u32 s16, s24
	s_cselect_b32 s15, s17, s15
	s_cselect_b32 s16, s18, s16
	s_add_co_i32 s17, s15, 1
	s_cmp_ge_u32 s16, s24
	s_cselect_b32 s18, s17, s15
	s_delay_alu instid0(SALU_CYCLE_1)
	s_mov_b64 s[16:17], s[18:19]
.LBB163_5:                              ;   in Loop: Header=BB163_3 Depth=1
	s_load_b64 s[28:29], s[20:21], 0xc8
	s_mul_u64 s[24:25], s[16:17], s[24:25]
	s_add_co_i32 s11, s11, -1
	s_sub_nc_u64 s[22:23], s[22:23], s[24:25]
	s_cmp_gt_u32 s11, 2
	s_wait_xcnt 0x0
	s_add_nc_u64 s[20:21], s[20:21], -8
	s_wait_kmcnt 0x0
	s_mul_u64 s[22:23], s[28:29], s[22:23]
	s_delay_alu instid0(SALU_CYCLE_1)
	s_add_nc_u64 s[12:13], s[22:23], s[12:13]
	s_cbranch_scc0 .LBB163_8
; %bb.6:                                ;   in Loop: Header=BB163_3 Depth=1
	s_mov_b64 s[22:23], s[16:17]
	s_branch .LBB163_3
.LBB163_7:
	s_mov_b64 s[16:17], s[14:15]
.LBB163_8:
	v_cmp_gt_u32_e32 vcc_lo, 0x100, v0
	v_lshlrev_b32_e32 v1, 2, v0
	s_and_saveexec_b32 s11, vcc_lo
; %bb.9:
	v_mov_b32_e32 v2, 0
	ds_store_b32 v1, v2
; %bb.10:
	s_or_b32 exec_lo, exec_lo, s11
	s_load_b32 s18, s[0:1], 0x1a0
	s_mul_i32 s11, s14, s10
	s_mov_b32 s15, 0
	s_sub_co_i32 s11, s26, s11
	s_wait_dscnt 0x0
	s_wait_xcnt 0x0
	s_mul_i32 s14, s9, s11
	s_add_co_i32 s11, s11, 1
	s_lshl_b32 s19, s14, 8
	s_barrier_signal -1
	s_barrier_wait -1
	s_wait_kmcnt 0x0
	s_sub_co_i32 s14, s18, s19
	s_delay_alu instid0(SALU_CYCLE_1) | instskip(NEXT) | instid1(SALU_CYCLE_1)
	s_add_nc_u64 s[20:21], s[14:15], 0xff
	s_lshr_b64 s[20:21], s[20:21], 8
	s_cmp_lt_u32 s11, s10
	s_cselect_b32 s14, s9, s20
	s_delay_alu instid0(SALU_CYCLE_1)
	s_cmp_lt_i32 s14, 1
	s_cbranch_scc1 .LBB163_26
; %bb.11:
	s_clause 0x2
	s_load_b64 s[20:21], s[0:1], 0xd0
	s_load_b64 s[10:11], s[0:1], 0x1b8
	;; [unrolled: 1-line block ×3, first 2 shown]
	v_add_nc_u32_e32 v6, s19, v0
	s_lshl_b64 s[12:13], s[12:13], 3
	s_wait_kmcnt 0x0
	s_mul_u64 s[0:1], s[20:21], s[16:17]
	s_delay_alu instid0(SALU_CYCLE_1) | instskip(NEXT) | instid1(SALU_CYCLE_1)
	s_lshl_b64 s[0:1], s[0:1], 3
	s_add_nc_u64 s[16:17], s[22:23], s[0:1]
	s_and_b32 s1, s8, 0xff
	s_cmp_eq_u32 s14, 1
	s_add_nc_u64 s[8:9], s[16:17], s[12:13]
	s_cbranch_scc1 .LBB163_21
; %bb.12:
	v_dual_mov_b32 v3, 0 :: v_dual_mov_b32 v7, 1
	v_mov_b32_e32 v2, v6
	s_and_b32 s12, s14, 0x7ffffffe
	s_mov_b32 s13, 0
	s_branch .LBB163_14
.LBB163_13:                             ;   in Loop: Header=BB163_14 Depth=1
	s_or_b32 exec_lo, exec_lo, s15
	v_add_nc_u32_e32 v2, 0x200, v2
	s_add_co_i32 s13, s13, 2
	s_delay_alu instid0(SALU_CYCLE_1)
	s_cmp_eq_u32 s12, s13
	s_cbranch_scc1 .LBB163_20
.LBB163_14:                             ; =>This Inner Loop Header: Depth=1
	s_mov_b32 s15, exec_lo
	v_cmpx_gt_u32_e64 s18, v2
	s_cbranch_execz .LBB163_17
; %bb.15:                               ;   in Loop: Header=BB163_14 Depth=1
	v_mul_u64_e32 v[4:5], s[10:11], v[2:3]
	s_delay_alu instid0(VALU_DEP_1)
	v_lshl_add_u64 v[4:5], v[4:5], 3, s[8:9]
	global_load_b64 v[4:5], v[4:5], off
	s_wait_loadcnt 0x0
	s_wait_xcnt 0x0
	v_xor_b32_e32 v5, 0x80000000, v5
	v_xor_b32_e32 v10, s6, v4
	s_delay_alu instid0(VALU_DEP_2) | instskip(NEXT) | instid1(VALU_DEP_1)
	v_xor_b32_e32 v8, s7, v5
	v_and_b32_e32 v9, s5, v8
	s_delay_alu instid0(VALU_DEP_3) | instskip(NEXT) | instid1(VALU_DEP_1)
	v_and_b32_e32 v8, s4, v10
	v_cmp_eq_u64_e64 s0, 0, v[8:9]
	s_and_b32 exec_lo, exec_lo, s0
	s_cbranch_execz .LBB163_17
; %bb.16:                               ;   in Loop: Header=BB163_14 Depth=1
	v_lshrrev_b64 v[4:5], s1, v[4:5]
	s_delay_alu instid0(VALU_DEP_1) | instskip(NEXT) | instid1(VALU_DEP_1)
	v_and_b32_e32 v4, 0xff, v4
	v_lshlrev_b32_e32 v4, 2, v4
	ds_add_u32 v4, v7
.LBB163_17:                             ;   in Loop: Header=BB163_14 Depth=1
	s_or_b32 exec_lo, exec_lo, s15
	v_add_nc_u32_e32 v4, 0x100, v2
	s_mov_b32 s15, exec_lo
	s_delay_alu instid0(VALU_DEP_1)
	v_cmpx_gt_u32_e64 s18, v4
	s_cbranch_execz .LBB163_13
; %bb.18:                               ;   in Loop: Header=BB163_14 Depth=1
	v_mov_b32_e32 v5, v3
	s_delay_alu instid0(VALU_DEP_1) | instskip(NEXT) | instid1(VALU_DEP_1)
	v_mul_u64_e32 v[4:5], s[10:11], v[4:5]
	v_lshl_add_u64 v[4:5], v[4:5], 3, s[8:9]
	global_load_b64 v[4:5], v[4:5], off
	s_wait_loadcnt 0x0
	v_xor_b32_e32 v5, 0x80000000, v5
	v_xor_b32_e32 v10, s6, v4
	s_delay_alu instid0(VALU_DEP_2) | instskip(NEXT) | instid1(VALU_DEP_1)
	v_xor_b32_e32 v8, s7, v5
	v_and_b32_e32 v9, s5, v8
	s_delay_alu instid0(VALU_DEP_3) | instskip(NEXT) | instid1(VALU_DEP_1)
	v_and_b32_e32 v8, s4, v10
	v_cmp_eq_u64_e64 s0, 0, v[8:9]
	s_and_b32 exec_lo, exec_lo, s0
	s_cbranch_execz .LBB163_13
; %bb.19:                               ;   in Loop: Header=BB163_14 Depth=1
	v_lshrrev_b64 v[4:5], s1, v[4:5]
	s_delay_alu instid0(VALU_DEP_1) | instskip(NEXT) | instid1(VALU_DEP_1)
	v_and_b32_e32 v4, 0xff, v4
	v_lshlrev_b32_e32 v4, 2, v4
	ds_add_u32 v4, v7
	s_branch .LBB163_13
.LBB163_20:
	s_lshl_b32 s15, s12, 8
.LBB163_21:
	s_bitcmp0_b32 s14, 0
	s_cbranch_scc1 .LBB163_26
; %bb.22:
	v_add_nc_u32_e32 v2, s15, v6
	s_mov_b32 s12, exec_lo
	s_delay_alu instid0(VALU_DEP_1)
	v_cmpx_gt_u32_e64 s18, v2
	s_cbranch_execz .LBB163_25
; %bb.23:
	v_mov_b32_e32 v3, 0
	s_delay_alu instid0(VALU_DEP_1) | instskip(NEXT) | instid1(VALU_DEP_1)
	v_mul_u64_e32 v[2:3], s[10:11], v[2:3]
	v_lshl_add_u64 v[2:3], v[2:3], 3, s[8:9]
	global_load_b64 v[2:3], v[2:3], off
	s_wait_loadcnt 0x0
	v_xor_b32_e32 v3, 0x80000000, v3
	v_xor_b32_e32 v6, s6, v2
	s_delay_alu instid0(VALU_DEP_2) | instskip(NEXT) | instid1(VALU_DEP_1)
	v_xor_b32_e32 v4, s7, v3
	v_and_b32_e32 v5, s5, v4
	s_delay_alu instid0(VALU_DEP_3) | instskip(NEXT) | instid1(VALU_DEP_1)
	v_and_b32_e32 v4, s4, v6
	v_cmp_eq_u64_e64 s0, 0, v[4:5]
	s_and_b32 exec_lo, exec_lo, s0
	s_cbranch_execz .LBB163_25
; %bb.24:
	v_lshrrev_b64 v[2:3], s1, v[2:3]
	v_mov_b32_e32 v3, 1
	s_delay_alu instid0(VALU_DEP_2) | instskip(NEXT) | instid1(VALU_DEP_1)
	v_and_b32_e32 v2, 0xff, v2
	v_lshlrev_b32_e32 v2, 2, v2
	ds_add_u32 v2, v3
.LBB163_25:
	s_or_b32 exec_lo, exec_lo, s12
.LBB163_26:
	s_wait_dscnt 0x0
	s_barrier_signal -1
	s_barrier_wait -1
	s_and_saveexec_b32 s0, vcc_lo
	s_cbranch_execz .LBB163_28
; %bb.27:
	ds_load_b32 v1, v1
	v_lshl_or_b32 v0, s26, 8, v0
	s_wait_dscnt 0x0
	global_store_b16 v0, v1, s[2:3] scale_offset
.LBB163_28:
	s_endpgm
	.section	.rodata,"a",@progbits
	.p2align	6, 0x0
	.amdhsa_kernel _ZN2at6native6mbtopk23computeBlockDigitCountsIlmmLin1EEEvNS_4cuda6detail10TensorInfoIKT_T0_EEjPjjS8_iijT1_PSB_Ps
		.amdhsa_group_segment_fixed_size 1024
		.amdhsa_private_segment_fixed_size 0
		.amdhsa_kernarg_size 744
		.amdhsa_user_sgpr_count 2
		.amdhsa_user_sgpr_dispatch_ptr 0
		.amdhsa_user_sgpr_queue_ptr 0
		.amdhsa_user_sgpr_kernarg_segment_ptr 1
		.amdhsa_user_sgpr_dispatch_id 0
		.amdhsa_user_sgpr_kernarg_preload_length 0
		.amdhsa_user_sgpr_kernarg_preload_offset 0
		.amdhsa_user_sgpr_private_segment_size 0
		.amdhsa_wavefront_size32 1
		.amdhsa_uses_dynamic_stack 0
		.amdhsa_enable_private_segment 0
		.amdhsa_system_sgpr_workgroup_id_x 1
		.amdhsa_system_sgpr_workgroup_id_y 1
		.amdhsa_system_sgpr_workgroup_id_z 1
		.amdhsa_system_sgpr_workgroup_info 0
		.amdhsa_system_vgpr_workitem_id 0
		.amdhsa_next_free_vgpr 11
		.amdhsa_next_free_sgpr 30
		.amdhsa_named_barrier_count 0
		.amdhsa_reserve_vcc 1
		.amdhsa_float_round_mode_32 0
		.amdhsa_float_round_mode_16_64 0
		.amdhsa_float_denorm_mode_32 3
		.amdhsa_float_denorm_mode_16_64 3
		.amdhsa_fp16_overflow 0
		.amdhsa_memory_ordered 1
		.amdhsa_forward_progress 1
		.amdhsa_inst_pref_size 11
		.amdhsa_round_robin_scheduling 0
		.amdhsa_exception_fp_ieee_invalid_op 0
		.amdhsa_exception_fp_denorm_src 0
		.amdhsa_exception_fp_ieee_div_zero 0
		.amdhsa_exception_fp_ieee_overflow 0
		.amdhsa_exception_fp_ieee_underflow 0
		.amdhsa_exception_fp_ieee_inexact 0
		.amdhsa_exception_int_div_zero 0
	.end_amdhsa_kernel
	.section	.text._ZN2at6native6mbtopk23computeBlockDigitCountsIlmmLin1EEEvNS_4cuda6detail10TensorInfoIKT_T0_EEjPjjS8_iijT1_PSB_Ps,"axG",@progbits,_ZN2at6native6mbtopk23computeBlockDigitCountsIlmmLin1EEEvNS_4cuda6detail10TensorInfoIKT_T0_EEjPjjS8_iijT1_PSB_Ps,comdat
.Lfunc_end163:
	.size	_ZN2at6native6mbtopk23computeBlockDigitCountsIlmmLin1EEEvNS_4cuda6detail10TensorInfoIKT_T0_EEjPjjS8_iijT1_PSB_Ps, .Lfunc_end163-_ZN2at6native6mbtopk23computeBlockDigitCountsIlmmLin1EEEvNS_4cuda6detail10TensorInfoIKT_T0_EEjPjjS8_iijT1_PSB_Ps
                                        ; -- End function
	.set _ZN2at6native6mbtopk23computeBlockDigitCountsIlmmLin1EEEvNS_4cuda6detail10TensorInfoIKT_T0_EEjPjjS8_iijT1_PSB_Ps.num_vgpr, 11
	.set _ZN2at6native6mbtopk23computeBlockDigitCountsIlmmLin1EEEvNS_4cuda6detail10TensorInfoIKT_T0_EEjPjjS8_iijT1_PSB_Ps.num_agpr, 0
	.set _ZN2at6native6mbtopk23computeBlockDigitCountsIlmmLin1EEEvNS_4cuda6detail10TensorInfoIKT_T0_EEjPjjS8_iijT1_PSB_Ps.numbered_sgpr, 30
	.set _ZN2at6native6mbtopk23computeBlockDigitCountsIlmmLin1EEEvNS_4cuda6detail10TensorInfoIKT_T0_EEjPjjS8_iijT1_PSB_Ps.num_named_barrier, 0
	.set _ZN2at6native6mbtopk23computeBlockDigitCountsIlmmLin1EEEvNS_4cuda6detail10TensorInfoIKT_T0_EEjPjjS8_iijT1_PSB_Ps.private_seg_size, 0
	.set _ZN2at6native6mbtopk23computeBlockDigitCountsIlmmLin1EEEvNS_4cuda6detail10TensorInfoIKT_T0_EEjPjjS8_iijT1_PSB_Ps.uses_vcc, 1
	.set _ZN2at6native6mbtopk23computeBlockDigitCountsIlmmLin1EEEvNS_4cuda6detail10TensorInfoIKT_T0_EEjPjjS8_iijT1_PSB_Ps.uses_flat_scratch, 0
	.set _ZN2at6native6mbtopk23computeBlockDigitCountsIlmmLin1EEEvNS_4cuda6detail10TensorInfoIKT_T0_EEjPjjS8_iijT1_PSB_Ps.has_dyn_sized_stack, 0
	.set _ZN2at6native6mbtopk23computeBlockDigitCountsIlmmLin1EEEvNS_4cuda6detail10TensorInfoIKT_T0_EEjPjjS8_iijT1_PSB_Ps.has_recursion, 0
	.set _ZN2at6native6mbtopk23computeBlockDigitCountsIlmmLin1EEEvNS_4cuda6detail10TensorInfoIKT_T0_EEjPjjS8_iijT1_PSB_Ps.has_indirect_call, 0
	.section	.AMDGPU.csdata,"",@progbits
; Kernel info:
; codeLenInByte = 1336
; TotalNumSgprs: 32
; NumVgprs: 11
; ScratchSize: 0
; MemoryBound: 0
; FloatMode: 240
; IeeeMode: 1
; LDSByteSize: 1024 bytes/workgroup (compile time only)
; SGPRBlocks: 0
; VGPRBlocks: 0
; NumSGPRsForWavesPerEU: 32
; NumVGPRsForWavesPerEU: 11
; NamedBarCnt: 0
; Occupancy: 16
; WaveLimiterHint : 0
; COMPUTE_PGM_RSRC2:SCRATCH_EN: 0
; COMPUTE_PGM_RSRC2:USER_SGPR: 2
; COMPUTE_PGM_RSRC2:TRAP_HANDLER: 0
; COMPUTE_PGM_RSRC2:TGID_X_EN: 1
; COMPUTE_PGM_RSRC2:TGID_Y_EN: 1
; COMPUTE_PGM_RSRC2:TGID_Z_EN: 1
; COMPUTE_PGM_RSRC2:TIDIG_COMP_CNT: 0
	.section	.text._ZN2at6native6mbtopk10gatherTopKIlmLin1EEEvNS_4cuda6detail10TensorInfoIKT_T0_EES8_S8_bjS8_NS5_IS6_S8_EES8_NS5_IlS8_EES8_jjPS6_PjSD_j,"axG",@progbits,_ZN2at6native6mbtopk10gatherTopKIlmLin1EEEvNS_4cuda6detail10TensorInfoIKT_T0_EES8_S8_bjS8_NS5_IS6_S8_EES8_NS5_IlS8_EES8_jjPS6_PjSD_j,comdat
	.protected	_ZN2at6native6mbtopk10gatherTopKIlmLin1EEEvNS_4cuda6detail10TensorInfoIKT_T0_EES8_S8_bjS8_NS5_IS6_S8_EES8_NS5_IlS8_EES8_jjPS6_PjSD_j ; -- Begin function _ZN2at6native6mbtopk10gatherTopKIlmLin1EEEvNS_4cuda6detail10TensorInfoIKT_T0_EES8_S8_bjS8_NS5_IS6_S8_EES8_NS5_IlS8_EES8_jjPS6_PjSD_j
	.globl	_ZN2at6native6mbtopk10gatherTopKIlmLin1EEEvNS_4cuda6detail10TensorInfoIKT_T0_EES8_S8_bjS8_NS5_IS6_S8_EES8_NS5_IlS8_EES8_jjPS6_PjSD_j
	.p2align	8
	.type	_ZN2at6native6mbtopk10gatherTopKIlmLin1EEEvNS_4cuda6detail10TensorInfoIKT_T0_EES8_S8_bjS8_NS5_IS6_S8_EES8_NS5_IlS8_EES8_jjPS6_PjSD_j,@function
_ZN2at6native6mbtopk10gatherTopKIlmLin1EEEvNS_4cuda6detail10TensorInfoIKT_T0_EES8_S8_bjS8_NS5_IS6_S8_EES8_NS5_IlS8_EES8_jjPS6_PjSD_j: ; @_ZN2at6native6mbtopk10gatherTopKIlmLin1EEEvNS_4cuda6detail10TensorInfoIKT_T0_EES8_S8_bjS8_NS5_IS6_S8_EES8_NS5_IlS8_EES8_jjPS6_PjSD_j
; %bb.0:
	s_bfe_u32 s2, ttmp6, 0x40010
	s_and_b32 s4, ttmp7, 0xffff
	s_add_co_i32 s5, s2, 1
	s_clause 0x1
	s_load_b32 s6, s[0:1], 0x530
	s_load_b64 s[2:3], s[0:1], 0x538
	s_bfe_u32 s8, ttmp6, 0x4000c
	s_mul_i32 s5, s4, s5
	s_bfe_u32 s7, ttmp6, 0x40004
	s_add_co_i32 s8, s8, 1
	s_bfe_u32 s9, ttmp6, 0x40014
	s_add_co_i32 s7, s7, s5
	s_and_b32 s5, ttmp6, 15
	s_mul_i32 s8, ttmp9, s8
	s_lshr_b32 s10, ttmp7, 16
	s_add_co_i32 s9, s9, 1
	s_add_co_i32 s5, s5, s8
	s_mul_i32 s8, s10, s9
	s_bfe_u32 s9, ttmp6, 0x40008
	s_getreg_b32 s11, hwreg(HW_REG_IB_STS2, 6, 4)
	s_add_co_i32 s9, s9, s8
	s_cmp_eq_u32 s11, 0
	s_cselect_b32 s8, s10, s9
	s_cselect_b32 s4, s4, s7
	s_wait_kmcnt 0x0
	s_mul_i32 s3, s3, s8
	s_cselect_b32 s5, ttmp9, s5
	s_add_co_i32 s3, s3, s4
	s_delay_alu instid0(SALU_CYCLE_1) | instskip(NEXT) | instid1(SALU_CYCLE_1)
	s_mul_i32 s3, s3, s2
	s_add_co_i32 s3, s3, s5
	s_delay_alu instid0(SALU_CYCLE_1)
	s_cmp_ge_u32 s3, s6
	s_cbranch_scc1 .LBB164_61
; %bb.1:
	s_load_b64 s[16:17], s[0:1], 0x510
	s_wait_kmcnt 0x0
	s_cvt_f32_u32 s2, s17
	s_sub_co_i32 s4, 0, s17
	s_lshl_b32 s33, s16, 8
	s_delay_alu instid0(SALU_CYCLE_1) | instskip(SKIP_1) | instid1(TRANS32_DEP_1)
	v_rcp_iflag_f32_e32 v1, s2
	v_nop
	v_readfirstlane_b32 s2, v1
	s_mul_f32 s2, s2, 0x4f7ffffe
	s_delay_alu instid0(SALU_CYCLE_3) | instskip(NEXT) | instid1(SALU_CYCLE_3)
	s_cvt_u32_f32 s2, s2
	s_mul_i32 s4, s4, s2
	s_delay_alu instid0(SALU_CYCLE_1) | instskip(NEXT) | instid1(SALU_CYCLE_1)
	s_mul_hi_u32 s4, s2, s4
	s_add_co_i32 s2, s2, s4
	s_load_b128 s[4:7], s[0:1], 0x1a0
	s_mul_hi_u32 s2, s3, s2
	s_delay_alu instid0(SALU_CYCLE_1) | instskip(SKIP_2) | instid1(SALU_CYCLE_1)
	s_mul_i32 s8, s2, s17
	s_add_co_i32 s9, s2, 1
	s_sub_co_i32 s8, s3, s8
	s_sub_co_i32 s10, s8, s17
	s_cmp_ge_u32 s8, s17
	s_cselect_b32 s2, s9, s2
	s_cselect_b32 s8, s10, s8
	s_add_co_i32 s9, s2, 1
	s_cmp_ge_u32 s8, s17
	s_cselect_b32 s2, s9, s2
	s_delay_alu instid0(SALU_CYCLE_1) | instskip(NEXT) | instid1(SALU_CYCLE_1)
	s_mul_i32 s20, s2, s17
	s_sub_co_i32 s46, s3, s20
	s_delay_alu instid0(SALU_CYCLE_1) | instskip(NEXT) | instid1(SALU_CYCLE_1)
	s_add_co_i32 s3, s46, 1
	s_cmp_lt_u32 s3, s17
	s_cbranch_scc1 .LBB164_3
; %bb.2:
	s_mul_i32 s8, s46, s33
	s_mov_b32 s9, 0
	s_wait_kmcnt 0x0
	s_sub_nc_u64 s[10:11], s[4:5], s[8:9]
	s_delay_alu instid0(SALU_CYCLE_1) | instskip(NEXT) | instid1(SALU_CYCLE_1)
	s_add_nc_u64 s[10:11], s[10:11], 0xff
	s_ashr_i32 s3, s11, 31
	s_delay_alu instid0(SALU_CYCLE_1) | instskip(NEXT) | instid1(SALU_CYCLE_1)
	s_lshr_b32 s8, s3, 24
	s_add_nc_u64 s[8:9], s[10:11], s[8:9]
	s_delay_alu instid0(SALU_CYCLE_1) | instskip(NEXT) | instid1(SALU_CYCLE_1)
	s_lshr_b64 s[8:9], s[8:9], 8
	s_mov_b32 s16, s8
.LBB164_3:
	s_load_b32 s10, s[0:1], 0x198
	s_mov_b32 s9, 0
	s_mov_b64 s[18:19], 0
	s_mov_b32 s3, s9
	s_delay_alu instid0(SALU_CYCLE_1)
	s_mov_b64 s[22:23], s[2:3]
	s_wait_kmcnt 0x0
	s_cmp_lt_i32 s10, 2
	s_cbranch_scc1 .LBB164_9
; %bb.4:
	s_add_co_i32 s8, s10, -1
	s_add_co_i32 s21, s10, 1
	s_lshl_b64 s[12:13], s[8:9], 3
	s_delay_alu instid0(SALU_CYCLE_1)
	s_add_nc_u64 s[10:11], s[0:1], s[12:13]
	s_mov_b64 s[12:13], s[2:3]
	s_add_nc_u64 s[10:11], s[10:11], 8
.LBB164_5:                              ; =>This Inner Loop Header: Depth=1
	s_load_b64 s[14:15], s[10:11], 0x0
	s_mov_b64 s[22:23], 0
	s_wait_kmcnt 0x0
	v_cmp_lt_u64_e64 s8, s[12:13], s[14:15]
	s_and_b32 vcc_lo, exec_lo, s8
	s_cbranch_vccnz .LBB164_7
; %bb.6:                                ;   in Loop: Header=BB164_5 Depth=1
	v_cvt_f32_u32_e32 v1, s14
	s_sub_co_i32 s22, 0, s14
	s_delay_alu instid0(VALU_DEP_1) | instskip(SKIP_1) | instid1(TRANS32_DEP_1)
	v_rcp_iflag_f32_e32 v1, v1
	v_nop
	v_mul_f32_e32 v1, 0x4f7ffffe, v1
	s_delay_alu instid0(VALU_DEP_1) | instskip(NEXT) | instid1(VALU_DEP_1)
	v_cvt_u32_f32_e32 v1, v1
	v_readfirstlane_b32 s8, v1
	s_mul_i32 s22, s22, s8
	s_delay_alu instid0(SALU_CYCLE_1) | instskip(NEXT) | instid1(SALU_CYCLE_1)
	s_mul_hi_u32 s22, s8, s22
	s_add_co_i32 s8, s8, s22
	s_delay_alu instid0(SALU_CYCLE_1) | instskip(NEXT) | instid1(SALU_CYCLE_1)
	s_mul_hi_u32 s8, s12, s8
	s_mul_i32 s22, s8, s14
	s_add_co_i32 s23, s8, 1
	s_sub_co_i32 s22, s12, s22
	s_delay_alu instid0(SALU_CYCLE_1)
	s_sub_co_i32 s24, s22, s14
	s_cmp_ge_u32 s22, s14
	s_cselect_b32 s8, s23, s8
	s_cselect_b32 s22, s24, s22
	s_add_co_i32 s23, s8, 1
	s_cmp_ge_u32 s22, s14
	s_cselect_b32 s8, s23, s8
	s_delay_alu instid0(SALU_CYCLE_1)
	s_mov_b64 s[22:23], s[8:9]
.LBB164_7:                              ;   in Loop: Header=BB164_5 Depth=1
	s_load_b64 s[24:25], s[10:11], 0xc8
	s_mul_u64 s[14:15], s[22:23], s[14:15]
	s_add_co_i32 s21, s21, -1
	s_sub_nc_u64 s[12:13], s[12:13], s[14:15]
	s_cmp_gt_u32 s21, 2
	s_wait_xcnt 0x0
	s_add_nc_u64 s[10:11], s[10:11], -8
	s_wait_kmcnt 0x0
	s_mul_u64 s[12:13], s[24:25], s[12:13]
	s_delay_alu instid0(SALU_CYCLE_1)
	s_add_nc_u64 s[18:19], s[12:13], s[18:19]
	s_cbranch_scc0 .LBB164_9
; %bb.8:                                ;   in Loop: Header=BB164_5 Depth=1
	s_mov_b64 s[12:13], s[22:23]
	s_branch .LBB164_5
.LBB164_9:
	s_load_b32 s12, s[0:1], 0x358
	s_add_nc_u64 s[8:9], s[0:1], 0x1c0
	s_mov_b64 s[24:25], 0
	s_mov_b64 s[26:27], s[2:3]
	s_wait_kmcnt 0x0
	s_cmp_lt_i32 s12, 2
	s_cbranch_scc1 .LBB164_15
; %bb.10:
	s_add_co_i32 s10, s12, -1
	s_mov_b32 s11, 0
	s_add_co_i32 s21, s12, 1
	s_lshl_b64 s[14:15], s[10:11], 3
	s_delay_alu instid0(SALU_CYCLE_1)
	s_add_nc_u64 s[12:13], s[8:9], s[14:15]
	s_mov_b64 s[14:15], s[2:3]
	s_add_nc_u64 s[12:13], s[12:13], 8
.LBB164_11:                             ; =>This Inner Loop Header: Depth=1
	s_load_b64 s[28:29], s[12:13], 0x0
	s_mov_b64 s[26:27], 0
	s_wait_kmcnt 0x0
	v_cmp_lt_u64_e64 s10, s[14:15], s[28:29]
	s_and_b32 vcc_lo, exec_lo, s10
	s_cbranch_vccnz .LBB164_13
; %bb.12:                               ;   in Loop: Header=BB164_11 Depth=1
	v_cvt_f32_u32_e32 v1, s28
	s_sub_co_i32 s26, 0, s28
	s_delay_alu instid0(VALU_DEP_1) | instskip(SKIP_1) | instid1(TRANS32_DEP_1)
	v_rcp_iflag_f32_e32 v1, v1
	v_nop
	v_mul_f32_e32 v1, 0x4f7ffffe, v1
	s_delay_alu instid0(VALU_DEP_1) | instskip(NEXT) | instid1(VALU_DEP_1)
	v_cvt_u32_f32_e32 v1, v1
	v_readfirstlane_b32 s10, v1
	s_mul_i32 s26, s26, s10
	s_delay_alu instid0(SALU_CYCLE_1) | instskip(NEXT) | instid1(SALU_CYCLE_1)
	s_mul_hi_u32 s26, s10, s26
	s_add_co_i32 s10, s10, s26
	s_delay_alu instid0(SALU_CYCLE_1) | instskip(NEXT) | instid1(SALU_CYCLE_1)
	s_mul_hi_u32 s10, s14, s10
	s_mul_i32 s26, s10, s28
	s_add_co_i32 s27, s10, 1
	s_sub_co_i32 s26, s14, s26
	s_delay_alu instid0(SALU_CYCLE_1)
	s_sub_co_i32 s30, s26, s28
	s_cmp_ge_u32 s26, s28
	s_cselect_b32 s10, s27, s10
	s_cselect_b32 s26, s30, s26
	s_add_co_i32 s27, s10, 1
	s_cmp_ge_u32 s26, s28
	s_cselect_b32 s10, s27, s10
	s_delay_alu instid0(SALU_CYCLE_1)
	s_mov_b64 s[26:27], s[10:11]
.LBB164_13:                             ;   in Loop: Header=BB164_11 Depth=1
	s_load_b64 s[30:31], s[12:13], 0xc8
	s_mul_u64 s[28:29], s[26:27], s[28:29]
	s_add_co_i32 s21, s21, -1
	s_sub_nc_u64 s[14:15], s[14:15], s[28:29]
	s_cmp_gt_u32 s21, 2
	s_wait_xcnt 0x0
	s_add_nc_u64 s[12:13], s[12:13], -8
	s_wait_kmcnt 0x0
	s_mul_u64 s[14:15], s[30:31], s[14:15]
	s_delay_alu instid0(SALU_CYCLE_1)
	s_add_nc_u64 s[24:25], s[14:15], s[24:25]
	s_cbranch_scc0 .LBB164_15
; %bb.14:                               ;   in Loop: Header=BB164_11 Depth=1
	s_mov_b64 s[14:15], s[26:27]
	s_branch .LBB164_11
.LBB164_15:
	s_clause 0x1
	s_load_b64 s[28:29], s[0:1], 0xd0
	s_load_b32 s12, s[0:1], 0x500
	s_mov_b64 s[30:31], 0
	s_wait_kmcnt 0x0
	s_cmp_lt_i32 s12, 2
	s_cbranch_scc1 .LBB164_21
; %bb.16:
	s_add_co_i32 s10, s12, -1
	s_mov_b32 s11, 0
	s_add_nc_u64 s[14:15], s[0:1], 0x368
	s_lshl_b64 s[30:31], s[10:11], 3
	s_add_co_i32 s21, s12, 1
	s_add_nc_u64 s[14:15], s[14:15], s[30:31]
	s_mov_b64 s[30:31], 0
	s_add_nc_u64 s[12:13], s[14:15], 8
	s_mov_b64 s[14:15], s[2:3]
.LBB164_17:                             ; =>This Inner Loop Header: Depth=1
	s_load_b64 s[36:37], s[12:13], 0x0
	s_mov_b64 s[34:35], 0
	s_wait_kmcnt 0x0
	v_cmp_lt_u64_e64 s10, s[14:15], s[36:37]
	s_and_b32 vcc_lo, exec_lo, s10
	s_cbranch_vccnz .LBB164_19
; %bb.18:                               ;   in Loop: Header=BB164_17 Depth=1
	v_cvt_f32_u32_e32 v1, s36
	s_sub_co_i32 s34, 0, s36
	s_delay_alu instid0(VALU_DEP_1) | instskip(SKIP_1) | instid1(TRANS32_DEP_1)
	v_rcp_iflag_f32_e32 v1, v1
	v_nop
	v_mul_f32_e32 v1, 0x4f7ffffe, v1
	s_delay_alu instid0(VALU_DEP_1) | instskip(NEXT) | instid1(VALU_DEP_1)
	v_cvt_u32_f32_e32 v1, v1
	v_readfirstlane_b32 s10, v1
	s_mul_i32 s34, s34, s10
	s_delay_alu instid0(SALU_CYCLE_1) | instskip(NEXT) | instid1(SALU_CYCLE_1)
	s_mul_hi_u32 s34, s10, s34
	s_add_co_i32 s10, s10, s34
	s_delay_alu instid0(SALU_CYCLE_1) | instskip(NEXT) | instid1(SALU_CYCLE_1)
	s_mul_hi_u32 s10, s14, s10
	s_mul_i32 s34, s10, s36
	s_add_co_i32 s35, s10, 1
	s_sub_co_i32 s34, s14, s34
	s_delay_alu instid0(SALU_CYCLE_1)
	s_sub_co_i32 s38, s34, s36
	s_cmp_ge_u32 s34, s36
	s_cselect_b32 s10, s35, s10
	s_cselect_b32 s34, s38, s34
	s_add_co_i32 s35, s10, 1
	s_cmp_ge_u32 s34, s36
	s_cselect_b32 s10, s35, s10
	s_delay_alu instid0(SALU_CYCLE_1)
	s_mov_b64 s[34:35], s[10:11]
.LBB164_19:                             ;   in Loop: Header=BB164_17 Depth=1
	s_load_b64 s[38:39], s[12:13], 0xc8
	s_mul_u64 s[36:37], s[34:35], s[36:37]
	s_add_co_i32 s21, s21, -1
	s_sub_nc_u64 s[14:15], s[14:15], s[36:37]
	s_cmp_gt_u32 s21, 2
	s_wait_xcnt 0x0
	s_add_nc_u64 s[12:13], s[12:13], -8
	s_wait_kmcnt 0x0
	s_mul_u64 s[14:15], s[38:39], s[14:15]
	s_delay_alu instid0(SALU_CYCLE_1)
	s_add_nc_u64 s[30:31], s[14:15], s[30:31]
	s_cbranch_scc0 .LBB164_22
; %bb.20:                               ;   in Loop: Header=BB164_17 Depth=1
	s_mov_b64 s[14:15], s[34:35]
	s_branch .LBB164_17
.LBB164_21:
	s_mov_b64 s[34:35], s[2:3]
.LBB164_22:
	s_load_b64 s[36:37], s[8:9], 0xd0
	s_wait_xcnt 0x0
	s_load_b128 s[8:11], s[0:1], 0x518
	s_lshl_b64 s[2:3], s[2:3], 3
	s_mov_b32 s21, 0
	s_wait_kmcnt 0x0
	s_add_nc_u64 s[2:3], s[8:9], s[2:3]
	s_load_b64 s[8:9], s[2:3], 0x0
	s_wait_xcnt 0x0
	v_cmp_ne_u32_e64 s2, 0, v0
	v_cmp_eq_u32_e64 s3, 0, v0
	s_and_saveexec_b32 s47, s3
	s_cbranch_execz .LBB164_38
; %bb.23:
	s_load_b64 s[40:41], s[0:1], 0x528
	s_lshl_b64 s[42:43], s[20:21], 2
	s_cmp_lt_u32 s17, 4
	s_cbranch_scc1 .LBB164_35
; %bb.24:
	s_mov_b64 s[38:39], 0
	s_mov_b32 s20, 0
.LBB164_25:                             ; =>This Inner Loop Header: Depth=1
	s_add_nc_u64 s[44:45], s[10:11], s[42:43]
	s_cmp_ge_u32 s20, s46
	s_load_b128 s[12:15], s[44:45], 0x0
	s_wait_kmcnt 0x0
	s_add_nc_u64 s[44:45], s[40:41], s[42:43]
	s_cbranch_scc0 .LBB164_32
; %bb.26:                               ;   in Loop: Header=BB164_25 Depth=1
	s_add_co_i32 s48, s20, 1
	s_delay_alu instid0(SALU_CYCLE_1)
	s_cmp_ge_u32 s48, s46
	s_cbranch_scc0 .LBB164_33
.LBB164_27:                             ;   in Loop: Header=BB164_25 Depth=1
	s_add_co_i32 s48, s48, 1
	s_delay_alu instid0(SALU_CYCLE_1)
	s_cmp_ge_u32 s48, s46
	s_cbranch_scc0 .LBB164_34
.LBB164_28:                             ;   in Loop: Header=BB164_25 Depth=1
	s_add_co_i32 s48, s48, 1
	s_delay_alu instid0(SALU_CYCLE_1)
	s_cmp_ge_u32 s48, s46
	s_cbranch_scc1 .LBB164_30
.LBB164_29:                             ;   in Loop: Header=BB164_25 Depth=1
	s_load_b32 s44, s[44:45], 0xc
	s_add_co_i32 s39, s15, s39
	s_wait_kmcnt 0x0
	s_add_co_i32 s38, s44, s38
.LBB164_30:                             ;   in Loop: Header=BB164_25 Depth=1
	s_add_co_i32 s12, s12, s21
	s_add_nc_u64 s[10:11], s[10:11], 16
	s_add_co_i32 s12, s12, s13
	s_add_co_i32 s13, s48, 4
	;; [unrolled: 1-line block ×3, first 2 shown]
	s_add_nc_u64 s[40:41], s[40:41], 16
	s_add_co_i32 s21, s12, s15
	s_add_co_i32 s12, s48, 1
	s_cmp_ge_u32 s13, s17
	s_cbranch_scc1 .LBB164_36
; %bb.31:                               ;   in Loop: Header=BB164_25 Depth=1
	s_mov_b32 s20, s12
	s_branch .LBB164_25
.LBB164_32:                             ;   in Loop: Header=BB164_25 Depth=1
	s_load_b32 s48, s[44:45], 0x0
	s_add_co_i32 s39, s12, s39
	s_wait_kmcnt 0x0
	s_add_co_i32 s38, s48, s38
	s_add_co_i32 s48, s20, 1
	s_delay_alu instid0(SALU_CYCLE_1)
	s_cmp_ge_u32 s48, s46
	s_cbranch_scc1 .LBB164_27
.LBB164_33:                             ;   in Loop: Header=BB164_25 Depth=1
	s_load_b32 s49, s[44:45], 0x4
	s_add_co_i32 s39, s13, s39
	s_wait_kmcnt 0x0
	s_add_co_i32 s38, s49, s38
	s_add_co_i32 s48, s48, 1
	s_delay_alu instid0(SALU_CYCLE_1)
	s_cmp_ge_u32 s48, s46
	s_cbranch_scc1 .LBB164_28
.LBB164_34:                             ;   in Loop: Header=BB164_25 Depth=1
	s_load_b32 s49, s[44:45], 0x8
	s_add_co_i32 s39, s14, s39
	s_wait_kmcnt 0x0
	s_add_co_i32 s38, s49, s38
	s_add_co_i32 s48, s48, 1
	s_delay_alu instid0(SALU_CYCLE_1)
	s_cmp_ge_u32 s48, s46
	s_cbranch_scc0 .LBB164_29
	s_branch .LBB164_30
.LBB164_35:
	s_mov_b64 s[38:39], 0
	s_add_nc_u64 s[10:11], s[10:11], s[42:43]
	s_wait_kmcnt 0x0
	s_add_nc_u64 s[12:13], s[40:41], s[42:43]
	s_mov_b32 s14, 0
	s_delay_alu instid0(SALU_CYCLE_1)
	s_cmp_ge_u32 s14, s17
	s_cbranch_scc0 .LBB164_59
	s_branch .LBB164_37
.LBB164_36:
	s_add_co_i32 s14, s20, 4
	s_add_nc_u64 s[12:13], s[40:41], s[42:43]
	s_add_nc_u64 s[10:11], s[10:11], s[42:43]
	s_cmp_ge_u32 s14, s17
	s_cbranch_scc0 .LBB164_59
.LBB164_37:
	v_dual_mov_b32 v2, s38 :: v_dual_mov_b32 v3, s21
	v_dual_mov_b32 v4, s39 :: v_dual_mov_b32 v1, 0
	ds_store_b96 v1, v[2:4] offset:1056
.LBB164_38:
	s_or_b32 exec_lo, exec_lo, s47
	s_clause 0x3
	s_load_b64 s[10:11], s[0:1], 0x438
	s_load_b64 s[20:21], s[0:1], 0x0
	;; [unrolled: 1-line block ×4, first 2 shown]
	s_cmp_eq_u32 s16, 0
	s_wait_dscnt 0x0
	s_barrier_signal -1
	s_barrier_wait -1
	s_cbranch_scc1 .LBB164_61
; %bb.39:
	v_dual_mov_b32 v7, 0 :: v_dual_lshrrev_b32 v1, 3, v0
	s_mul_u64 s[22:23], s[28:29], s[22:23]
	s_wait_kmcnt 0x0
	s_mul_u64 s[28:29], s[10:11], s[34:35]
	s_lshl_b64 s[34:35], s[18:19], 3
	ds_load_b96 v[2:4], v7 offset:1056
	s_clause 0x3
	s_load_b32 s17, s[0:1], 0x1b0
	s_load_b64 s[12:13], s[0:1], 0x1b8
	s_load_b64 s[14:15], s[0:1], 0x360
	;; [unrolled: 1-line block ×3, first 2 shown]
	v_dual_add_nc_u32 v8, -1, v0 :: v_dual_bitop2_b32 v1, 28, v1 bitop3:0x40
	v_mbcnt_lo_u32_b32 v10, -1, 0
	v_lshlrev_b32_e32 v9, 5, v0
	s_wait_xcnt 0x0
	s_lshl_b64 s[0:1], s[22:23], 3
	v_lshrrev_b32_e32 v6, 3, v8
	v_lshl_add_u32 v5, v0, 2, v1
	v_and_b32_e32 v1, 0xfc, v0
	s_mul_u64 s[26:27], s[36:37], s[26:27]
	s_add_nc_u64 s[0:1], s[20:21], s[0:1]
	s_lshl_b64 s[22:23], s[26:27], 3
	s_lshl_b64 s[26:27], s[28:29], 3
	s_lshl_b64 s[24:25], s[24:25], 3
	s_lshl_b64 s[30:31], s[30:31], 3
	s_xor_b64 s[10:11], s[8:9], 0x8000000000000000
	s_add_nc_u64 s[20:21], s[0:1], s[34:35]
	v_cmp_gt_u32_e64 s0, 32, v0
	s_wait_dscnt 0x0
	v_dual_add_nc_u32 v2, v2, v3 :: v_dual_bitop2_b32 v13, 15, v10 bitop3:0x40
	v_and_b32_e32 v3, 0x1ffffffc, v6
	v_mad_u32 v6, s46, s33, v0
	v_dual_add_nc_u32 v12, v1, v9 :: v_dual_add_nc_u32 v15, -1, v10
	v_bfe_i32 v14, v10, 4, 1
	s_delay_alu instid0(VALU_DEP_4)
	v_lshl_add_u32 v11, v8, 2, v3
	s_add_nc_u64 s[22:23], s[38:39], s[22:23]
	s_add_nc_u64 s[26:27], s[40:41], s[26:27]
	s_wait_kmcnt 0x0
	s_bitcmp1_b32 s17, 0
	s_add_nc_u64 s[22:23], s[22:23], s[24:25]
	s_add_nc_u64 s[24:25], s[26:27], s[30:31]
	s_cselect_b32 s1, -1, 0
                                        ; implicit-def: $vgpr0_vgpr1
	s_branch .LBB164_42
.LBB164_40:                             ;   in Loop: Header=BB164_42 Depth=1
	s_wait_xcnt 0x0
	s_or_b32 exec_lo, exec_lo, s17
	v_add_nc_u32_e32 v2, v3, v2
.LBB164_41:                             ;   in Loop: Header=BB164_42 Depth=1
	v_add_nc_u32_e32 v4, v16, v4
	v_add_nc_u32_e32 v6, 0x100, v6
	s_add_co_i32 s16, s16, -1
	s_delay_alu instid0(SALU_CYCLE_1)
	s_cmp_lg_u32 s16, 0
	s_cbranch_scc0 .LBB164_61
.LBB164_42:                             ; =>This Inner Loop Header: Depth=1
	v_dual_mov_b32 v3, v7 :: v_dual_mov_b32 v8, v7
	s_mov_b32 s17, exec_lo
	v_cmpx_gt_u64_e64 s[4:5], v[6:7]
	s_cbranch_execz .LBB164_44
; %bb.43:                               ;   in Loop: Header=BB164_42 Depth=1
	v_mul_u64_e32 v[0:1], s[12:13], v[6:7]
	s_delay_alu instid0(VALU_DEP_1) | instskip(SKIP_4) | instid1(VALU_DEP_1)
	v_lshl_add_u64 v[0:1], v[0:1], 3, s[20:21]
	global_load_b64 v[0:1], v[0:1], off
	s_wait_loadcnt 0x0
	v_xor_b32_e32 v9, 0x80000000, v1
	v_mov_b32_e32 v8, v0
	v_cmp_lt_u64_e32 vcc_lo, s[10:11], v[8:9]
	v_cndmask_b32_e64 v3, 0, 1, vcc_lo
	v_cmp_gt_u64_e32 vcc_lo, s[10:11], v[8:9]
	v_cndmask_b32_e64 v8, 0, 1, vcc_lo
	v_cmp_eq_u64_e32 vcc_lo, s[8:9], v[0:1]
	s_delay_alu instid0(VALU_DEP_2) | instskip(SKIP_1) | instid1(VALU_DEP_2)
	v_cndmask_b32_e64 v3, v8, v3, s1
	v_cndmask_b32_e64 v8, 0, 1, vcc_lo
	v_and_b32_e32 v3, 1, v3
.LBB164_44:                             ;   in Loop: Header=BB164_42 Depth=1
	s_wait_xcnt 0x0
	s_or_b32 exec_lo, exec_lo, s17
	ds_store_b32 v5, v3
	s_wait_dscnt 0x0
	s_barrier_signal -1
	s_barrier_wait -1
	s_and_saveexec_b32 s17, s0
	s_cbranch_execz .LBB164_46
; %bb.45:                               ;   in Loop: Header=BB164_42 Depth=1
	ds_load_2addr_b32 v[16:17], v12 offset1:1
	ds_load_2addr_b32 v[18:19], v12 offset0:2 offset1:3
	ds_load_2addr_b32 v[20:21], v12 offset0:4 offset1:5
	;; [unrolled: 1-line block ×3, first 2 shown]
	v_cmp_ne_u32_e32 vcc_lo, 0, v13
	; wave barrier
	s_wait_dscnt 0x3
	v_add_nc_u32_e32 v9, v17, v16
	s_wait_dscnt 0x2
	s_delay_alu instid0(VALU_DEP_1) | instskip(SKIP_1) | instid1(VALU_DEP_1)
	v_add3_u32 v9, v9, v18, v19
	s_wait_dscnt 0x1
	v_add3_u32 v9, v9, v20, v21
	s_wait_dscnt 0x0
	s_delay_alu instid0(VALU_DEP_1) | instskip(NEXT) | instid1(VALU_DEP_1)
	v_add3_u32 v9, v9, v22, v23
	v_mov_b32_dpp v17, v9 row_shr:1 row_mask:0xf bank_mask:0xf
	s_delay_alu instid0(VALU_DEP_1) | instskip(SKIP_1) | instid1(VALU_DEP_2)
	v_cndmask_b32_e32 v17, 0, v17, vcc_lo
	v_cmp_lt_u32_e32 vcc_lo, 1, v13
	v_add_nc_u32_e32 v9, v17, v9
	s_delay_alu instid0(VALU_DEP_1) | instskip(NEXT) | instid1(VALU_DEP_1)
	v_mov_b32_dpp v17, v9 row_shr:2 row_mask:0xf bank_mask:0xf
	v_cndmask_b32_e32 v17, 0, v17, vcc_lo
	v_cmp_lt_u32_e32 vcc_lo, 3, v13
	s_delay_alu instid0(VALU_DEP_2) | instskip(NEXT) | instid1(VALU_DEP_1)
	v_add_nc_u32_e32 v9, v9, v17
	v_mov_b32_dpp v17, v9 row_shr:4 row_mask:0xf bank_mask:0xf
	s_delay_alu instid0(VALU_DEP_1) | instskip(SKIP_1) | instid1(VALU_DEP_2)
	v_cndmask_b32_e32 v17, 0, v17, vcc_lo
	v_cmp_lt_u32_e32 vcc_lo, 7, v13
	v_add_nc_u32_e32 v9, v9, v17
	s_delay_alu instid0(VALU_DEP_1) | instskip(NEXT) | instid1(VALU_DEP_1)
	v_mov_b32_dpp v17, v9 row_shr:8 row_mask:0xf bank_mask:0xf
	v_cndmask_b32_e32 v17, 0, v17, vcc_lo
	v_cmp_gt_i32_e32 vcc_lo, 0, v15
	s_delay_alu instid0(VALU_DEP_2) | instskip(SKIP_3) | instid1(VALU_DEP_1)
	v_dual_cndmask_b32 v18, v15, v10 :: v_dual_add_nc_u32 v9, v9, v17
	ds_swizzle_b32 v17, v9 offset:swizzle(BROADCAST,32,15)
	s_wait_dscnt 0x0
	v_dual_lshlrev_b32 v18, 2, v18 :: v_dual_bitop2_b32 v17, v14, v17 bitop3:0x40
	v_add_nc_u32_e32 v9, v9, v17
	ds_bpermute_b32 v9, v18, v9
	s_wait_dscnt 0x0
	v_add_nc_u32_e32 v9, v9, v16
	s_delay_alu instid0(VALU_DEP_1)
	v_cndmask_b32_e64 v9, v9, v3, s3
	ds_store_b32 v12, v9
	; wave barrier
	ds_load_2addr_b32 v[16:17], v12 offset0:1 offset1:2
	ds_load_2addr_b32 v[18:19], v12 offset0:3 offset1:4
	ds_load_2addr_b32 v[20:21], v12 offset0:5 offset1:6
	ds_load_b32 v22, v12 offset:28
	s_wait_dscnt 0x3
	v_add_nc_u32_e32 v9, v16, v9
	s_delay_alu instid0(VALU_DEP_1) | instskip(SKIP_1) | instid1(VALU_DEP_1)
	v_add_nc_u32_e32 v16, v17, v9
	s_wait_dscnt 0x2
	v_add_nc_u32_e32 v17, v18, v16
	s_delay_alu instid0(VALU_DEP_1) | instskip(SKIP_1) | instid1(VALU_DEP_1)
	v_add_nc_u32_e32 v18, v19, v17
	;; [unrolled: 4-line block ×3, first 2 shown]
	s_wait_dscnt 0x0
	v_add_nc_u32_e32 v21, v22, v20
	ds_store_2addr_b32 v12, v9, v16 offset0:1 offset1:2
	ds_store_2addr_b32 v12, v17, v18 offset0:3 offset1:4
	;; [unrolled: 1-line block ×3, first 2 shown]
	ds_store_b32 v12, v21 offset:28
.LBB164_46:                             ;   in Loop: Header=BB164_42 Depth=1
	s_or_b32 exec_lo, exec_lo, s17
	v_mov_b32_e32 v9, 0
	s_wait_dscnt 0x0
	s_barrier_signal -1
	s_barrier_wait -1
	s_and_saveexec_b32 s17, s2
; %bb.47:                               ;   in Loop: Header=BB164_42 Depth=1
	ds_load_b32 v9, v11
; %bb.48:                               ;   in Loop: Header=BB164_42 Depth=1
	s_or_b32 exec_lo, exec_lo, s17
	ds_load_b32 v16, v7 offset:1048
	s_mov_b32 s17, exec_lo
	s_wait_dscnt 0x0
	s_barrier_signal -1
	s_barrier_wait -1
	v_cmpx_ne_u32_e32 0, v3
	s_cbranch_execz .LBB164_50
; %bb.49:                               ;   in Loop: Header=BB164_42 Depth=1
	v_dual_mov_b32 v19, v7 :: v_dual_add_nc_u32 v18, v9, v4
	s_delay_alu instid0(VALU_DEP_1) | instskip(SKIP_1) | instid1(VALU_DEP_2)
	v_mul_u64_e32 v[20:21], s[14:15], v[18:19]
	v_mul_u64_e32 v[18:19], s[18:19], v[18:19]
	v_lshl_add_u64 v[20:21], v[20:21], 3, s[22:23]
	s_delay_alu instid0(VALU_DEP_2)
	v_lshl_add_u64 v[18:19], v[18:19], 3, s[24:25]
	global_store_b64 v[20:21], v[0:1], off
	global_store_b64 v[18:19], v[6:7], off
.LBB164_50:                             ;   in Loop: Header=BB164_42 Depth=1
	s_wait_xcnt 0x0
	s_or_b32 exec_lo, exec_lo, s17
	v_mov_b32_e32 v3, v7
	s_delay_alu instid0(VALU_DEP_1)
	v_cmp_le_u64_e32 vcc_lo, s[6:7], v[2:3]
	s_cbranch_vccnz .LBB164_41
; %bb.51:                               ;   in Loop: Header=BB164_42 Depth=1
	ds_store_b32 v5, v8
	s_wait_storecnt_dscnt 0x0
	s_barrier_signal -1
	s_barrier_wait -1
	s_and_saveexec_b32 s17, s0
	s_cbranch_execz .LBB164_53
; %bb.52:                               ;   in Loop: Header=BB164_42 Depth=1
	ds_load_2addr_b32 v[18:19], v12 offset1:1
	ds_load_2addr_b32 v[20:21], v12 offset0:2 offset1:3
	ds_load_2addr_b32 v[22:23], v12 offset0:4 offset1:5
	ds_load_2addr_b32 v[24:25], v12 offset0:6 offset1:7
	v_cmp_ne_u32_e32 vcc_lo, 0, v13
	; wave barrier
	s_wait_dscnt 0x3
	v_add_nc_u32_e32 v3, v19, v18
	s_wait_dscnt 0x2
	s_delay_alu instid0(VALU_DEP_1) | instskip(SKIP_1) | instid1(VALU_DEP_1)
	v_add3_u32 v3, v3, v20, v21
	s_wait_dscnt 0x1
	v_add3_u32 v3, v3, v22, v23
	s_wait_dscnt 0x0
	s_delay_alu instid0(VALU_DEP_1) | instskip(NEXT) | instid1(VALU_DEP_1)
	v_add3_u32 v3, v3, v24, v25
	v_mov_b32_dpp v9, v3 row_shr:1 row_mask:0xf bank_mask:0xf
	s_delay_alu instid0(VALU_DEP_1) | instskip(SKIP_1) | instid1(VALU_DEP_2)
	v_cndmask_b32_e32 v9, 0, v9, vcc_lo
	v_cmp_lt_u32_e32 vcc_lo, 1, v13
	v_add_nc_u32_e32 v3, v9, v3
	s_delay_alu instid0(VALU_DEP_1) | instskip(NEXT) | instid1(VALU_DEP_1)
	v_mov_b32_dpp v9, v3 row_shr:2 row_mask:0xf bank_mask:0xf
	v_cndmask_b32_e32 v9, 0, v9, vcc_lo
	v_cmp_lt_u32_e32 vcc_lo, 3, v13
	s_delay_alu instid0(VALU_DEP_2) | instskip(NEXT) | instid1(VALU_DEP_1)
	v_add_nc_u32_e32 v3, v3, v9
	v_mov_b32_dpp v9, v3 row_shr:4 row_mask:0xf bank_mask:0xf
	s_delay_alu instid0(VALU_DEP_1) | instskip(SKIP_1) | instid1(VALU_DEP_2)
	v_cndmask_b32_e32 v9, 0, v9, vcc_lo
	v_cmp_lt_u32_e32 vcc_lo, 7, v13
	v_add_nc_u32_e32 v3, v3, v9
	s_delay_alu instid0(VALU_DEP_1) | instskip(NEXT) | instid1(VALU_DEP_1)
	v_mov_b32_dpp v9, v3 row_shr:8 row_mask:0xf bank_mask:0xf
	v_cndmask_b32_e32 v9, 0, v9, vcc_lo
	v_cmp_gt_i32_e32 vcc_lo, 0, v15
	s_delay_alu instid0(VALU_DEP_2)
	v_add_nc_u32_e32 v3, v3, v9
	v_cndmask_b32_e32 v17, v15, v10, vcc_lo
	ds_swizzle_b32 v9, v3 offset:swizzle(BROADCAST,32,15)
	v_lshlrev_b32_e32 v17, 2, v17
	s_wait_dscnt 0x0
	v_and_b32_e32 v9, v14, v9
	s_delay_alu instid0(VALU_DEP_1) | instskip(SKIP_3) | instid1(VALU_DEP_1)
	v_add_nc_u32_e32 v3, v3, v9
	ds_bpermute_b32 v3, v17, v3
	s_wait_dscnt 0x0
	v_add_nc_u32_e32 v3, v3, v18
	v_cndmask_b32_e64 v3, v3, v8, s3
	ds_store_b32 v12, v3
	; wave barrier
	ds_load_2addr_b32 v[18:19], v12 offset0:1 offset1:2
	ds_load_2addr_b32 v[20:21], v12 offset0:3 offset1:4
	;; [unrolled: 1-line block ×3, first 2 shown]
	ds_load_b32 v9, v12 offset:28
	s_wait_dscnt 0x3
	v_add_nc_u32_e32 v3, v18, v3
	s_delay_alu instid0(VALU_DEP_1) | instskip(SKIP_1) | instid1(VALU_DEP_1)
	v_add_nc_u32_e32 v17, v19, v3
	s_wait_dscnt 0x2
	v_add_nc_u32_e32 v18, v20, v17
	s_delay_alu instid0(VALU_DEP_1) | instskip(SKIP_1) | instid1(VALU_DEP_1)
	v_add_nc_u32_e32 v19, v21, v18
	;; [unrolled: 4-line block ×3, first 2 shown]
	s_wait_dscnt 0x0
	v_add_nc_u32_e32 v9, v9, v21
	ds_store_2addr_b32 v12, v3, v17 offset0:1 offset1:2
	ds_store_2addr_b32 v12, v18, v19 offset0:3 offset1:4
	;; [unrolled: 1-line block ×3, first 2 shown]
	ds_store_b32 v12, v9 offset:28
.LBB164_53:                             ;   in Loop: Header=BB164_42 Depth=1
	s_or_b32 exec_lo, exec_lo, s17
	v_mov_b32_e32 v9, 0
	s_wait_dscnt 0x0
	s_barrier_signal -1
	s_barrier_wait -1
	s_and_saveexec_b32 s17, s2
; %bb.54:                               ;   in Loop: Header=BB164_42 Depth=1
	ds_load_b32 v9, v11
; %bb.55:                               ;   in Loop: Header=BB164_42 Depth=1
	s_or_b32 exec_lo, exec_lo, s17
	ds_load_b32 v3, v7 offset:1048
	s_mov_b32 s17, exec_lo
	s_wait_dscnt 0x0
	s_barrier_signal -1
	s_barrier_wait -1
	v_cmpx_ne_u32_e32 0, v8
	s_cbranch_execz .LBB164_40
; %bb.56:                               ;   in Loop: Header=BB164_42 Depth=1
	v_dual_mov_b32 v9, v7 :: v_dual_add_nc_u32 v8, v9, v2
	s_delay_alu instid0(VALU_DEP_1)
	v_cmp_gt_u64_e32 vcc_lo, s[6:7], v[8:9]
	s_and_b32 exec_lo, exec_lo, vcc_lo
	s_cbranch_execz .LBB164_40
; %bb.57:                               ;   in Loop: Header=BB164_42 Depth=1
	v_mul_u64_e32 v[18:19], s[14:15], v[8:9]
	v_mul_u64_e32 v[8:9], s[18:19], v[8:9]
	s_delay_alu instid0(VALU_DEP_2) | instskip(NEXT) | instid1(VALU_DEP_2)
	v_lshl_add_u64 v[18:19], v[18:19], 3, s[22:23]
	v_lshl_add_u64 v[8:9], v[8:9], 3, s[24:25]
	global_store_b64 v[18:19], v[0:1], off
	global_store_b64 v[8:9], v[6:7], off
	s_branch .LBB164_40
.LBB164_58:                             ;   in Loop: Header=BB164_59 Depth=1
	s_add_co_i32 s14, s14, 1
	s_wait_kmcnt 0x0
	s_add_co_i32 s21, s15, s21
	s_add_nc_u64 s[10:11], s[10:11], 4
	s_cmp_lt_u32 s14, s17
	s_add_nc_u64 s[12:13], s[12:13], 4
	s_cbranch_scc0 .LBB164_37
.LBB164_59:                             ; =>This Inner Loop Header: Depth=1
	s_load_b32 s15, s[10:11], 0x0
	s_cmp_ge_u32 s14, s46
	s_cbranch_scc1 .LBB164_58
; %bb.60:                               ;   in Loop: Header=BB164_59 Depth=1
	s_load_b32 s20, s[12:13], 0x0
	s_wait_kmcnt 0x0
	s_add_co_i32 s39, s15, s39
	s_add_co_i32 s38, s20, s38
	s_branch .LBB164_58
.LBB164_61:
	s_endpgm
	.section	.rodata,"a",@progbits
	.p2align	6, 0x0
	.amdhsa_kernel _ZN2at6native6mbtopk10gatherTopKIlmLin1EEEvNS_4cuda6detail10TensorInfoIKT_T0_EES8_S8_bjS8_NS5_IS6_S8_EES8_NS5_IlS8_EES8_jjPS6_PjSD_j
		.amdhsa_group_segment_fixed_size 1068
		.amdhsa_private_segment_fixed_size 0
		.amdhsa_kernarg_size 1592
		.amdhsa_user_sgpr_count 2
		.amdhsa_user_sgpr_dispatch_ptr 0
		.amdhsa_user_sgpr_queue_ptr 0
		.amdhsa_user_sgpr_kernarg_segment_ptr 1
		.amdhsa_user_sgpr_dispatch_id 0
		.amdhsa_user_sgpr_kernarg_preload_length 0
		.amdhsa_user_sgpr_kernarg_preload_offset 0
		.amdhsa_user_sgpr_private_segment_size 0
		.amdhsa_wavefront_size32 1
		.amdhsa_uses_dynamic_stack 0
		.amdhsa_enable_private_segment 0
		.amdhsa_system_sgpr_workgroup_id_x 1
		.amdhsa_system_sgpr_workgroup_id_y 1
		.amdhsa_system_sgpr_workgroup_id_z 1
		.amdhsa_system_sgpr_workgroup_info 0
		.amdhsa_system_vgpr_workitem_id 0
		.amdhsa_next_free_vgpr 26
		.amdhsa_next_free_sgpr 50
		.amdhsa_named_barrier_count 0
		.amdhsa_reserve_vcc 1
		.amdhsa_float_round_mode_32 0
		.amdhsa_float_round_mode_16_64 0
		.amdhsa_float_denorm_mode_32 3
		.amdhsa_float_denorm_mode_16_64 3
		.amdhsa_fp16_overflow 0
		.amdhsa_memory_ordered 1
		.amdhsa_forward_progress 1
		.amdhsa_inst_pref_size 27
		.amdhsa_round_robin_scheduling 0
		.amdhsa_exception_fp_ieee_invalid_op 0
		.amdhsa_exception_fp_denorm_src 0
		.amdhsa_exception_fp_ieee_div_zero 0
		.amdhsa_exception_fp_ieee_overflow 0
		.amdhsa_exception_fp_ieee_underflow 0
		.amdhsa_exception_fp_ieee_inexact 0
		.amdhsa_exception_int_div_zero 0
	.end_amdhsa_kernel
	.section	.text._ZN2at6native6mbtopk10gatherTopKIlmLin1EEEvNS_4cuda6detail10TensorInfoIKT_T0_EES8_S8_bjS8_NS5_IS6_S8_EES8_NS5_IlS8_EES8_jjPS6_PjSD_j,"axG",@progbits,_ZN2at6native6mbtopk10gatherTopKIlmLin1EEEvNS_4cuda6detail10TensorInfoIKT_T0_EES8_S8_bjS8_NS5_IS6_S8_EES8_NS5_IlS8_EES8_jjPS6_PjSD_j,comdat
.Lfunc_end164:
	.size	_ZN2at6native6mbtopk10gatherTopKIlmLin1EEEvNS_4cuda6detail10TensorInfoIKT_T0_EES8_S8_bjS8_NS5_IS6_S8_EES8_NS5_IlS8_EES8_jjPS6_PjSD_j, .Lfunc_end164-_ZN2at6native6mbtopk10gatherTopKIlmLin1EEEvNS_4cuda6detail10TensorInfoIKT_T0_EES8_S8_bjS8_NS5_IS6_S8_EES8_NS5_IlS8_EES8_jjPS6_PjSD_j
                                        ; -- End function
	.set _ZN2at6native6mbtopk10gatherTopKIlmLin1EEEvNS_4cuda6detail10TensorInfoIKT_T0_EES8_S8_bjS8_NS5_IS6_S8_EES8_NS5_IlS8_EES8_jjPS6_PjSD_j.num_vgpr, 26
	.set _ZN2at6native6mbtopk10gatherTopKIlmLin1EEEvNS_4cuda6detail10TensorInfoIKT_T0_EES8_S8_bjS8_NS5_IS6_S8_EES8_NS5_IlS8_EES8_jjPS6_PjSD_j.num_agpr, 0
	.set _ZN2at6native6mbtopk10gatherTopKIlmLin1EEEvNS_4cuda6detail10TensorInfoIKT_T0_EES8_S8_bjS8_NS5_IS6_S8_EES8_NS5_IlS8_EES8_jjPS6_PjSD_j.numbered_sgpr, 50
	.set _ZN2at6native6mbtopk10gatherTopKIlmLin1EEEvNS_4cuda6detail10TensorInfoIKT_T0_EES8_S8_bjS8_NS5_IS6_S8_EES8_NS5_IlS8_EES8_jjPS6_PjSD_j.num_named_barrier, 0
	.set _ZN2at6native6mbtopk10gatherTopKIlmLin1EEEvNS_4cuda6detail10TensorInfoIKT_T0_EES8_S8_bjS8_NS5_IS6_S8_EES8_NS5_IlS8_EES8_jjPS6_PjSD_j.private_seg_size, 0
	.set _ZN2at6native6mbtopk10gatherTopKIlmLin1EEEvNS_4cuda6detail10TensorInfoIKT_T0_EES8_S8_bjS8_NS5_IS6_S8_EES8_NS5_IlS8_EES8_jjPS6_PjSD_j.uses_vcc, 1
	.set _ZN2at6native6mbtopk10gatherTopKIlmLin1EEEvNS_4cuda6detail10TensorInfoIKT_T0_EES8_S8_bjS8_NS5_IS6_S8_EES8_NS5_IlS8_EES8_jjPS6_PjSD_j.uses_flat_scratch, 0
	.set _ZN2at6native6mbtopk10gatherTopKIlmLin1EEEvNS_4cuda6detail10TensorInfoIKT_T0_EES8_S8_bjS8_NS5_IS6_S8_EES8_NS5_IlS8_EES8_jjPS6_PjSD_j.has_dyn_sized_stack, 0
	.set _ZN2at6native6mbtopk10gatherTopKIlmLin1EEEvNS_4cuda6detail10TensorInfoIKT_T0_EES8_S8_bjS8_NS5_IS6_S8_EES8_NS5_IlS8_EES8_jjPS6_PjSD_j.has_recursion, 0
	.set _ZN2at6native6mbtopk10gatherTopKIlmLin1EEEvNS_4cuda6detail10TensorInfoIKT_T0_EES8_S8_bjS8_NS5_IS6_S8_EES8_NS5_IlS8_EES8_jjPS6_PjSD_j.has_indirect_call, 0
	.section	.AMDGPU.csdata,"",@progbits
; Kernel info:
; codeLenInByte = 3340
; TotalNumSgprs: 52
; NumVgprs: 26
; ScratchSize: 0
; MemoryBound: 0
; FloatMode: 240
; IeeeMode: 1
; LDSByteSize: 1068 bytes/workgroup (compile time only)
; SGPRBlocks: 0
; VGPRBlocks: 1
; NumSGPRsForWavesPerEU: 52
; NumVGPRsForWavesPerEU: 26
; NamedBarCnt: 0
; Occupancy: 16
; WaveLimiterHint : 1
; COMPUTE_PGM_RSRC2:SCRATCH_EN: 0
; COMPUTE_PGM_RSRC2:USER_SGPR: 2
; COMPUTE_PGM_RSRC2:TRAP_HANDLER: 0
; COMPUTE_PGM_RSRC2:TGID_X_EN: 1
; COMPUTE_PGM_RSRC2:TGID_Y_EN: 1
; COMPUTE_PGM_RSRC2:TGID_Z_EN: 1
; COMPUTE_PGM_RSRC2:TIDIG_COMP_CNT: 0
	.section	.text._ZN2at6native6sbtopk10gatherTopKIlmLin1ELb0EEEvNS_4cuda6detail10TensorInfoIKT_T0_EES8_S8_bS8_S8_NS5_IS6_S8_EES8_NS5_IlS8_EES8_PS6_,"axG",@progbits,_ZN2at6native6sbtopk10gatherTopKIlmLin1ELb0EEEvNS_4cuda6detail10TensorInfoIKT_T0_EES8_S8_bS8_S8_NS5_IS6_S8_EES8_NS5_IlS8_EES8_PS6_,comdat
	.protected	_ZN2at6native6sbtopk10gatherTopKIlmLin1ELb0EEEvNS_4cuda6detail10TensorInfoIKT_T0_EES8_S8_bS8_S8_NS5_IS6_S8_EES8_NS5_IlS8_EES8_PS6_ ; -- Begin function _ZN2at6native6sbtopk10gatherTopKIlmLin1ELb0EEEvNS_4cuda6detail10TensorInfoIKT_T0_EES8_S8_bS8_S8_NS5_IS6_S8_EES8_NS5_IlS8_EES8_PS6_
	.globl	_ZN2at6native6sbtopk10gatherTopKIlmLin1ELb0EEEvNS_4cuda6detail10TensorInfoIKT_T0_EES8_S8_bS8_S8_NS5_IS6_S8_EES8_NS5_IlS8_EES8_PS6_
	.p2align	8
	.type	_ZN2at6native6sbtopk10gatherTopKIlmLin1ELb0EEEvNS_4cuda6detail10TensorInfoIKT_T0_EES8_S8_bS8_S8_NS5_IS6_S8_EES8_NS5_IlS8_EES8_PS6_,@function
_ZN2at6native6sbtopk10gatherTopKIlmLin1ELb0EEEvNS_4cuda6detail10TensorInfoIKT_T0_EES8_S8_bS8_S8_NS5_IS6_S8_EES8_NS5_IlS8_EES8_PS6_: ; @_ZN2at6native6sbtopk10gatherTopKIlmLin1ELb0EEEvNS_4cuda6detail10TensorInfoIKT_T0_EES8_S8_bS8_S8_NS5_IS6_S8_EES8_NS5_IlS8_EES8_PS6_
; %bb.0:
	s_clause 0x1
	s_load_b128 s[28:31], s[0:1], 0x1b8
	s_load_b64 s[8:9], s[0:1], 0x520
	s_bfe_u32 s2, ttmp6, 0x40010
	s_and_b32 s3, ttmp7, 0xffff
	s_add_co_i32 s2, s2, 1
	s_bfe_u32 s5, ttmp6, 0x4000c
	s_mul_i32 s2, s3, s2
	s_bfe_u32 s4, ttmp6, 0x40004
	s_add_co_i32 s5, s5, 1
	s_bfe_u32 s6, ttmp6, 0x40014
	s_add_co_i32 s4, s4, s2
	s_and_b32 s2, ttmp6, 15
	s_mul_i32 s5, ttmp9, s5
	s_lshr_b32 s7, ttmp7, 16
	s_add_co_i32 s6, s6, 1
	s_add_co_i32 s2, s2, s5
	s_mul_i32 s5, s7, s6
	s_bfe_u32 s6, ttmp6, 0x40008
	s_getreg_b32 s10, hwreg(HW_REG_IB_STS2, 6, 4)
	s_add_co_i32 s6, s6, s5
	s_cmp_eq_u32 s10, 0
	s_cselect_b32 s5, s7, s6
	s_cselect_b32 s3, s3, s4
	s_wait_kmcnt 0x0
	s_mul_i32 s5, s9, s5
	s_cselect_b32 s9, ttmp9, s2
	s_add_co_i32 s2, s5, s3
	s_mov_b32 s5, 0
	s_mul_i32 s2, s2, s8
	s_delay_alu instid0(SALU_CYCLE_1) | instskip(NEXT) | instid1(SALU_CYCLE_1)
	s_add_co_i32 s4, s2, s9
	v_cmp_le_u64_e64 s2, s[28:29], s[4:5]
	s_and_b32 vcc_lo, exec_lo, s2
	s_cbranch_vccnz .LBB165_492
; %bb.1:
	s_load_b32 s12, s[0:1], 0x198
	s_mov_b64 s[2:3], 0
	s_mov_b64 s[6:7], s[4:5]
	s_wait_kmcnt 0x0
	s_cmp_lt_i32 s12, 2
	s_cbranch_scc1 .LBB165_9
; %bb.2:
	s_add_co_i32 s10, s12, -1
	s_mov_b32 s11, 0
	s_add_co_i32 s18, s12, 1
	s_lshl_b64 s[2:3], s[10:11], 3
	s_mov_b64 s[14:15], s[4:5]
	s_add_nc_u64 s[6:7], s[0:1], s[2:3]
	s_mov_b64 s[2:3], 0
	s_add_nc_u64 s[12:13], s[6:7], 8
.LBB165_3:                              ; =>This Inner Loop Header: Depth=1
	s_load_b64 s[16:17], s[12:13], 0x0
	s_mov_b32 s10, -1
	s_wait_kmcnt 0x0
	s_or_b64 s[6:7], s[14:15], s[16:17]
	s_delay_alu instid0(SALU_CYCLE_1) | instskip(NEXT) | instid1(SALU_CYCLE_1)
	s_and_b64 s[6:7], s[6:7], 0xffffffff00000000
	s_cmp_lg_u64 s[6:7], 0
                                        ; implicit-def: $sgpr6_sgpr7
	s_cbranch_scc0 .LBB165_5
; %bb.4:                                ;   in Loop: Header=BB165_3 Depth=1
	s_cvt_f32_u32 s6, s16
	s_cvt_f32_u32 s7, s17
	s_sub_nc_u64 s[20:21], 0, s[16:17]
	s_delay_alu instid0(SALU_CYCLE_2) | instskip(NEXT) | instid1(SALU_CYCLE_3)
	s_fmamk_f32 s6, s7, 0x4f800000, s6
	v_s_rcp_f32 s6, s6
	s_delay_alu instid0(TRANS32_DEP_1) | instskip(NEXT) | instid1(SALU_CYCLE_3)
	s_mul_f32 s6, s6, 0x5f7ffffc
	s_mul_f32 s7, s6, 0x2f800000
	s_delay_alu instid0(SALU_CYCLE_3) | instskip(NEXT) | instid1(SALU_CYCLE_3)
	s_trunc_f32 s7, s7
	s_fmamk_f32 s6, s7, 0xcf800000, s6
	s_cvt_u32_f32 s7, s7
	s_delay_alu instid0(SALU_CYCLE_2) | instskip(NEXT) | instid1(SALU_CYCLE_3)
	s_cvt_u32_f32 s6, s6
	s_mul_u64 s[22:23], s[20:21], s[6:7]
	s_delay_alu instid0(SALU_CYCLE_1)
	s_mul_hi_u32 s25, s6, s23
	s_mul_i32 s24, s6, s23
	s_mul_hi_u32 s10, s6, s22
	s_mul_i32 s26, s7, s22
	s_add_nc_u64 s[24:25], s[10:11], s[24:25]
	s_mul_hi_u32 s19, s7, s22
	s_mul_hi_u32 s27, s7, s23
	s_add_co_u32 s10, s24, s26
	s_add_co_ci_u32 s10, s25, s19
	s_mul_i32 s22, s7, s23
	s_add_co_ci_u32 s23, s27, 0
	s_delay_alu instid0(SALU_CYCLE_1) | instskip(NEXT) | instid1(SALU_CYCLE_1)
	s_add_nc_u64 s[22:23], s[10:11], s[22:23]
	s_add_co_u32 s6, s6, s22
	s_cselect_b32 s10, -1, 0
	s_delay_alu instid0(SALU_CYCLE_1) | instskip(SKIP_1) | instid1(SALU_CYCLE_1)
	s_cmp_lg_u32 s10, 0
	s_add_co_ci_u32 s7, s7, s23
	s_mul_u64 s[20:21], s[20:21], s[6:7]
	s_delay_alu instid0(SALU_CYCLE_1)
	s_mul_hi_u32 s23, s6, s21
	s_mul_i32 s22, s6, s21
	s_mul_hi_u32 s10, s6, s20
	s_mul_i32 s24, s7, s20
	s_add_nc_u64 s[22:23], s[10:11], s[22:23]
	s_mul_hi_u32 s19, s7, s20
	s_mul_hi_u32 s25, s7, s21
	s_add_co_u32 s10, s22, s24
	s_add_co_ci_u32 s10, s23, s19
	s_mul_i32 s20, s7, s21
	s_add_co_ci_u32 s21, s25, 0
	s_delay_alu instid0(SALU_CYCLE_1) | instskip(NEXT) | instid1(SALU_CYCLE_1)
	s_add_nc_u64 s[20:21], s[10:11], s[20:21]
	s_add_co_u32 s6, s6, s20
	s_cselect_b32 s19, -1, 0
	s_mul_hi_u32 s10, s14, s6
	s_cmp_lg_u32 s19, 0
	s_mul_hi_u32 s19, s15, s6
	s_add_co_ci_u32 s20, s7, s21
	s_mul_i32 s21, s15, s6
	s_mul_hi_u32 s7, s14, s20
	s_mul_i32 s6, s14, s20
	s_mul_hi_u32 s22, s15, s20
	s_add_nc_u64 s[6:7], s[10:11], s[6:7]
	s_mul_i32 s20, s15, s20
	s_add_co_u32 s6, s6, s21
	s_add_co_ci_u32 s10, s7, s19
	s_add_co_ci_u32 s21, s22, 0
	s_delay_alu instid0(SALU_CYCLE_1) | instskip(NEXT) | instid1(SALU_CYCLE_1)
	s_add_nc_u64 s[6:7], s[10:11], s[20:21]
	s_and_b64 s[20:21], s[6:7], 0xffffffff00000000
	s_delay_alu instid0(SALU_CYCLE_1) | instskip(NEXT) | instid1(SALU_CYCLE_1)
	s_or_b32 s20, s20, s6
	s_mul_u64 s[6:7], s[16:17], s[20:21]
	s_delay_alu instid0(SALU_CYCLE_1)
	s_sub_co_u32 s6, s14, s6
	s_cselect_b32 s10, -1, 0
	s_sub_co_i32 s19, s15, s7
	s_cmp_lg_u32 s10, 0
	s_sub_co_ci_u32 s19, s19, s17
	s_sub_co_u32 s22, s6, s16
	s_cselect_b32 s23, -1, 0
	s_delay_alu instid0(SALU_CYCLE_1) | instskip(SKIP_1) | instid1(SALU_CYCLE_1)
	s_cmp_lg_u32 s23, 0
	s_sub_co_ci_u32 s19, s19, 0
	s_cmp_ge_u32 s19, s17
	s_cselect_b32 s24, -1, 0
	s_cmp_ge_u32 s22, s16
	s_add_nc_u64 s[22:23], s[20:21], 1
	s_cselect_b32 s25, -1, 0
	s_cmp_eq_u32 s19, s17
	s_cselect_b32 s19, s25, s24
	s_add_nc_u64 s[24:25], s[20:21], 2
	s_cmp_lg_u32 s19, 0
	s_cselect_b32 s19, s24, s22
	s_cselect_b32 s22, s25, s23
	s_cmp_lg_u32 s10, 0
	s_sub_co_ci_u32 s7, s15, s7
	s_delay_alu instid0(SALU_CYCLE_1)
	s_cmp_ge_u32 s7, s17
	s_cselect_b32 s10, -1, 0
	s_cmp_ge_u32 s6, s16
	s_cselect_b32 s6, -1, 0
	s_cmp_eq_u32 s7, s17
	s_cselect_b32 s6, s6, s10
	s_mov_b32 s10, 0
	s_cmp_lg_u32 s6, 0
	s_cselect_b32 s7, s22, s21
	s_cselect_b32 s6, s19, s20
.LBB165_5:                              ;   in Loop: Header=BB165_3 Depth=1
	s_and_not1_b32 vcc_lo, exec_lo, s10
	s_cbranch_vccnz .LBB165_7
; %bb.6:                                ;   in Loop: Header=BB165_3 Depth=1
	v_cvt_f32_u32_e32 v1, s16
	s_sub_co_i32 s7, 0, s16
	s_delay_alu instid0(VALU_DEP_1) | instskip(SKIP_1) | instid1(TRANS32_DEP_1)
	v_rcp_iflag_f32_e32 v1, v1
	v_nop
	v_mul_f32_e32 v1, 0x4f7ffffe, v1
	s_delay_alu instid0(VALU_DEP_1) | instskip(NEXT) | instid1(VALU_DEP_1)
	v_cvt_u32_f32_e32 v1, v1
	v_readfirstlane_b32 s6, v1
	s_mul_i32 s7, s7, s6
	s_delay_alu instid0(SALU_CYCLE_1) | instskip(NEXT) | instid1(SALU_CYCLE_1)
	s_mul_hi_u32 s7, s6, s7
	s_add_co_i32 s6, s6, s7
	s_delay_alu instid0(SALU_CYCLE_1) | instskip(NEXT) | instid1(SALU_CYCLE_1)
	s_mul_hi_u32 s6, s14, s6
	s_mul_i32 s7, s6, s16
	s_add_co_i32 s10, s6, 1
	s_sub_co_i32 s7, s14, s7
	s_delay_alu instid0(SALU_CYCLE_1)
	s_sub_co_i32 s19, s7, s16
	s_cmp_ge_u32 s7, s16
	s_cselect_b32 s6, s10, s6
	s_cselect_b32 s7, s19, s7
	s_add_co_i32 s10, s6, 1
	s_cmp_ge_u32 s7, s16
	s_cselect_b32 s10, s10, s6
	s_delay_alu instid0(SALU_CYCLE_1)
	s_mov_b64 s[6:7], s[10:11]
.LBB165_7:                              ;   in Loop: Header=BB165_3 Depth=1
	s_load_b64 s[20:21], s[12:13], 0xc8
	s_mul_u64 s[16:17], s[6:7], s[16:17]
	s_add_co_i32 s18, s18, -1
	s_sub_nc_u64 s[14:15], s[14:15], s[16:17]
	s_cmp_gt_u32 s18, 2
	s_wait_xcnt 0x0
	s_add_nc_u64 s[12:13], s[12:13], -8
	s_wait_kmcnt 0x0
	s_mul_u64 s[14:15], s[20:21], s[14:15]
	s_delay_alu instid0(SALU_CYCLE_1)
	s_add_nc_u64 s[2:3], s[14:15], s[2:3]
	s_cbranch_scc0 .LBB165_9
; %bb.8:                                ;   in Loop: Header=BB165_3 Depth=1
	s_mov_b64 s[14:15], s[6:7]
	s_branch .LBB165_3
.LBB165_9:
	s_load_b32 s16, s[0:1], 0x360
	s_add_nc_u64 s[10:11], s[0:1], 0x520
	s_add_nc_u64 s[12:13], s[0:1], 0x1c8
	s_mov_b64 s[28:29], 0
	s_mov_b64 s[40:41], s[4:5]
	s_wait_kmcnt 0x0
	s_cmp_lt_i32 s16, 2
	s_cbranch_scc1 .LBB165_17
; %bb.10:
	s_add_co_i32 s14, s16, -1
	s_mov_b32 s15, 0
	s_add_co_i32 s22, s16, 1
	s_lshl_b64 s[18:19], s[14:15], 3
	s_delay_alu instid0(SALU_CYCLE_1)
	s_add_nc_u64 s[16:17], s[12:13], s[18:19]
	s_mov_b64 s[18:19], s[4:5]
	s_add_nc_u64 s[16:17], s[16:17], 8
.LBB165_11:                             ; =>This Inner Loop Header: Depth=1
	s_load_b64 s[20:21], s[16:17], 0x0
	s_mov_b32 s14, -1
                                        ; implicit-def: $sgpr40_sgpr41
	s_wait_kmcnt 0x0
	s_or_b64 s[24:25], s[18:19], s[20:21]
	s_delay_alu instid0(SALU_CYCLE_1) | instskip(NEXT) | instid1(SALU_CYCLE_1)
	s_and_b64 s[24:25], s[24:25], 0xffffffff00000000
	s_cmp_lg_u64 s[24:25], 0
	s_cbranch_scc0 .LBB165_13
; %bb.12:                               ;   in Loop: Header=BB165_11 Depth=1
	s_cvt_f32_u32 s14, s20
	s_cvt_f32_u32 s23, s21
	s_sub_nc_u64 s[26:27], 0, s[20:21]
	s_delay_alu instid0(SALU_CYCLE_2) | instskip(NEXT) | instid1(SALU_CYCLE_3)
	s_fmamk_f32 s14, s23, 0x4f800000, s14
	v_s_rcp_f32 s14, s14
	s_delay_alu instid0(TRANS32_DEP_1) | instskip(NEXT) | instid1(SALU_CYCLE_3)
	s_mul_f32 s14, s14, 0x5f7ffffc
	s_mul_f32 s23, s14, 0x2f800000
	s_delay_alu instid0(SALU_CYCLE_3) | instskip(NEXT) | instid1(SALU_CYCLE_3)
	s_trunc_f32 s23, s23
	s_fmamk_f32 s14, s23, 0xcf800000, s14
	s_cvt_u32_f32 s25, s23
	s_delay_alu instid0(SALU_CYCLE_2) | instskip(NEXT) | instid1(SALU_CYCLE_3)
	s_cvt_u32_f32 s24, s14
	s_mul_u64 s[34:35], s[26:27], s[24:25]
	s_delay_alu instid0(SALU_CYCLE_1)
	s_mul_hi_u32 s37, s24, s35
	s_mul_i32 s36, s24, s35
	s_mul_hi_u32 s14, s24, s34
	s_mul_i32 s33, s25, s34
	s_add_nc_u64 s[36:37], s[14:15], s[36:37]
	s_mul_hi_u32 s23, s25, s34
	s_mul_hi_u32 s38, s25, s35
	s_add_co_u32 s14, s36, s33
	s_add_co_ci_u32 s14, s37, s23
	s_mul_i32 s34, s25, s35
	s_add_co_ci_u32 s35, s38, 0
	s_delay_alu instid0(SALU_CYCLE_1) | instskip(NEXT) | instid1(SALU_CYCLE_1)
	s_add_nc_u64 s[34:35], s[14:15], s[34:35]
	s_add_co_u32 s24, s24, s34
	s_cselect_b32 s14, -1, 0
	s_delay_alu instid0(SALU_CYCLE_1) | instskip(SKIP_1) | instid1(SALU_CYCLE_1)
	s_cmp_lg_u32 s14, 0
	s_add_co_ci_u32 s25, s25, s35
	s_mul_u64 s[26:27], s[26:27], s[24:25]
	s_delay_alu instid0(SALU_CYCLE_1)
	s_mul_hi_u32 s35, s24, s27
	s_mul_i32 s34, s24, s27
	s_mul_hi_u32 s14, s24, s26
	s_mul_i32 s33, s25, s26
	s_add_nc_u64 s[34:35], s[14:15], s[34:35]
	s_mul_hi_u32 s23, s25, s26
	s_mul_hi_u32 s36, s25, s27
	s_add_co_u32 s14, s34, s33
	s_add_co_ci_u32 s14, s35, s23
	s_mul_i32 s26, s25, s27
	s_add_co_ci_u32 s27, s36, 0
	s_delay_alu instid0(SALU_CYCLE_1) | instskip(NEXT) | instid1(SALU_CYCLE_1)
	s_add_nc_u64 s[26:27], s[14:15], s[26:27]
	s_add_co_u32 s23, s24, s26
	s_cselect_b32 s24, -1, 0
	s_mul_hi_u32 s14, s18, s23
	s_cmp_lg_u32 s24, 0
	s_mul_hi_u32 s33, s19, s23
	s_add_co_ci_u32 s26, s25, s27
	s_mul_i32 s23, s19, s23
	s_mul_hi_u32 s25, s18, s26
	s_mul_i32 s24, s18, s26
	s_mul_hi_u32 s27, s19, s26
	s_add_nc_u64 s[24:25], s[14:15], s[24:25]
	s_mul_i32 s26, s19, s26
	s_add_co_u32 s14, s24, s23
	s_add_co_ci_u32 s14, s25, s33
	s_add_co_ci_u32 s27, s27, 0
	s_delay_alu instid0(SALU_CYCLE_1) | instskip(NEXT) | instid1(SALU_CYCLE_1)
	s_add_nc_u64 s[24:25], s[14:15], s[26:27]
	s_and_b64 s[26:27], s[24:25], 0xffffffff00000000
	s_delay_alu instid0(SALU_CYCLE_1) | instskip(NEXT) | instid1(SALU_CYCLE_1)
	s_or_b32 s26, s26, s24
	s_mul_u64 s[24:25], s[20:21], s[26:27]
	s_delay_alu instid0(SALU_CYCLE_1)
	s_sub_co_u32 s14, s18, s24
	s_cselect_b32 s23, -1, 0
	s_sub_co_i32 s24, s19, s25
	s_cmp_lg_u32 s23, 0
	s_sub_co_ci_u32 s24, s24, s21
	s_sub_co_u32 s33, s14, s20
	s_cselect_b32 s34, -1, 0
	s_delay_alu instid0(SALU_CYCLE_1) | instskip(SKIP_2) | instid1(SALU_CYCLE_1)
	s_cmp_lg_u32 s34, 0
	s_add_nc_u64 s[34:35], s[26:27], 1
	s_sub_co_ci_u32 s24, s24, 0
	s_cmp_ge_u32 s24, s21
	s_cselect_b32 s36, -1, 0
	s_cmp_ge_u32 s33, s20
	s_cselect_b32 s33, -1, 0
	s_cmp_eq_u32 s24, s21
	s_cselect_b32 s24, s33, s36
	s_add_nc_u64 s[36:37], s[26:27], 2
	s_cmp_lg_u32 s24, 0
	s_cselect_b32 s24, s36, s34
	s_cselect_b32 s33, s37, s35
	s_cmp_lg_u32 s23, 0
	s_sub_co_ci_u32 s23, s19, s25
	s_delay_alu instid0(SALU_CYCLE_1)
	s_cmp_ge_u32 s23, s21
	s_cselect_b32 s25, -1, 0
	s_cmp_ge_u32 s14, s20
	s_cselect_b32 s14, -1, 0
	s_cmp_eq_u32 s23, s21
	s_cselect_b32 s14, s14, s25
	s_delay_alu instid0(SALU_CYCLE_1)
	s_cmp_lg_u32 s14, 0
	s_mov_b32 s14, 0
	s_cselect_b32 s41, s33, s27
	s_cselect_b32 s40, s24, s26
.LBB165_13:                             ;   in Loop: Header=BB165_11 Depth=1
	s_and_not1_b32 vcc_lo, exec_lo, s14
	s_cbranch_vccnz .LBB165_15
; %bb.14:                               ;   in Loop: Header=BB165_11 Depth=1
	v_cvt_f32_u32_e32 v1, s20
	s_sub_co_i32 s23, 0, s20
	s_delay_alu instid0(VALU_DEP_1) | instskip(SKIP_1) | instid1(TRANS32_DEP_1)
	v_rcp_iflag_f32_e32 v1, v1
	v_nop
	v_mul_f32_e32 v1, 0x4f7ffffe, v1
	s_delay_alu instid0(VALU_DEP_1) | instskip(NEXT) | instid1(VALU_DEP_1)
	v_cvt_u32_f32_e32 v1, v1
	v_readfirstlane_b32 s14, v1
	s_mul_i32 s23, s23, s14
	s_delay_alu instid0(SALU_CYCLE_1) | instskip(NEXT) | instid1(SALU_CYCLE_1)
	s_mul_hi_u32 s23, s14, s23
	s_add_co_i32 s14, s14, s23
	s_delay_alu instid0(SALU_CYCLE_1) | instskip(NEXT) | instid1(SALU_CYCLE_1)
	s_mul_hi_u32 s14, s18, s14
	s_mul_i32 s23, s14, s20
	s_add_co_i32 s24, s14, 1
	s_sub_co_i32 s23, s18, s23
	s_delay_alu instid0(SALU_CYCLE_1)
	s_sub_co_i32 s25, s23, s20
	s_cmp_ge_u32 s23, s20
	s_cselect_b32 s14, s24, s14
	s_cselect_b32 s23, s25, s23
	s_add_co_i32 s24, s14, 1
	s_cmp_ge_u32 s23, s20
	s_cselect_b32 s14, s24, s14
	s_delay_alu instid0(SALU_CYCLE_1)
	s_mov_b64 s[40:41], s[14:15]
.LBB165_15:                             ;   in Loop: Header=BB165_11 Depth=1
	s_load_b64 s[24:25], s[16:17], 0xc8
	s_mul_u64 s[20:21], s[40:41], s[20:21]
	s_add_co_i32 s22, s22, -1
	s_sub_nc_u64 s[18:19], s[18:19], s[20:21]
	s_cmp_gt_u32 s22, 2
	s_wait_xcnt 0x0
	s_add_nc_u64 s[16:17], s[16:17], -8
	s_wait_kmcnt 0x0
	s_mul_u64 s[18:19], s[24:25], s[18:19]
	s_delay_alu instid0(SALU_CYCLE_1)
	s_add_nc_u64 s[28:29], s[18:19], s[28:29]
	s_cbranch_scc0 .LBB165_17
; %bb.16:                               ;   in Loop: Header=BB165_11 Depth=1
	s_mov_b64 s[18:19], s[40:41]
	s_branch .LBB165_11
.LBB165_17:
	s_clause 0x1
	s_load_b64 s[14:15], s[0:1], 0xd0
	s_load_b32 s18, s[0:1], 0x508
	s_mov_b64 s[44:45], 0
	s_wait_kmcnt 0x0
	s_cmp_lt_i32 s18, 2
	s_cbranch_scc1 .LBB165_25
; %bb.18:
	s_add_co_i32 s16, s18, -1
	s_mov_b32 s17, 0
	s_add_nc_u64 s[20:21], s[0:1], 0x370
	s_lshl_b64 s[22:23], s[16:17], 3
	s_delay_alu instid0(SALU_CYCLE_1)
	s_add_nc_u64 s[20:21], s[20:21], s[22:23]
	s_add_co_i32 s22, s18, 1
	s_add_nc_u64 s[18:19], s[20:21], 8
.LBB165_19:                             ; =>This Inner Loop Header: Depth=1
	s_load_b64 s[20:21], s[18:19], 0x0
	s_mov_b32 s16, -1
                                        ; implicit-def: $sgpr48_sgpr49
	s_wait_kmcnt 0x0
	s_or_b64 s[24:25], s[4:5], s[20:21]
	s_delay_alu instid0(SALU_CYCLE_1) | instskip(NEXT) | instid1(SALU_CYCLE_1)
	s_and_b64 s[24:25], s[24:25], 0xffffffff00000000
	s_cmp_lg_u64 s[24:25], 0
	s_cbranch_scc0 .LBB165_21
; %bb.20:                               ;   in Loop: Header=BB165_19 Depth=1
	s_cvt_f32_u32 s16, s20
	s_cvt_f32_u32 s23, s21
	s_sub_nc_u64 s[26:27], 0, s[20:21]
	s_delay_alu instid0(SALU_CYCLE_2) | instskip(NEXT) | instid1(SALU_CYCLE_3)
	s_fmamk_f32 s16, s23, 0x4f800000, s16
	v_s_rcp_f32 s16, s16
	s_delay_alu instid0(TRANS32_DEP_1) | instskip(NEXT) | instid1(SALU_CYCLE_3)
	s_mul_f32 s16, s16, 0x5f7ffffc
	s_mul_f32 s23, s16, 0x2f800000
	s_delay_alu instid0(SALU_CYCLE_3) | instskip(NEXT) | instid1(SALU_CYCLE_3)
	s_trunc_f32 s23, s23
	s_fmamk_f32 s16, s23, 0xcf800000, s16
	s_cvt_u32_f32 s25, s23
	s_delay_alu instid0(SALU_CYCLE_2) | instskip(NEXT) | instid1(SALU_CYCLE_3)
	s_cvt_u32_f32 s24, s16
	s_mul_u64 s[34:35], s[26:27], s[24:25]
	s_delay_alu instid0(SALU_CYCLE_1)
	s_mul_hi_u32 s37, s24, s35
	s_mul_i32 s36, s24, s35
	s_mul_hi_u32 s16, s24, s34
	s_mul_i32 s33, s25, s34
	s_add_nc_u64 s[36:37], s[16:17], s[36:37]
	s_mul_hi_u32 s23, s25, s34
	s_mul_hi_u32 s38, s25, s35
	s_add_co_u32 s16, s36, s33
	s_add_co_ci_u32 s16, s37, s23
	s_mul_i32 s34, s25, s35
	s_add_co_ci_u32 s35, s38, 0
	s_delay_alu instid0(SALU_CYCLE_1) | instskip(NEXT) | instid1(SALU_CYCLE_1)
	s_add_nc_u64 s[34:35], s[16:17], s[34:35]
	s_add_co_u32 s24, s24, s34
	s_cselect_b32 s16, -1, 0
	s_delay_alu instid0(SALU_CYCLE_1) | instskip(SKIP_1) | instid1(SALU_CYCLE_1)
	s_cmp_lg_u32 s16, 0
	s_add_co_ci_u32 s25, s25, s35
	s_mul_u64 s[26:27], s[26:27], s[24:25]
	s_delay_alu instid0(SALU_CYCLE_1)
	s_mul_hi_u32 s35, s24, s27
	s_mul_i32 s34, s24, s27
	s_mul_hi_u32 s16, s24, s26
	s_mul_i32 s33, s25, s26
	s_add_nc_u64 s[34:35], s[16:17], s[34:35]
	s_mul_hi_u32 s23, s25, s26
	s_mul_hi_u32 s36, s25, s27
	s_add_co_u32 s16, s34, s33
	s_add_co_ci_u32 s16, s35, s23
	s_mul_i32 s26, s25, s27
	s_add_co_ci_u32 s27, s36, 0
	s_delay_alu instid0(SALU_CYCLE_1) | instskip(NEXT) | instid1(SALU_CYCLE_1)
	s_add_nc_u64 s[26:27], s[16:17], s[26:27]
	s_add_co_u32 s23, s24, s26
	s_cselect_b32 s24, -1, 0
	s_mul_hi_u32 s16, s4, s23
	s_cmp_lg_u32 s24, 0
	s_mul_hi_u32 s33, s5, s23
	s_add_co_ci_u32 s26, s25, s27
	s_mul_i32 s23, s5, s23
	s_mul_hi_u32 s25, s4, s26
	s_mul_i32 s24, s4, s26
	s_mul_hi_u32 s27, s5, s26
	s_add_nc_u64 s[24:25], s[16:17], s[24:25]
	s_mul_i32 s26, s5, s26
	s_add_co_u32 s16, s24, s23
	s_add_co_ci_u32 s16, s25, s33
	s_add_co_ci_u32 s27, s27, 0
	s_delay_alu instid0(SALU_CYCLE_1) | instskip(NEXT) | instid1(SALU_CYCLE_1)
	s_add_nc_u64 s[24:25], s[16:17], s[26:27]
	s_and_b64 s[26:27], s[24:25], 0xffffffff00000000
	s_delay_alu instid0(SALU_CYCLE_1) | instskip(NEXT) | instid1(SALU_CYCLE_1)
	s_or_b32 s26, s26, s24
	s_mul_u64 s[24:25], s[20:21], s[26:27]
	s_delay_alu instid0(SALU_CYCLE_1)
	s_sub_co_u32 s16, s4, s24
	s_cselect_b32 s23, -1, 0
	s_sub_co_i32 s24, s5, s25
	s_cmp_lg_u32 s23, 0
	s_sub_co_ci_u32 s24, s24, s21
	s_sub_co_u32 s33, s16, s20
	s_cselect_b32 s34, -1, 0
	s_delay_alu instid0(SALU_CYCLE_1) | instskip(SKIP_2) | instid1(SALU_CYCLE_1)
	s_cmp_lg_u32 s34, 0
	s_add_nc_u64 s[34:35], s[26:27], 1
	s_sub_co_ci_u32 s24, s24, 0
	s_cmp_ge_u32 s24, s21
	s_cselect_b32 s36, -1, 0
	s_cmp_ge_u32 s33, s20
	s_cselect_b32 s33, -1, 0
	s_cmp_eq_u32 s24, s21
	s_cselect_b32 s24, s33, s36
	s_add_nc_u64 s[36:37], s[26:27], 2
	s_cmp_lg_u32 s24, 0
	s_cselect_b32 s24, s36, s34
	s_cselect_b32 s33, s37, s35
	s_cmp_lg_u32 s23, 0
	s_sub_co_ci_u32 s23, s5, s25
	s_delay_alu instid0(SALU_CYCLE_1)
	s_cmp_ge_u32 s23, s21
	s_cselect_b32 s25, -1, 0
	s_cmp_ge_u32 s16, s20
	s_cselect_b32 s16, -1, 0
	s_cmp_eq_u32 s23, s21
	s_cselect_b32 s16, s16, s25
	s_delay_alu instid0(SALU_CYCLE_1)
	s_cmp_lg_u32 s16, 0
	s_mov_b32 s16, 0
	s_cselect_b32 s49, s33, s27
	s_cselect_b32 s48, s24, s26
.LBB165_21:                             ;   in Loop: Header=BB165_19 Depth=1
	s_and_not1_b32 vcc_lo, exec_lo, s16
	s_cbranch_vccnz .LBB165_23
; %bb.22:                               ;   in Loop: Header=BB165_19 Depth=1
	v_cvt_f32_u32_e32 v1, s20
	s_sub_co_i32 s23, 0, s20
	s_delay_alu instid0(VALU_DEP_1) | instskip(SKIP_1) | instid1(TRANS32_DEP_1)
	v_rcp_iflag_f32_e32 v1, v1
	v_nop
	v_mul_f32_e32 v1, 0x4f7ffffe, v1
	s_delay_alu instid0(VALU_DEP_1) | instskip(NEXT) | instid1(VALU_DEP_1)
	v_cvt_u32_f32_e32 v1, v1
	v_readfirstlane_b32 s16, v1
	s_mul_i32 s23, s23, s16
	s_delay_alu instid0(SALU_CYCLE_1) | instskip(NEXT) | instid1(SALU_CYCLE_1)
	s_mul_hi_u32 s23, s16, s23
	s_add_co_i32 s16, s16, s23
	s_delay_alu instid0(SALU_CYCLE_1) | instskip(NEXT) | instid1(SALU_CYCLE_1)
	s_mul_hi_u32 s16, s4, s16
	s_mul_i32 s23, s16, s20
	s_add_co_i32 s24, s16, 1
	s_sub_co_i32 s23, s4, s23
	s_delay_alu instid0(SALU_CYCLE_1)
	s_sub_co_i32 s25, s23, s20
	s_cmp_ge_u32 s23, s20
	s_cselect_b32 s16, s24, s16
	s_cselect_b32 s23, s25, s23
	s_add_co_i32 s24, s16, 1
	s_cmp_ge_u32 s23, s20
	s_cselect_b32 s16, s24, s16
	s_delay_alu instid0(SALU_CYCLE_1)
	s_mov_b64 s[48:49], s[16:17]
.LBB165_23:                             ;   in Loop: Header=BB165_19 Depth=1
	s_load_b64 s[24:25], s[18:19], 0xc8
	s_mul_u64 s[20:21], s[48:49], s[20:21]
	s_add_co_i32 s22, s22, -1
	s_sub_nc_u64 s[4:5], s[4:5], s[20:21]
	s_cmp_gt_u32 s22, 2
	s_wait_xcnt 0x0
	s_add_nc_u64 s[18:19], s[18:19], -8
	s_wait_kmcnt 0x0
	s_mul_u64 s[4:5], s[24:25], s[4:5]
	s_delay_alu instid0(SALU_CYCLE_1)
	s_add_nc_u64 s[44:45], s[4:5], s[44:45]
	s_cbranch_scc0 .LBB165_26
; %bb.24:                               ;   in Loop: Header=BB165_19 Depth=1
	s_mov_b64 s[4:5], s[48:49]
	s_branch .LBB165_19
.LBB165_25:
	s_mov_b64 s[48:49], s[4:5]
.LBB165_26:
	s_clause 0x1
	s_load_b64 s[4:5], s[12:13], 0xd0
	s_load_b128 s[36:39], s[0:1], 0x1a0
	s_wait_xcnt 0x0
	s_load_b64 s[12:13], s[0:1], 0x0
                                        ; implicit-def: $vgpr74 : SGPR spill to VGPR lane
	s_mov_b32 s27, 0
	s_wait_kmcnt 0x0
	v_writelane_b32 v74, s4, 0
	v_writelane_b32 v74, s5, 1
	v_cmp_eq_u32_e64 s5, 0, v0
	s_and_saveexec_b32 s4, s5
	s_cbranch_execz .LBB165_28
; %bb.27:
	v_dual_mov_b32 v2, 0 :: v_dual_mov_b32 v4, s36
	s_delay_alu instid0(VALU_DEP_1)
	v_dual_mov_b32 v5, s37 :: v_dual_mov_b32 v3, v2
	ds_store_b32 v2, v2 offset:5144
	ds_store_b128 v2, v[2:5] offset:5120
.LBB165_28:
	s_or_b32 exec_lo, exec_lo, s4
	s_lshl_b64 s[58:59], s[2:3], 3
	s_load_b64 s[2:3], s[0:1], 0x440
	v_dual_mov_b32 v21, 0 :: v_dual_lshlrev_b32 v22, 2, v0
	s_wait_dscnt 0x0
	s_barrier_signal -1
	s_barrier_wait -1
	s_load_b32 s18, s[10:11], 0xc
	v_dual_mov_b32 v1, v21 :: v_dual_lshlrev_b32 v56, 3, v0
	v_mbcnt_lo_u32_b32 v17, -1, 0
	s_mul_u64 s[14:15], s[14:15], s[6:7]
	v_cmp_gt_u32_e32 vcc_lo, 32, v0
	s_delay_alu instid0(VALU_DEP_3)
	v_mul_u64_e32 v[2:3], s[30:31], v[0:1]
	s_lshl_b64 s[14:15], s[14:15], 3
	v_cmp_gt_i32_e64 s7, 4, v17
	v_lshlrev_b64_e64 v[4:5], v17, -1
	v_dual_lshlrev_b32 v57, 5, v0 :: v_dual_mov_b32 v23, v21
	s_add_nc_u64 s[16:17], s[12:13], s[14:15]
	s_wait_kmcnt 0x0
	v_writelane_b32 v74, s2, 2
	s_add_nc_u64 s[60:61], s[16:17], s[58:59]
	v_or_b32_e32 v6, 24, v57
	v_not_b32_e32 v16, v4
	s_load_b32 s4, s[0:1], 0x1b0
	v_writelane_b32 v74, s3, 3
	s_load_b64 s[2:3], s[0:1], 0x1c8
	v_or_b32_e32 v7, 16, v57
	v_or_b32_e32 v8, 8, v57
	v_cmp_lt_u64_e64 s33, 0x180, s[36:37]
	s_movk_i32 s19, 0x3e0
	v_mov_b64_e32 v[36:37], 0
	v_mad_nc_u64_u32 v[26:27], s30, v7, s[16:17]
	v_mad_nc_u64_u32 v[28:29], s30, v8, s[16:17]
	v_mov_b64_e32 v[40:41], s[38:39]
	v_mov_b64_e32 v[32:33], 0
	;; [unrolled: 1-line block ×3, first 2 shown]
	s_mov_b32 s35, s27
	v_cmp_gt_u32_e64 s6, 2, v0
	v_add_nc_u32_e32 v58, 0xc00, v56
	v_and_or_b32 v59, v0, s19, 0xc00
	v_lshl_or_b32 v60, v17, 3, 0xc00
	s_mov_b32 s98, 62
	v_mad_u32 v27, s31, v7, v27
	s_wait_kmcnt 0x0
	s_bitcmp1_b32 s4, 0
	v_lshlrev_b64_e32 v[4:5], 3, v[2:3]
	v_writelane_b32 v74, s2, 4
	s_cselect_b32 s93, -1, 0
	s_and_b32 s34, s18, 0xffff
	s_and_b32 s90, vcc_lo, s7
	s_bfe_u32 s4, s18, 0xb0005
	v_writelane_b32 v74, s3, 5
	s_load_b64 s[2:3], s[0:1], 0x370
	s_xor_b32 s91, s93, -1
	s_cmp_gt_u32 s34, 31
	v_lshlrev_b64_e32 v[2:3], 5, v[2:3]
	s_cselect_b32 s92, -1, 0
	s_cmp_lt_u32 s9, s8
	v_mad_u32 v29, s31, v8, v29
	s_cselect_b32 s26, 12, 18
	s_add_co_i32 s7, s4, -1
	s_bfe_u32 s8, s34, 0x30005
	s_and_b32 s7, s7, 0xffff
	v_add_nc_u64_e32 v[30:31], s[16:17], v[2:3]
	s_cmp_gt_u32 s7, 6
	v_mov_b32_e32 v2, 1
	s_cselect_b32 s7, -1, 0
	s_and_b32 s95, s4, 0x7f8
	s_cmp_lg_u32 s8, 0
	v_mad_nc_u64_u32 v[24:25], s30, v6, s[16:17]
	s_cselect_b32 s96, -1, 0
	v_add_nc_u64_e32 v[18:19], s[60:61], v[4:5]
	s_wait_kmcnt 0x0
	v_writelane_b32 v74, s2, 6
	s_add_nc_u64 s[62:63], s[34:35], -1
	s_lshl_b64 s[68:69], s[30:31], 3
	s_add_nc_u64 s[64:65], s[62:63], s[36:37]
	s_lshl_b32 s97, s34, 3
	v_writelane_b32 v74, s3, 7
	v_cmp_gt_u64_e64 s3, s[36:37], v[0:1]
	v_cmp_eq_u32_e64 s2, 0, v17
	v_mad_u32 v25, s31, v6, v25
	v_mov_b64_e32 v[6:7], 0
	v_writelane_b32 v74, s7, 8
	s_add_nc_u64 s[72:73], s[10:11], s[26:27]
	s_and_b64 s[74:75], s[36:37], 0xffffffff00000000
	s_mov_b32 s100, 0x4f800000
	s_mov_b32 s99, 0
	v_writelane_b32 v74, s8, 9
	s_add_nc_u64 s[8:9], s[14:15], s[58:59]
	s_mov_b32 s102, 0
	s_add_nc_u64 s[8:9], s[12:13], s[8:9]
                                        ; implicit-def: $sgpr101
                                        ; implicit-def: $vcc_hi
                                        ; implicit-def: $sgpr104
                                        ; implicit-def: $sgpr50
                                        ; implicit-def: $sgpr103
                                        ; implicit-def: $sgpr54
                                        ; implicit-def: $sgpr55
                                        ; implicit-def: $sgpr51
                                        ; implicit-def: $sgpr53
                                        ; implicit-def: $sgpr52
	s_delay_alu instid0(SALU_CYCLE_1) | instskip(SKIP_2) | instid1(SALU_CYCLE_1)
	v_writelane_b32 v74, s8, 10
	v_writelane_b32 v74, s9, 11
	s_lshl_b64 s[8:9], s[30:31], 5
	v_writelane_b32 v74, s8, 12
	v_writelane_b32 v74, s9, 13
	s_add_nc_u64 s[8:9], s[12:13], s[58:59]
	s_delay_alu instid0(SALU_CYCLE_1)
	s_add_nc_u64 s[12:13], s[8:9], s[14:15]
	s_mul_u64 s[8:9], s[30:31], s[34:35]
	v_writelane_b32 v74, s12, 14
	v_add_nc_u64_e32 v[34:35], s[12:13], v[4:5]
	s_lshl_b64 s[42:43], s[8:9], 3
	v_writelane_b32 v74, s13, 15
	s_branch .LBB165_31
.LBB165_29:                             ;   in Loop: Header=BB165_31 Depth=1
	s_or_b32 exec_lo, exec_lo, s9
	v_mov_b64_e32 v[40:41], v[42:43]
	s_and_not1_b32 s9, s52, exec_lo
	s_and_b32 s8, s8, exec_lo
	s_and_not1_b32 s53, s53, exec_lo
	s_or_b32 s52, s9, s8
	s_and_not1_b32 s51, s51, exec_lo
	s_and_not1_b32 s55, s55, exec_lo
	;; [unrolled: 1-line block ×3, first 2 shown]
	s_or_not1_b32 s7, s7, exec_lo
.LBB165_30:                             ;   in Loop: Header=BB165_31 Depth=1
	s_or_b32 exec_lo, exec_lo, s4
	s_delay_alu instid0(SALU_CYCLE_1) | instskip(NEXT) | instid1(SALU_CYCLE_1)
	s_and_b32 s4, exec_lo, s7
	s_or_b32 s99, s4, s99
	s_and_not1_b32 s4, s103, exec_lo
	s_and_b32 s7, s52, exec_lo
	s_and_not1_b32 s8, s50, exec_lo
	s_or_b32 s103, s4, s7
	s_and_b32 s4, s53, exec_lo
	s_and_not1_b32 s7, s104, exec_lo
	s_and_b32 s9, s51, exec_lo
	s_or_b32 s50, s8, s4
	s_or_b32 s104, s7, s9
	s_and_not1_b32 s4, vcc_hi, exec_lo
	s_and_b32 s7, s55, exec_lo
	s_and_not1_b32 s8, s101, exec_lo
	s_and_b32 s9, s54, exec_lo
	s_or_b32 vcc_hi, s4, s7
	s_or_b32 s101, s8, s9
	s_and_not1_b32 exec_lo, exec_lo, s99
	s_cbranch_execz .LBB165_488
.LBB165_31:                             ; =>This Loop Header: Depth=1
                                        ;     Child Loop BB165_37 Depth 2
                                        ;     Child Loop BB165_50 Depth 2
	;; [unrolled: 1-line block ×24, first 2 shown]
	ds_load_b128 v[8:11], v21 offset:5120
	s_wait_dscnt 0x0
	v_readfirstlane_b32 s77, v9
	v_readfirstlane_b32 s76, v8
	s_cmp_lg_u64 s[76:77], 0
	s_cbranch_scc1 .LBB165_58
; %bb.32:                               ;   in Loop: Header=BB165_31 Depth=1
	s_and_b32 vcc_lo, exec_lo, s33
	s_cbranch_vccz .LBB165_45
; %bb.33:                               ;   in Loop: Header=BB165_31 Depth=1
	v_cmp_gt_u64_e32 vcc_lo, 0x181, v[10:11]
	s_mov_b32 s9, 0
	s_mov_b32 s4, 0
	s_cbranch_vccz .LBB165_46
; %bb.34:                               ;   in Loop: Header=BB165_31 Depth=1
	s_and_saveexec_b32 s10, s3
	s_cbranch_execz .LBB165_112
; %bb.35:                               ;   in Loop: Header=BB165_31 Depth=1
	global_load_u16 v3, v21, s[72:73]
	global_load_b64 v[4:5], v[18:19], off
	v_readlane_b32 s12, v74, 10
	v_readlane_b32 s13, v74, 11
	v_mov_b64_e32 v[12:13], v[0:1]
	s_mov_b32 s11, 0
	s_wait_loadcnt 0x1
	v_and_b32_e32 v20, 0xffff, v3
	s_delay_alu instid0(VALU_DEP_1) | instskip(SKIP_1) | instid1(VALU_DEP_1)
	v_mul_u64_e32 v[8:9], s[68:69], v[20:21]
	v_add_nc_u32_e32 v3, v0, v20
	v_mad_nc_u64_u32 v[10:11], s68, v3, s[12:13]
	s_delay_alu instid0(VALU_DEP_1)
	v_mad_u32 v11, s69, v3, v11
	s_branch .LBB165_37
.LBB165_36:                             ;   in Loop: Header=BB165_37 Depth=2
	s_or_b32 exec_lo, exec_lo, s4
	v_add_nc_u64_e32 v[10:11], v[10:11], v[8:9]
	v_mov_b64_e32 v[4:5], v[14:15]
	s_and_not1_b32 exec_lo, exec_lo, s11
	s_cbranch_execz .LBB165_112
.LBB165_37:                             ;   Parent Loop BB165_31 Depth=1
                                        ; =>  This Inner Loop Header: Depth=2
	v_add_nc_u64_e32 v[12:13], v[12:13], v[20:21]
	v_mov_b64_e32 v[14:15], 0
	s_mov_b32 s4, exec_lo
	s_delay_alu instid0(VALU_DEP_2)
	v_cmp_le_u64_e32 vcc_lo, s[36:37], v[12:13]
	s_wait_xcnt 0x0
	v_cmpx_gt_u64_e64 s[36:37], v[12:13]
	s_cbranch_execz .LBB165_39
; %bb.38:                               ;   in Loop: Header=BB165_37 Depth=2
	global_load_b64 v[14:15], v[10:11], off
.LBB165_39:                             ;   in Loop: Header=BB165_37 Depth=2
	s_wait_xcnt 0x0
	s_or_b32 exec_lo, exec_lo, s4
	s_wait_loadcnt_dscnt 0x0
	v_xor_b32_e32 v3, 0x80000000, v5
	v_and_b32_e32 v42, v4, v38
	s_delay_alu instid0(VALU_DEP_2) | instskip(NEXT) | instid1(VALU_DEP_1)
	v_dual_mov_b32 v3, 0 :: v_dual_bitop2_b32 v43, v3, v39 bitop3:0x40
	v_cmp_eq_u64_e64 s7, v[42:43], v[32:33]
	s_cmp_lg_u32 s7, 0
	s_cselect_b32 s4, -1, 0
	s_delay_alu instid0(SALU_CYCLE_1) | instskip(NEXT) | instid1(SALU_CYCLE_1)
	s_and_b32 s8, s2, s4
	s_and_saveexec_b32 s4, s8
	s_cbranch_execz .LBB165_43
; %bb.40:                               ;   in Loop: Header=BB165_37 Depth=2
	s_mov_b32 s14, exec_lo
	s_bcnt1_i32_b32 s12, s7
	v_mbcnt_lo_u32_b32 v3, s14, 0
	s_mov_b32 s13, exec_lo
                                        ; implicit-def: $vgpr42
	s_delay_alu instid0(VALU_DEP_1)
	v_cmpx_eq_u32_e32 0, v3
; %bb.41:                               ;   in Loop: Header=BB165_37 Depth=2
	s_bcnt1_i32_b32 s8, s14
	s_delay_alu instid0(SALU_CYCLE_1) | instskip(NEXT) | instid1(SALU_CYCLE_1)
	s_mul_i32 s8, s12, s8
	v_mov_b32_e32 v42, s8
	ds_add_rtn_u32 v42, v21, v42 offset:5144
; %bb.42:                               ;   in Loop: Header=BB165_37 Depth=2
	s_or_b32 exec_lo, exec_lo, s13
	s_wait_dscnt 0x0
	v_readfirstlane_b32 s8, v42
	s_delay_alu instid0(VALU_DEP_1)
	v_mad_u32_u24 v3, s12, v3, s8
.LBB165_43:                             ;   in Loop: Header=BB165_37 Depth=2
	s_or_b32 exec_lo, exec_lo, s4
	ds_bpermute_b32 v3, v21, v3
	s_and_b32 s4, exec_lo, vcc_lo
	s_delay_alu instid0(SALU_CYCLE_1)
	s_or_b32 s11, s4, s11
	s_and_saveexec_b32 s4, s7
	s_cbranch_execz .LBB165_36
; %bb.44:                               ;   in Loop: Header=BB165_37 Depth=2
	v_and_b32_e32 v42, s7, v16
	s_delay_alu instid0(VALU_DEP_1) | instskip(NEXT) | instid1(VALU_DEP_1)
	v_bcnt_u32_b32 v42, v42, 0
	v_lshlrev_b32_e32 v42, 3, v42
	s_wait_dscnt 0x0
	s_delay_alu instid0(VALU_DEP_1)
	v_lshl_add_u32 v3, v3, 3, v42
	ds_store_b64 v3, v[4:5]
	s_branch .LBB165_36
.LBB165_45:                             ;   in Loop: Header=BB165_31 Depth=1
	s_mov_b32 s9, -1
	s_mov_b32 s4, 0
.LBB165_46:                             ;   in Loop: Header=BB165_31 Depth=1
	s_and_b32 vcc_lo, exec_lo, s9
	s_cbranch_vccz .LBB165_56
.LBB165_47:                             ;   in Loop: Header=BB165_31 Depth=1
	s_and_saveexec_b32 s4, s3
	s_cbranch_execz .LBB165_53
; %bb.48:                               ;   in Loop: Header=BB165_31 Depth=1
	global_load_u16 v3, v21, s[72:73]
	global_load_b64 v[4:5], v[18:19], off
	s_mov_b32 s7, exec_lo
	s_wait_loadcnt 0x1
	v_and_b32_e32 v8, 0xffff, v3
	v_mov_b32_e32 v3, v0
	s_delay_alu instid0(VALU_DEP_2) | instskip(SKIP_1) | instid1(VALU_DEP_1)
	v_add_nc_u32_e32 v20, v8, v0
	s_wait_xcnt 0x0
	v_cmpx_gt_u64_e64 s[36:37], v[20:21]
	s_cbranch_execz .LBB165_52
; %bb.49:                               ;   in Loop: Header=BB165_31 Depth=1
	v_mov_b32_e32 v9, v21
	v_readlane_b32 s8, v74, 10
	v_readlane_b32 s9, v74, 11
	v_mov_b64_e32 v[14:15], v[20:21]
	v_mov_b64_e32 v[44:45], v[0:1]
	v_mul_u64_e32 v[10:11], s[68:69], v[8:9]
	s_delay_alu instid0(VALU_DEP_4) | instskip(SKIP_1) | instid1(VALU_DEP_1)
	v_mad_nc_u64_u32 v[12:13], s68, v20, s[8:9]
	s_mov_b32 s8, 0
	v_mad_u32 v13, s69, v20, v13
.LBB165_50:                             ;   Parent Loop BB165_31 Depth=1
                                        ; =>  This Inner Loop Header: Depth=2
	global_load_b64 v[42:43], v[12:13], off
	v_mov_b64_e32 v[46:47], v[14:15]
	v_lshlrev_b32_e32 v3, 3, v44
	s_wait_xcnt 0x0
	v_add_nc_u64_e32 v[12:13], v[12:13], v[10:11]
	s_wait_loadcnt 0x1
	ds_store_b64 v3, v[4:5]
	v_add_nc_u64_e32 v[14:15], v[46:47], v[8:9]
	v_mov_b64_e32 v[44:45], v[46:47]
	s_delay_alu instid0(VALU_DEP_2)
	v_cmp_le_u64_e32 vcc_lo, s[36:37], v[14:15]
	s_or_b32 s8, vcc_lo, s8
	s_wait_loadcnt 0x0
	v_mov_b64_e32 v[4:5], v[42:43]
	s_and_not1_b32 exec_lo, exec_lo, s8
	s_cbranch_execnz .LBB165_50
; %bb.51:                               ;   in Loop: Header=BB165_31 Depth=1
	s_or_b32 exec_lo, exec_lo, s8
	v_mov_b64_e32 v[4:5], v[42:43]
	v_sub_nc_u32_e32 v3, v14, v8
.LBB165_52:                             ;   in Loop: Header=BB165_31 Depth=1
	s_or_b32 exec_lo, exec_lo, s7
	s_delay_alu instid0(VALU_DEP_1)
	v_lshlrev_b32_e32 v3, 3, v3
	s_wait_loadcnt 0x0
	ds_store_b64 v3, v[4:5]
.LBB165_53:                             ;   in Loop: Header=BB165_31 Depth=1
	s_or_b32 exec_lo, exec_lo, s4
	s_wait_dscnt 0x0
	s_barrier_signal -1
	s_barrier_wait -1
	s_and_saveexec_b32 s4, s5
; %bb.54:                               ;   in Loop: Header=BB165_31 Depth=1
	v_mov_b64_e32 v[4:5], s[36:37]
	ds_store_b64 v21, v[4:5] offset:5120
; %bb.55:                               ;   in Loop: Header=BB165_31 Depth=1
	s_or_b32 exec_lo, exec_lo, s4
	s_wait_dscnt 0x0
	s_barrier_signal -1
	s_mov_b32 s4, -1
	s_barrier_wait -1
.LBB165_56:                             ;   in Loop: Header=BB165_31 Depth=1
	s_and_b32 vcc_lo, exec_lo, s4
	s_mov_b64 s[76:77], 0
	s_cbranch_vccz .LBB165_58
; %bb.57:                               ;   in Loop: Header=BB165_31 Depth=1
	ds_load_b64 v[4:5], v21 offset:5120
	s_wait_dscnt 0x0
	v_readfirstlane_b32 s76, v4
	v_readfirstlane_b32 s77, v5
.LBB165_58:                             ;   in Loop: Header=BB165_31 Depth=1
	s_delay_alu instid0(VALU_DEP_2)
	s_cmp_lt_i32 s76, 1
	s_mov_b32 s4, -1
                                        ; implicit-def: $vgpr14_vgpr15
                                        ; implicit-def: $vgpr10_vgpr11
	s_cbranch_scc1 .LBB165_68
; %bb.59:                               ;   in Loop: Header=BB165_31 Depth=1
	s_and_b32 vcc_lo, exec_lo, s4
	s_cbranch_vccnz .LBB165_82
.LBB165_60:                             ;   in Loop: Header=BB165_31 Depth=1
	s_lshl_b32 s7, s102, 7
	s_and_saveexec_b32 s4, s2
	s_cbranch_execz .LBB165_62
.LBB165_61:                             ;   in Loop: Header=BB165_31 Depth=1
	v_lshl_add_u32 v3, s7, 3, v59
	ds_store_b128 v3, v[8:11]
	ds_store_b128 v3, v[12:15] offset:16
.LBB165_62:                             ;   in Loop: Header=BB165_31 Depth=1
	s_or_b32 exec_lo, exec_lo, s4
	s_wait_dscnt 0x0
	s_barrier_signal -1
	s_barrier_wait -1
	s_and_saveexec_b32 s8, s90
	s_cbranch_execz .LBB165_96
; %bb.63:                               ;   in Loop: Header=BB165_31 Depth=1
	v_mov_b64_e32 v[4:5], 0
	s_and_not1_b32 vcc_lo, exec_lo, s92
	s_cbranch_vccnz .LBB165_95
; %bb.64:                               ;   in Loop: Header=BB165_31 Depth=1
	v_readlane_b32 s4, v74, 8
	v_mov_b64_e32 v[4:5], 0
	s_and_not1_b32 vcc_lo, exec_lo, s4
	s_cbranch_vccnz .LBB165_92
; %bb.65:                               ;   in Loop: Header=BB165_31 Depth=1
	v_lshl_add_u32 v3, s102, 10, v60
	s_mov_b32 s4, 0
.LBB165_66:                             ;   Parent Loop BB165_31 Depth=1
                                        ; =>  This Inner Loop Header: Depth=2
	ds_load_2addr_b64 v[8:11], v3 offset1:4
	ds_load_2addr_b64 v[12:15], v3 offset0:8 offset1:12
	s_add_co_i32 s4, s4, 8
	s_delay_alu instid0(SALU_CYCLE_1) | instskip(SKIP_2) | instid1(VALU_DEP_1)
	s_cmp_eq_u32 s95, s4
	s_wait_dscnt 0x1
	v_add_nc_u64_e32 v[4:5], v[8:9], v[4:5]
	v_add_nc_u64_e32 v[4:5], v[10:11], v[4:5]
	ds_load_2addr_b64 v[8:11], v3 offset0:16 offset1:20
	s_wait_dscnt 0x1
	v_add_nc_u64_e32 v[4:5], v[12:13], v[4:5]
	s_delay_alu instid0(VALU_DEP_1) | instskip(SKIP_4) | instid1(VALU_DEP_1)
	v_add_nc_u64_e32 v[4:5], v[14:15], v[4:5]
	ds_load_2addr_b64 v[12:15], v3 offset0:24 offset1:28
	v_add_nc_u32_e32 v3, 0x100, v3
	s_wait_dscnt 0x1
	v_add_nc_u64_e32 v[4:5], v[8:9], v[4:5]
	v_add_nc_u64_e32 v[4:5], v[10:11], v[4:5]
	s_wait_dscnt 0x0
	s_delay_alu instid0(VALU_DEP_1) | instskip(NEXT) | instid1(VALU_DEP_1)
	v_add_nc_u64_e32 v[4:5], v[12:13], v[4:5]
	v_add_nc_u64_e32 v[4:5], v[14:15], v[4:5]
	s_cbranch_scc0 .LBB165_66
; %bb.67:                               ;   in Loop: Header=BB165_31 Depth=1
	s_mov_b32 s4, s95
	s_and_not1_b32 vcc_lo, exec_lo, s96
	s_cbranch_vccz .LBB165_93
	s_branch .LBB165_95
.LBB165_68:                             ;   in Loop: Header=BB165_31 Depth=1
	global_load_u16 v3, v21, s[72:73]
	s_mov_b32 s79, s27
	s_wait_loadcnt 0x0
	v_readfirstlane_b32 s4, v3
	s_and_b32 s4, 0xffff, s4
	s_delay_alu instid0(SALU_CYCLE_1)
	s_lshl_b32 s78, s4, 2
	s_cmp_lg_u64 s[74:75], 0
	s_cbranch_scc0 .LBB165_91
; %bb.69:                               ;   in Loop: Header=BB165_31 Depth=1
	s_cvt_f32_u32 s4, s78
	s_sub_nc_u64 s[10:11], 0, s[78:79]
	s_delay_alu instid0(SALU_CYCLE_2) | instskip(NEXT) | instid1(SALU_CYCLE_3)
	s_fmamk_f32 s4, s100, 0x0, s4
	v_s_rcp_f32 s4, s4
	s_delay_alu instid0(TRANS32_DEP_1) | instskip(NEXT) | instid1(SALU_CYCLE_3)
	s_mul_f32 s4, s4, 0x5f7ffffc
	s_mul_f32 s7, s4, 0x2f800000
	s_delay_alu instid0(SALU_CYCLE_3) | instskip(NEXT) | instid1(SALU_CYCLE_3)
	s_trunc_f32 s7, s7
	s_fmamk_f32 s4, s7, 0xcf800000, s4
	s_cvt_u32_f32 s9, s7
	s_delay_alu instid0(SALU_CYCLE_2) | instskip(NEXT) | instid1(SALU_CYCLE_3)
	s_cvt_u32_f32 s8, s4
	s_mul_u64 s[12:13], s[10:11], s[8:9]
	s_delay_alu instid0(SALU_CYCLE_1)
	s_mul_hi_u32 s15, s8, s13
	s_mul_i32 s14, s8, s13
	s_mul_hi_u32 s26, s8, s12
	s_mul_i32 s7, s9, s12
	s_add_nc_u64 s[14:15], s[26:27], s[14:15]
	s_mul_hi_u32 s4, s9, s12
	s_mul_hi_u32 s16, s9, s13
	s_add_co_u32 s7, s14, s7
	s_add_co_ci_u32 s26, s15, s4
	s_mul_i32 s12, s9, s13
	s_add_co_ci_u32 s13, s16, 0
	s_delay_alu instid0(SALU_CYCLE_1) | instskip(NEXT) | instid1(SALU_CYCLE_1)
	s_add_nc_u64 s[12:13], s[26:27], s[12:13]
	s_add_co_u32 s8, s8, s12
	s_cselect_b32 s4, -1, 0
	s_delay_alu instid0(SALU_CYCLE_1) | instskip(SKIP_1) | instid1(SALU_CYCLE_1)
	s_cmp_lg_u32 s4, 0
	s_add_co_ci_u32 s9, s9, s13
	s_mul_u64 s[10:11], s[10:11], s[8:9]
	s_delay_alu instid0(SALU_CYCLE_1)
	s_mul_hi_u32 s13, s8, s11
	s_mul_i32 s12, s8, s11
	s_mul_hi_u32 s26, s8, s10
	s_mul_i32 s7, s9, s10
	s_add_nc_u64 s[12:13], s[26:27], s[12:13]
	s_mul_hi_u32 s4, s9, s10
	s_mul_hi_u32 s14, s9, s11
	s_add_co_u32 s7, s12, s7
	s_add_co_ci_u32 s26, s13, s4
	s_mul_i32 s10, s9, s11
	s_add_co_ci_u32 s11, s14, 0
	s_delay_alu instid0(SALU_CYCLE_1) | instskip(NEXT) | instid1(SALU_CYCLE_1)
	s_add_nc_u64 s[10:11], s[26:27], s[10:11]
	s_add_co_u32 s4, s8, s10
	s_cselect_b32 s7, -1, 0
	s_mul_hi_u32 s26, s36, s4
	s_cmp_lg_u32 s7, 0
	s_mul_hi_u32 s7, s37, s4
	s_add_co_ci_u32 s10, s9, s11
	s_mul_i32 s4, s37, s4
	s_mul_hi_u32 s9, s36, s10
	s_mul_i32 s8, s36, s10
	s_mul_hi_u32 s11, s37, s10
	s_add_nc_u64 s[8:9], s[26:27], s[8:9]
	s_mul_i32 s10, s37, s10
	s_add_co_u32 s4, s8, s4
	s_add_co_ci_u32 s26, s9, s7
	s_add_co_ci_u32 s11, s11, 0
	s_delay_alu instid0(SALU_CYCLE_1) | instskip(NEXT) | instid1(SALU_CYCLE_1)
	s_add_nc_u64 s[8:9], s[26:27], s[10:11]
	s_and_b64 s[10:11], s[8:9], 0xffffffff00000000
	s_delay_alu instid0(SALU_CYCLE_1) | instskip(NEXT) | instid1(SALU_CYCLE_1)
	s_or_b32 s10, s10, s8
	s_mul_u64 s[8:9], s[78:79], s[10:11]
	s_delay_alu instid0(SALU_CYCLE_1) | instskip(SKIP_1) | instid1(SALU_CYCLE_1)
	s_sub_co_u32 s4, s36, s8
	s_cselect_b32 s7, -1, 0
	s_cmp_lg_u32 s7, 0
	s_sub_co_ci_u32 s7, s37, s9
	s_sub_co_u32 s8, s4, s78
	s_cselect_b32 s9, -1, 0
	s_delay_alu instid0(SALU_CYCLE_1) | instskip(SKIP_3) | instid1(SALU_CYCLE_1)
	s_cmp_lg_u32 s9, 0
	s_sub_co_ci_u32 s9, s7, 0
	s_sub_co_u32 s10, s8, s78
	s_cselect_b32 s11, -1, 0
	s_cmp_lg_u32 s11, 0
	s_sub_co_ci_u32 s11, s9, 0
	s_cmp_ge_u32 s8, s78
	s_cselect_b32 s12, -1, 0
	s_cmp_eq_u32 s9, 0
	s_cselect_b32 s12, s12, -1
	s_delay_alu instid0(SALU_CYCLE_1)
	s_cmp_lg_u32 s12, 0
	s_cselect_b32 s9, s11, s9
	s_cselect_b32 s8, s10, s8
	s_cmp_ge_u32 s4, s78
	s_cselect_b32 s10, -1, 0
	s_cmp_eq_u32 s7, 0
	s_cselect_b32 s10, s10, -1
	s_delay_alu instid0(SALU_CYCLE_1)
	s_cmp_lg_u32 s10, 0
	s_cselect_b32 s9, s9, s7
	s_cselect_b32 s8, s8, s4
	s_cbranch_execnz .LBB165_71
.LBB165_70:                             ;   in Loop: Header=BB165_31 Depth=1
	v_cvt_f32_u32_e32 v4, s78
	s_sub_co_i32 s7, 0, s78
	s_delay_alu instid0(VALU_DEP_1) | instskip(SKIP_1) | instid1(TRANS32_DEP_1)
	v_rcp_iflag_f32_e32 v4, v4
	v_nop
	v_mul_f32_e32 v4, 0x4f7ffffe, v4
	s_delay_alu instid0(VALU_DEP_1) | instskip(NEXT) | instid1(VALU_DEP_1)
	v_cvt_u32_f32_e32 v4, v4
	v_readfirstlane_b32 s4, v4
	s_mul_i32 s7, s7, s4
	s_delay_alu instid0(SALU_CYCLE_1) | instskip(NEXT) | instid1(SALU_CYCLE_1)
	s_mul_hi_u32 s7, s4, s7
	s_add_co_i32 s4, s4, s7
	s_delay_alu instid0(SALU_CYCLE_1) | instskip(NEXT) | instid1(SALU_CYCLE_1)
	s_mul_hi_u32 s4, s36, s4
	s_mul_i32 s4, s4, s78
	s_delay_alu instid0(SALU_CYCLE_1) | instskip(NEXT) | instid1(SALU_CYCLE_1)
	s_sub_co_i32 s4, s36, s4
	s_sub_co_i32 s7, s4, s78
	s_cmp_ge_u32 s4, s78
	s_cselect_b32 s4, s7, s4
	s_delay_alu instid0(SALU_CYCLE_1) | instskip(SKIP_2) | instid1(SALU_CYCLE_1)
	s_sub_co_i32 s7, s4, s78
	s_cmp_ge_u32 s4, s78
	s_cselect_b32 s26, s7, s4
	s_mov_b64 s[8:9], s[26:27]
.LBB165_71:                             ;   in Loop: Header=BB165_31 Depth=1
	v_mov_b64_e32 v[8:9], 0
	v_mov_b64_e32 v[10:11], 0
	;; [unrolled: 1-line block ×4, first 2 shown]
	v_and_b32_e32 v4, 0xffff, v3
	v_mov_b32_e32 v5, v21
	s_sub_nc_u64 s[80:81], s[36:37], s[8:9]
	s_mov_b32 s46, exec_lo
	v_cmpx_gt_u64_e64 s[80:81], v[22:23]
	s_cbranch_execz .LBB165_75
; %bb.72:                               ;   in Loop: Header=BB165_31 Depth=1
	v_readlane_b32 s8, v74, 12
	v_readlane_b32 s9, v74, 13
	v_mov_b64_e32 v[44:45], v[30:31]
	v_mov_b64_e32 v[46:47], v[28:29]
	;; [unrolled: 1-line block ×4, first 2 shown]
	v_mul_u64_e32 v[42:43], s[8:9], v[4:5]
	v_mov_b64_e32 v[52:53], v[22:23]
	s_mov_b64 s[82:83], 0
	s_mov_b32 s47, 0
	s_mov_b64 s[84:85], 0
	s_mov_b64 s[86:87], 0
	s_mov_b64 s[88:89], 0
.LBB165_73:                             ;   Parent Loop BB165_31 Depth=1
                                        ; =>  This Inner Loop Header: Depth=2
	v_add_nc_u64_e32 v[8:9], s[58:59], v[44:45]
	v_add_nc_u64_e32 v[10:11], s[58:59], v[46:47]
	;; [unrolled: 1-line block ×7, first 2 shown]
	global_load_b64 v[14:15], v[8:9], off
	global_load_b64 v[12:13], v[10:11], off
	;; [unrolled: 1-line block ×4, first 2 shown]
	s_wait_xcnt 0x1
	v_dual_mov_b32 v65, v21 :: v_dual_mov_b32 v55, v21
	s_wait_xcnt 0x0
	v_mov_b32_e32 v63, v21
	v_cmp_le_u64_e32 vcc_lo, s[80:81], v[52:53]
	v_add_nc_u64_e32 v[46:47], v[46:47], v[42:43]
	v_add_nc_u64_e32 v[44:45], v[44:45], v[42:43]
	s_wait_loadcnt 0x3
	v_xor_b32_e32 v15, 0x80000000, v15
	s_wait_loadcnt 0x2
	v_xor_b32_e32 v13, 0x80000000, v13
	;; [unrolled: 2-line block ×3, first 2 shown]
	v_and_b32_e32 v66, v14, v38
	s_wait_loadcnt 0x0
	v_xor_b32_e32 v9, 0x80000000, v9
	v_and_b32_e32 v67, v15, v39
	v_lshrrev_b64 v[14:15], s98, v[14:15]
	v_and_b32_e32 v68, v12, v38
	v_and_b32_e32 v69, v13, v39
	v_lshrrev_b64 v[12:13], s98, v[12:13]
	v_and_b32_e32 v70, v10, v38
	;; [unrolled: 3-line block ×4, first 2 shown]
	v_and_b32_e32 v54, 3, v12
	v_cmp_eq_u64_e64 s7, v[66:67], v[32:33]
	v_and_b32_e32 v62, 3, v10
	v_cmp_eq_u64_e64 s8, v[68:69], v[32:33]
	v_cmp_eq_u64_e64 s11, 0, v[20:21]
	v_and_b32_e32 v64, 3, v8
	v_cmp_eq_u64_e64 s12, 0, v[54:55]
	v_cmp_eq_u64_e64 s9, v[70:71], v[32:33]
	;; [unrolled: 1-line block ×5, first 2 shown]
	s_and_b32 s4, s7, s11
	v_cmp_eq_u64_e64 s15, 1, v[20:21]
	v_cndmask_b32_e64 v3, 0, 1, s4
	s_and_b32 s4, s8, s12
	v_cmp_eq_u64_e64 s16, 1, v[54:55]
	v_cndmask_b32_e64 v8, 0, 1, s4
	;; [unrolled: 3-line block ×12, first 2 shown]
	s_and_b32 s4, s7, s23
	v_cmp_ne_u32_e64 s7, 0, v3
	v_cndmask_b32_e64 v61, 0, 1, s4
	s_and_b32 s4, s8, s24
	v_cmp_ne_u32_e64 s8, 0, v8
	v_cndmask_b32_e64 v62, 0, 1, s4
	;; [unrolled: 3-line block ×3, first 2 shown]
	s_and_b32 s4, s10, s26
	v_cmp_ne_u32_e64 s10, 0, v10
	v_cmp_ne_u32_e64 s11, 0, v11
	;; [unrolled: 1-line block ×7, first 2 shown]
	v_cndmask_b32_e64 v64, 0, 1, s4
	s_bcnt1_i32_b32 s4, s7
	s_bcnt1_i32_b32 s7, s8
	v_cmp_ne_u32_e64 s17, 0, v54
	v_cmp_ne_u32_e64 s18, 0, v55
	;; [unrolled: 1-line block ×4, first 2 shown]
	s_bcnt1_i32_b32 s8, s9
	s_bcnt1_i32_b32 s9, s10
	;; [unrolled: 1-line block ×4, first 2 shown]
	s_add_co_i32 s4, s7, s4
	v_cmp_ne_u32_e64 s21, 0, v63
	s_bcnt1_i32_b32 s12, s13
	s_bcnt1_i32_b32 s13, s14
	;; [unrolled: 1-line block ×4, first 2 shown]
	s_add_co_i32 s7, s11, s10
	s_add_co_i32 s4, s4, s8
	v_cmp_ne_u32_e64 s22, 0, v64
	s_bcnt1_i32_b32 s16, s17
	s_bcnt1_i32_b32 s17, s18
	;; [unrolled: 1-line block ×4, first 2 shown]
	s_add_co_i32 s10, s15, s14
	s_add_co_i32 s7, s7, s12
	;; [unrolled: 1-line block ×3, first 2 shown]
	s_bcnt1_i32_b32 s20, s21
	s_add_co_i32 s11, s19, s18
	s_add_co_i32 s8, s10, s16
	s_add_nc_u64 s[88:89], s[88:89], s[26:27]
	s_add_co_i32 s26, s7, s13
	s_bcnt1_i32_b32 s21, s22
	s_add_co_i32 s10, s11, s20
	s_add_nc_u64 s[86:87], s[86:87], s[26:27]
	s_add_co_i32 s26, s8, s17
	v_mov_b64_e32 v[8:9], s[88:89]
	s_add_nc_u64 s[84:85], s[84:85], s[26:27]
	s_add_co_i32 s26, s10, s21
	v_mov_b64_e32 v[10:11], s[86:87]
	s_add_nc_u64 s[82:83], s[82:83], s[26:27]
	v_mov_b64_e32 v[12:13], s[84:85]
	v_mov_b64_e32 v[14:15], s[82:83]
	s_or_b32 s47, vcc_lo, s47
	s_delay_alu instid0(SALU_CYCLE_1)
	s_and_not1_b32 exec_lo, exec_lo, s47
	s_cbranch_execnz .LBB165_73
; %bb.74:                               ;   in Loop: Header=BB165_31 Depth=1
	s_or_b32 exec_lo, exec_lo, s47
.LBB165_75:                             ;   in Loop: Header=BB165_31 Depth=1
	s_delay_alu instid0(SALU_CYCLE_1) | instskip(SKIP_2) | instid1(VALU_DEP_1)
	s_or_b32 exec_lo, exec_lo, s46
	v_add_nc_u64_e32 v[42:43], s[80:81], v[0:1]
	s_mov_b32 s10, exec_lo
	v_cmpx_gt_u64_e64 s[36:37], v[42:43]
	s_cbranch_execz .LBB165_81
; %bb.76:                               ;   in Loop: Header=BB165_31 Depth=1
	v_mul_u64_e32 v[44:45], s[30:31], v[42:43]
	s_mov_b32 s11, 0
	s_delay_alu instid0(VALU_DEP_1)
	v_lshl_add_u64 v[44:45], v[44:45], 3, s[60:61]
	global_load_b64 v[46:47], v[44:45], off
	s_branch .LBB165_78
.LBB165_77:                             ;   in Loop: Header=BB165_78 Depth=2
	s_wait_xcnt 0x0
	s_or_b32 exec_lo, exec_lo, s4
	s_wait_loadcnt 0x0
	v_xor_b32_e32 v47, 0x80000000, v47
	s_and_b32 s4, exec_lo, vcc_lo
	s_delay_alu instid0(SALU_CYCLE_1) | instskip(NEXT) | instid1(VALU_DEP_1)
	s_or_b32 s11, s4, s11
	v_lshrrev_b64 v[48:49], s98, v[46:47]
	v_and_b32_e32 v46, v46, v38
	v_and_b32_e32 v47, v47, v39
	s_delay_alu instid0(VALU_DEP_1) | instskip(NEXT) | instid1(VALU_DEP_4)
	v_cmp_eq_u64_e64 s7, v[46:47], v[32:33]
	v_and_b32_e32 v20, 3, v48
	v_mov_b64_e32 v[46:47], v[44:45]
	s_delay_alu instid0(VALU_DEP_2)
	v_cmp_eq_u64_e64 s8, 0, v[20:21]
	v_cmp_eq_u64_e32 vcc_lo, 1, v[20:21]
	v_cmp_eq_u64_e64 s9, 2, v[20:21]
	s_and_b32 s4, s7, s8
	v_cmp_eq_u64_e64 s8, 3, v[20:21]
	v_cndmask_b32_e64 v3, 0, 1, s4
	s_and_b32 s4, s7, vcc_lo
	s_delay_alu instid0(SALU_CYCLE_1) | instskip(SKIP_1) | instid1(VALU_DEP_2)
	v_cndmask_b32_e64 v20, 0, 1, s4
	s_and_b32 s4, s7, s9
	v_cmp_ne_u32_e32 vcc_lo, 0, v3
	v_cndmask_b32_e64 v3, 0, 1, s4
	s_and_b32 s4, s7, s8
	v_cmp_ne_u32_e64 s9, 0, v20
	v_cndmask_b32_e64 v20, 0, 1, s4
	s_bcnt1_i32_b32 s26, vcc_lo
	v_cmp_ne_u32_e32 vcc_lo, 0, v3
	v_add_nc_u64_e32 v[8:9], s[26:27], v[8:9]
	s_bcnt1_i32_b32 s26, s9
	v_cmp_ne_u32_e64 s7, 0, v20
	v_add_nc_u64_e32 v[10:11], s[26:27], v[10:11]
	s_bcnt1_i32_b32 s26, vcc_lo
	s_delay_alu instid0(SALU_CYCLE_1) | instskip(SKIP_1) | instid1(SALU_CYCLE_1)
	v_add_nc_u64_e32 v[12:13], s[26:27], v[12:13]
	s_bcnt1_i32_b32 s26, s7
	v_add_nc_u64_e32 v[14:15], s[26:27], v[14:15]
	s_and_not1_b32 exec_lo, exec_lo, s11
	s_cbranch_execz .LBB165_80
.LBB165_78:                             ;   Parent Loop BB165_31 Depth=1
                                        ; =>  This Inner Loop Header: Depth=2
	v_add_nc_u64_e32 v[42:43], v[42:43], v[4:5]
	s_wait_xcnt 0x0
	v_mov_b64_e32 v[44:45], 0
	s_mov_b32 s4, exec_lo
	s_delay_alu instid0(VALU_DEP_2)
	v_cmp_le_u64_e32 vcc_lo, s[36:37], v[42:43]
	v_cmpx_gt_u64_e64 s[36:37], v[42:43]
	s_cbranch_execz .LBB165_77
; %bb.79:                               ;   in Loop: Header=BB165_78 Depth=2
	v_mul_u64_e32 v[44:45], s[30:31], v[42:43]
	s_delay_alu instid0(VALU_DEP_1)
	v_lshl_add_u64 v[44:45], v[44:45], 3, s[60:61]
	global_load_b64 v[44:45], v[44:45], off
	s_branch .LBB165_77
.LBB165_80:                             ;   in Loop: Header=BB165_31 Depth=1
	s_or_b32 exec_lo, exec_lo, s11
.LBB165_81:                             ;   in Loop: Header=BB165_31 Depth=1
	s_delay_alu instid0(SALU_CYCLE_1)
	s_or_b32 exec_lo, exec_lo, s10
	s_branch .LBB165_60
.LBB165_82:                             ;   in Loop: Header=BB165_31 Depth=1
	global_load_u16 v3, v21, s[72:73]
	v_mov_b32_e32 v5, v21
	s_mov_b32 s81, s27
	v_mov_b64_e32 v[10:11], 0
	v_mov_b64_e32 v[12:13], 0
	;; [unrolled: 1-line block ×3, first 2 shown]
	s_mov_b32 s47, exec_lo
	s_wait_loadcnt 0x0
	v_readfirstlane_b32 s4, v3
	s_and_b32 s46, 0xffff, s4
	s_delay_alu instid0(SALU_CYCLE_1) | instskip(NEXT) | instid1(SALU_CYCLE_1)
	s_lshl_b32 s78, s46, 2
	s_cvt_f32_u32 s4, s78
	s_sub_co_i32 s7, 0, s78
	s_delay_alu instid0(SALU_CYCLE_2) | instskip(SKIP_1) | instid1(TRANS32_DEP_1)
	v_rcp_iflag_f32_e32 v4, s4
	v_nop
	v_readfirstlane_b32 s4, v4
	v_and_b32_e32 v4, 0xffff, v3
	s_mul_f32 s4, s4, 0x4f7ffffe
	s_delay_alu instid0(SALU_CYCLE_3) | instskip(NEXT) | instid1(SALU_CYCLE_3)
	s_cvt_u32_f32 s4, s4
	s_mul_i32 s7, s7, s4
	s_delay_alu instid0(SALU_CYCLE_1) | instskip(NEXT) | instid1(SALU_CYCLE_1)
	s_mul_hi_u32 s7, s4, s7
	s_add_co_i32 s4, s4, s7
	s_delay_alu instid0(SALU_CYCLE_1) | instskip(NEXT) | instid1(SALU_CYCLE_1)
	s_mul_hi_u32 s4, s76, s4
	s_mul_i32 s7, s4, s78
	s_add_co_i32 s8, s4, 1
	s_sub_co_i32 s7, s76, s7
	s_delay_alu instid0(SALU_CYCLE_1)
	s_sub_co_i32 s9, s7, s78
	s_cmp_ge_u32 s7, s78
	s_cselect_b32 s4, s8, s4
	s_cselect_b32 s7, s9, s7
	s_add_co_i32 s8, s4, 1
	s_cmp_ge_u32 s7, s78
	s_cselect_b32 s80, s8, s4
	s_delay_alu instid0(SALU_CYCLE_1) | instskip(NEXT) | instid1(VALU_DEP_1)
	v_mul_u64_e32 v[8:9], s[80:81], v[4:5]
	v_lshlrev_b64_e32 v[42:43], 2, v[8:9]
	v_mov_b64_e32 v[8:9], 0
	s_delay_alu instid0(VALU_DEP_2)
	v_cmpx_gt_u64_e64 v[42:43], v[22:23]
	s_cbranch_execz .LBB165_86
; %bb.83:                               ;   in Loop: Header=BB165_31 Depth=1
	v_mov_b64_e32 v[44:45], v[22:23]
	v_mov_b32_e32 v3, v57
	s_mov_b32 s79, s27
	s_lshl_b32 s56, s46, 5
	s_mov_b64 s[82:83], 0
	s_mov_b32 s57, 0
	s_mov_b64 s[84:85], 0
	s_mov_b64 s[86:87], 0
	;; [unrolled: 1-line block ×3, first 2 shown]
.LBB165_84:                             ;   Parent Loop BB165_31 Depth=1
                                        ; =>  This Inner Loop Header: Depth=2
	ds_load_b128 v[12:15], v3
	ds_load_b128 v[8:11], v3 offset:16
	v_dual_mov_b32 v47, v21 :: v_dual_mov_b32 v49, v21
	v_dual_mov_b32 v51, v21 :: v_dual_add_nc_u32 v3, s56, v3
	v_add_nc_u64_e32 v[44:45], s[78:79], v[44:45]
	s_delay_alu instid0(VALU_DEP_1)
	v_cmp_ge_u64_e32 vcc_lo, v[44:45], v[42:43]
	s_wait_dscnt 0x1
	v_xor_b32_e32 v13, 0x80000000, v13
	v_xor_b32_e32 v15, 0x80000000, v15
	s_wait_dscnt 0x0
	v_xor_b32_e32 v9, 0x80000000, v9
	v_and_b32_e32 v52, v12, v38
	v_xor_b32_e32 v11, 0x80000000, v11
	v_and_b32_e32 v53, v13, v39
	v_lshrrev_b64 v[12:13], s98, v[12:13]
	v_and_b32_e32 v54, v14, v38
	v_and_b32_e32 v55, v15, v39
	v_lshrrev_b64 v[14:15], s98, v[14:15]
	v_and_b32_e32 v62, v8, v38
	;; [unrolled: 3-line block ×4, first 2 shown]
	v_and_b32_e32 v46, 3, v14
	v_cmp_eq_u64_e64 s7, v[52:53], v[32:33]
	v_and_b32_e32 v48, 3, v8
	v_cmp_eq_u64_e64 s8, v[54:55], v[32:33]
	v_cmp_eq_u64_e64 s11, 0, v[20:21]
	v_and_b32_e32 v50, 3, v10
	v_cmp_eq_u64_e64 s12, 0, v[46:47]
	v_cmp_eq_u64_e64 s9, v[62:63], v[32:33]
	;; [unrolled: 1-line block ×5, first 2 shown]
	s_and_b32 s4, s7, s11
	v_cmp_eq_u64_e64 s15, 1, v[20:21]
	v_cndmask_b32_e64 v8, 0, 1, s4
	s_and_b32 s4, s8, s12
	v_cmp_eq_u64_e64 s16, 1, v[46:47]
	v_cndmask_b32_e64 v9, 0, 1, s4
	;; [unrolled: 3-line block ×12, first 2 shown]
	s_and_b32 s4, s7, s23
	v_cmp_ne_u32_e64 s7, 0, v8
	v_cndmask_b32_e64 v49, 0, 1, s4
	s_and_b32 s4, s8, s24
	v_cmp_ne_u32_e64 s8, 0, v9
	v_cndmask_b32_e64 v50, 0, 1, s4
	;; [unrolled: 3-line block ×3, first 2 shown]
	s_and_b32 s4, s10, s26
	v_cmp_ne_u32_e64 s10, 0, v11
	v_cmp_ne_u32_e64 s11, 0, v12
	;; [unrolled: 1-line block ×7, first 2 shown]
	v_cndmask_b32_e64 v52, 0, 1, s4
	s_bcnt1_i32_b32 s4, s7
	s_bcnt1_i32_b32 s7, s8
	v_cmp_ne_u32_e64 s17, 0, v47
	v_cmp_ne_u32_e64 s18, 0, v48
	;; [unrolled: 1-line block ×4, first 2 shown]
	s_bcnt1_i32_b32 s8, s9
	s_bcnt1_i32_b32 s9, s10
	;; [unrolled: 1-line block ×4, first 2 shown]
	s_add_co_i32 s4, s7, s4
	v_cmp_ne_u32_e64 s21, 0, v51
	s_bcnt1_i32_b32 s12, s13
	s_bcnt1_i32_b32 s13, s14
	;; [unrolled: 1-line block ×4, first 2 shown]
	s_add_co_i32 s7, s11, s10
	s_add_co_i32 s4, s4, s8
	v_cmp_ne_u32_e64 s22, 0, v52
	s_bcnt1_i32_b32 s16, s17
	s_bcnt1_i32_b32 s17, s18
	;; [unrolled: 1-line block ×4, first 2 shown]
	s_add_co_i32 s10, s15, s14
	s_add_co_i32 s7, s7, s12
	;; [unrolled: 1-line block ×3, first 2 shown]
	s_bcnt1_i32_b32 s20, s21
	s_add_co_i32 s11, s19, s18
	s_add_co_i32 s8, s10, s16
	s_add_nc_u64 s[88:89], s[88:89], s[26:27]
	s_add_co_i32 s26, s7, s13
	s_bcnt1_i32_b32 s21, s22
	s_add_co_i32 s10, s11, s20
	s_add_nc_u64 s[86:87], s[86:87], s[26:27]
	s_add_co_i32 s26, s8, s17
	v_mov_b64_e32 v[8:9], s[88:89]
	s_add_nc_u64 s[84:85], s[84:85], s[26:27]
	s_add_co_i32 s26, s10, s21
	v_mov_b64_e32 v[10:11], s[86:87]
	s_add_nc_u64 s[82:83], s[82:83], s[26:27]
	v_mov_b64_e32 v[12:13], s[84:85]
	v_mov_b64_e32 v[14:15], s[82:83]
	s_or_b32 s57, vcc_lo, s57
	s_delay_alu instid0(SALU_CYCLE_1)
	s_and_not1_b32 exec_lo, exec_lo, s57
	s_cbranch_execnz .LBB165_84
; %bb.85:                               ;   in Loop: Header=BB165_31 Depth=1
	s_or_b32 exec_lo, exec_lo, s57
.LBB165_86:                             ;   in Loop: Header=BB165_31 Depth=1
	s_delay_alu instid0(SALU_CYCLE_1) | instskip(SKIP_3) | instid1(VALU_DEP_1)
	s_or_b32 exec_lo, exec_lo, s47
	v_add_nc_u64_e32 v[42:43], v[42:43], v[0:1]
	s_and_b64 s[12:13], s[76:77], 0x7fffffff
	s_mov_b32 s14, exec_lo
	v_cmpx_gt_u64_e64 s[12:13], v[42:43]
	s_cbranch_execz .LBB165_90
; %bb.87:                               ;   in Loop: Header=BB165_31 Depth=1
	s_mul_i32 s4, s80, s46
	s_lshl_b32 s16, s46, 3
	v_lshl_add_u32 v3, s4, 5, v56
	s_mov_b32 s15, 0
.LBB165_88:                             ;   Parent Loop BB165_31 Depth=1
                                        ; =>  This Inner Loop Header: Depth=2
	ds_load_b64 v[44:45], v3
	v_add_nc_u64_e32 v[42:43], v[42:43], v[4:5]
	v_add_nc_u32_e32 v3, s16, v3
	s_delay_alu instid0(VALU_DEP_2) | instskip(SKIP_3) | instid1(VALU_DEP_2)
	v_cmp_le_u64_e32 vcc_lo, s[12:13], v[42:43]
	s_wait_dscnt 0x0
	v_xor_b32_e32 v45, 0x80000000, v45
	v_and_b32_e32 v46, v44, v38
	v_lshrrev_b64 v[48:49], s98, v[44:45]
	v_and_b32_e32 v47, v45, v39
	s_delay_alu instid0(VALU_DEP_1) | instskip(NEXT) | instid1(VALU_DEP_3)
	v_cmp_eq_u64_e64 s7, v[46:47], v[32:33]
	v_and_b32_e32 v20, 3, v48
	s_delay_alu instid0(VALU_DEP_1) | instskip(SKIP_4) | instid1(SALU_CYCLE_1)
	v_cmp_eq_u64_e64 s8, 0, v[20:21]
	v_cmp_eq_u64_e64 s9, 1, v[20:21]
	;; [unrolled: 1-line block ×4, first 2 shown]
	s_and_b32 s4, s7, s8
	v_cndmask_b32_e64 v20, 0, 1, s4
	s_and_b32 s4, s7, s9
	s_delay_alu instid0(SALU_CYCLE_1) | instskip(SKIP_1) | instid1(SALU_CYCLE_1)
	v_cndmask_b32_e64 v44, 0, 1, s4
	s_and_b32 s4, s7, s10
	v_cndmask_b32_e64 v45, 0, 1, s4
	s_and_b32 s4, s7, s11
	v_cmp_ne_u32_e64 s7, 0, v20
	v_cndmask_b32_e64 v46, 0, 1, s4
	v_cmp_ne_u32_e64 s8, 0, v44
	v_cmp_ne_u32_e64 s9, 0, v45
	s_bcnt1_i32_b32 s26, s7
	v_cmp_ne_u32_e64 s10, 0, v46
	v_add_nc_u64_e32 v[8:9], s[26:27], v[8:9]
	s_bcnt1_i32_b32 s26, s8
	s_delay_alu instid0(SALU_CYCLE_1) | instskip(SKIP_1) | instid1(SALU_CYCLE_1)
	v_add_nc_u64_e32 v[10:11], s[26:27], v[10:11]
	s_bcnt1_i32_b32 s26, s9
	v_add_nc_u64_e32 v[12:13], s[26:27], v[12:13]
	s_bcnt1_i32_b32 s26, s10
	s_or_b32 s15, vcc_lo, s15
	v_add_nc_u64_e32 v[14:15], s[26:27], v[14:15]
	s_and_not1_b32 exec_lo, exec_lo, s15
	s_cbranch_execnz .LBB165_88
; %bb.89:                               ;   in Loop: Header=BB165_31 Depth=1
	s_or_b32 exec_lo, exec_lo, s15
.LBB165_90:                             ;   in Loop: Header=BB165_31 Depth=1
	s_delay_alu instid0(SALU_CYCLE_1)
	s_or_b32 exec_lo, exec_lo, s14
	s_lshl_b32 s7, s102, 7
	s_and_saveexec_b32 s4, s2
	s_cbranch_execnz .LBB165_61
	s_branch .LBB165_62
.LBB165_91:                             ;   in Loop: Header=BB165_31 Depth=1
                                        ; implicit-def: $sgpr8_sgpr9
	s_branch .LBB165_70
.LBB165_92:                             ;   in Loop: Header=BB165_31 Depth=1
	s_mov_b32 s4, 0
	s_and_not1_b32 vcc_lo, exec_lo, s96
	s_cbranch_vccnz .LBB165_95
.LBB165_93:                             ;   in Loop: Header=BB165_31 Depth=1
	s_lshl_b32 s9, s102, 10
	s_lshl_b32 s4, s4, 5
	s_delay_alu instid0(SALU_CYCLE_1)
	v_add3_u32 v3, s9, s4, v60
	v_readlane_b32 s4, v74, 9
.LBB165_94:                             ;   Parent Loop BB165_31 Depth=1
                                        ; =>  This Inner Loop Header: Depth=2
	ds_load_b64 v[8:9], v3
	v_add_nc_u32_e32 v3, 32, v3
	s_add_co_i32 s4, s4, -1
	s_delay_alu instid0(SALU_CYCLE_1)
	s_cmp_lg_u32 s4, 0
	s_wait_dscnt 0x0
	v_add_nc_u64_e32 v[4:5], v[8:9], v[4:5]
	s_cbranch_scc1 .LBB165_94
.LBB165_95:                             ;   in Loop: Header=BB165_31 Depth=1
	v_add_lshl_u32 v3, s7, v17, 3
	ds_store_b64 v3, v[4:5] offset:3072
.LBB165_96:                             ;   in Loop: Header=BB165_31 Depth=1
	s_or_b32 exec_lo, exec_lo, s8
	s_lshl_b32 s4, s7, 3
	s_wait_dscnt 0x0
	v_mov_b32_e32 v3, s4
	s_barrier_signal -1
	s_barrier_wait -1
	v_cmp_eq_u64_e64 s7, 1, v[40:41]
	ds_load_b128 v[8:11], v3 offset:3072
	ds_load_b128 v[12:15], v3 offset:3088
	s_lshl_b64 s[12:13], 3, s98
	s_mov_b32 s81, -1
	s_not_b64 s[14:15], s[12:13]
	s_mov_b32 s76, 0
	s_and_not1_b32 vcc_lo, exec_lo, s91
	s_mov_b32 s78, 0
	s_mov_b32 s77, 0
                                        ; implicit-def: $sgpr79
                                        ; implicit-def: $sgpr80
                                        ; implicit-def: $vgpr42_vgpr43
                                        ; implicit-def: $vgpr20
	s_wait_dscnt 0x1
	v_readfirstlane_b32 s11, v9
	v_readfirstlane_b32 s10, v8
	;; [unrolled: 1-line block ×4, first 2 shown]
	s_wait_dscnt 0x0
	v_readfirstlane_b32 s19, v13
	v_readfirstlane_b32 s18, v12
	;; [unrolled: 1-line block ×4, first 2 shown]
                                        ; implicit-def: $vgpr14_vgpr15
                                        ; implicit-def: $vgpr12_vgpr13
                                        ; implicit-def: $vgpr10_vgpr11
	s_cbranch_vccnz .LBB165_291
; %bb.97:                               ;   in Loop: Header=BB165_31 Depth=1
	v_mov_b64_e32 v[14:15], v[32:33]
	v_mov_b64_e32 v[12:13], v[38:39]
	v_mov_b64_e32 v[10:11], v[6:7]
	s_cmp_eq_u64 s[10:11], 1
                                        ; implicit-def: $sgpr80
                                        ; implicit-def: $sgpr79
	s_cselect_b32 s4, -1, 0
	s_delay_alu instid0(SALU_CYCLE_1)
	s_and_b32 s83, s4, s7
	s_mov_b32 s4, -1
	s_and_saveexec_b32 s56, s83
	s_cbranch_execz .LBB165_132
; %bb.98:                               ;   in Loop: Header=BB165_31 Depth=1
	ds_load_b64 v[4:5], v21 offset:5120
	s_wait_dscnt 0x0
	s_barrier_signal -1
	s_barrier_wait -1
	v_readfirstlane_b32 s8, v4
	v_readfirstlane_b32 s9, v5
	s_and_saveexec_b32 s4, s6
; %bb.99:                               ;   in Loop: Header=BB165_31 Depth=1
	ds_store_b64 v58, v[36:37]
; %bb.100:                              ;   in Loop: Header=BB165_31 Depth=1
	s_or_b32 exec_lo, exec_lo, s4
	v_and_b32_e32 v15, s15, v33
	v_and_b32_e32 v14, s14, v32
	v_or_b32_e32 v13, s13, v39
	v_or_b32_e32 v12, s12, v38
	s_mov_b32 s79, -1
	s_mov_b32 s80, 0
	s_cmp_eq_u64 s[8:9], 0
	s_mov_b32 s24, 0
	s_mov_b32 s25, -1
	s_wait_dscnt 0x0
	s_barrier_signal -1
	s_barrier_wait -1
                                        ; implicit-def: $vgpr10_vgpr11
	s_cbranch_scc1 .LBB165_117
; %bb.101:                              ;   in Loop: Header=BB165_31 Depth=1
	s_add_nc_u64 s[22:23], s[8:9], s[62:63]
	s_delay_alu instid0(SALU_CYCLE_1) | instskip(NEXT) | instid1(SALU_CYCLE_1)
	s_and_b64 s[24:25], s[22:23], 0xffffffff00000000
	s_cmp_lg_u64 s[24:25], 0
	s_cbranch_scc0 .LBB165_158
; %bb.102:                              ;   in Loop: Header=BB165_31 Depth=1
	s_cvt_f32_u32 s4, s34
	s_sub_nc_u64 s[46:47], 0, s[34:35]
	s_delay_alu instid0(SALU_CYCLE_2) | instskip(NEXT) | instid1(SALU_CYCLE_3)
	s_fmamk_f32 s4, s100, 0x0, s4
	v_s_rcp_f32 s4, s4
	s_delay_alu instid0(TRANS32_DEP_1) | instskip(NEXT) | instid1(SALU_CYCLE_3)
	s_mul_f32 s4, s4, 0x5f7ffffc
	s_mul_f32 s24, s4, 0x2f800000
	s_delay_alu instid0(SALU_CYCLE_3) | instskip(NEXT) | instid1(SALU_CYCLE_3)
	s_trunc_f32 s24, s24
	s_fmamk_f32 s4, s24, 0xcf800000, s4
	s_cvt_u32_f32 s25, s24
	s_delay_alu instid0(SALU_CYCLE_2) | instskip(NEXT) | instid1(SALU_CYCLE_3)
	s_cvt_u32_f32 s24, s4
	s_mul_u64 s[66:67], s[46:47], s[24:25]
	s_delay_alu instid0(SALU_CYCLE_1)
	s_mul_hi_u32 s71, s24, s67
	s_mul_i32 s70, s24, s67
	s_mul_hi_u32 s26, s24, s66
	s_mul_i32 s57, s25, s66
	s_add_nc_u64 s[70:71], s[26:27], s[70:71]
	s_mul_hi_u32 s4, s25, s66
	s_mul_hi_u32 s77, s25, s67
	s_add_co_u32 s26, s70, s57
	s_add_co_ci_u32 s26, s71, s4
	s_mul_i32 s66, s25, s67
	s_add_co_ci_u32 s67, s77, 0
	s_delay_alu instid0(SALU_CYCLE_1) | instskip(NEXT) | instid1(SALU_CYCLE_1)
	s_add_nc_u64 s[66:67], s[26:27], s[66:67]
	s_add_co_u32 s24, s24, s66
	s_cselect_b32 s4, -1, 0
	s_delay_alu instid0(SALU_CYCLE_1) | instskip(SKIP_1) | instid1(SALU_CYCLE_1)
	s_cmp_lg_u32 s4, 0
	s_add_co_ci_u32 s25, s25, s67
	s_mul_u64 s[46:47], s[46:47], s[24:25]
	s_delay_alu instid0(SALU_CYCLE_1)
	s_mul_hi_u32 s67, s24, s47
	s_mul_i32 s66, s24, s47
	s_mul_hi_u32 s26, s24, s46
	s_mul_i32 s57, s25, s46
	s_add_nc_u64 s[66:67], s[26:27], s[66:67]
	s_mul_hi_u32 s4, s25, s46
	s_mul_hi_u32 s70, s25, s47
	s_add_co_u32 s26, s66, s57
	s_add_co_ci_u32 s26, s67, s4
	s_mul_i32 s46, s25, s47
	s_add_co_ci_u32 s47, s70, 0
	s_delay_alu instid0(SALU_CYCLE_1) | instskip(NEXT) | instid1(SALU_CYCLE_1)
	s_add_nc_u64 s[46:47], s[26:27], s[46:47]
	s_add_co_u32 s4, s24, s46
	s_cselect_b32 s24, -1, 0
	s_mul_hi_u32 s26, s22, s4
	s_cmp_lg_u32 s24, 0
	s_mul_hi_u32 s57, s23, s4
	s_add_co_ci_u32 s46, s25, s47
	s_mul_i32 s4, s23, s4
	s_mul_hi_u32 s25, s22, s46
	s_mul_i32 s24, s22, s46
	s_mul_hi_u32 s47, s23, s46
	s_add_nc_u64 s[24:25], s[26:27], s[24:25]
	s_mul_i32 s46, s23, s46
	s_add_co_u32 s4, s24, s4
	s_add_co_ci_u32 s26, s25, s57
	s_add_co_ci_u32 s47, s47, 0
	s_delay_alu instid0(SALU_CYCLE_1) | instskip(NEXT) | instid1(SALU_CYCLE_1)
	s_add_nc_u64 s[24:25], s[26:27], s[46:47]
	s_and_b64 s[46:47], s[24:25], 0xffffffff00000000
	s_delay_alu instid0(SALU_CYCLE_1) | instskip(NEXT) | instid1(SALU_CYCLE_1)
	s_or_b32 s46, s46, s24
	s_mul_u64 s[24:25], s[34:35], s[46:47]
	s_delay_alu instid0(SALU_CYCLE_1) | instskip(SKIP_1) | instid1(SALU_CYCLE_1)
	s_sub_co_u32 s4, s22, s24
	s_cselect_b32 s24, -1, 0
	s_cmp_lg_u32 s24, 0
	s_sub_co_ci_u32 s24, s23, s25
	s_sub_co_u32 s25, s4, s34
	s_cselect_b32 s26, -1, 0
	s_delay_alu instid0(SALU_CYCLE_1) | instskip(SKIP_3) | instid1(SALU_CYCLE_1)
	s_cmp_lg_u32 s26, 0
	s_sub_co_ci_u32 s26, s24, 0
	s_sub_co_u32 s46, s25, s34
	s_cselect_b32 s47, -1, 0
	s_cmp_lg_u32 s47, 0
	s_sub_co_ci_u32 s47, s26, 0
	s_cmp_ge_u32 s25, s34
	s_cselect_b32 s57, -1, 0
	s_cmp_eq_u32 s26, 0
	s_cselect_b32 s57, s57, -1
	s_delay_alu instid0(SALU_CYCLE_1)
	s_cmp_lg_u32 s57, 0
	s_cselect_b32 s26, s47, s26
	s_cselect_b32 s46, s46, s25
	s_cmp_ge_u32 s4, s34
	s_cselect_b32 s25, -1, 0
	s_cmp_eq_u32 s24, 0
	s_cselect_b32 s25, s25, -1
	s_delay_alu instid0(SALU_CYCLE_1)
	s_cmp_lg_u32 s25, 0
	s_cselect_b32 s25, s26, s24
	s_cselect_b32 s24, s46, s4
	s_cbranch_execnz .LBB165_104
.LBB165_103:                            ;   in Loop: Header=BB165_31 Depth=1
	v_cvt_f32_u32_e32 v3, s34
	s_sub_co_i32 s24, 0, s34
	s_delay_alu instid0(VALU_DEP_1) | instskip(SKIP_1) | instid1(TRANS32_DEP_1)
	v_rcp_iflag_f32_e32 v3, v3
	v_nop
	v_mul_f32_e32 v3, 0x4f7ffffe, v3
	s_delay_alu instid0(VALU_DEP_1) | instskip(NEXT) | instid1(VALU_DEP_1)
	v_cvt_u32_f32_e32 v3, v3
	v_readfirstlane_b32 s4, v3
	s_mul_i32 s24, s24, s4
	s_delay_alu instid0(SALU_CYCLE_1) | instskip(NEXT) | instid1(SALU_CYCLE_1)
	s_mul_hi_u32 s24, s4, s24
	s_add_co_i32 s4, s4, s24
	s_delay_alu instid0(SALU_CYCLE_1) | instskip(NEXT) | instid1(SALU_CYCLE_1)
	s_mul_hi_u32 s4, s22, s4
	s_mul_i32 s4, s4, s34
	s_delay_alu instid0(SALU_CYCLE_1) | instskip(NEXT) | instid1(SALU_CYCLE_1)
	s_sub_co_i32 s4, s22, s4
	s_sub_co_i32 s24, s4, s34
	s_cmp_ge_u32 s4, s34
	s_cselect_b32 s4, s24, s4
	s_delay_alu instid0(SALU_CYCLE_1) | instskip(SKIP_2) | instid1(SALU_CYCLE_1)
	s_sub_co_i32 s24, s4, s34
	s_cmp_ge_u32 s4, s34
	s_cselect_b32 s26, s24, s4
	s_mov_b64 s[24:25], s[26:27]
.LBB165_104:                            ;   in Loop: Header=BB165_31 Depth=1
	s_delay_alu instid0(SALU_CYCLE_1)
	s_sub_nc_u64 s[22:23], s[22:23], s[24:25]
	s_mov_b32 s25, 0
	s_mov_b32 s24, 0
	s_mov_b32 s26, exec_lo
                                        ; implicit-def: $vgpr10_vgpr11
	v_cmpx_gt_u64_e64 s[22:23], v[0:1]
	s_cbranch_execz .LBB165_116
; %bb.105:                              ;   in Loop: Header=BB165_31 Depth=1
	v_mov_b64_e32 v[42:43], v[0:1]
	v_mov_b32_e32 v20, v56
                                        ; implicit-def: $sgpr4
	s_branch .LBB165_108
.LBB165_106:                            ;   in Loop: Header=BB165_108 Depth=2
	s_or_b32 exec_lo, exec_lo, s46
	s_wait_dscnt 0x0
	s_barrier_signal -1
	s_barrier_wait -1
	ds_load_b128 v[8:11], v21 offset:3072
	s_mov_b32 s46, -1
	s_mov_b32 s47, -1
	s_wait_dscnt 0x0
	s_barrier_signal -1
	s_barrier_wait -1
	v_cmp_ne_u64_e32 vcc_lo, 0, v[8:9]
	s_cbranch_vccz .LBB165_111
.LBB165_107:                            ;   in Loop: Header=BB165_108 Depth=2
	s_and_b32 s46, exec_lo, s46
	s_delay_alu instid0(SALU_CYCLE_1) | instskip(SKIP_2) | instid1(SALU_CYCLE_1)
	s_or_b32 s24, s46, s24
	s_and_not1_b32 s4, s4, exec_lo
	s_and_b32 s46, s47, exec_lo
	s_or_b32 s4, s4, s46
	s_and_not1_b32 exec_lo, exec_lo, s24
	s_cbranch_execz .LBB165_115
.LBB165_108:                            ;   Parent Loop BB165_31 Depth=1
                                        ; =>  This Inner Loop Header: Depth=2
	s_mov_b32 s46, exec_lo
	s_delay_alu instid0(VALU_DEP_2)
	v_cmpx_gt_u64_e64 s[8:9], v[42:43]
	s_cbranch_execz .LBB165_106
; %bb.109:                              ;   in Loop: Header=BB165_108 Depth=2
	ds_load_b64 v[4:5], v20
	s_wait_dscnt 0x0
	v_xor_b32_e32 v3, 0x80000000, v5
	v_and_b32_e32 v8, v4, v12
	s_delay_alu instid0(VALU_DEP_2) | instskip(NEXT) | instid1(VALU_DEP_1)
	v_and_b32_e32 v9, v3, v13
	v_cmp_eq_u64_e32 vcc_lo, v[8:9], v[14:15]
	s_and_b32 exec_lo, exec_lo, vcc_lo
	s_cbranch_execz .LBB165_106
; %bb.110:                              ;   in Loop: Header=BB165_108 Depth=2
	v_mov_b32_e32 v3, v21
	ds_store_b128 v21, v[2:5] offset:3072
	s_branch .LBB165_106
.LBB165_111:                            ;   in Loop: Header=BB165_108 Depth=2
	v_add_nc_u64_e32 v[42:43], s[34:35], v[42:43]
	v_add_nc_u32_e32 v20, s97, v20
	s_mov_b32 s47, 0
	s_delay_alu instid0(VALU_DEP_2)
	v_cmp_le_u64_e32 vcc_lo, s[22:23], v[42:43]
	s_or_not1_b32 s46, vcc_lo, exec_lo
	s_branch .LBB165_107
.LBB165_112:                            ;   in Loop: Header=BB165_31 Depth=1
	s_or_b32 exec_lo, exec_lo, s10
	s_wait_dscnt 0x0
	s_barrier_signal -1
	s_barrier_wait -1
	s_and_saveexec_b32 s4, s5
	s_cbranch_execz .LBB165_114
; %bb.113:                              ;   in Loop: Header=BB165_31 Depth=1
	ds_load_b32 v4, v21 offset:5144
	s_wait_dscnt 0x0
	v_ashrrev_i32_e32 v5, 31, v4
	ds_store_b64 v21, v[4:5] offset:5120
.LBB165_114:                            ;   in Loop: Header=BB165_31 Depth=1
	s_or_b32 exec_lo, exec_lo, s4
	s_wait_dscnt 0x0
	s_barrier_signal -1
	s_mov_b32 s4, -1
	s_barrier_wait -1
	s_and_b32 vcc_lo, exec_lo, s9
	s_cbranch_vccnz .LBB165_47
	s_branch .LBB165_56
.LBB165_115:                            ;   in Loop: Header=BB165_31 Depth=1
	s_or_b32 exec_lo, exec_lo, s24
	s_delay_alu instid0(SALU_CYCLE_1)
	s_and_b32 s24, s4, exec_lo
.LBB165_116:                            ;   in Loop: Header=BB165_31 Depth=1
	s_or_b32 exec_lo, exec_lo, s26
.LBB165_117:                            ;   in Loop: Header=BB165_31 Depth=1
	s_delay_alu instid0(SALU_CYCLE_1)
	s_and_b32 vcc_lo, exec_lo, s25
	s_cbranch_vccz .LBB165_131
; %bb.118:                              ;   in Loop: Header=BB165_31 Depth=1
	s_and_b64 s[8:9], s[64:65], 0xffffffff00000000
	s_delay_alu instid0(SALU_CYCLE_1)
	s_cmp_lg_u64 s[8:9], 0
	s_cbranch_scc0 .LBB165_159
; %bb.119:                              ;   in Loop: Header=BB165_31 Depth=1
	s_cvt_f32_u32 s4, s34
	s_sub_nc_u64 s[22:23], 0, s[34:35]
	s_delay_alu instid0(SALU_CYCLE_2) | instskip(NEXT) | instid1(SALU_CYCLE_3)
	s_fmamk_f32 s4, s100, 0x0, s4
	v_s_rcp_f32 s4, s4
	s_delay_alu instid0(TRANS32_DEP_1) | instskip(NEXT) | instid1(SALU_CYCLE_3)
	s_mul_f32 s4, s4, 0x5f7ffffc
	s_mul_f32 s8, s4, 0x2f800000
	s_delay_alu instid0(SALU_CYCLE_3) | instskip(NEXT) | instid1(SALU_CYCLE_3)
	s_trunc_f32 s8, s8
	s_fmamk_f32 s4, s8, 0xcf800000, s4
	s_cvt_u32_f32 s9, s8
	s_delay_alu instid0(SALU_CYCLE_2) | instskip(NEXT) | instid1(SALU_CYCLE_3)
	s_cvt_u32_f32 s8, s4
	s_mul_u64 s[46:47], s[22:23], s[8:9]
	s_delay_alu instid0(SALU_CYCLE_1)
	s_mul_hi_u32 s67, s8, s47
	s_mul_i32 s66, s8, s47
	s_mul_hi_u32 s26, s8, s46
	s_mul_i32 s25, s9, s46
	s_add_nc_u64 s[66:67], s[26:27], s[66:67]
	s_mul_hi_u32 s4, s9, s46
	s_mul_hi_u32 s57, s9, s47
	s_add_co_u32 s25, s66, s25
	s_add_co_ci_u32 s26, s67, s4
	s_mul_i32 s46, s9, s47
	s_add_co_ci_u32 s47, s57, 0
	s_delay_alu instid0(SALU_CYCLE_1) | instskip(NEXT) | instid1(SALU_CYCLE_1)
	s_add_nc_u64 s[46:47], s[26:27], s[46:47]
	s_add_co_u32 s8, s8, s46
	s_cselect_b32 s4, -1, 0
	s_delay_alu instid0(SALU_CYCLE_1) | instskip(SKIP_1) | instid1(SALU_CYCLE_1)
	s_cmp_lg_u32 s4, 0
	s_add_co_ci_u32 s9, s9, s47
	s_mul_u64 s[22:23], s[22:23], s[8:9]
	s_delay_alu instid0(SALU_CYCLE_1)
	s_mul_hi_u32 s47, s8, s23
	s_mul_i32 s46, s8, s23
	s_mul_hi_u32 s26, s8, s22
	s_mul_i32 s25, s9, s22
	s_add_nc_u64 s[46:47], s[26:27], s[46:47]
	s_mul_hi_u32 s4, s9, s22
	s_mul_hi_u32 s57, s9, s23
	s_mul_i32 s22, s9, s23
	s_add_co_u32 s23, s46, s25
	s_add_co_ci_u32 s26, s47, s4
	s_add_co_ci_u32 s23, s57, 0
	s_delay_alu instid0(SALU_CYCLE_1) | instskip(NEXT) | instid1(SALU_CYCLE_1)
	s_add_nc_u64 s[22:23], s[26:27], s[22:23]
	s_add_co_u32 s4, s8, s22
	s_cselect_b32 s8, -1, 0
	s_mul_hi_u32 s26, s64, s4
	s_cmp_lg_u32 s8, 0
	s_mul_hi_u32 s25, s65, s4
	s_add_co_ci_u32 s22, s9, s23
	s_mul_i32 s4, s65, s4
	s_mul_hi_u32 s9, s64, s22
	s_mul_i32 s8, s64, s22
	s_mul_hi_u32 s23, s65, s22
	s_add_nc_u64 s[8:9], s[26:27], s[8:9]
	s_mul_i32 s22, s65, s22
	s_add_co_u32 s4, s8, s4
	s_add_co_ci_u32 s26, s9, s25
	s_add_co_ci_u32 s23, s23, 0
	s_delay_alu instid0(SALU_CYCLE_1) | instskip(NEXT) | instid1(SALU_CYCLE_1)
	s_add_nc_u64 s[8:9], s[26:27], s[22:23]
	s_and_b64 s[22:23], s[8:9], 0xffffffff00000000
	s_delay_alu instid0(SALU_CYCLE_1) | instskip(NEXT) | instid1(SALU_CYCLE_1)
	s_or_b32 s22, s22, s8
	s_mul_u64 s[8:9], s[34:35], s[22:23]
	s_delay_alu instid0(SALU_CYCLE_1) | instskip(SKIP_1) | instid1(SALU_CYCLE_1)
	s_sub_co_u32 s4, s64, s8
	s_cselect_b32 s8, -1, 0
	s_cmp_lg_u32 s8, 0
	s_sub_co_ci_u32 s8, s65, s9
	s_sub_co_u32 s9, s4, s34
	s_cselect_b32 s22, -1, 0
	s_delay_alu instid0(SALU_CYCLE_1) | instskip(SKIP_3) | instid1(SALU_CYCLE_1)
	s_cmp_lg_u32 s22, 0
	s_sub_co_ci_u32 s22, s8, 0
	s_sub_co_u32 s23, s9, s34
	s_cselect_b32 s25, -1, 0
	s_cmp_lg_u32 s25, 0
	s_sub_co_ci_u32 s25, s22, 0
	s_cmp_ge_u32 s9, s34
	s_cselect_b32 s26, -1, 0
	s_cmp_eq_u32 s22, 0
	s_cselect_b32 s26, s26, -1
	s_delay_alu instid0(SALU_CYCLE_1)
	s_cmp_lg_u32 s26, 0
	s_cselect_b32 s22, s25, s22
	s_cselect_b32 s23, s23, s9
	s_cmp_ge_u32 s4, s34
	s_cselect_b32 s9, -1, 0
	s_cmp_eq_u32 s8, 0
	s_cselect_b32 s9, s9, -1
	s_delay_alu instid0(SALU_CYCLE_1)
	s_cmp_lg_u32 s9, 0
	s_cselect_b32 s9, s22, s8
	s_cselect_b32 s8, s23, s4
	s_cbranch_execnz .LBB165_121
.LBB165_120:                            ;   in Loop: Header=BB165_31 Depth=1
	v_cvt_f32_u32_e32 v3, s34
	s_sub_co_i32 s8, 0, s34
	s_delay_alu instid0(VALU_DEP_1) | instskip(SKIP_1) | instid1(TRANS32_DEP_1)
	v_rcp_iflag_f32_e32 v3, v3
	v_nop
	v_mul_f32_e32 v3, 0x4f7ffffe, v3
	s_delay_alu instid0(VALU_DEP_1) | instskip(NEXT) | instid1(VALU_DEP_1)
	v_cvt_u32_f32_e32 v3, v3
	v_readfirstlane_b32 s4, v3
	s_mul_i32 s8, s8, s4
	s_delay_alu instid0(SALU_CYCLE_1) | instskip(NEXT) | instid1(SALU_CYCLE_1)
	s_mul_hi_u32 s8, s4, s8
	s_add_co_i32 s4, s4, s8
	s_delay_alu instid0(SALU_CYCLE_1) | instskip(NEXT) | instid1(SALU_CYCLE_1)
	s_mul_hi_u32 s4, s64, s4
	s_mul_i32 s4, s4, s34
	s_delay_alu instid0(SALU_CYCLE_1) | instskip(NEXT) | instid1(SALU_CYCLE_1)
	s_sub_co_i32 s4, s64, s4
	s_sub_co_i32 s8, s4, s34
	s_cmp_ge_u32 s4, s34
	s_cselect_b32 s4, s8, s4
	s_delay_alu instid0(SALU_CYCLE_1) | instskip(SKIP_2) | instid1(SALU_CYCLE_1)
	s_sub_co_i32 s8, s4, s34
	s_cmp_ge_u32 s4, s34
	s_cselect_b32 s26, s8, s4
	s_mov_b64 s[8:9], s[26:27]
.LBB165_121:                            ;   in Loop: Header=BB165_31 Depth=1
	s_delay_alu instid0(SALU_CYCLE_1)
	s_sub_nc_u64 s[8:9], s[64:65], s[8:9]
	s_mov_b32 s22, exec_lo
                                        ; implicit-def: $vgpr10_vgpr11
	v_cmpx_gt_u64_e64 s[8:9], v[0:1]
	s_cbranch_execz .LBB165_130
; %bb.122:                              ;   in Loop: Header=BB165_31 Depth=1
	v_mov_b64_e32 v[42:43], v[34:35]
	v_mov_b64_e32 v[44:45], v[0:1]
	s_mov_b32 s25, 0
                                        ; implicit-def: $sgpr23
	s_branch .LBB165_125
.LBB165_123:                            ;   in Loop: Header=BB165_125 Depth=2
	s_or_b32 exec_lo, exec_lo, s4
	s_wait_dscnt 0x0
	s_barrier_signal -1
	s_barrier_wait -1
	ds_load_b128 v[8:11], v21 offset:3072
	s_mov_b32 s4, -1
	s_mov_b32 s26, -1
	s_wait_dscnt 0x0
	s_barrier_signal -1
	s_barrier_wait -1
	v_cmp_ne_u64_e32 vcc_lo, 0, v[8:9]
	s_cbranch_vccz .LBB165_128
.LBB165_124:                            ;   in Loop: Header=BB165_125 Depth=2
	s_and_b32 s4, exec_lo, s4
	s_delay_alu instid0(SALU_CYCLE_1) | instskip(SKIP_2) | instid1(SALU_CYCLE_1)
	s_or_b32 s25, s4, s25
	s_and_not1_b32 s4, s23, exec_lo
	s_and_b32 s23, s26, exec_lo
	s_or_b32 s23, s4, s23
	s_and_not1_b32 exec_lo, exec_lo, s25
	s_cbranch_execz .LBB165_129
.LBB165_125:                            ;   Parent Loop BB165_31 Depth=1
                                        ; =>  This Inner Loop Header: Depth=2
	s_mov_b32 s4, exec_lo
	s_delay_alu instid0(VALU_DEP_1)
	v_cmpx_gt_u64_e64 s[36:37], v[44:45]
	s_cbranch_execz .LBB165_123
; %bb.126:                              ;   in Loop: Header=BB165_125 Depth=2
	global_load_b64 v[4:5], v[42:43], off
	s_wait_loadcnt 0x0
	v_xor_b32_e32 v3, 0x80000000, v5
	v_and_b32_e32 v8, v4, v12
	s_delay_alu instid0(VALU_DEP_2) | instskip(NEXT) | instid1(VALU_DEP_1)
	v_and_b32_e32 v9, v3, v13
	v_cmp_eq_u64_e32 vcc_lo, v[8:9], v[14:15]
	s_and_b32 exec_lo, exec_lo, vcc_lo
	s_cbranch_execz .LBB165_123
; %bb.127:                              ;   in Loop: Header=BB165_125 Depth=2
	v_mov_b32_e32 v3, v21
	ds_store_b128 v21, v[2:5] offset:3072
	s_branch .LBB165_123
.LBB165_128:                            ;   in Loop: Header=BB165_125 Depth=2
	v_add_nc_u64_e32 v[44:45], s[34:35], v[44:45]
	v_add_nc_u64_e32 v[42:43], s[42:43], v[42:43]
	s_mov_b32 s26, 0
	s_delay_alu instid0(VALU_DEP_2)
	v_cmp_le_u64_e32 vcc_lo, s[8:9], v[44:45]
	s_or_not1_b32 s4, vcc_lo, exec_lo
	s_branch .LBB165_124
.LBB165_129:                            ;   in Loop: Header=BB165_31 Depth=1
	s_or_b32 exec_lo, exec_lo, s25
	s_delay_alu instid0(SALU_CYCLE_1) | instskip(SKIP_1) | instid1(SALU_CYCLE_1)
	s_and_not1_b32 s4, s24, exec_lo
	s_and_b32 s8, s23, exec_lo
	s_or_b32 s24, s4, s8
.LBB165_130:                            ;   in Loop: Header=BB165_31 Depth=1
	s_or_b32 exec_lo, exec_lo, s22
	s_mov_b32 s79, 0
	s_mov_b32 s80, -1
.LBB165_131:                            ;   in Loop: Header=BB165_31 Depth=1
	s_or_not1_b32 s4, s24, exec_lo
.LBB165_132:                            ;   in Loop: Header=BB165_31 Depth=1
	s_or_b32 exec_lo, exec_lo, s56
	s_mov_b32 s81, 0
	s_mov_b32 s78, 0
	;; [unrolled: 1-line block ×3, first 2 shown]
                                        ; implicit-def: $vgpr42_vgpr43
                                        ; implicit-def: $vgpr20
	s_and_saveexec_b32 s82, s4
	s_cbranch_execz .LBB165_290
; %bb.133:                              ;   in Loop: Header=BB165_31 Depth=1
	v_mov_b64_e32 v[42:43], 1
	v_mov_b32_e32 v20, 1
	s_xor_b32 s4, s83, -1
	s_mov_b32 s9, 0
	s_and_saveexec_b32 s8, s4
	s_cbranch_execz .LBB165_142
; %bb.134:                              ;   in Loop: Header=BB165_31 Depth=1
	s_mov_b32 s4, exec_lo
	v_cmpx_ge_u64_e64 s[10:11], v[40:41]
	s_xor_b32 s4, exec_lo, s4
	s_cbranch_execz .LBB165_139
; %bb.135:                              ;   in Loop: Header=BB165_31 Depth=1
	ds_load_b64 v[4:5], v21 offset:5120
	v_and_b32_e32 v15, s15, v15
	v_and_b32_e32 v14, s14, v14
	v_or_b32_e32 v13, s13, v13
	v_or_b32_e32 v12, s12, v12
	s_wait_dscnt 0x0
	v_cmp_ne_u64_e32 vcc_lo, 0, v[4:5]
	s_cbranch_vccnz .LBB165_139
; %bb.136:                              ;   in Loop: Header=BB165_31 Depth=1
	s_and_saveexec_b32 s9, s5
; %bb.137:                              ;   in Loop: Header=BB165_31 Depth=1
	v_mov_b64_e32 v[4:5], s[10:11]
	ds_store_b64 v21, v[4:5] offset:5128
; %bb.138:                              ;   in Loop: Header=BB165_31 Depth=1
	s_or_b32 exec_lo, exec_lo, s9
	s_wait_dscnt 0x0
	s_barrier_signal -1
	s_barrier_wait -1
.LBB165_139:                            ;   in Loop: Header=BB165_31 Depth=1
	s_or_saveexec_b32 s4, s4
	v_mov_b64_e32 v[42:43], v[40:41]
	v_mov_b32_e32 v20, 8
	s_mov_b32 s9, 0
	s_xor_b32 exec_lo, exec_lo, s4
; %bb.140:                              ;   in Loop: Header=BB165_31 Depth=1
	v_sub_nc_u64_e64 v[42:43], v[40:41], s[10:11]
	v_mov_b32_e32 v20, 0
	s_mov_b32 s9, exec_lo
; %bb.141:                              ;   in Loop: Header=BB165_31 Depth=1
	s_or_b32 exec_lo, exec_lo, s4
	s_delay_alu instid0(SALU_CYCLE_1)
	s_and_b32 s9, s9, exec_lo
.LBB165_142:                            ;   in Loop: Header=BB165_31 Depth=1
	s_or_b32 exec_lo, exec_lo, s8
	s_mov_b32 s4, -1
                                        ; implicit-def: $sgpr78
                                        ; implicit-def: $sgpr83
	s_and_saveexec_b32 s8, s9
	s_delay_alu instid0(SALU_CYCLE_1)
	s_xor_b32 s77, exec_lo, s8
	s_cbranch_execz .LBB165_287
; %bb.143:                              ;   in Loop: Header=BB165_31 Depth=1
	v_cmp_eq_u64_e32 vcc_lo, 1, v[42:43]
	s_cmp_eq_u64 s[16:17], 1
                                        ; implicit-def: $sgpr83
                                        ; implicit-def: $sgpr78
	s_cselect_b32 s4, -1, 0
	s_delay_alu instid0(SALU_CYCLE_1)
	s_and_b32 s85, s4, vcc_lo
	s_mov_b32 s4, -1
	s_and_saveexec_b32 s56, s85
	s_cbranch_execz .LBB165_177
; %bb.144:                              ;   in Loop: Header=BB165_31 Depth=1
	ds_load_b64 v[4:5], v21 offset:5120
	s_wait_dscnt 0x0
	s_barrier_signal -1
	s_barrier_wait -1
	v_readfirstlane_b32 s8, v4
	v_readfirstlane_b32 s9, v5
	s_and_saveexec_b32 s4, s6
; %bb.145:                              ;   in Loop: Header=BB165_31 Depth=1
	ds_store_b64 v58, v[36:37]
; %bb.146:                              ;   in Loop: Header=BB165_31 Depth=1
	s_or_b32 exec_lo, exec_lo, s4
	v_and_b32_e32 v3, s15, v15
	v_and_b32_e32 v4, s14, v14
	s_lshl_b64 s[22:23], 1, s98
	v_or_b32_e32 v13, s13, v13
	v_or_b32_e32 v12, s12, v12
	;; [unrolled: 1-line block ×4, first 2 shown]
	s_mov_b32 s78, -1
	s_mov_b32 s83, 0
	s_cmp_eq_u64 s[8:9], 0
	s_mov_b32 s24, 0
	s_mov_b32 s25, -1
	s_wait_dscnt 0x0
	s_barrier_signal -1
	s_barrier_wait -1
                                        ; implicit-def: $vgpr10_vgpr11
	s_cbranch_scc1 .LBB165_162
; %bb.147:                              ;   in Loop: Header=BB165_31 Depth=1
	s_add_nc_u64 s[22:23], s[8:9], s[62:63]
	s_delay_alu instid0(SALU_CYCLE_1) | instskip(NEXT) | instid1(SALU_CYCLE_1)
	s_and_b64 s[24:25], s[22:23], 0xffffffff00000000
	s_cmp_lg_u64 s[24:25], 0
	s_cbranch_scc0 .LBB165_203
; %bb.148:                              ;   in Loop: Header=BB165_31 Depth=1
	s_cvt_f32_u32 s4, s34
	s_sub_nc_u64 s[46:47], 0, s[34:35]
	s_delay_alu instid0(SALU_CYCLE_2) | instskip(NEXT) | instid1(SALU_CYCLE_3)
	s_fmamk_f32 s4, s100, 0x0, s4
	v_s_rcp_f32 s4, s4
	s_delay_alu instid0(TRANS32_DEP_1) | instskip(NEXT) | instid1(SALU_CYCLE_3)
	s_mul_f32 s4, s4, 0x5f7ffffc
	s_mul_f32 s24, s4, 0x2f800000
	s_delay_alu instid0(SALU_CYCLE_3) | instskip(NEXT) | instid1(SALU_CYCLE_3)
	s_trunc_f32 s24, s24
	s_fmamk_f32 s4, s24, 0xcf800000, s4
	s_cvt_u32_f32 s25, s24
	s_delay_alu instid0(SALU_CYCLE_2) | instskip(NEXT) | instid1(SALU_CYCLE_3)
	s_cvt_u32_f32 s24, s4
	s_mul_u64 s[66:67], s[46:47], s[24:25]
	s_delay_alu instid0(SALU_CYCLE_1)
	s_mul_hi_u32 s87, s24, s67
	s_mul_i32 s86, s24, s67
	s_mul_hi_u32 s26, s24, s66
	s_mul_i32 s57, s25, s66
	s_add_nc_u64 s[86:87], s[26:27], s[86:87]
	s_mul_hi_u32 s4, s25, s66
	s_mul_hi_u32 s70, s25, s67
	s_add_co_u32 s26, s86, s57
	s_add_co_ci_u32 s26, s87, s4
	s_mul_i32 s66, s25, s67
	s_add_co_ci_u32 s67, s70, 0
	s_delay_alu instid0(SALU_CYCLE_1) | instskip(NEXT) | instid1(SALU_CYCLE_1)
	s_add_nc_u64 s[66:67], s[26:27], s[66:67]
	s_add_co_u32 s24, s24, s66
	s_cselect_b32 s4, -1, 0
	s_delay_alu instid0(SALU_CYCLE_1) | instskip(SKIP_1) | instid1(SALU_CYCLE_1)
	s_cmp_lg_u32 s4, 0
	s_add_co_ci_u32 s25, s25, s67
	s_mul_u64 s[46:47], s[46:47], s[24:25]
	s_delay_alu instid0(SALU_CYCLE_1)
	s_mul_hi_u32 s67, s24, s47
	s_mul_i32 s66, s24, s47
	s_mul_hi_u32 s26, s24, s46
	s_mul_i32 s57, s25, s46
	s_add_nc_u64 s[66:67], s[26:27], s[66:67]
	s_mul_hi_u32 s4, s25, s46
	s_mul_hi_u32 s70, s25, s47
	s_add_co_u32 s26, s66, s57
	s_add_co_ci_u32 s26, s67, s4
	s_mul_i32 s46, s25, s47
	s_add_co_ci_u32 s47, s70, 0
	s_delay_alu instid0(SALU_CYCLE_1) | instskip(NEXT) | instid1(SALU_CYCLE_1)
	s_add_nc_u64 s[46:47], s[26:27], s[46:47]
	s_add_co_u32 s4, s24, s46
	s_cselect_b32 s24, -1, 0
	s_mul_hi_u32 s26, s22, s4
	s_cmp_lg_u32 s24, 0
	s_mul_hi_u32 s57, s23, s4
	s_add_co_ci_u32 s46, s25, s47
	s_mul_i32 s4, s23, s4
	s_mul_hi_u32 s25, s22, s46
	s_mul_i32 s24, s22, s46
	s_mul_hi_u32 s47, s23, s46
	s_add_nc_u64 s[24:25], s[26:27], s[24:25]
	s_mul_i32 s46, s23, s46
	s_add_co_u32 s4, s24, s4
	s_add_co_ci_u32 s26, s25, s57
	s_add_co_ci_u32 s47, s47, 0
	s_delay_alu instid0(SALU_CYCLE_1) | instskip(NEXT) | instid1(SALU_CYCLE_1)
	s_add_nc_u64 s[24:25], s[26:27], s[46:47]
	s_and_b64 s[46:47], s[24:25], 0xffffffff00000000
	s_delay_alu instid0(SALU_CYCLE_1) | instskip(NEXT) | instid1(SALU_CYCLE_1)
	s_or_b32 s46, s46, s24
	s_mul_u64 s[24:25], s[34:35], s[46:47]
	s_delay_alu instid0(SALU_CYCLE_1) | instskip(SKIP_1) | instid1(SALU_CYCLE_1)
	s_sub_co_u32 s4, s22, s24
	s_cselect_b32 s24, -1, 0
	s_cmp_lg_u32 s24, 0
	s_sub_co_ci_u32 s24, s23, s25
	s_sub_co_u32 s25, s4, s34
	s_cselect_b32 s26, -1, 0
	s_delay_alu instid0(SALU_CYCLE_1) | instskip(SKIP_3) | instid1(SALU_CYCLE_1)
	s_cmp_lg_u32 s26, 0
	s_sub_co_ci_u32 s26, s24, 0
	s_sub_co_u32 s46, s25, s34
	s_cselect_b32 s47, -1, 0
	s_cmp_lg_u32 s47, 0
	s_sub_co_ci_u32 s47, s26, 0
	s_cmp_ge_u32 s25, s34
	s_cselect_b32 s57, -1, 0
	s_cmp_eq_u32 s26, 0
	s_cselect_b32 s57, s57, -1
	s_delay_alu instid0(SALU_CYCLE_1)
	s_cmp_lg_u32 s57, 0
	s_cselect_b32 s26, s47, s26
	s_cselect_b32 s46, s46, s25
	s_cmp_ge_u32 s4, s34
	s_cselect_b32 s25, -1, 0
	s_cmp_eq_u32 s24, 0
	s_cselect_b32 s25, s25, -1
	s_delay_alu instid0(SALU_CYCLE_1)
	s_cmp_lg_u32 s25, 0
	s_cselect_b32 s25, s26, s24
	s_cselect_b32 s24, s46, s4
	s_cbranch_execnz .LBB165_150
.LBB165_149:                            ;   in Loop: Header=BB165_31 Depth=1
	v_cvt_f32_u32_e32 v3, s34
	s_sub_co_i32 s24, 0, s34
	s_delay_alu instid0(VALU_DEP_1) | instskip(SKIP_1) | instid1(TRANS32_DEP_1)
	v_rcp_iflag_f32_e32 v3, v3
	v_nop
	v_mul_f32_e32 v3, 0x4f7ffffe, v3
	s_delay_alu instid0(VALU_DEP_1) | instskip(NEXT) | instid1(VALU_DEP_1)
	v_cvt_u32_f32_e32 v3, v3
	v_readfirstlane_b32 s4, v3
	s_mul_i32 s24, s24, s4
	s_delay_alu instid0(SALU_CYCLE_1) | instskip(NEXT) | instid1(SALU_CYCLE_1)
	s_mul_hi_u32 s24, s4, s24
	s_add_co_i32 s4, s4, s24
	s_delay_alu instid0(SALU_CYCLE_1) | instskip(NEXT) | instid1(SALU_CYCLE_1)
	s_mul_hi_u32 s4, s22, s4
	s_mul_i32 s4, s4, s34
	s_delay_alu instid0(SALU_CYCLE_1) | instskip(NEXT) | instid1(SALU_CYCLE_1)
	s_sub_co_i32 s4, s22, s4
	s_sub_co_i32 s24, s4, s34
	s_cmp_ge_u32 s4, s34
	s_cselect_b32 s4, s24, s4
	s_delay_alu instid0(SALU_CYCLE_1) | instskip(SKIP_2) | instid1(SALU_CYCLE_1)
	s_sub_co_i32 s24, s4, s34
	s_cmp_ge_u32 s4, s34
	s_cselect_b32 s26, s24, s4
	s_mov_b64 s[24:25], s[26:27]
.LBB165_150:                            ;   in Loop: Header=BB165_31 Depth=1
	s_delay_alu instid0(SALU_CYCLE_1)
	s_sub_nc_u64 s[22:23], s[22:23], s[24:25]
	s_mov_b32 s25, 0
	s_mov_b32 s24, 0
	s_mov_b32 s26, exec_lo
                                        ; implicit-def: $vgpr10_vgpr11
	v_cmpx_gt_u64_e64 s[22:23], v[0:1]
	s_cbranch_execz .LBB165_161
; %bb.151:                              ;   in Loop: Header=BB165_31 Depth=1
	v_mov_b64_e32 v[44:45], v[0:1]
	v_mov_b32_e32 v46, v56
                                        ; implicit-def: $sgpr46
	s_branch .LBB165_154
.LBB165_152:                            ;   in Loop: Header=BB165_154 Depth=2
	s_or_b32 exec_lo, exec_lo, s4
	s_wait_dscnt 0x0
	s_barrier_signal -1
	s_barrier_wait -1
	ds_load_b128 v[8:11], v21 offset:3072
	s_mov_b32 s4, -1
	s_mov_b32 s47, -1
	s_wait_dscnt 0x0
	s_barrier_signal -1
	s_barrier_wait -1
	v_cmp_ne_u64_e32 vcc_lo, 0, v[8:9]
	s_cbranch_vccz .LBB165_157
.LBB165_153:                            ;   in Loop: Header=BB165_154 Depth=2
	s_and_b32 s4, exec_lo, s4
	s_delay_alu instid0(SALU_CYCLE_1) | instskip(SKIP_2) | instid1(SALU_CYCLE_1)
	s_or_b32 s24, s4, s24
	s_and_not1_b32 s4, s46, exec_lo
	s_and_b32 s46, s47, exec_lo
	s_or_b32 s46, s4, s46
	s_and_not1_b32 exec_lo, exec_lo, s24
	s_cbranch_execz .LBB165_160
.LBB165_154:                            ;   Parent Loop BB165_31 Depth=1
                                        ; =>  This Inner Loop Header: Depth=2
	s_mov_b32 s4, exec_lo
	s_delay_alu instid0(VALU_DEP_2)
	v_cmpx_gt_u64_e64 s[8:9], v[44:45]
	s_cbranch_execz .LBB165_152
; %bb.155:                              ;   in Loop: Header=BB165_154 Depth=2
	ds_load_b64 v[4:5], v46
	s_wait_dscnt 0x0
	v_xor_b32_e32 v3, 0x80000000, v5
	v_and_b32_e32 v8, v4, v12
	s_delay_alu instid0(VALU_DEP_2) | instskip(NEXT) | instid1(VALU_DEP_1)
	v_and_b32_e32 v9, v3, v13
	v_cmp_eq_u64_e32 vcc_lo, v[8:9], v[14:15]
	s_and_b32 exec_lo, exec_lo, vcc_lo
	s_cbranch_execz .LBB165_152
; %bb.156:                              ;   in Loop: Header=BB165_154 Depth=2
	v_mov_b32_e32 v3, v21
	ds_store_b128 v21, v[2:5] offset:3072
	s_branch .LBB165_152
.LBB165_157:                            ;   in Loop: Header=BB165_154 Depth=2
	v_add_nc_u64_e32 v[44:45], s[34:35], v[44:45]
	v_add_nc_u32_e32 v46, s97, v46
	s_mov_b32 s47, 0
	s_delay_alu instid0(VALU_DEP_2)
	v_cmp_le_u64_e32 vcc_lo, s[22:23], v[44:45]
	s_or_not1_b32 s4, vcc_lo, exec_lo
	s_branch .LBB165_153
.LBB165_158:                            ;   in Loop: Header=BB165_31 Depth=1
                                        ; implicit-def: $sgpr24_sgpr25
	s_branch .LBB165_103
.LBB165_159:                            ;   in Loop: Header=BB165_31 Depth=1
                                        ; implicit-def: $sgpr8_sgpr9
	s_branch .LBB165_120
.LBB165_160:                            ;   in Loop: Header=BB165_31 Depth=1
	s_or_b32 exec_lo, exec_lo, s24
	s_delay_alu instid0(SALU_CYCLE_1)
	s_and_b32 s24, s46, exec_lo
.LBB165_161:                            ;   in Loop: Header=BB165_31 Depth=1
	s_or_b32 exec_lo, exec_lo, s26
.LBB165_162:                            ;   in Loop: Header=BB165_31 Depth=1
	s_delay_alu instid0(SALU_CYCLE_1)
	s_and_b32 vcc_lo, exec_lo, s25
	s_cbranch_vccz .LBB165_176
; %bb.163:                              ;   in Loop: Header=BB165_31 Depth=1
	s_and_b64 s[8:9], s[64:65], 0xffffffff00000000
	s_delay_alu instid0(SALU_CYCLE_1)
	s_cmp_lg_u64 s[8:9], 0
	s_cbranch_scc0 .LBB165_204
; %bb.164:                              ;   in Loop: Header=BB165_31 Depth=1
	s_cvt_f32_u32 s4, s34
	s_sub_nc_u64 s[22:23], 0, s[34:35]
	s_delay_alu instid0(SALU_CYCLE_2) | instskip(NEXT) | instid1(SALU_CYCLE_3)
	s_fmamk_f32 s4, s100, 0x0, s4
	v_s_rcp_f32 s4, s4
	s_delay_alu instid0(TRANS32_DEP_1) | instskip(NEXT) | instid1(SALU_CYCLE_3)
	s_mul_f32 s4, s4, 0x5f7ffffc
	s_mul_f32 s8, s4, 0x2f800000
	s_delay_alu instid0(SALU_CYCLE_3) | instskip(NEXT) | instid1(SALU_CYCLE_3)
	s_trunc_f32 s8, s8
	s_fmamk_f32 s4, s8, 0xcf800000, s4
	s_cvt_u32_f32 s9, s8
	s_delay_alu instid0(SALU_CYCLE_2) | instskip(NEXT) | instid1(SALU_CYCLE_3)
	s_cvt_u32_f32 s8, s4
	s_mul_u64 s[46:47], s[22:23], s[8:9]
	s_delay_alu instid0(SALU_CYCLE_1)
	s_mul_hi_u32 s67, s8, s47
	s_mul_i32 s66, s8, s47
	s_mul_hi_u32 s26, s8, s46
	s_mul_i32 s25, s9, s46
	s_add_nc_u64 s[66:67], s[26:27], s[66:67]
	s_mul_hi_u32 s4, s9, s46
	s_mul_hi_u32 s57, s9, s47
	s_add_co_u32 s25, s66, s25
	s_add_co_ci_u32 s26, s67, s4
	s_mul_i32 s46, s9, s47
	s_add_co_ci_u32 s47, s57, 0
	s_delay_alu instid0(SALU_CYCLE_1) | instskip(NEXT) | instid1(SALU_CYCLE_1)
	s_add_nc_u64 s[46:47], s[26:27], s[46:47]
	s_add_co_u32 s8, s8, s46
	s_cselect_b32 s4, -1, 0
	s_delay_alu instid0(SALU_CYCLE_1) | instskip(SKIP_1) | instid1(SALU_CYCLE_1)
	s_cmp_lg_u32 s4, 0
	s_add_co_ci_u32 s9, s9, s47
	s_mul_u64 s[22:23], s[22:23], s[8:9]
	s_delay_alu instid0(SALU_CYCLE_1)
	s_mul_hi_u32 s47, s8, s23
	s_mul_i32 s46, s8, s23
	s_mul_hi_u32 s26, s8, s22
	s_mul_i32 s25, s9, s22
	s_add_nc_u64 s[46:47], s[26:27], s[46:47]
	s_mul_hi_u32 s4, s9, s22
	s_mul_hi_u32 s57, s9, s23
	s_mul_i32 s22, s9, s23
	s_add_co_u32 s23, s46, s25
	s_add_co_ci_u32 s26, s47, s4
	s_add_co_ci_u32 s23, s57, 0
	s_delay_alu instid0(SALU_CYCLE_1) | instskip(NEXT) | instid1(SALU_CYCLE_1)
	s_add_nc_u64 s[22:23], s[26:27], s[22:23]
	s_add_co_u32 s4, s8, s22
	s_cselect_b32 s8, -1, 0
	s_mul_hi_u32 s26, s64, s4
	s_cmp_lg_u32 s8, 0
	s_mul_hi_u32 s25, s65, s4
	s_add_co_ci_u32 s22, s9, s23
	s_mul_i32 s4, s65, s4
	s_mul_hi_u32 s9, s64, s22
	s_mul_i32 s8, s64, s22
	s_mul_hi_u32 s23, s65, s22
	s_add_nc_u64 s[8:9], s[26:27], s[8:9]
	s_mul_i32 s22, s65, s22
	s_add_co_u32 s4, s8, s4
	s_add_co_ci_u32 s26, s9, s25
	s_add_co_ci_u32 s23, s23, 0
	s_delay_alu instid0(SALU_CYCLE_1) | instskip(NEXT) | instid1(SALU_CYCLE_1)
	s_add_nc_u64 s[8:9], s[26:27], s[22:23]
	s_and_b64 s[22:23], s[8:9], 0xffffffff00000000
	s_delay_alu instid0(SALU_CYCLE_1) | instskip(NEXT) | instid1(SALU_CYCLE_1)
	s_or_b32 s22, s22, s8
	s_mul_u64 s[8:9], s[34:35], s[22:23]
	s_delay_alu instid0(SALU_CYCLE_1) | instskip(SKIP_1) | instid1(SALU_CYCLE_1)
	s_sub_co_u32 s4, s64, s8
	s_cselect_b32 s8, -1, 0
	s_cmp_lg_u32 s8, 0
	s_sub_co_ci_u32 s8, s65, s9
	s_sub_co_u32 s9, s4, s34
	s_cselect_b32 s22, -1, 0
	s_delay_alu instid0(SALU_CYCLE_1) | instskip(SKIP_3) | instid1(SALU_CYCLE_1)
	s_cmp_lg_u32 s22, 0
	s_sub_co_ci_u32 s22, s8, 0
	s_sub_co_u32 s23, s9, s34
	s_cselect_b32 s25, -1, 0
	s_cmp_lg_u32 s25, 0
	s_sub_co_ci_u32 s25, s22, 0
	s_cmp_ge_u32 s9, s34
	s_cselect_b32 s26, -1, 0
	s_cmp_eq_u32 s22, 0
	s_cselect_b32 s26, s26, -1
	s_delay_alu instid0(SALU_CYCLE_1)
	s_cmp_lg_u32 s26, 0
	s_cselect_b32 s22, s25, s22
	s_cselect_b32 s23, s23, s9
	s_cmp_ge_u32 s4, s34
	s_cselect_b32 s9, -1, 0
	s_cmp_eq_u32 s8, 0
	s_cselect_b32 s9, s9, -1
	s_delay_alu instid0(SALU_CYCLE_1)
	s_cmp_lg_u32 s9, 0
	s_cselect_b32 s9, s22, s8
	s_cselect_b32 s8, s23, s4
	s_cbranch_execnz .LBB165_166
.LBB165_165:                            ;   in Loop: Header=BB165_31 Depth=1
	v_cvt_f32_u32_e32 v3, s34
	s_sub_co_i32 s8, 0, s34
	s_delay_alu instid0(VALU_DEP_1) | instskip(SKIP_1) | instid1(TRANS32_DEP_1)
	v_rcp_iflag_f32_e32 v3, v3
	v_nop
	v_mul_f32_e32 v3, 0x4f7ffffe, v3
	s_delay_alu instid0(VALU_DEP_1) | instskip(NEXT) | instid1(VALU_DEP_1)
	v_cvt_u32_f32_e32 v3, v3
	v_readfirstlane_b32 s4, v3
	s_mul_i32 s8, s8, s4
	s_delay_alu instid0(SALU_CYCLE_1) | instskip(NEXT) | instid1(SALU_CYCLE_1)
	s_mul_hi_u32 s8, s4, s8
	s_add_co_i32 s4, s4, s8
	s_delay_alu instid0(SALU_CYCLE_1) | instskip(NEXT) | instid1(SALU_CYCLE_1)
	s_mul_hi_u32 s4, s64, s4
	s_mul_i32 s4, s4, s34
	s_delay_alu instid0(SALU_CYCLE_1) | instskip(NEXT) | instid1(SALU_CYCLE_1)
	s_sub_co_i32 s4, s64, s4
	s_sub_co_i32 s8, s4, s34
	s_cmp_ge_u32 s4, s34
	s_cselect_b32 s4, s8, s4
	s_delay_alu instid0(SALU_CYCLE_1) | instskip(SKIP_2) | instid1(SALU_CYCLE_1)
	s_sub_co_i32 s8, s4, s34
	s_cmp_ge_u32 s4, s34
	s_cselect_b32 s26, s8, s4
	s_mov_b64 s[8:9], s[26:27]
.LBB165_166:                            ;   in Loop: Header=BB165_31 Depth=1
	s_delay_alu instid0(SALU_CYCLE_1)
	s_sub_nc_u64 s[8:9], s[64:65], s[8:9]
	s_mov_b32 s22, exec_lo
                                        ; implicit-def: $vgpr10_vgpr11
	v_cmpx_gt_u64_e64 s[8:9], v[0:1]
	s_cbranch_execz .LBB165_175
; %bb.167:                              ;   in Loop: Header=BB165_31 Depth=1
	v_mov_b64_e32 v[44:45], v[34:35]
	v_mov_b64_e32 v[46:47], v[0:1]
	s_mov_b32 s23, 0
                                        ; implicit-def: $sgpr25
	s_branch .LBB165_170
.LBB165_168:                            ;   in Loop: Header=BB165_170 Depth=2
	s_or_b32 exec_lo, exec_lo, s4
	s_wait_dscnt 0x0
	s_barrier_signal -1
	s_barrier_wait -1
	ds_load_b128 v[8:11], v21 offset:3072
	s_mov_b32 s4, -1
	s_mov_b32 s26, -1
	s_wait_dscnt 0x0
	s_barrier_signal -1
	s_barrier_wait -1
	v_cmp_eq_u64_e32 vcc_lo, 0, v[8:9]
	s_cbranch_vccnz .LBB165_173
.LBB165_169:                            ;   in Loop: Header=BB165_170 Depth=2
	s_and_b32 s4, exec_lo, s4
	s_delay_alu instid0(SALU_CYCLE_1) | instskip(SKIP_2) | instid1(SALU_CYCLE_1)
	s_or_b32 s23, s4, s23
	s_and_not1_b32 s4, s25, exec_lo
	s_and_b32 s25, s26, exec_lo
	s_or_b32 s25, s4, s25
	s_and_not1_b32 exec_lo, exec_lo, s23
	s_cbranch_execz .LBB165_174
.LBB165_170:                            ;   Parent Loop BB165_31 Depth=1
                                        ; =>  This Inner Loop Header: Depth=2
	s_mov_b32 s4, exec_lo
	s_delay_alu instid0(VALU_DEP_1)
	v_cmpx_gt_u64_e64 s[36:37], v[46:47]
	s_cbranch_execz .LBB165_168
; %bb.171:                              ;   in Loop: Header=BB165_170 Depth=2
	global_load_b64 v[4:5], v[44:45], off
	s_wait_loadcnt 0x0
	v_xor_b32_e32 v3, 0x80000000, v5
	v_and_b32_e32 v8, v4, v12
	s_delay_alu instid0(VALU_DEP_2) | instskip(NEXT) | instid1(VALU_DEP_1)
	v_and_b32_e32 v9, v3, v13
	v_cmp_eq_u64_e32 vcc_lo, v[8:9], v[14:15]
	s_and_b32 exec_lo, exec_lo, vcc_lo
	s_cbranch_execz .LBB165_168
; %bb.172:                              ;   in Loop: Header=BB165_170 Depth=2
	v_mov_b32_e32 v3, v21
	ds_store_b128 v21, v[2:5] offset:3072
	s_branch .LBB165_168
.LBB165_173:                            ;   in Loop: Header=BB165_170 Depth=2
	v_add_nc_u64_e32 v[46:47], s[34:35], v[46:47]
	v_add_nc_u64_e32 v[44:45], s[42:43], v[44:45]
	s_mov_b32 s26, 0
	s_delay_alu instid0(VALU_DEP_2)
	v_cmp_le_u64_e32 vcc_lo, s[8:9], v[46:47]
	s_or_not1_b32 s4, vcc_lo, exec_lo
	s_branch .LBB165_169
.LBB165_174:                            ;   in Loop: Header=BB165_31 Depth=1
	s_or_b32 exec_lo, exec_lo, s23
	s_delay_alu instid0(SALU_CYCLE_1) | instskip(SKIP_1) | instid1(SALU_CYCLE_1)
	s_and_not1_b32 s4, s24, exec_lo
	s_and_b32 s8, s25, exec_lo
	s_or_b32 s24, s4, s8
.LBB165_175:                            ;   in Loop: Header=BB165_31 Depth=1
	s_or_b32 exec_lo, exec_lo, s22
	s_mov_b32 s78, 0
	s_mov_b32 s83, -1
.LBB165_176:                            ;   in Loop: Header=BB165_31 Depth=1
	s_or_not1_b32 s4, s24, exec_lo
.LBB165_177:                            ;   in Loop: Header=BB165_31 Depth=1
	s_or_b32 exec_lo, exec_lo, s56
	s_mov_b32 s8, 0
	s_and_saveexec_b32 s84, s4
	s_cbranch_execz .LBB165_286
; %bb.178:                              ;   in Loop: Header=BB165_31 Depth=1
	v_mov_b64_e32 v[44:45], 1
	v_mov_b32_e32 v20, 1
	s_xor_b32 s4, s85, -1
	s_mov_b32 s9, 0
	s_and_saveexec_b32 s8, s4
	s_cbranch_execz .LBB165_187
; %bb.179:                              ;   in Loop: Header=BB165_31 Depth=1
	s_mov_b32 s4, exec_lo
	v_cmpx_ge_u64_e64 s[16:17], v[42:43]
	s_xor_b32 s4, exec_lo, s4
	s_cbranch_execz .LBB165_184
; %bb.180:                              ;   in Loop: Header=BB165_31 Depth=1
	ds_load_b64 v[4:5], v21 offset:5120
	v_and_b32_e32 v3, s15, v15
	v_and_b32_e32 v8, s14, v14
	s_lshl_b64 s[22:23], 1, s98
	v_or_b32_e32 v13, s13, v13
	v_or_b32_e32 v12, s12, v12
	;; [unrolled: 1-line block ×4, first 2 shown]
	s_wait_dscnt 0x0
	v_cmp_ne_u64_e32 vcc_lo, 0, v[4:5]
	s_cbranch_vccnz .LBB165_184
; %bb.181:                              ;   in Loop: Header=BB165_31 Depth=1
	s_and_saveexec_b32 s9, s5
; %bb.182:                              ;   in Loop: Header=BB165_31 Depth=1
	v_mov_b64_e32 v[4:5], s[16:17]
	ds_store_b64 v21, v[4:5] offset:5128
; %bb.183:                              ;   in Loop: Header=BB165_31 Depth=1
	s_or_b32 exec_lo, exec_lo, s9
	s_wait_dscnt 0x0
	s_barrier_signal -1
	s_barrier_wait -1
.LBB165_184:                            ;   in Loop: Header=BB165_31 Depth=1
	s_or_saveexec_b32 s4, s4
	v_mov_b32_e32 v20, 8
	s_mov_b32 s9, 0
	s_xor_b32 exec_lo, exec_lo, s4
; %bb.185:                              ;   in Loop: Header=BB165_31 Depth=1
	v_sub_nc_u64_e64 v[42:43], v[42:43], s[16:17]
	v_mov_b32_e32 v20, 0
	s_mov_b32 s9, exec_lo
; %bb.186:                              ;   in Loop: Header=BB165_31 Depth=1
	s_or_b32 exec_lo, exec_lo, s4
	s_delay_alu instid0(VALU_DEP_2)
	v_mov_b64_e32 v[44:45], v[42:43]
	s_and_b32 s9, s9, exec_lo
.LBB165_187:                            ;   in Loop: Header=BB165_31 Depth=1
	s_or_b32 exec_lo, exec_lo, s8
	s_mov_b32 s4, -1
                                        ; implicit-def: $sgpr86
                                        ; implicit-def: $sgpr87
	s_and_saveexec_b32 s85, s9
	s_cbranch_execz .LBB165_285
; %bb.188:                              ;   in Loop: Header=BB165_31 Depth=1
	s_delay_alu instid0(VALU_DEP_1) | instskip(SKIP_2) | instid1(SALU_CYCLE_1)
	v_cmp_eq_u64_e32 vcc_lo, 1, v[44:45]
	s_cmp_eq_u64 s[18:19], 1
                                        ; implicit-def: $sgpr87
                                        ; implicit-def: $sgpr86
	s_cselect_b32 s4, -1, 0
	s_and_b32 s89, s4, vcc_lo
	s_mov_b32 s4, -1
	s_and_saveexec_b32 s56, s89
	s_cbranch_execz .LBB165_222
; %bb.189:                              ;   in Loop: Header=BB165_31 Depth=1
	ds_load_b64 v[4:5], v21 offset:5120
	s_wait_dscnt 0x0
	s_barrier_signal -1
	s_barrier_wait -1
	v_readfirstlane_b32 s8, v4
	v_readfirstlane_b32 s9, v5
	s_and_saveexec_b32 s4, s6
; %bb.190:                              ;   in Loop: Header=BB165_31 Depth=1
	ds_store_b64 v58, v[36:37]
; %bb.191:                              ;   in Loop: Header=BB165_31 Depth=1
	s_or_b32 exec_lo, exec_lo, s4
	v_and_b32_e32 v3, s15, v15
	v_and_b32_e32 v4, s14, v14
	s_lshl_b64 s[22:23], 2, s98
	v_or_b32_e32 v13, s13, v13
	v_or_b32_e32 v12, s12, v12
	v_or_b32_e32 v15, s23, v3
	v_or_b32_e32 v14, s22, v4
	s_mov_b32 s86, -1
	s_mov_b32 s87, 0
	s_cmp_eq_u64 s[8:9], 0
	s_mov_b32 s24, 0
	s_mov_b32 s25, -1
	s_wait_dscnt 0x0
	s_barrier_signal -1
	s_barrier_wait -1
                                        ; implicit-def: $vgpr10_vgpr11
	s_cbranch_scc1 .LBB165_207
; %bb.192:                              ;   in Loop: Header=BB165_31 Depth=1
	s_add_nc_u64 s[22:23], s[8:9], s[62:63]
	s_delay_alu instid0(SALU_CYCLE_1) | instskip(NEXT) | instid1(SALU_CYCLE_1)
	s_and_b64 s[24:25], s[22:23], 0xffffffff00000000
	s_cmp_lg_u64 s[24:25], 0
	s_cbranch_scc0 .LBB165_239
; %bb.193:                              ;   in Loop: Header=BB165_31 Depth=1
	s_cvt_f32_u32 s4, s34
	s_sub_nc_u64 s[46:47], 0, s[34:35]
	s_delay_alu instid0(SALU_CYCLE_2) | instskip(NEXT) | instid1(SALU_CYCLE_3)
	s_fmamk_f32 s4, s100, 0x0, s4
	v_s_rcp_f32 s4, s4
	s_delay_alu instid0(TRANS32_DEP_1) | instskip(NEXT) | instid1(SALU_CYCLE_3)
	s_mul_f32 s4, s4, 0x5f7ffffc
	s_mul_f32 s24, s4, 0x2f800000
	s_delay_alu instid0(SALU_CYCLE_3) | instskip(NEXT) | instid1(SALU_CYCLE_3)
	s_trunc_f32 s24, s24
	s_fmamk_f32 s4, s24, 0xcf800000, s4
	s_cvt_u32_f32 s25, s24
	s_delay_alu instid0(SALU_CYCLE_2) | instskip(NEXT) | instid1(SALU_CYCLE_3)
	s_cvt_u32_f32 s24, s4
	s_mul_u64 s[66:67], s[46:47], s[24:25]
	s_delay_alu instid0(SALU_CYCLE_1)
	s_mul_hi_u32 s71, s24, s67
	s_mul_i32 s70, s24, s67
	s_mul_hi_u32 s26, s24, s66
	s_mul_i32 s57, s25, s66
	s_add_nc_u64 s[70:71], s[26:27], s[70:71]
	s_mul_hi_u32 s4, s25, s66
	s_mul_hi_u32 s88, s25, s67
	s_add_co_u32 s26, s70, s57
	s_add_co_ci_u32 s26, s71, s4
	s_mul_i32 s66, s25, s67
	s_add_co_ci_u32 s67, s88, 0
	s_delay_alu instid0(SALU_CYCLE_1) | instskip(NEXT) | instid1(SALU_CYCLE_1)
	s_add_nc_u64 s[66:67], s[26:27], s[66:67]
	s_add_co_u32 s24, s24, s66
	s_cselect_b32 s4, -1, 0
	s_delay_alu instid0(SALU_CYCLE_1) | instskip(SKIP_1) | instid1(SALU_CYCLE_1)
	s_cmp_lg_u32 s4, 0
	s_add_co_ci_u32 s25, s25, s67
	s_mul_u64 s[46:47], s[46:47], s[24:25]
	s_delay_alu instid0(SALU_CYCLE_1)
	s_mul_hi_u32 s67, s24, s47
	s_mul_i32 s66, s24, s47
	s_mul_hi_u32 s26, s24, s46
	s_mul_i32 s57, s25, s46
	s_add_nc_u64 s[66:67], s[26:27], s[66:67]
	s_mul_hi_u32 s4, s25, s46
	s_mul_hi_u32 s70, s25, s47
	s_add_co_u32 s26, s66, s57
	s_add_co_ci_u32 s26, s67, s4
	s_mul_i32 s46, s25, s47
	s_add_co_ci_u32 s47, s70, 0
	s_delay_alu instid0(SALU_CYCLE_1) | instskip(NEXT) | instid1(SALU_CYCLE_1)
	s_add_nc_u64 s[46:47], s[26:27], s[46:47]
	s_add_co_u32 s4, s24, s46
	s_cselect_b32 s24, -1, 0
	s_mul_hi_u32 s26, s22, s4
	s_cmp_lg_u32 s24, 0
	s_mul_hi_u32 s57, s23, s4
	s_add_co_ci_u32 s46, s25, s47
	s_mul_i32 s4, s23, s4
	s_mul_hi_u32 s25, s22, s46
	s_mul_i32 s24, s22, s46
	s_mul_hi_u32 s47, s23, s46
	s_add_nc_u64 s[24:25], s[26:27], s[24:25]
	s_mul_i32 s46, s23, s46
	s_add_co_u32 s4, s24, s4
	s_add_co_ci_u32 s26, s25, s57
	s_add_co_ci_u32 s47, s47, 0
	s_delay_alu instid0(SALU_CYCLE_1) | instskip(NEXT) | instid1(SALU_CYCLE_1)
	s_add_nc_u64 s[24:25], s[26:27], s[46:47]
	s_and_b64 s[46:47], s[24:25], 0xffffffff00000000
	s_delay_alu instid0(SALU_CYCLE_1) | instskip(NEXT) | instid1(SALU_CYCLE_1)
	s_or_b32 s46, s46, s24
	s_mul_u64 s[24:25], s[34:35], s[46:47]
	s_delay_alu instid0(SALU_CYCLE_1) | instskip(SKIP_1) | instid1(SALU_CYCLE_1)
	s_sub_co_u32 s4, s22, s24
	s_cselect_b32 s24, -1, 0
	s_cmp_lg_u32 s24, 0
	s_sub_co_ci_u32 s24, s23, s25
	s_sub_co_u32 s25, s4, s34
	s_cselect_b32 s26, -1, 0
	s_delay_alu instid0(SALU_CYCLE_1) | instskip(SKIP_3) | instid1(SALU_CYCLE_1)
	s_cmp_lg_u32 s26, 0
	s_sub_co_ci_u32 s26, s24, 0
	s_sub_co_u32 s46, s25, s34
	s_cselect_b32 s47, -1, 0
	s_cmp_lg_u32 s47, 0
	s_sub_co_ci_u32 s47, s26, 0
	s_cmp_ge_u32 s25, s34
	s_cselect_b32 s57, -1, 0
	s_cmp_eq_u32 s26, 0
	s_cselect_b32 s57, s57, -1
	s_delay_alu instid0(SALU_CYCLE_1)
	s_cmp_lg_u32 s57, 0
	s_cselect_b32 s26, s47, s26
	s_cselect_b32 s46, s46, s25
	s_cmp_ge_u32 s4, s34
	s_cselect_b32 s25, -1, 0
	s_cmp_eq_u32 s24, 0
	s_cselect_b32 s25, s25, -1
	s_delay_alu instid0(SALU_CYCLE_1)
	s_cmp_lg_u32 s25, 0
	s_cselect_b32 s25, s26, s24
	s_cselect_b32 s24, s46, s4
	s_cbranch_execnz .LBB165_195
.LBB165_194:                            ;   in Loop: Header=BB165_31 Depth=1
	v_cvt_f32_u32_e32 v3, s34
	s_sub_co_i32 s24, 0, s34
	s_delay_alu instid0(VALU_DEP_1) | instskip(SKIP_1) | instid1(TRANS32_DEP_1)
	v_rcp_iflag_f32_e32 v3, v3
	v_nop
	v_mul_f32_e32 v3, 0x4f7ffffe, v3
	s_delay_alu instid0(VALU_DEP_1) | instskip(NEXT) | instid1(VALU_DEP_1)
	v_cvt_u32_f32_e32 v3, v3
	v_readfirstlane_b32 s4, v3
	s_mul_i32 s24, s24, s4
	s_delay_alu instid0(SALU_CYCLE_1) | instskip(NEXT) | instid1(SALU_CYCLE_1)
	s_mul_hi_u32 s24, s4, s24
	s_add_co_i32 s4, s4, s24
	s_delay_alu instid0(SALU_CYCLE_1) | instskip(NEXT) | instid1(SALU_CYCLE_1)
	s_mul_hi_u32 s4, s22, s4
	s_mul_i32 s4, s4, s34
	s_delay_alu instid0(SALU_CYCLE_1) | instskip(NEXT) | instid1(SALU_CYCLE_1)
	s_sub_co_i32 s4, s22, s4
	s_sub_co_i32 s24, s4, s34
	s_cmp_ge_u32 s4, s34
	s_cselect_b32 s4, s24, s4
	s_delay_alu instid0(SALU_CYCLE_1) | instskip(SKIP_2) | instid1(SALU_CYCLE_1)
	s_sub_co_i32 s24, s4, s34
	s_cmp_ge_u32 s4, s34
	s_cselect_b32 s26, s24, s4
	s_mov_b64 s[24:25], s[26:27]
.LBB165_195:                            ;   in Loop: Header=BB165_31 Depth=1
	s_delay_alu instid0(SALU_CYCLE_1)
	s_sub_nc_u64 s[22:23], s[22:23], s[24:25]
	s_mov_b32 s25, 0
	s_mov_b32 s24, 0
	s_mov_b32 s26, exec_lo
                                        ; implicit-def: $vgpr10_vgpr11
	v_cmpx_gt_u64_e64 s[22:23], v[0:1]
	s_cbranch_execz .LBB165_206
; %bb.196:                              ;   in Loop: Header=BB165_31 Depth=1
	v_mov_b64_e32 v[42:43], v[0:1]
	v_mov_b32_e32 v46, v56
                                        ; implicit-def: $sgpr46
	s_branch .LBB165_199
.LBB165_197:                            ;   in Loop: Header=BB165_199 Depth=2
	s_or_b32 exec_lo, exec_lo, s4
	s_wait_dscnt 0x0
	s_barrier_signal -1
	s_barrier_wait -1
	ds_load_b128 v[8:11], v21 offset:3072
	s_mov_b32 s4, -1
	s_mov_b32 s47, -1
	s_wait_dscnt 0x0
	s_barrier_signal -1
	s_barrier_wait -1
	v_cmp_ne_u64_e32 vcc_lo, 0, v[8:9]
	s_cbranch_vccz .LBB165_202
.LBB165_198:                            ;   in Loop: Header=BB165_199 Depth=2
	s_and_b32 s4, exec_lo, s4
	s_delay_alu instid0(SALU_CYCLE_1) | instskip(SKIP_2) | instid1(SALU_CYCLE_1)
	s_or_b32 s24, s4, s24
	s_and_not1_b32 s4, s46, exec_lo
	s_and_b32 s46, s47, exec_lo
	s_or_b32 s46, s4, s46
	s_and_not1_b32 exec_lo, exec_lo, s24
	s_cbranch_execz .LBB165_205
.LBB165_199:                            ;   Parent Loop BB165_31 Depth=1
                                        ; =>  This Inner Loop Header: Depth=2
	s_mov_b32 s4, exec_lo
	s_delay_alu instid0(VALU_DEP_2)
	v_cmpx_gt_u64_e64 s[8:9], v[42:43]
	s_cbranch_execz .LBB165_197
; %bb.200:                              ;   in Loop: Header=BB165_199 Depth=2
	ds_load_b64 v[4:5], v46
	s_wait_dscnt 0x0
	v_xor_b32_e32 v3, 0x80000000, v5
	v_and_b32_e32 v8, v4, v12
	s_delay_alu instid0(VALU_DEP_2) | instskip(NEXT) | instid1(VALU_DEP_1)
	v_and_b32_e32 v9, v3, v13
	v_cmp_eq_u64_e32 vcc_lo, v[8:9], v[14:15]
	s_and_b32 exec_lo, exec_lo, vcc_lo
	s_cbranch_execz .LBB165_197
; %bb.201:                              ;   in Loop: Header=BB165_199 Depth=2
	v_mov_b32_e32 v3, v21
	ds_store_b128 v21, v[2:5] offset:3072
	s_branch .LBB165_197
.LBB165_202:                            ;   in Loop: Header=BB165_199 Depth=2
	v_add_nc_u64_e32 v[42:43], s[34:35], v[42:43]
	v_add_nc_u32_e32 v46, s97, v46
	s_mov_b32 s47, 0
	s_delay_alu instid0(VALU_DEP_2)
	v_cmp_le_u64_e32 vcc_lo, s[22:23], v[42:43]
	s_or_not1_b32 s4, vcc_lo, exec_lo
	s_branch .LBB165_198
.LBB165_203:                            ;   in Loop: Header=BB165_31 Depth=1
                                        ; implicit-def: $sgpr24_sgpr25
	s_branch .LBB165_149
.LBB165_204:                            ;   in Loop: Header=BB165_31 Depth=1
                                        ; implicit-def: $sgpr8_sgpr9
	s_branch .LBB165_165
.LBB165_205:                            ;   in Loop: Header=BB165_31 Depth=1
	s_or_b32 exec_lo, exec_lo, s24
	s_delay_alu instid0(SALU_CYCLE_1)
	s_and_b32 s24, s46, exec_lo
.LBB165_206:                            ;   in Loop: Header=BB165_31 Depth=1
	s_or_b32 exec_lo, exec_lo, s26
.LBB165_207:                            ;   in Loop: Header=BB165_31 Depth=1
	s_delay_alu instid0(SALU_CYCLE_1)
	s_and_b32 vcc_lo, exec_lo, s25
	s_cbranch_vccz .LBB165_221
; %bb.208:                              ;   in Loop: Header=BB165_31 Depth=1
	s_and_b64 s[8:9], s[64:65], 0xffffffff00000000
	s_delay_alu instid0(SALU_CYCLE_1)
	s_cmp_lg_u64 s[8:9], 0
	s_cbranch_scc0 .LBB165_240
; %bb.209:                              ;   in Loop: Header=BB165_31 Depth=1
	s_cvt_f32_u32 s4, s34
	s_sub_nc_u64 s[22:23], 0, s[34:35]
	s_delay_alu instid0(SALU_CYCLE_2) | instskip(NEXT) | instid1(SALU_CYCLE_3)
	s_fmamk_f32 s4, s100, 0x0, s4
	v_s_rcp_f32 s4, s4
	s_delay_alu instid0(TRANS32_DEP_1) | instskip(NEXT) | instid1(SALU_CYCLE_3)
	s_mul_f32 s4, s4, 0x5f7ffffc
	s_mul_f32 s8, s4, 0x2f800000
	s_delay_alu instid0(SALU_CYCLE_3) | instskip(NEXT) | instid1(SALU_CYCLE_3)
	s_trunc_f32 s8, s8
	s_fmamk_f32 s4, s8, 0xcf800000, s4
	s_cvt_u32_f32 s9, s8
	s_delay_alu instid0(SALU_CYCLE_2) | instskip(NEXT) | instid1(SALU_CYCLE_3)
	s_cvt_u32_f32 s8, s4
	s_mul_u64 s[46:47], s[22:23], s[8:9]
	s_delay_alu instid0(SALU_CYCLE_1)
	s_mul_hi_u32 s67, s8, s47
	s_mul_i32 s66, s8, s47
	s_mul_hi_u32 s26, s8, s46
	s_mul_i32 s25, s9, s46
	s_add_nc_u64 s[66:67], s[26:27], s[66:67]
	s_mul_hi_u32 s4, s9, s46
	s_mul_hi_u32 s57, s9, s47
	s_add_co_u32 s25, s66, s25
	s_add_co_ci_u32 s26, s67, s4
	s_mul_i32 s46, s9, s47
	s_add_co_ci_u32 s47, s57, 0
	s_delay_alu instid0(SALU_CYCLE_1) | instskip(NEXT) | instid1(SALU_CYCLE_1)
	s_add_nc_u64 s[46:47], s[26:27], s[46:47]
	s_add_co_u32 s8, s8, s46
	s_cselect_b32 s4, -1, 0
	s_delay_alu instid0(SALU_CYCLE_1) | instskip(SKIP_1) | instid1(SALU_CYCLE_1)
	s_cmp_lg_u32 s4, 0
	s_add_co_ci_u32 s9, s9, s47
	s_mul_u64 s[22:23], s[22:23], s[8:9]
	s_delay_alu instid0(SALU_CYCLE_1)
	s_mul_hi_u32 s47, s8, s23
	s_mul_i32 s46, s8, s23
	s_mul_hi_u32 s26, s8, s22
	s_mul_i32 s25, s9, s22
	s_add_nc_u64 s[46:47], s[26:27], s[46:47]
	s_mul_hi_u32 s4, s9, s22
	s_mul_hi_u32 s57, s9, s23
	s_mul_i32 s22, s9, s23
	s_add_co_u32 s23, s46, s25
	s_add_co_ci_u32 s26, s47, s4
	s_add_co_ci_u32 s23, s57, 0
	s_delay_alu instid0(SALU_CYCLE_1) | instskip(NEXT) | instid1(SALU_CYCLE_1)
	s_add_nc_u64 s[22:23], s[26:27], s[22:23]
	s_add_co_u32 s4, s8, s22
	s_cselect_b32 s8, -1, 0
	s_mul_hi_u32 s26, s64, s4
	s_cmp_lg_u32 s8, 0
	s_mul_hi_u32 s25, s65, s4
	s_add_co_ci_u32 s22, s9, s23
	s_mul_i32 s4, s65, s4
	s_mul_hi_u32 s9, s64, s22
	s_mul_i32 s8, s64, s22
	s_mul_hi_u32 s23, s65, s22
	s_add_nc_u64 s[8:9], s[26:27], s[8:9]
	s_mul_i32 s22, s65, s22
	s_add_co_u32 s4, s8, s4
	s_add_co_ci_u32 s26, s9, s25
	s_add_co_ci_u32 s23, s23, 0
	s_delay_alu instid0(SALU_CYCLE_1) | instskip(NEXT) | instid1(SALU_CYCLE_1)
	s_add_nc_u64 s[8:9], s[26:27], s[22:23]
	s_and_b64 s[22:23], s[8:9], 0xffffffff00000000
	s_delay_alu instid0(SALU_CYCLE_1) | instskip(NEXT) | instid1(SALU_CYCLE_1)
	s_or_b32 s22, s22, s8
	s_mul_u64 s[8:9], s[34:35], s[22:23]
	s_delay_alu instid0(SALU_CYCLE_1) | instskip(SKIP_1) | instid1(SALU_CYCLE_1)
	s_sub_co_u32 s4, s64, s8
	s_cselect_b32 s8, -1, 0
	s_cmp_lg_u32 s8, 0
	s_sub_co_ci_u32 s8, s65, s9
	s_sub_co_u32 s9, s4, s34
	s_cselect_b32 s22, -1, 0
	s_delay_alu instid0(SALU_CYCLE_1) | instskip(SKIP_3) | instid1(SALU_CYCLE_1)
	s_cmp_lg_u32 s22, 0
	s_sub_co_ci_u32 s22, s8, 0
	s_sub_co_u32 s23, s9, s34
	s_cselect_b32 s25, -1, 0
	s_cmp_lg_u32 s25, 0
	s_sub_co_ci_u32 s25, s22, 0
	s_cmp_ge_u32 s9, s34
	s_cselect_b32 s26, -1, 0
	s_cmp_eq_u32 s22, 0
	s_cselect_b32 s26, s26, -1
	s_delay_alu instid0(SALU_CYCLE_1)
	s_cmp_lg_u32 s26, 0
	s_cselect_b32 s22, s25, s22
	s_cselect_b32 s23, s23, s9
	s_cmp_ge_u32 s4, s34
	s_cselect_b32 s9, -1, 0
	s_cmp_eq_u32 s8, 0
	s_cselect_b32 s9, s9, -1
	s_delay_alu instid0(SALU_CYCLE_1)
	s_cmp_lg_u32 s9, 0
	s_cselect_b32 s9, s22, s8
	s_cselect_b32 s8, s23, s4
	s_cbranch_execnz .LBB165_211
.LBB165_210:                            ;   in Loop: Header=BB165_31 Depth=1
	v_cvt_f32_u32_e32 v3, s34
	s_sub_co_i32 s8, 0, s34
	s_delay_alu instid0(VALU_DEP_1) | instskip(SKIP_1) | instid1(TRANS32_DEP_1)
	v_rcp_iflag_f32_e32 v3, v3
	v_nop
	v_mul_f32_e32 v3, 0x4f7ffffe, v3
	s_delay_alu instid0(VALU_DEP_1) | instskip(NEXT) | instid1(VALU_DEP_1)
	v_cvt_u32_f32_e32 v3, v3
	v_readfirstlane_b32 s4, v3
	s_mul_i32 s8, s8, s4
	s_delay_alu instid0(SALU_CYCLE_1) | instskip(NEXT) | instid1(SALU_CYCLE_1)
	s_mul_hi_u32 s8, s4, s8
	s_add_co_i32 s4, s4, s8
	s_delay_alu instid0(SALU_CYCLE_1) | instskip(NEXT) | instid1(SALU_CYCLE_1)
	s_mul_hi_u32 s4, s64, s4
	s_mul_i32 s4, s4, s34
	s_delay_alu instid0(SALU_CYCLE_1) | instskip(NEXT) | instid1(SALU_CYCLE_1)
	s_sub_co_i32 s4, s64, s4
	s_sub_co_i32 s8, s4, s34
	s_cmp_ge_u32 s4, s34
	s_cselect_b32 s4, s8, s4
	s_delay_alu instid0(SALU_CYCLE_1) | instskip(SKIP_2) | instid1(SALU_CYCLE_1)
	s_sub_co_i32 s8, s4, s34
	s_cmp_ge_u32 s4, s34
	s_cselect_b32 s26, s8, s4
	s_mov_b64 s[8:9], s[26:27]
.LBB165_211:                            ;   in Loop: Header=BB165_31 Depth=1
	s_delay_alu instid0(SALU_CYCLE_1)
	s_sub_nc_u64 s[8:9], s[64:65], s[8:9]
	s_mov_b32 s22, exec_lo
                                        ; implicit-def: $vgpr10_vgpr11
	v_cmpx_gt_u64_e64 s[8:9], v[0:1]
	s_cbranch_execz .LBB165_220
; %bb.212:                              ;   in Loop: Header=BB165_31 Depth=1
	v_mov_b64_e32 v[42:43], v[34:35]
	v_mov_b64_e32 v[46:47], v[0:1]
	s_mov_b32 s23, 0
                                        ; implicit-def: $sgpr25
	s_branch .LBB165_215
.LBB165_213:                            ;   in Loop: Header=BB165_215 Depth=2
	s_or_b32 exec_lo, exec_lo, s4
	s_wait_dscnt 0x0
	s_barrier_signal -1
	s_barrier_wait -1
	ds_load_b128 v[8:11], v21 offset:3072
	s_mov_b32 s4, -1
	s_mov_b32 s26, -1
	s_wait_dscnt 0x0
	s_barrier_signal -1
	s_barrier_wait -1
	v_cmp_eq_u64_e32 vcc_lo, 0, v[8:9]
	s_cbranch_vccnz .LBB165_218
.LBB165_214:                            ;   in Loop: Header=BB165_215 Depth=2
	s_and_b32 s4, exec_lo, s4
	s_delay_alu instid0(SALU_CYCLE_1) | instskip(SKIP_2) | instid1(SALU_CYCLE_1)
	s_or_b32 s23, s4, s23
	s_and_not1_b32 s4, s25, exec_lo
	s_and_b32 s25, s26, exec_lo
	s_or_b32 s25, s4, s25
	s_and_not1_b32 exec_lo, exec_lo, s23
	s_cbranch_execz .LBB165_219
.LBB165_215:                            ;   Parent Loop BB165_31 Depth=1
                                        ; =>  This Inner Loop Header: Depth=2
	s_mov_b32 s4, exec_lo
	s_delay_alu instid0(VALU_DEP_1)
	v_cmpx_gt_u64_e64 s[36:37], v[46:47]
	s_cbranch_execz .LBB165_213
; %bb.216:                              ;   in Loop: Header=BB165_215 Depth=2
	global_load_b64 v[4:5], v[42:43], off
	s_wait_loadcnt 0x0
	v_xor_b32_e32 v3, 0x80000000, v5
	v_and_b32_e32 v8, v4, v12
	s_delay_alu instid0(VALU_DEP_2) | instskip(NEXT) | instid1(VALU_DEP_1)
	v_and_b32_e32 v9, v3, v13
	v_cmp_eq_u64_e32 vcc_lo, v[8:9], v[14:15]
	s_and_b32 exec_lo, exec_lo, vcc_lo
	s_cbranch_execz .LBB165_213
; %bb.217:                              ;   in Loop: Header=BB165_215 Depth=2
	v_mov_b32_e32 v3, v21
	ds_store_b128 v21, v[2:5] offset:3072
	s_branch .LBB165_213
.LBB165_218:                            ;   in Loop: Header=BB165_215 Depth=2
	v_add_nc_u64_e32 v[46:47], s[34:35], v[46:47]
	v_add_nc_u64_e32 v[42:43], s[42:43], v[42:43]
	s_mov_b32 s26, 0
	s_delay_alu instid0(VALU_DEP_2)
	v_cmp_le_u64_e32 vcc_lo, s[8:9], v[46:47]
	s_or_not1_b32 s4, vcc_lo, exec_lo
	s_branch .LBB165_214
.LBB165_219:                            ;   in Loop: Header=BB165_31 Depth=1
	s_or_b32 exec_lo, exec_lo, s23
	s_delay_alu instid0(SALU_CYCLE_1) | instskip(SKIP_1) | instid1(SALU_CYCLE_1)
	s_and_not1_b32 s4, s24, exec_lo
	s_and_b32 s8, s25, exec_lo
	s_or_b32 s24, s4, s8
.LBB165_220:                            ;   in Loop: Header=BB165_31 Depth=1
	s_or_b32 exec_lo, exec_lo, s22
	s_mov_b32 s86, 0
	s_mov_b32 s87, -1
.LBB165_221:                            ;   in Loop: Header=BB165_31 Depth=1
	s_or_not1_b32 s4, s24, exec_lo
.LBB165_222:                            ;   in Loop: Header=BB165_31 Depth=1
	s_or_b32 exec_lo, exec_lo, s56
	s_mov_b32 s8, 0
	s_and_saveexec_b32 s88, s4
	s_cbranch_execz .LBB165_284
; %bb.223:                              ;   in Loop: Header=BB165_31 Depth=1
	v_mov_b64_e32 v[42:43], 1
	v_mov_b32_e32 v20, 1
	s_xor_b32 s4, s89, -1
	s_mov_b32 s9, 0
	s_and_saveexec_b32 s8, s4
	s_cbranch_execz .LBB165_232
; %bb.224:                              ;   in Loop: Header=BB165_31 Depth=1
	s_mov_b32 s4, exec_lo
	v_cmpx_ge_u64_e64 s[18:19], v[44:45]
	s_xor_b32 s4, exec_lo, s4
	s_cbranch_execz .LBB165_229
; %bb.225:                              ;   in Loop: Header=BB165_31 Depth=1
	ds_load_b64 v[4:5], v21 offset:5120
	v_and_b32_e32 v3, s15, v15
	v_and_b32_e32 v8, s14, v14
	s_lshl_b64 s[22:23], 2, s98
	v_or_b32_e32 v13, s13, v13
	v_or_b32_e32 v12, s12, v12
	;; [unrolled: 1-line block ×4, first 2 shown]
	s_wait_dscnt 0x0
	v_cmp_ne_u64_e32 vcc_lo, 0, v[4:5]
	s_cbranch_vccnz .LBB165_229
; %bb.226:                              ;   in Loop: Header=BB165_31 Depth=1
	s_and_saveexec_b32 s9, s5
; %bb.227:                              ;   in Loop: Header=BB165_31 Depth=1
	v_mov_b64_e32 v[4:5], s[18:19]
	ds_store_b64 v21, v[4:5] offset:5128
; %bb.228:                              ;   in Loop: Header=BB165_31 Depth=1
	s_or_b32 exec_lo, exec_lo, s9
	s_wait_dscnt 0x0
	s_barrier_signal -1
	s_barrier_wait -1
.LBB165_229:                            ;   in Loop: Header=BB165_31 Depth=1
	s_or_saveexec_b32 s4, s4
	v_mov_b32_e32 v20, 8
	s_mov_b32 s9, 0
	s_xor_b32 exec_lo, exec_lo, s4
; %bb.230:                              ;   in Loop: Header=BB165_31 Depth=1
	v_sub_nc_u64_e64 v[44:45], v[44:45], s[18:19]
	v_mov_b32_e32 v20, 0
	s_mov_b32 s9, exec_lo
; %bb.231:                              ;   in Loop: Header=BB165_31 Depth=1
	s_or_b32 exec_lo, exec_lo, s4
	s_delay_alu instid0(VALU_DEP_2)
	v_mov_b64_e32 v[42:43], v[44:45]
	s_and_b32 s9, s9, exec_lo
.LBB165_232:                            ;   in Loop: Header=BB165_31 Depth=1
	s_or_b32 exec_lo, exec_lo, s8
	s_mov_b32 s4, -1
                                        ; implicit-def: $sgpr47
                                        ; implicit-def: $sgpr46
	s_and_saveexec_b32 s89, s9
	s_cbranch_execz .LBB165_283
; %bb.233:                              ;   in Loop: Header=BB165_31 Depth=1
	s_delay_alu instid0(VALU_DEP_1) | instskip(SKIP_2) | instid1(SALU_CYCLE_1)
	v_cmp_eq_u64_e32 vcc_lo, 1, v[42:43]
	s_cmp_eq_u64 s[20:21], 1
                                        ; implicit-def: $sgpr47
                                        ; implicit-def: $sgpr46
	s_cselect_b32 s4, -1, 0
	s_and_b32 s70, s4, vcc_lo
	s_mov_b32 s4, -1
	s_and_saveexec_b32 s94, s70
	s_cbranch_execz .LBB165_271
; %bb.234:                              ;   in Loop: Header=BB165_31 Depth=1
	ds_load_b64 v[4:5], v21 offset:5120
	s_wait_dscnt 0x0
	s_barrier_signal -1
	s_barrier_wait -1
	v_readfirstlane_b32 s8, v4
	v_readfirstlane_b32 s9, v5
	s_and_saveexec_b32 s4, s6
; %bb.235:                              ;   in Loop: Header=BB165_31 Depth=1
	ds_store_b64 v58, v[36:37]
; %bb.236:                              ;   in Loop: Header=BB165_31 Depth=1
	s_or_b32 exec_lo, exec_lo, s4
	v_or_b32_e32 v15, s13, v15
	v_or_b32_e32 v14, s12, v14
	;; [unrolled: 1-line block ×4, first 2 shown]
	s_mov_b32 s46, -1
	s_mov_b32 s47, 0
	s_cmp_eq_u64 s[8:9], 0
	s_mov_b32 s24, 0
	s_mov_b32 s25, -1
	s_wait_dscnt 0x0
	s_barrier_signal -1
	s_barrier_wait -1
                                        ; implicit-def: $vgpr10_vgpr11
	s_cbranch_scc1 .LBB165_254
; %bb.237:                              ;   in Loop: Header=BB165_31 Depth=1
	s_add_nc_u64 s[22:23], s[8:9], s[62:63]
	v_writelane_b32 v74, s70, 16
	s_and_b64 s[24:25], s[22:23], 0xffffffff00000000
	s_delay_alu instid0(SALU_CYCLE_1)
	s_cmp_lg_u64 s[24:25], 0
	v_writelane_b32 v74, s93, 17
	s_cbranch_scc0 .LBB165_241
; %bb.238:                              ;   in Loop: Header=BB165_31 Depth=1
	s_cvt_f32_u32 s4, s34
	s_sub_nc_u64 s[66:67], 0, s[34:35]
	s_delay_alu instid0(SALU_CYCLE_2) | instskip(NEXT) | instid1(SALU_CYCLE_3)
	s_fmamk_f32 s4, s100, 0x0, s4
	v_s_rcp_f32 s4, s4
	s_delay_alu instid0(TRANS32_DEP_1) | instskip(NEXT) | instid1(SALU_CYCLE_3)
	s_mul_f32 s4, s4, 0x5f7ffffc
	s_mul_f32 s24, s4, 0x2f800000
	s_delay_alu instid0(SALU_CYCLE_3) | instskip(NEXT) | instid1(SALU_CYCLE_3)
	s_trunc_f32 s24, s24
	s_fmamk_f32 s4, s24, 0xcf800000, s4
	s_cvt_u32_f32 s25, s24
	s_delay_alu instid0(SALU_CYCLE_2) | instskip(NEXT) | instid1(SALU_CYCLE_3)
	s_cvt_u32_f32 s24, s4
	s_mul_u64 s[70:71], s[66:67], s[24:25]
	s_delay_alu instid0(SALU_CYCLE_1)
	s_mul_hi_u32 s57, s24, s71
	s_mul_i32 s56, s24, s71
	s_mul_hi_u32 s26, s24, s70
	s_mul_i32 vcc_lo, s25, s70
	s_add_nc_u64 s[56:57], s[26:27], s[56:57]
	s_mul_hi_u32 s4, s25, s70
	s_mul_hi_u32 s93, s25, s71
	s_add_co_u32 s26, s56, vcc_lo
	s_add_co_ci_u32 s26, s57, s4
	s_mul_i32 s70, s25, s71
	s_add_co_ci_u32 s71, s93, 0
	s_delay_alu instid0(SALU_CYCLE_1) | instskip(NEXT) | instid1(SALU_CYCLE_1)
	s_add_nc_u64 s[56:57], s[26:27], s[70:71]
	s_add_co_u32 s24, s24, s56
	s_cselect_b32 s4, -1, 0
	s_delay_alu instid0(SALU_CYCLE_1) | instskip(SKIP_1) | instid1(SALU_CYCLE_1)
	s_cmp_lg_u32 s4, 0
	s_add_co_ci_u32 s25, s25, s57
	s_mul_u64 s[56:57], s[66:67], s[24:25]
	s_delay_alu instid0(SALU_CYCLE_1)
	s_mul_hi_u32 s67, s24, s57
	s_mul_i32 s66, s24, s57
	s_mul_hi_u32 s26, s24, s56
	s_mul_i32 s70, s25, s56
	s_add_nc_u64 s[66:67], s[26:27], s[66:67]
	s_mul_hi_u32 s4, s25, s56
	s_mul_hi_u32 s71, s25, s57
	s_add_co_u32 s26, s66, s70
	s_add_co_ci_u32 s26, s67, s4
	s_mul_i32 s56, s25, s57
	s_add_co_ci_u32 s57, s71, 0
	s_delay_alu instid0(SALU_CYCLE_1) | instskip(NEXT) | instid1(SALU_CYCLE_1)
	s_add_nc_u64 s[56:57], s[26:27], s[56:57]
	s_add_co_u32 s4, s24, s56
	s_cselect_b32 s24, -1, 0
	s_mul_hi_u32 s26, s22, s4
	s_cmp_lg_u32 s24, 0
	s_mul_hi_u32 s66, s23, s4
	s_add_co_ci_u32 s56, s25, s57
	s_mul_i32 s4, s23, s4
	s_mul_hi_u32 s25, s22, s56
	s_mul_i32 s24, s22, s56
	s_mul_hi_u32 s57, s23, s56
	s_add_nc_u64 s[24:25], s[26:27], s[24:25]
	s_mul_i32 s56, s23, s56
	s_add_co_u32 s4, s24, s4
	s_add_co_ci_u32 s26, s25, s66
	s_add_co_ci_u32 s57, s57, 0
	s_delay_alu instid0(SALU_CYCLE_1) | instskip(NEXT) | instid1(SALU_CYCLE_1)
	s_add_nc_u64 s[24:25], s[26:27], s[56:57]
	s_and_b64 s[56:57], s[24:25], 0xffffffff00000000
	s_delay_alu instid0(SALU_CYCLE_1) | instskip(NEXT) | instid1(SALU_CYCLE_1)
	s_or_b32 s56, s56, s24
	s_mul_u64 s[24:25], s[34:35], s[56:57]
	s_delay_alu instid0(SALU_CYCLE_1) | instskip(SKIP_1) | instid1(SALU_CYCLE_1)
	s_sub_co_u32 s4, s22, s24
	s_cselect_b32 s24, -1, 0
	s_cmp_lg_u32 s24, 0
	s_sub_co_ci_u32 s24, s23, s25
	s_sub_co_u32 s25, s4, s34
	s_cselect_b32 s26, -1, 0
	s_delay_alu instid0(SALU_CYCLE_1) | instskip(SKIP_3) | instid1(SALU_CYCLE_1)
	s_cmp_lg_u32 s26, 0
	s_sub_co_ci_u32 s26, s24, 0
	s_sub_co_u32 s56, s25, s34
	s_cselect_b32 s57, -1, 0
	s_cmp_lg_u32 s57, 0
	s_sub_co_ci_u32 s57, s26, 0
	s_cmp_ge_u32 s25, s34
	s_cselect_b32 s66, -1, 0
	s_cmp_eq_u32 s26, 0
	s_cselect_b32 s66, s66, -1
	s_delay_alu instid0(SALU_CYCLE_1)
	s_cmp_lg_u32 s66, 0
	s_cselect_b32 s26, s57, s26
	s_cselect_b32 s56, s56, s25
	s_cmp_ge_u32 s4, s34
	s_cselect_b32 s25, -1, 0
	s_cmp_eq_u32 s24, 0
	s_cselect_b32 s25, s25, -1
	s_delay_alu instid0(SALU_CYCLE_1)
	s_cmp_lg_u32 s25, 0
	s_cselect_b32 s25, s26, s24
	s_cselect_b32 s24, s56, s4
	s_mov_b32 s4, 0
	s_branch .LBB165_242
.LBB165_239:                            ;   in Loop: Header=BB165_31 Depth=1
                                        ; implicit-def: $sgpr24_sgpr25
	s_branch .LBB165_194
.LBB165_240:                            ;   in Loop: Header=BB165_31 Depth=1
                                        ; implicit-def: $sgpr8_sgpr9
	s_branch .LBB165_210
.LBB165_241:                            ;   in Loop: Header=BB165_31 Depth=1
	s_mov_b32 s4, -1
                                        ; implicit-def: $sgpr24_sgpr25
.LBB165_242:                            ;   in Loop: Header=BB165_31 Depth=1
	s_delay_alu instid0(SALU_CYCLE_1)
	s_and_not1_b32 vcc_lo, exec_lo, s4
	s_cbranch_vccnz .LBB165_244
; %bb.243:                              ;   in Loop: Header=BB165_31 Depth=1
	v_cvt_f32_u32_e32 v3, s34
	s_sub_co_i32 s24, 0, s34
	s_delay_alu instid0(VALU_DEP_1) | instskip(SKIP_1) | instid1(TRANS32_DEP_1)
	v_rcp_iflag_f32_e32 v3, v3
	v_nop
	v_mul_f32_e32 v3, 0x4f7ffffe, v3
	s_delay_alu instid0(VALU_DEP_1) | instskip(NEXT) | instid1(VALU_DEP_1)
	v_cvt_u32_f32_e32 v3, v3
	v_readfirstlane_b32 s4, v3
	s_mul_i32 s24, s24, s4
	s_delay_alu instid0(SALU_CYCLE_1) | instskip(NEXT) | instid1(SALU_CYCLE_1)
	s_mul_hi_u32 s24, s4, s24
	s_add_co_i32 s4, s4, s24
	s_delay_alu instid0(SALU_CYCLE_1) | instskip(NEXT) | instid1(SALU_CYCLE_1)
	s_mul_hi_u32 s4, s22, s4
	s_mul_i32 s4, s4, s34
	s_delay_alu instid0(SALU_CYCLE_1) | instskip(NEXT) | instid1(SALU_CYCLE_1)
	s_sub_co_i32 s4, s22, s4
	s_sub_co_i32 s24, s4, s34
	s_cmp_ge_u32 s4, s34
	s_cselect_b32 s4, s24, s4
	s_delay_alu instid0(SALU_CYCLE_1) | instskip(SKIP_2) | instid1(SALU_CYCLE_1)
	s_sub_co_i32 s24, s4, s34
	s_cmp_ge_u32 s4, s34
	s_cselect_b32 s26, s24, s4
	s_mov_b64 s[24:25], s[26:27]
.LBB165_244:                            ;   in Loop: Header=BB165_31 Depth=1
	s_delay_alu instid0(SALU_CYCLE_1)
	s_sub_nc_u64 s[22:23], s[22:23], s[24:25]
	s_mov_b32 s25, 0
	s_mov_b32 s24, 0
	s_mov_b32 s26, exec_lo
                                        ; implicit-def: $vgpr10_vgpr11
	v_cmpx_gt_u64_e64 s[22:23], v[0:1]
	v_readlane_b32 s93, v74, 17
	v_readlane_b32 s70, v74, 16
	s_cbranch_execz .LBB165_253
; %bb.245:                              ;   in Loop: Header=BB165_31 Depth=1
	v_mov_b64_e32 v[44:45], v[0:1]
	v_mov_b32_e32 v46, v56
                                        ; implicit-def: $sgpr4
	s_branch .LBB165_248
.LBB165_246:                            ;   in Loop: Header=BB165_248 Depth=2
	s_or_b32 exec_lo, exec_lo, s66
	s_wait_dscnt 0x0
	s_barrier_signal -1
	s_barrier_wait -1
	ds_load_b128 v[8:11], v21 offset:3072
	s_mov_b32 s66, -1
	s_mov_b32 s67, -1
	s_wait_dscnt 0x0
	s_barrier_signal -1
	s_barrier_wait -1
	v_cmp_ne_u64_e32 vcc_lo, 0, v[8:9]
	s_cbranch_vccz .LBB165_251
.LBB165_247:                            ;   in Loop: Header=BB165_248 Depth=2
	s_and_b32 s56, exec_lo, s66
	s_delay_alu instid0(SALU_CYCLE_1) | instskip(SKIP_2) | instid1(SALU_CYCLE_1)
	s_or_b32 s24, s56, s24
	s_and_not1_b32 s4, s4, exec_lo
	s_and_b32 s56, s67, exec_lo
	s_or_b32 s4, s4, s56
	s_and_not1_b32 exec_lo, exec_lo, s24
	s_cbranch_execz .LBB165_252
.LBB165_248:                            ;   Parent Loop BB165_31 Depth=1
                                        ; =>  This Inner Loop Header: Depth=2
	s_mov_b32 s66, exec_lo
	s_delay_alu instid0(VALU_DEP_2)
	v_cmpx_gt_u64_e64 s[8:9], v[44:45]
	s_cbranch_execz .LBB165_246
; %bb.249:                              ;   in Loop: Header=BB165_248 Depth=2
	ds_load_b64 v[4:5], v46
	s_wait_dscnt 0x0
	v_xor_b32_e32 v3, 0x80000000, v5
	v_and_b32_e32 v8, v4, v12
	s_delay_alu instid0(VALU_DEP_2) | instskip(NEXT) | instid1(VALU_DEP_1)
	v_and_b32_e32 v9, v3, v13
	v_cmp_eq_u64_e32 vcc_lo, v[8:9], v[14:15]
	s_and_b32 exec_lo, exec_lo, vcc_lo
	s_cbranch_execz .LBB165_246
; %bb.250:                              ;   in Loop: Header=BB165_248 Depth=2
	v_mov_b32_e32 v3, v21
	ds_store_b128 v21, v[2:5] offset:3072
	s_branch .LBB165_246
.LBB165_251:                            ;   in Loop: Header=BB165_248 Depth=2
	v_add_nc_u64_e32 v[44:45], s[34:35], v[44:45]
	v_add_nc_u32_e32 v46, s97, v46
	s_mov_b32 s67, 0
	s_delay_alu instid0(VALU_DEP_2)
	v_cmp_le_u64_e32 vcc_lo, s[22:23], v[44:45]
	s_or_not1_b32 s66, vcc_lo, exec_lo
	s_branch .LBB165_247
.LBB165_252:                            ;   in Loop: Header=BB165_31 Depth=1
	s_or_b32 exec_lo, exec_lo, s24
	s_delay_alu instid0(SALU_CYCLE_1)
	s_and_b32 s24, s4, exec_lo
.LBB165_253:                            ;   in Loop: Header=BB165_31 Depth=1
	s_or_b32 exec_lo, exec_lo, s26
.LBB165_254:                            ;   in Loop: Header=BB165_31 Depth=1
	s_delay_alu instid0(SALU_CYCLE_1)
	s_and_b32 vcc_lo, exec_lo, s25
	s_cbranch_vccz .LBB165_270
; %bb.255:                              ;   in Loop: Header=BB165_31 Depth=1
	s_and_b64 s[8:9], s[64:65], 0xffffffff00000000
	s_delay_alu instid0(SALU_CYCLE_1)
	s_cmp_lg_u64 s[8:9], 0
	s_cbranch_scc0 .LBB165_257
; %bb.256:                              ;   in Loop: Header=BB165_31 Depth=1
	s_cvt_f32_u32 s4, s34
	s_sub_nc_u64 s[22:23], 0, s[34:35]
	s_delay_alu instid0(SALU_CYCLE_2) | instskip(NEXT) | instid1(SALU_CYCLE_3)
	s_fmamk_f32 s4, s100, 0x0, s4
	v_s_rcp_f32 s4, s4
	s_delay_alu instid0(TRANS32_DEP_1) | instskip(NEXT) | instid1(SALU_CYCLE_3)
	s_mul_f32 s4, s4, 0x5f7ffffc
	s_mul_f32 s8, s4, 0x2f800000
	s_delay_alu instid0(SALU_CYCLE_3) | instskip(NEXT) | instid1(SALU_CYCLE_3)
	s_trunc_f32 s8, s8
	s_fmamk_f32 s4, s8, 0xcf800000, s4
	s_cvt_u32_f32 s9, s8
	s_delay_alu instid0(SALU_CYCLE_2) | instskip(NEXT) | instid1(SALU_CYCLE_3)
	s_cvt_u32_f32 s8, s4
	s_mul_u64 s[46:47], s[22:23], s[8:9]
	s_delay_alu instid0(SALU_CYCLE_1)
	s_mul_hi_u32 s57, s8, s47
	s_mul_i32 s56, s8, s47
	s_mul_hi_u32 s26, s8, s46
	s_mul_i32 s25, s9, s46
	s_add_nc_u64 s[56:57], s[26:27], s[56:57]
	s_mul_hi_u32 s4, s9, s46
	s_mul_hi_u32 s66, s9, s47
	s_add_co_u32 s25, s56, s25
	s_add_co_ci_u32 s26, s57, s4
	s_mul_i32 s46, s9, s47
	s_add_co_ci_u32 s47, s66, 0
	s_delay_alu instid0(SALU_CYCLE_1) | instskip(NEXT) | instid1(SALU_CYCLE_1)
	s_add_nc_u64 s[46:47], s[26:27], s[46:47]
	s_add_co_u32 s8, s8, s46
	s_cselect_b32 s4, -1, 0
	s_delay_alu instid0(SALU_CYCLE_1) | instskip(SKIP_1) | instid1(SALU_CYCLE_1)
	s_cmp_lg_u32 s4, 0
	s_add_co_ci_u32 s9, s9, s47
	s_mul_u64 s[22:23], s[22:23], s[8:9]
	s_delay_alu instid0(SALU_CYCLE_1)
	s_mul_hi_u32 s47, s8, s23
	s_mul_i32 s46, s8, s23
	s_mul_hi_u32 s26, s8, s22
	s_mul_i32 s25, s9, s22
	s_add_nc_u64 s[46:47], s[26:27], s[46:47]
	s_mul_hi_u32 s4, s9, s22
	s_mul_hi_u32 s56, s9, s23
	s_mul_i32 s22, s9, s23
	s_add_co_u32 s23, s46, s25
	s_add_co_ci_u32 s26, s47, s4
	s_add_co_ci_u32 s23, s56, 0
	s_delay_alu instid0(SALU_CYCLE_1) | instskip(NEXT) | instid1(SALU_CYCLE_1)
	s_add_nc_u64 s[22:23], s[26:27], s[22:23]
	s_add_co_u32 s4, s8, s22
	s_cselect_b32 s8, -1, 0
	s_mul_hi_u32 s26, s64, s4
	s_cmp_lg_u32 s8, 0
	s_mul_hi_u32 s25, s65, s4
	s_add_co_ci_u32 s22, s9, s23
	s_mul_i32 s4, s65, s4
	s_mul_hi_u32 s9, s64, s22
	s_mul_i32 s8, s64, s22
	s_mul_hi_u32 s23, s65, s22
	s_add_nc_u64 s[8:9], s[26:27], s[8:9]
	s_mul_i32 s22, s65, s22
	s_add_co_u32 s4, s8, s4
	s_add_co_ci_u32 s26, s9, s25
	s_add_co_ci_u32 s23, s23, 0
	s_delay_alu instid0(SALU_CYCLE_1) | instskip(NEXT) | instid1(SALU_CYCLE_1)
	s_add_nc_u64 s[8:9], s[26:27], s[22:23]
	s_and_b64 s[22:23], s[8:9], 0xffffffff00000000
	s_delay_alu instid0(SALU_CYCLE_1) | instskip(NEXT) | instid1(SALU_CYCLE_1)
	s_or_b32 s22, s22, s8
	s_mul_u64 s[8:9], s[34:35], s[22:23]
	s_delay_alu instid0(SALU_CYCLE_1) | instskip(SKIP_1) | instid1(SALU_CYCLE_1)
	s_sub_co_u32 s4, s64, s8
	s_cselect_b32 s8, -1, 0
	s_cmp_lg_u32 s8, 0
	s_sub_co_ci_u32 s8, s65, s9
	s_sub_co_u32 s9, s4, s34
	s_cselect_b32 s22, -1, 0
	s_delay_alu instid0(SALU_CYCLE_1) | instskip(SKIP_3) | instid1(SALU_CYCLE_1)
	s_cmp_lg_u32 s22, 0
	s_sub_co_ci_u32 s22, s8, 0
	s_sub_co_u32 s23, s9, s34
	s_cselect_b32 s25, -1, 0
	s_cmp_lg_u32 s25, 0
	s_sub_co_ci_u32 s25, s22, 0
	s_cmp_ge_u32 s9, s34
	s_cselect_b32 s26, -1, 0
	s_cmp_eq_u32 s22, 0
	s_cselect_b32 s26, s26, -1
	s_delay_alu instid0(SALU_CYCLE_1)
	s_cmp_lg_u32 s26, 0
	s_cselect_b32 s22, s25, s22
	s_cselect_b32 s23, s23, s9
	s_cmp_ge_u32 s4, s34
	s_cselect_b32 s9, -1, 0
	s_cmp_eq_u32 s8, 0
	s_cselect_b32 s9, s9, -1
	s_delay_alu instid0(SALU_CYCLE_1)
	s_cmp_lg_u32 s9, 0
	s_cselect_b32 s9, s22, s8
	s_cselect_b32 s8, s23, s4
	s_mov_b32 s4, 0
	s_branch .LBB165_258
.LBB165_257:                            ;   in Loop: Header=BB165_31 Depth=1
	s_mov_b32 s4, -1
                                        ; implicit-def: $sgpr8_sgpr9
.LBB165_258:                            ;   in Loop: Header=BB165_31 Depth=1
	s_delay_alu instid0(SALU_CYCLE_1)
	s_and_not1_b32 vcc_lo, exec_lo, s4
	s_cbranch_vccnz .LBB165_260
; %bb.259:                              ;   in Loop: Header=BB165_31 Depth=1
	v_cvt_f32_u32_e32 v3, s34
	s_sub_co_i32 s8, 0, s34
	s_delay_alu instid0(VALU_DEP_1) | instskip(SKIP_1) | instid1(TRANS32_DEP_1)
	v_rcp_iflag_f32_e32 v3, v3
	v_nop
	v_mul_f32_e32 v3, 0x4f7ffffe, v3
	s_delay_alu instid0(VALU_DEP_1) | instskip(NEXT) | instid1(VALU_DEP_1)
	v_cvt_u32_f32_e32 v3, v3
	v_readfirstlane_b32 s4, v3
	s_mul_i32 s8, s8, s4
	s_delay_alu instid0(SALU_CYCLE_1) | instskip(NEXT) | instid1(SALU_CYCLE_1)
	s_mul_hi_u32 s8, s4, s8
	s_add_co_i32 s4, s4, s8
	s_delay_alu instid0(SALU_CYCLE_1) | instskip(NEXT) | instid1(SALU_CYCLE_1)
	s_mul_hi_u32 s4, s64, s4
	s_mul_i32 s4, s4, s34
	s_delay_alu instid0(SALU_CYCLE_1) | instskip(NEXT) | instid1(SALU_CYCLE_1)
	s_sub_co_i32 s4, s64, s4
	s_sub_co_i32 s8, s4, s34
	s_cmp_ge_u32 s4, s34
	s_cselect_b32 s4, s8, s4
	s_delay_alu instid0(SALU_CYCLE_1) | instskip(SKIP_2) | instid1(SALU_CYCLE_1)
	s_sub_co_i32 s8, s4, s34
	s_cmp_ge_u32 s4, s34
	s_cselect_b32 s26, s8, s4
	s_mov_b64 s[8:9], s[26:27]
.LBB165_260:                            ;   in Loop: Header=BB165_31 Depth=1
	s_delay_alu instid0(SALU_CYCLE_1)
	s_sub_nc_u64 s[8:9], s[64:65], s[8:9]
	s_mov_b32 s22, exec_lo
                                        ; implicit-def: $vgpr10_vgpr11
	v_cmpx_gt_u64_e64 s[8:9], v[0:1]
	s_cbranch_execz .LBB165_269
; %bb.261:                              ;   in Loop: Header=BB165_31 Depth=1
	v_mov_b64_e32 v[44:45], v[34:35]
	v_mov_b64_e32 v[46:47], v[0:1]
	s_mov_b32 s23, 0
                                        ; implicit-def: $sgpr25
	s_branch .LBB165_264
.LBB165_262:                            ;   in Loop: Header=BB165_264 Depth=2
	s_or_b32 exec_lo, exec_lo, s4
	s_wait_dscnt 0x0
	s_barrier_signal -1
	s_barrier_wait -1
	ds_load_b128 v[8:11], v21 offset:3072
	s_mov_b32 s4, -1
	s_mov_b32 s26, -1
	s_wait_dscnt 0x0
	s_barrier_signal -1
	s_barrier_wait -1
	v_cmp_eq_u64_e32 vcc_lo, 0, v[8:9]
	s_cbranch_vccnz .LBB165_267
.LBB165_263:                            ;   in Loop: Header=BB165_264 Depth=2
	s_and_b32 s4, exec_lo, s4
	s_delay_alu instid0(SALU_CYCLE_1) | instskip(SKIP_2) | instid1(SALU_CYCLE_1)
	s_or_b32 s23, s4, s23
	s_and_not1_b32 s4, s25, exec_lo
	s_and_b32 s25, s26, exec_lo
	s_or_b32 s25, s4, s25
	s_and_not1_b32 exec_lo, exec_lo, s23
	s_cbranch_execz .LBB165_268
.LBB165_264:                            ;   Parent Loop BB165_31 Depth=1
                                        ; =>  This Inner Loop Header: Depth=2
	s_mov_b32 s4, exec_lo
	s_delay_alu instid0(VALU_DEP_1)
	v_cmpx_gt_u64_e64 s[36:37], v[46:47]
	s_cbranch_execz .LBB165_262
; %bb.265:                              ;   in Loop: Header=BB165_264 Depth=2
	global_load_b64 v[4:5], v[44:45], off
	s_wait_loadcnt 0x0
	v_xor_b32_e32 v3, 0x80000000, v5
	v_and_b32_e32 v8, v4, v12
	s_delay_alu instid0(VALU_DEP_2) | instskip(NEXT) | instid1(VALU_DEP_1)
	v_and_b32_e32 v9, v3, v13
	v_cmp_eq_u64_e32 vcc_lo, v[8:9], v[14:15]
	s_and_b32 exec_lo, exec_lo, vcc_lo
	s_cbranch_execz .LBB165_262
; %bb.266:                              ;   in Loop: Header=BB165_264 Depth=2
	v_mov_b32_e32 v3, v21
	ds_store_b128 v21, v[2:5] offset:3072
	s_branch .LBB165_262
.LBB165_267:                            ;   in Loop: Header=BB165_264 Depth=2
	v_add_nc_u64_e32 v[46:47], s[34:35], v[46:47]
	v_add_nc_u64_e32 v[44:45], s[42:43], v[44:45]
	s_mov_b32 s26, 0
	s_delay_alu instid0(VALU_DEP_2)
	v_cmp_le_u64_e32 vcc_lo, s[8:9], v[46:47]
	s_or_not1_b32 s4, vcc_lo, exec_lo
	s_branch .LBB165_263
.LBB165_268:                            ;   in Loop: Header=BB165_31 Depth=1
	s_or_b32 exec_lo, exec_lo, s23
	s_delay_alu instid0(SALU_CYCLE_1) | instskip(SKIP_1) | instid1(SALU_CYCLE_1)
	s_and_not1_b32 s4, s24, exec_lo
	s_and_b32 s8, s25, exec_lo
	s_or_b32 s24, s4, s8
.LBB165_269:                            ;   in Loop: Header=BB165_31 Depth=1
	s_or_b32 exec_lo, exec_lo, s22
	s_mov_b32 s46, 0
	s_mov_b32 s47, -1
.LBB165_270:                            ;   in Loop: Header=BB165_31 Depth=1
	s_or_not1_b32 s4, s24, exec_lo
.LBB165_271:                            ;   in Loop: Header=BB165_31 Depth=1
	s_or_b32 exec_lo, exec_lo, s94
	s_mov_b32 s9, 0
	s_and_saveexec_b32 s8, s4
	s_cbranch_execz .LBB165_282
; %bb.272:                              ;   in Loop: Header=BB165_31 Depth=1
	v_mov_b64_e32 v[4:5], 1
	v_mov_b32_e32 v20, 1
	s_xor_b32 s4, s70, -1
	s_delay_alu instid0(SALU_CYCLE_1)
	s_and_saveexec_b32 s9, s4
	s_cbranch_execz .LBB165_281
; %bb.273:                              ;   in Loop: Header=BB165_31 Depth=1
	s_mov_b32 s4, exec_lo
	v_cmpx_ge_u64_e64 s[20:21], v[42:43]
	s_xor_b32 s4, exec_lo, s4
	s_cbranch_execz .LBB165_278
; %bb.274:                              ;   in Loop: Header=BB165_31 Depth=1
	ds_load_b64 v[4:5], v21 offset:5120
	v_or_b32_e32 v15, s13, v15
	v_or_b32_e32 v14, s12, v14
	;; [unrolled: 1-line block ×4, first 2 shown]
	s_wait_dscnt 0x0
	v_cmp_ne_u64_e32 vcc_lo, 0, v[4:5]
	s_cbranch_vccnz .LBB165_278
; %bb.275:                              ;   in Loop: Header=BB165_31 Depth=1
	s_and_saveexec_b32 s22, s5
; %bb.276:                              ;   in Loop: Header=BB165_31 Depth=1
	v_mov_b64_e32 v[4:5], s[20:21]
	ds_store_b64 v21, v[4:5] offset:5128
; %bb.277:                              ;   in Loop: Header=BB165_31 Depth=1
	s_or_b32 exec_lo, exec_lo, s22
	s_wait_dscnt 0x0
	s_barrier_signal -1
	s_barrier_wait -1
.LBB165_278:                            ;   in Loop: Header=BB165_31 Depth=1
	s_and_not1_saveexec_b32 s4, s4
; %bb.279:                              ;   in Loop: Header=BB165_31 Depth=1
	v_sub_nc_u64_e64 v[42:43], v[42:43], s[20:21]
; %bb.280:                              ;   in Loop: Header=BB165_31 Depth=1
	s_or_b32 exec_lo, exec_lo, s4
	s_delay_alu instid0(VALU_DEP_1)
	v_mov_b64_e32 v[4:5], v[42:43]
	v_mov_b32_e32 v20, 8
.LBB165_281:                            ;   in Loop: Header=BB165_31 Depth=1
	s_or_b32 exec_lo, exec_lo, s9
	s_delay_alu instid0(VALU_DEP_2)
	v_mov_b64_e32 v[42:43], v[4:5]
	s_mov_b32 s9, exec_lo
.LBB165_282:                            ;   in Loop: Header=BB165_31 Depth=1
	s_or_b32 exec_lo, exec_lo, s8
	s_delay_alu instid0(SALU_CYCLE_1)
	s_or_not1_b32 s4, s9, exec_lo
.LBB165_283:                            ;   in Loop: Header=BB165_31 Depth=1
	s_or_b32 exec_lo, exec_lo, s89
	s_delay_alu instid0(VALU_DEP_1)
	v_mov_b64_e32 v[44:45], v[42:43]
	s_and_not1_b32 s8, s87, exec_lo
	s_and_b32 s9, s47, exec_lo
	s_and_not1_b32 s22, s86, exec_lo
	s_and_b32 s23, s46, exec_lo
	s_or_b32 s87, s8, s9
	s_or_b32 s86, s22, s23
	s_and_b32 s8, s4, exec_lo
.LBB165_284:                            ;   in Loop: Header=BB165_31 Depth=1
	s_or_b32 exec_lo, exec_lo, s88
	s_delay_alu instid0(SALU_CYCLE_1)
	s_or_not1_b32 s4, s8, exec_lo
.LBB165_285:                            ;   in Loop: Header=BB165_31 Depth=1
	s_or_b32 exec_lo, exec_lo, s85
	v_mov_b64_e32 v[42:43], v[44:45]
	s_and_not1_b32 s8, s83, exec_lo
	s_and_b32 s9, s87, exec_lo
	s_and_not1_b32 s22, s78, exec_lo
	s_and_b32 s23, s86, exec_lo
	s_or_b32 s83, s8, s9
	s_or_b32 s78, s22, s23
	s_and_b32 s8, s4, exec_lo
.LBB165_286:                            ;   in Loop: Header=BB165_31 Depth=1
	s_or_b32 exec_lo, exec_lo, s84
	s_delay_alu instid0(SALU_CYCLE_1)
	s_or_not1_b32 s4, s8, exec_lo
.LBB165_287:                            ;   in Loop: Header=BB165_31 Depth=1
	s_or_b32 exec_lo, exec_lo, s77
	s_mov_b32 s8, 0
	s_mov_b32 s9, 0
	s_and_saveexec_b32 s22, s4
	s_delay_alu instid0(SALU_CYCLE_1)
	s_xor_b32 s4, exec_lo, s22
; %bb.288:                              ;   in Loop: Header=BB165_31 Depth=1
	v_cmp_ne_u32_e32 vcc_lo, 8, v20
	v_cmp_eq_u32_e64 s8, 8, v20
	s_and_b32 s9, vcc_lo, exec_lo
	s_and_b32 s8, s8, exec_lo
; %bb.289:                              ;   in Loop: Header=BB165_31 Depth=1
	s_or_b32 exec_lo, exec_lo, s4
	s_delay_alu instid0(SALU_CYCLE_1)
	s_and_not1_b32 s4, s80, exec_lo
	s_and_b32 s22, s83, exec_lo
	s_and_not1_b32 s23, s79, exec_lo
	s_and_b32 s24, s78, exec_lo
	s_or_b32 s80, s4, s22
	s_or_b32 s79, s23, s24
	s_and_b32 s77, s9, exec_lo
	s_and_b32 s78, s8, exec_lo
.LBB165_290:                            ;   in Loop: Header=BB165_31 Depth=1
	s_or_b32 exec_lo, exec_lo, s82
.LBB165_291:                            ;   in Loop: Header=BB165_31 Depth=1
	s_delay_alu instid0(SALU_CYCLE_1)
	s_and_b32 vcc_lo, exec_lo, s81
	s_cbranch_vccz .LBB165_307
; %bb.292:                              ;   in Loop: Header=BB165_31 Depth=1
	s_cmp_eq_u64 s[20:21], 1
                                        ; implicit-def: $sgpr81
                                        ; implicit-def: $sgpr76
	s_cselect_b32 s4, -1, 0
	s_delay_alu instid0(SALU_CYCLE_1)
	s_and_b32 s7, s4, s7
	s_mov_b32 s4, -1
	s_and_saveexec_b32 s56, s7
	s_cbranch_execz .LBB165_325
; %bb.293:                              ;   in Loop: Header=BB165_31 Depth=1
	ds_load_b64 v[4:5], v21 offset:5120
	s_wait_dscnt 0x0
	s_barrier_signal -1
	s_barrier_wait -1
	v_readfirstlane_b32 s8, v4
	v_readfirstlane_b32 s9, v5
	s_and_saveexec_b32 s4, s6
; %bb.294:                              ;   in Loop: Header=BB165_31 Depth=1
	ds_store_b64 v58, v[36:37]
; %bb.295:                              ;   in Loop: Header=BB165_31 Depth=1
	s_or_b32 exec_lo, exec_lo, s4
	v_or_b32_e32 v33, s13, v33
	v_or_b32_e32 v32, s12, v32
	;; [unrolled: 1-line block ×4, first 2 shown]
	s_mov_b32 s76, -1
	s_mov_b32 s81, 0
	s_cmp_eq_u64 s[8:9], 0
	s_mov_b32 s24, 0
	s_mov_b32 s25, -1
	s_wait_dscnt 0x0
	s_barrier_signal -1
	s_barrier_wait -1
                                        ; implicit-def: $vgpr6_vgpr7
	s_cbranch_scc1 .LBB165_310
; %bb.296:                              ;   in Loop: Header=BB165_31 Depth=1
	s_add_nc_u64 s[22:23], s[8:9], s[62:63]
	s_delay_alu instid0(SALU_CYCLE_1) | instskip(NEXT) | instid1(SALU_CYCLE_1)
	s_and_b64 s[24:25], s[22:23], 0xffffffff00000000
	s_cmp_lg_u64 s[24:25], 0
	s_cbranch_scc0 .LBB165_351
; %bb.297:                              ;   in Loop: Header=BB165_31 Depth=1
	s_cvt_f32_u32 s4, s34
	s_sub_nc_u64 s[46:47], 0, s[34:35]
	s_delay_alu instid0(SALU_CYCLE_2) | instskip(NEXT) | instid1(SALU_CYCLE_3)
	s_fmamk_f32 s4, s100, 0x0, s4
	v_s_rcp_f32 s4, s4
	s_delay_alu instid0(TRANS32_DEP_1) | instskip(NEXT) | instid1(SALU_CYCLE_3)
	s_mul_f32 s4, s4, 0x5f7ffffc
	s_mul_f32 s24, s4, 0x2f800000
	s_delay_alu instid0(SALU_CYCLE_3) | instskip(NEXT) | instid1(SALU_CYCLE_3)
	s_trunc_f32 s24, s24
	s_fmamk_f32 s4, s24, 0xcf800000, s4
	s_cvt_u32_f32 s25, s24
	s_delay_alu instid0(SALU_CYCLE_2) | instskip(NEXT) | instid1(SALU_CYCLE_3)
	s_cvt_u32_f32 s24, s4
	s_mul_u64 s[66:67], s[46:47], s[24:25]
	s_delay_alu instid0(SALU_CYCLE_1)
	s_mul_hi_u32 s83, s24, s67
	s_mul_i32 s82, s24, s67
	s_mul_hi_u32 s26, s24, s66
	s_mul_i32 s57, s25, s66
	s_add_nc_u64 s[82:83], s[26:27], s[82:83]
	s_mul_hi_u32 s4, s25, s66
	s_mul_hi_u32 s70, s25, s67
	s_add_co_u32 s26, s82, s57
	s_add_co_ci_u32 s26, s83, s4
	s_mul_i32 s66, s25, s67
	s_add_co_ci_u32 s67, s70, 0
	s_delay_alu instid0(SALU_CYCLE_1) | instskip(NEXT) | instid1(SALU_CYCLE_1)
	s_add_nc_u64 s[66:67], s[26:27], s[66:67]
	s_add_co_u32 s24, s24, s66
	s_cselect_b32 s4, -1, 0
	s_delay_alu instid0(SALU_CYCLE_1) | instskip(SKIP_1) | instid1(SALU_CYCLE_1)
	s_cmp_lg_u32 s4, 0
	s_add_co_ci_u32 s25, s25, s67
	s_mul_u64 s[46:47], s[46:47], s[24:25]
	s_delay_alu instid0(SALU_CYCLE_1)
	s_mul_hi_u32 s67, s24, s47
	s_mul_i32 s66, s24, s47
	s_mul_hi_u32 s26, s24, s46
	s_mul_i32 s57, s25, s46
	s_add_nc_u64 s[66:67], s[26:27], s[66:67]
	s_mul_hi_u32 s4, s25, s46
	s_mul_hi_u32 s70, s25, s47
	s_add_co_u32 s26, s66, s57
	s_add_co_ci_u32 s26, s67, s4
	s_mul_i32 s46, s25, s47
	s_add_co_ci_u32 s47, s70, 0
	s_delay_alu instid0(SALU_CYCLE_1) | instskip(NEXT) | instid1(SALU_CYCLE_1)
	s_add_nc_u64 s[46:47], s[26:27], s[46:47]
	s_add_co_u32 s4, s24, s46
	s_cselect_b32 s24, -1, 0
	s_mul_hi_u32 s26, s22, s4
	s_cmp_lg_u32 s24, 0
	s_mul_hi_u32 s57, s23, s4
	s_add_co_ci_u32 s46, s25, s47
	s_mul_i32 s4, s23, s4
	s_mul_hi_u32 s25, s22, s46
	s_mul_i32 s24, s22, s46
	s_mul_hi_u32 s47, s23, s46
	s_add_nc_u64 s[24:25], s[26:27], s[24:25]
	s_mul_i32 s46, s23, s46
	s_add_co_u32 s4, s24, s4
	s_add_co_ci_u32 s26, s25, s57
	s_add_co_ci_u32 s47, s47, 0
	s_delay_alu instid0(SALU_CYCLE_1) | instskip(NEXT) | instid1(SALU_CYCLE_1)
	s_add_nc_u64 s[24:25], s[26:27], s[46:47]
	s_and_b64 s[46:47], s[24:25], 0xffffffff00000000
	s_delay_alu instid0(SALU_CYCLE_1) | instskip(NEXT) | instid1(SALU_CYCLE_1)
	s_or_b32 s46, s46, s24
	s_mul_u64 s[24:25], s[34:35], s[46:47]
	s_delay_alu instid0(SALU_CYCLE_1) | instskip(SKIP_1) | instid1(SALU_CYCLE_1)
	s_sub_co_u32 s4, s22, s24
	s_cselect_b32 s24, -1, 0
	s_cmp_lg_u32 s24, 0
	s_sub_co_ci_u32 s24, s23, s25
	s_sub_co_u32 s25, s4, s34
	s_cselect_b32 s26, -1, 0
	s_delay_alu instid0(SALU_CYCLE_1) | instskip(SKIP_3) | instid1(SALU_CYCLE_1)
	s_cmp_lg_u32 s26, 0
	s_sub_co_ci_u32 s26, s24, 0
	s_sub_co_u32 s46, s25, s34
	s_cselect_b32 s47, -1, 0
	s_cmp_lg_u32 s47, 0
	s_sub_co_ci_u32 s47, s26, 0
	s_cmp_ge_u32 s25, s34
	s_cselect_b32 s57, -1, 0
	s_cmp_eq_u32 s26, 0
	s_cselect_b32 s57, s57, -1
	s_delay_alu instid0(SALU_CYCLE_1)
	s_cmp_lg_u32 s57, 0
	s_cselect_b32 s26, s47, s26
	s_cselect_b32 s46, s46, s25
	s_cmp_ge_u32 s4, s34
	s_cselect_b32 s25, -1, 0
	s_cmp_eq_u32 s24, 0
	s_cselect_b32 s25, s25, -1
	s_delay_alu instid0(SALU_CYCLE_1)
	s_cmp_lg_u32 s25, 0
	s_cselect_b32 s25, s26, s24
	s_cselect_b32 s24, s46, s4
	s_cbranch_execnz .LBB165_299
.LBB165_298:                            ;   in Loop: Header=BB165_31 Depth=1
	v_cvt_f32_u32_e32 v3, s34
	s_sub_co_i32 s24, 0, s34
	s_delay_alu instid0(VALU_DEP_1) | instskip(SKIP_1) | instid1(TRANS32_DEP_1)
	v_rcp_iflag_f32_e32 v3, v3
	v_nop
	v_mul_f32_e32 v3, 0x4f7ffffe, v3
	s_delay_alu instid0(VALU_DEP_1) | instskip(NEXT) | instid1(VALU_DEP_1)
	v_cvt_u32_f32_e32 v3, v3
	v_readfirstlane_b32 s4, v3
	s_mul_i32 s24, s24, s4
	s_delay_alu instid0(SALU_CYCLE_1) | instskip(NEXT) | instid1(SALU_CYCLE_1)
	s_mul_hi_u32 s24, s4, s24
	s_add_co_i32 s4, s4, s24
	s_delay_alu instid0(SALU_CYCLE_1) | instskip(NEXT) | instid1(SALU_CYCLE_1)
	s_mul_hi_u32 s4, s22, s4
	s_mul_i32 s4, s4, s34
	s_delay_alu instid0(SALU_CYCLE_1) | instskip(NEXT) | instid1(SALU_CYCLE_1)
	s_sub_co_i32 s4, s22, s4
	s_sub_co_i32 s24, s4, s34
	s_cmp_ge_u32 s4, s34
	s_cselect_b32 s4, s24, s4
	s_delay_alu instid0(SALU_CYCLE_1) | instskip(SKIP_2) | instid1(SALU_CYCLE_1)
	s_sub_co_i32 s24, s4, s34
	s_cmp_ge_u32 s4, s34
	s_cselect_b32 s26, s24, s4
	s_mov_b64 s[24:25], s[26:27]
.LBB165_299:                            ;   in Loop: Header=BB165_31 Depth=1
	s_delay_alu instid0(SALU_CYCLE_1)
	s_sub_nc_u64 s[22:23], s[22:23], s[24:25]
	s_mov_b32 s25, 0
	s_mov_b32 s24, 0
	s_mov_b32 s26, exec_lo
                                        ; implicit-def: $vgpr6_vgpr7
	v_cmpx_gt_u64_e64 s[22:23], v[0:1]
	s_cbranch_execz .LBB165_309
; %bb.300:                              ;   in Loop: Header=BB165_31 Depth=1
	v_mov_b64_e32 v[8:9], v[0:1]
	v_mov_b32_e32 v10, v56
                                        ; implicit-def: $sgpr46
	s_branch .LBB165_303
.LBB165_301:                            ;   in Loop: Header=BB165_303 Depth=2
	s_or_b32 exec_lo, exec_lo, s4
	s_wait_dscnt 0x0
	s_barrier_signal -1
	s_barrier_wait -1
	ds_load_b128 v[4:7], v21 offset:3072
	s_mov_b32 s4, -1
	s_mov_b32 s47, -1
	s_wait_dscnt 0x0
	s_barrier_signal -1
	s_barrier_wait -1
	v_cmp_ne_u64_e32 vcc_lo, 0, v[4:5]
	s_cbranch_vccz .LBB165_306
.LBB165_302:                            ;   in Loop: Header=BB165_303 Depth=2
	s_and_b32 s4, exec_lo, s4
	s_delay_alu instid0(SALU_CYCLE_1) | instskip(SKIP_2) | instid1(SALU_CYCLE_1)
	s_or_b32 s24, s4, s24
	s_and_not1_b32 s4, s46, exec_lo
	s_and_b32 s46, s47, exec_lo
	s_or_b32 s46, s4, s46
	s_and_not1_b32 exec_lo, exec_lo, s24
	s_cbranch_execz .LBB165_308
.LBB165_303:                            ;   Parent Loop BB165_31 Depth=1
                                        ; =>  This Inner Loop Header: Depth=2
	s_mov_b32 s4, exec_lo
	s_delay_alu instid0(VALU_DEP_2)
	v_cmpx_gt_u64_e64 s[8:9], v[8:9]
	s_cbranch_execz .LBB165_301
; %bb.304:                              ;   in Loop: Header=BB165_303 Depth=2
	ds_load_b64 v[4:5], v10
	s_wait_dscnt 0x0
	v_xor_b32_e32 v3, 0x80000000, v5
	v_and_b32_e32 v6, v4, v38
	s_delay_alu instid0(VALU_DEP_2) | instskip(NEXT) | instid1(VALU_DEP_1)
	v_and_b32_e32 v7, v3, v39
	v_cmp_eq_u64_e32 vcc_lo, v[6:7], v[32:33]
	s_and_b32 exec_lo, exec_lo, vcc_lo
	s_cbranch_execz .LBB165_301
; %bb.305:                              ;   in Loop: Header=BB165_303 Depth=2
	v_mov_b32_e32 v3, v21
	ds_store_b128 v21, v[2:5] offset:3072
	s_branch .LBB165_301
.LBB165_306:                            ;   in Loop: Header=BB165_303 Depth=2
	v_add_nc_u64_e32 v[8:9], s[34:35], v[8:9]
	v_add_nc_u32_e32 v10, s97, v10
	s_mov_b32 s47, 0
	s_delay_alu instid0(VALU_DEP_2)
	v_cmp_le_u64_e32 vcc_lo, s[22:23], v[8:9]
	s_or_not1_b32 s4, vcc_lo, exec_lo
	s_branch .LBB165_302
.LBB165_307:                            ;   in Loop: Header=BB165_31 Depth=1
	v_mov_b64_e32 v[32:33], v[14:15]
	v_mov_b64_e32 v[38:39], v[12:13]
	;; [unrolled: 1-line block ×3, first 2 shown]
	s_mov_b32 s81, 0
	s_and_saveexec_b32 s4, s78
	s_cbranch_execnz .LBB165_484
	s_branch .LBB165_485
.LBB165_308:                            ;   in Loop: Header=BB165_31 Depth=1
	s_or_b32 exec_lo, exec_lo, s24
	s_delay_alu instid0(SALU_CYCLE_1)
	s_and_b32 s24, s46, exec_lo
.LBB165_309:                            ;   in Loop: Header=BB165_31 Depth=1
	s_or_b32 exec_lo, exec_lo, s26
.LBB165_310:                            ;   in Loop: Header=BB165_31 Depth=1
	s_delay_alu instid0(SALU_CYCLE_1)
	s_and_b32 vcc_lo, exec_lo, s25
	s_cbranch_vccz .LBB165_324
; %bb.311:                              ;   in Loop: Header=BB165_31 Depth=1
	s_and_b64 s[8:9], s[64:65], 0xffffffff00000000
	s_delay_alu instid0(SALU_CYCLE_1)
	s_cmp_lg_u64 s[8:9], 0
	s_cbranch_scc0 .LBB165_352
; %bb.312:                              ;   in Loop: Header=BB165_31 Depth=1
	s_cvt_f32_u32 s4, s34
	s_sub_nc_u64 s[22:23], 0, s[34:35]
	s_delay_alu instid0(SALU_CYCLE_2) | instskip(NEXT) | instid1(SALU_CYCLE_3)
	s_fmamk_f32 s4, s100, 0x0, s4
	v_s_rcp_f32 s4, s4
	s_delay_alu instid0(TRANS32_DEP_1) | instskip(NEXT) | instid1(SALU_CYCLE_3)
	s_mul_f32 s4, s4, 0x5f7ffffc
	s_mul_f32 s8, s4, 0x2f800000
	s_delay_alu instid0(SALU_CYCLE_3) | instskip(NEXT) | instid1(SALU_CYCLE_3)
	s_trunc_f32 s8, s8
	s_fmamk_f32 s4, s8, 0xcf800000, s4
	s_cvt_u32_f32 s9, s8
	s_delay_alu instid0(SALU_CYCLE_2) | instskip(NEXT) | instid1(SALU_CYCLE_3)
	s_cvt_u32_f32 s8, s4
	s_mul_u64 s[46:47], s[22:23], s[8:9]
	s_delay_alu instid0(SALU_CYCLE_1)
	s_mul_hi_u32 s67, s8, s47
	s_mul_i32 s66, s8, s47
	s_mul_hi_u32 s26, s8, s46
	s_mul_i32 s25, s9, s46
	s_add_nc_u64 s[66:67], s[26:27], s[66:67]
	s_mul_hi_u32 s4, s9, s46
	s_mul_hi_u32 s57, s9, s47
	s_add_co_u32 s25, s66, s25
	s_add_co_ci_u32 s26, s67, s4
	s_mul_i32 s46, s9, s47
	s_add_co_ci_u32 s47, s57, 0
	s_delay_alu instid0(SALU_CYCLE_1) | instskip(NEXT) | instid1(SALU_CYCLE_1)
	s_add_nc_u64 s[46:47], s[26:27], s[46:47]
	s_add_co_u32 s8, s8, s46
	s_cselect_b32 s4, -1, 0
	s_delay_alu instid0(SALU_CYCLE_1) | instskip(SKIP_1) | instid1(SALU_CYCLE_1)
	s_cmp_lg_u32 s4, 0
	s_add_co_ci_u32 s9, s9, s47
	s_mul_u64 s[22:23], s[22:23], s[8:9]
	s_delay_alu instid0(SALU_CYCLE_1)
	s_mul_hi_u32 s47, s8, s23
	s_mul_i32 s46, s8, s23
	s_mul_hi_u32 s26, s8, s22
	s_mul_i32 s25, s9, s22
	s_add_nc_u64 s[46:47], s[26:27], s[46:47]
	s_mul_hi_u32 s4, s9, s22
	s_mul_hi_u32 s57, s9, s23
	s_mul_i32 s22, s9, s23
	s_add_co_u32 s23, s46, s25
	s_add_co_ci_u32 s26, s47, s4
	s_add_co_ci_u32 s23, s57, 0
	s_delay_alu instid0(SALU_CYCLE_1) | instskip(NEXT) | instid1(SALU_CYCLE_1)
	s_add_nc_u64 s[22:23], s[26:27], s[22:23]
	s_add_co_u32 s4, s8, s22
	s_cselect_b32 s8, -1, 0
	s_mul_hi_u32 s26, s64, s4
	s_cmp_lg_u32 s8, 0
	s_mul_hi_u32 s25, s65, s4
	s_add_co_ci_u32 s22, s9, s23
	s_mul_i32 s4, s65, s4
	s_mul_hi_u32 s9, s64, s22
	s_mul_i32 s8, s64, s22
	s_mul_hi_u32 s23, s65, s22
	s_add_nc_u64 s[8:9], s[26:27], s[8:9]
	s_mul_i32 s22, s65, s22
	s_add_co_u32 s4, s8, s4
	s_add_co_ci_u32 s26, s9, s25
	s_add_co_ci_u32 s23, s23, 0
	s_delay_alu instid0(SALU_CYCLE_1) | instskip(NEXT) | instid1(SALU_CYCLE_1)
	s_add_nc_u64 s[8:9], s[26:27], s[22:23]
	s_and_b64 s[22:23], s[8:9], 0xffffffff00000000
	s_delay_alu instid0(SALU_CYCLE_1) | instskip(NEXT) | instid1(SALU_CYCLE_1)
	s_or_b32 s22, s22, s8
	s_mul_u64 s[8:9], s[34:35], s[22:23]
	s_delay_alu instid0(SALU_CYCLE_1) | instskip(SKIP_1) | instid1(SALU_CYCLE_1)
	s_sub_co_u32 s4, s64, s8
	s_cselect_b32 s8, -1, 0
	s_cmp_lg_u32 s8, 0
	s_sub_co_ci_u32 s8, s65, s9
	s_sub_co_u32 s9, s4, s34
	s_cselect_b32 s22, -1, 0
	s_delay_alu instid0(SALU_CYCLE_1) | instskip(SKIP_3) | instid1(SALU_CYCLE_1)
	s_cmp_lg_u32 s22, 0
	s_sub_co_ci_u32 s22, s8, 0
	s_sub_co_u32 s23, s9, s34
	s_cselect_b32 s25, -1, 0
	s_cmp_lg_u32 s25, 0
	s_sub_co_ci_u32 s25, s22, 0
	s_cmp_ge_u32 s9, s34
	s_cselect_b32 s26, -1, 0
	s_cmp_eq_u32 s22, 0
	s_cselect_b32 s26, s26, -1
	s_delay_alu instid0(SALU_CYCLE_1)
	s_cmp_lg_u32 s26, 0
	s_cselect_b32 s22, s25, s22
	s_cselect_b32 s23, s23, s9
	s_cmp_ge_u32 s4, s34
	s_cselect_b32 s9, -1, 0
	s_cmp_eq_u32 s8, 0
	s_cselect_b32 s9, s9, -1
	s_delay_alu instid0(SALU_CYCLE_1)
	s_cmp_lg_u32 s9, 0
	s_cselect_b32 s9, s22, s8
	s_cselect_b32 s8, s23, s4
	s_cbranch_execnz .LBB165_314
.LBB165_313:                            ;   in Loop: Header=BB165_31 Depth=1
	v_cvt_f32_u32_e32 v3, s34
	s_sub_co_i32 s8, 0, s34
	s_delay_alu instid0(VALU_DEP_1) | instskip(SKIP_1) | instid1(TRANS32_DEP_1)
	v_rcp_iflag_f32_e32 v3, v3
	v_nop
	v_mul_f32_e32 v3, 0x4f7ffffe, v3
	s_delay_alu instid0(VALU_DEP_1) | instskip(NEXT) | instid1(VALU_DEP_1)
	v_cvt_u32_f32_e32 v3, v3
	v_readfirstlane_b32 s4, v3
	s_mul_i32 s8, s8, s4
	s_delay_alu instid0(SALU_CYCLE_1) | instskip(NEXT) | instid1(SALU_CYCLE_1)
	s_mul_hi_u32 s8, s4, s8
	s_add_co_i32 s4, s4, s8
	s_delay_alu instid0(SALU_CYCLE_1) | instskip(NEXT) | instid1(SALU_CYCLE_1)
	s_mul_hi_u32 s4, s64, s4
	s_mul_i32 s4, s4, s34
	s_delay_alu instid0(SALU_CYCLE_1) | instskip(NEXT) | instid1(SALU_CYCLE_1)
	s_sub_co_i32 s4, s64, s4
	s_sub_co_i32 s8, s4, s34
	s_cmp_ge_u32 s4, s34
	s_cselect_b32 s4, s8, s4
	s_delay_alu instid0(SALU_CYCLE_1) | instskip(SKIP_2) | instid1(SALU_CYCLE_1)
	s_sub_co_i32 s8, s4, s34
	s_cmp_ge_u32 s4, s34
	s_cselect_b32 s26, s8, s4
	s_mov_b64 s[8:9], s[26:27]
.LBB165_314:                            ;   in Loop: Header=BB165_31 Depth=1
	s_delay_alu instid0(SALU_CYCLE_1)
	s_sub_nc_u64 s[8:9], s[64:65], s[8:9]
	s_mov_b32 s22, exec_lo
                                        ; implicit-def: $vgpr6_vgpr7
	v_cmpx_gt_u64_e64 s[8:9], v[0:1]
	s_cbranch_execz .LBB165_323
; %bb.315:                              ;   in Loop: Header=BB165_31 Depth=1
	v_mov_b64_e32 v[8:9], v[34:35]
	v_mov_b64_e32 v[10:11], v[0:1]
	s_mov_b32 s25, 0
                                        ; implicit-def: $sgpr23
	s_branch .LBB165_318
.LBB165_316:                            ;   in Loop: Header=BB165_318 Depth=2
	s_or_b32 exec_lo, exec_lo, s4
	s_wait_dscnt 0x0
	s_barrier_signal -1
	s_barrier_wait -1
	ds_load_b128 v[4:7], v21 offset:3072
	s_mov_b32 s4, -1
	s_mov_b32 s26, -1
	s_wait_dscnt 0x0
	s_barrier_signal -1
	s_barrier_wait -1
	v_cmp_ne_u64_e32 vcc_lo, 0, v[4:5]
	s_cbranch_vccz .LBB165_321
.LBB165_317:                            ;   in Loop: Header=BB165_318 Depth=2
	s_and_b32 s4, exec_lo, s4
	s_delay_alu instid0(SALU_CYCLE_1) | instskip(SKIP_2) | instid1(SALU_CYCLE_1)
	s_or_b32 s25, s4, s25
	s_and_not1_b32 s4, s23, exec_lo
	s_and_b32 s23, s26, exec_lo
	s_or_b32 s23, s4, s23
	s_and_not1_b32 exec_lo, exec_lo, s25
	s_cbranch_execz .LBB165_322
.LBB165_318:                            ;   Parent Loop BB165_31 Depth=1
                                        ; =>  This Inner Loop Header: Depth=2
	s_mov_b32 s4, exec_lo
	s_delay_alu instid0(VALU_DEP_1)
	v_cmpx_gt_u64_e64 s[36:37], v[10:11]
	s_cbranch_execz .LBB165_316
; %bb.319:                              ;   in Loop: Header=BB165_318 Depth=2
	global_load_b64 v[4:5], v[8:9], off
	s_wait_loadcnt 0x0
	v_xor_b32_e32 v3, 0x80000000, v5
	v_and_b32_e32 v6, v4, v38
	s_delay_alu instid0(VALU_DEP_2) | instskip(NEXT) | instid1(VALU_DEP_1)
	v_and_b32_e32 v7, v3, v39
	v_cmp_eq_u64_e32 vcc_lo, v[6:7], v[32:33]
	s_and_b32 exec_lo, exec_lo, vcc_lo
	s_cbranch_execz .LBB165_316
; %bb.320:                              ;   in Loop: Header=BB165_318 Depth=2
	v_mov_b32_e32 v3, v21
	ds_store_b128 v21, v[2:5] offset:3072
	s_branch .LBB165_316
.LBB165_321:                            ;   in Loop: Header=BB165_318 Depth=2
	v_add_nc_u64_e32 v[10:11], s[34:35], v[10:11]
	v_add_nc_u64_e32 v[8:9], s[42:43], v[8:9]
	s_mov_b32 s26, 0
	s_delay_alu instid0(VALU_DEP_2)
	v_cmp_le_u64_e32 vcc_lo, s[8:9], v[10:11]
	s_or_not1_b32 s4, vcc_lo, exec_lo
	s_branch .LBB165_317
.LBB165_322:                            ;   in Loop: Header=BB165_31 Depth=1
	s_or_b32 exec_lo, exec_lo, s25
	s_delay_alu instid0(SALU_CYCLE_1) | instskip(SKIP_1) | instid1(SALU_CYCLE_1)
	s_and_not1_b32 s4, s24, exec_lo
	s_and_b32 s8, s23, exec_lo
	s_or_b32 s24, s4, s8
.LBB165_323:                            ;   in Loop: Header=BB165_31 Depth=1
	s_or_b32 exec_lo, exec_lo, s22
	s_mov_b32 s76, 0
	s_mov_b32 s81, -1
.LBB165_324:                            ;   in Loop: Header=BB165_31 Depth=1
	s_or_not1_b32 s4, s24, exec_lo
.LBB165_325:                            ;   in Loop: Header=BB165_31 Depth=1
	s_or_b32 exec_lo, exec_lo, s56
                                        ; implicit-def: $vgpr42_vgpr43
                                        ; implicit-def: $vgpr20
	s_and_saveexec_b32 s24, s4
	s_cbranch_execz .LBB165_483
; %bb.326:                              ;   in Loop: Header=BB165_31 Depth=1
	v_mov_b64_e32 v[42:43], 1
	v_mov_b32_e32 v20, 1
	s_xor_b32 s4, s7, -1
	s_mov_b32 s8, 0
	s_and_saveexec_b32 s7, s4
	s_cbranch_execz .LBB165_335
; %bb.327:                              ;   in Loop: Header=BB165_31 Depth=1
	s_mov_b32 s4, exec_lo
	v_cmpx_ge_u64_e64 s[20:21], v[40:41]
	s_xor_b32 s4, exec_lo, s4
	s_cbranch_execz .LBB165_332
; %bb.328:                              ;   in Loop: Header=BB165_31 Depth=1
	ds_load_b64 v[4:5], v21 offset:5120
	v_or_b32_e32 v33, s13, v33
	v_or_b32_e32 v32, s12, v32
	;; [unrolled: 1-line block ×4, first 2 shown]
	s_wait_dscnt 0x0
	v_cmp_ne_u64_e32 vcc_lo, 0, v[4:5]
	s_cbranch_vccnz .LBB165_332
; %bb.329:                              ;   in Loop: Header=BB165_31 Depth=1
	s_and_saveexec_b32 s8, s5
; %bb.330:                              ;   in Loop: Header=BB165_31 Depth=1
	v_mov_b64_e32 v[4:5], s[20:21]
	ds_store_b64 v21, v[4:5] offset:5128
; %bb.331:                              ;   in Loop: Header=BB165_31 Depth=1
	s_or_b32 exec_lo, exec_lo, s8
	s_wait_dscnt 0x0
	s_barrier_signal -1
	s_barrier_wait -1
.LBB165_332:                            ;   in Loop: Header=BB165_31 Depth=1
	s_or_saveexec_b32 s4, s4
	v_mov_b32_e32 v20, 5
	s_mov_b32 s8, 0
	s_xor_b32 exec_lo, exec_lo, s4
; %bb.333:                              ;   in Loop: Header=BB165_31 Depth=1
	v_sub_nc_u64_e64 v[40:41], v[40:41], s[20:21]
	v_mov_b32_e32 v20, 0
	s_mov_b32 s8, exec_lo
; %bb.334:                              ;   in Loop: Header=BB165_31 Depth=1
	s_or_b32 exec_lo, exec_lo, s4
	s_delay_alu instid0(VALU_DEP_2)
	v_mov_b64_e32 v[42:43], v[40:41]
	s_and_b32 s8, s8, exec_lo
.LBB165_335:                            ;   in Loop: Header=BB165_31 Depth=1
	s_or_b32 exec_lo, exec_lo, s7
	s_mov_b32 s4, -1
                                        ; implicit-def: $sgpr25
                                        ; implicit-def: $sgpr79
	s_and_saveexec_b32 s7, s8
	s_delay_alu instid0(SALU_CYCLE_1)
	s_xor_b32 s7, exec_lo, s7
	s_cbranch_execz .LBB165_480
; %bb.336:                              ;   in Loop: Header=BB165_31 Depth=1
	v_cmp_eq_u64_e32 vcc_lo, 1, v[42:43]
	s_cmp_eq_u64 s[18:19], 1
                                        ; implicit-def: $sgpr79
                                        ; implicit-def: $sgpr25
	s_cselect_b32 s4, -1, 0
	s_delay_alu instid0(SALU_CYCLE_1)
	s_and_b32 s80, s4, vcc_lo
	s_mov_b32 s4, -1
	s_and_saveexec_b32 s56, s80
	s_cbranch_execz .LBB165_370
; %bb.337:                              ;   in Loop: Header=BB165_31 Depth=1
	ds_load_b64 v[4:5], v21 offset:5120
	s_wait_dscnt 0x0
	s_barrier_signal -1
	s_barrier_wait -1
	v_readfirstlane_b32 s8, v4
	v_readfirstlane_b32 s9, v5
	s_and_saveexec_b32 s4, s6
; %bb.338:                              ;   in Loop: Header=BB165_31 Depth=1
	ds_store_b64 v58, v[36:37]
; %bb.339:                              ;   in Loop: Header=BB165_31 Depth=1
	s_or_b32 exec_lo, exec_lo, s4
	v_and_b32_e32 v3, s15, v33
	v_and_b32_e32 v4, s14, v32
	s_lshl_b64 s[20:21], 2, s98
	v_or_b32_e32 v39, s13, v39
	v_or_b32_e32 v38, s12, v38
	;; [unrolled: 1-line block ×4, first 2 shown]
	s_mov_b32 s25, -1
	s_mov_b32 s79, 0
	s_cmp_eq_u64 s[8:9], 0
	s_mov_b32 s22, 0
	s_mov_b32 s23, -1
	s_wait_dscnt 0x0
	s_barrier_signal -1
	s_barrier_wait -1
                                        ; implicit-def: $vgpr6_vgpr7
	s_cbranch_scc1 .LBB165_355
; %bb.340:                              ;   in Loop: Header=BB165_31 Depth=1
	s_add_nc_u64 s[20:21], s[8:9], s[62:63]
	s_delay_alu instid0(SALU_CYCLE_1) | instskip(NEXT) | instid1(SALU_CYCLE_1)
	s_and_b64 s[22:23], s[20:21], 0xffffffff00000000
	s_cmp_lg_u64 s[22:23], 0
	s_cbranch_scc0 .LBB165_396
; %bb.341:                              ;   in Loop: Header=BB165_31 Depth=1
	s_cvt_f32_u32 s4, s34
	s_sub_nc_u64 s[46:47], 0, s[34:35]
	s_delay_alu instid0(SALU_CYCLE_2) | instskip(NEXT) | instid1(SALU_CYCLE_3)
	s_fmamk_f32 s4, s100, 0x0, s4
	v_s_rcp_f32 s4, s4
	s_delay_alu instid0(TRANS32_DEP_1) | instskip(NEXT) | instid1(SALU_CYCLE_3)
	s_mul_f32 s4, s4, 0x5f7ffffc
	s_mul_f32 s22, s4, 0x2f800000
	s_delay_alu instid0(SALU_CYCLE_3) | instskip(NEXT) | instid1(SALU_CYCLE_3)
	s_trunc_f32 s22, s22
	s_fmamk_f32 s4, s22, 0xcf800000, s4
	s_cvt_u32_f32 s23, s22
	s_delay_alu instid0(SALU_CYCLE_2) | instskip(NEXT) | instid1(SALU_CYCLE_3)
	s_cvt_u32_f32 s22, s4
	s_mul_u64 s[66:67], s[46:47], s[22:23]
	s_delay_alu instid0(SALU_CYCLE_1)
	s_mul_hi_u32 s83, s22, s67
	s_mul_i32 s82, s22, s67
	s_mul_hi_u32 s26, s22, s66
	s_mul_i32 s57, s23, s66
	s_add_nc_u64 s[82:83], s[26:27], s[82:83]
	s_mul_hi_u32 s4, s23, s66
	s_mul_hi_u32 s70, s23, s67
	s_add_co_u32 s26, s82, s57
	s_add_co_ci_u32 s26, s83, s4
	s_mul_i32 s66, s23, s67
	s_add_co_ci_u32 s67, s70, 0
	s_delay_alu instid0(SALU_CYCLE_1) | instskip(NEXT) | instid1(SALU_CYCLE_1)
	s_add_nc_u64 s[66:67], s[26:27], s[66:67]
	s_add_co_u32 s22, s22, s66
	s_cselect_b32 s4, -1, 0
	s_delay_alu instid0(SALU_CYCLE_1) | instskip(SKIP_1) | instid1(SALU_CYCLE_1)
	s_cmp_lg_u32 s4, 0
	s_add_co_ci_u32 s23, s23, s67
	s_mul_u64 s[46:47], s[46:47], s[22:23]
	s_delay_alu instid0(SALU_CYCLE_1)
	s_mul_hi_u32 s67, s22, s47
	s_mul_i32 s66, s22, s47
	s_mul_hi_u32 s26, s22, s46
	s_mul_i32 s57, s23, s46
	s_add_nc_u64 s[66:67], s[26:27], s[66:67]
	s_mul_hi_u32 s4, s23, s46
	s_mul_hi_u32 s70, s23, s47
	s_add_co_u32 s26, s66, s57
	s_add_co_ci_u32 s26, s67, s4
	s_mul_i32 s46, s23, s47
	s_add_co_ci_u32 s47, s70, 0
	s_delay_alu instid0(SALU_CYCLE_1) | instskip(NEXT) | instid1(SALU_CYCLE_1)
	s_add_nc_u64 s[46:47], s[26:27], s[46:47]
	s_add_co_u32 s4, s22, s46
	s_cselect_b32 s22, -1, 0
	s_mul_hi_u32 s26, s20, s4
	s_cmp_lg_u32 s22, 0
	s_mul_hi_u32 s57, s21, s4
	s_add_co_ci_u32 s46, s23, s47
	s_mul_i32 s4, s21, s4
	s_mul_hi_u32 s23, s20, s46
	s_mul_i32 s22, s20, s46
	s_mul_hi_u32 s47, s21, s46
	s_add_nc_u64 s[22:23], s[26:27], s[22:23]
	s_mul_i32 s46, s21, s46
	s_add_co_u32 s4, s22, s4
	s_add_co_ci_u32 s26, s23, s57
	s_add_co_ci_u32 s47, s47, 0
	s_delay_alu instid0(SALU_CYCLE_1) | instskip(NEXT) | instid1(SALU_CYCLE_1)
	s_add_nc_u64 s[22:23], s[26:27], s[46:47]
	s_and_b64 s[46:47], s[22:23], 0xffffffff00000000
	s_delay_alu instid0(SALU_CYCLE_1) | instskip(NEXT) | instid1(SALU_CYCLE_1)
	s_or_b32 s46, s46, s22
	s_mul_u64 s[22:23], s[34:35], s[46:47]
	s_delay_alu instid0(SALU_CYCLE_1) | instskip(SKIP_1) | instid1(SALU_CYCLE_1)
	s_sub_co_u32 s4, s20, s22
	s_cselect_b32 s22, -1, 0
	s_cmp_lg_u32 s22, 0
	s_sub_co_ci_u32 s22, s21, s23
	s_sub_co_u32 s23, s4, s34
	s_cselect_b32 s26, -1, 0
	s_delay_alu instid0(SALU_CYCLE_1) | instskip(SKIP_3) | instid1(SALU_CYCLE_1)
	s_cmp_lg_u32 s26, 0
	s_sub_co_ci_u32 s26, s22, 0
	s_sub_co_u32 s46, s23, s34
	s_cselect_b32 s47, -1, 0
	s_cmp_lg_u32 s47, 0
	s_sub_co_ci_u32 s47, s26, 0
	s_cmp_ge_u32 s23, s34
	s_cselect_b32 s57, -1, 0
	s_cmp_eq_u32 s26, 0
	s_cselect_b32 s57, s57, -1
	s_delay_alu instid0(SALU_CYCLE_1)
	s_cmp_lg_u32 s57, 0
	s_cselect_b32 s26, s47, s26
	s_cselect_b32 s46, s46, s23
	s_cmp_ge_u32 s4, s34
	s_cselect_b32 s23, -1, 0
	s_cmp_eq_u32 s22, 0
	s_cselect_b32 s23, s23, -1
	s_delay_alu instid0(SALU_CYCLE_1)
	s_cmp_lg_u32 s23, 0
	s_cselect_b32 s23, s26, s22
	s_cselect_b32 s22, s46, s4
	s_cbranch_execnz .LBB165_343
.LBB165_342:                            ;   in Loop: Header=BB165_31 Depth=1
	v_cvt_f32_u32_e32 v3, s34
	s_sub_co_i32 s22, 0, s34
	s_delay_alu instid0(VALU_DEP_1) | instskip(SKIP_1) | instid1(TRANS32_DEP_1)
	v_rcp_iflag_f32_e32 v3, v3
	v_nop
	v_mul_f32_e32 v3, 0x4f7ffffe, v3
	s_delay_alu instid0(VALU_DEP_1) | instskip(NEXT) | instid1(VALU_DEP_1)
	v_cvt_u32_f32_e32 v3, v3
	v_readfirstlane_b32 s4, v3
	s_mul_i32 s22, s22, s4
	s_delay_alu instid0(SALU_CYCLE_1) | instskip(NEXT) | instid1(SALU_CYCLE_1)
	s_mul_hi_u32 s22, s4, s22
	s_add_co_i32 s4, s4, s22
	s_delay_alu instid0(SALU_CYCLE_1) | instskip(NEXT) | instid1(SALU_CYCLE_1)
	s_mul_hi_u32 s4, s20, s4
	s_mul_i32 s4, s4, s34
	s_delay_alu instid0(SALU_CYCLE_1) | instskip(NEXT) | instid1(SALU_CYCLE_1)
	s_sub_co_i32 s4, s20, s4
	s_sub_co_i32 s22, s4, s34
	s_cmp_ge_u32 s4, s34
	s_cselect_b32 s4, s22, s4
	s_delay_alu instid0(SALU_CYCLE_1) | instskip(SKIP_2) | instid1(SALU_CYCLE_1)
	s_sub_co_i32 s22, s4, s34
	s_cmp_ge_u32 s4, s34
	s_cselect_b32 s26, s22, s4
	s_mov_b64 s[22:23], s[26:27]
.LBB165_343:                            ;   in Loop: Header=BB165_31 Depth=1
	s_delay_alu instid0(SALU_CYCLE_1)
	s_sub_nc_u64 s[20:21], s[20:21], s[22:23]
	s_mov_b32 s23, 0
	s_mov_b32 s22, 0
	s_mov_b32 s26, exec_lo
                                        ; implicit-def: $vgpr6_vgpr7
	v_cmpx_gt_u64_e64 s[20:21], v[0:1]
	s_cbranch_execz .LBB165_354
; %bb.344:                              ;   in Loop: Header=BB165_31 Depth=1
	v_mov_b64_e32 v[8:9], v[0:1]
	v_mov_b32_e32 v10, v56
                                        ; implicit-def: $sgpr46
	s_branch .LBB165_347
.LBB165_345:                            ;   in Loop: Header=BB165_347 Depth=2
	s_or_b32 exec_lo, exec_lo, s4
	s_wait_dscnt 0x0
	s_barrier_signal -1
	s_barrier_wait -1
	ds_load_b128 v[4:7], v21 offset:3072
	s_mov_b32 s4, -1
	s_mov_b32 s47, -1
	s_wait_dscnt 0x0
	s_barrier_signal -1
	s_barrier_wait -1
	v_cmp_ne_u64_e32 vcc_lo, 0, v[4:5]
	s_cbranch_vccz .LBB165_350
.LBB165_346:                            ;   in Loop: Header=BB165_347 Depth=2
	s_and_b32 s4, exec_lo, s4
	s_delay_alu instid0(SALU_CYCLE_1) | instskip(SKIP_2) | instid1(SALU_CYCLE_1)
	s_or_b32 s22, s4, s22
	s_and_not1_b32 s4, s46, exec_lo
	s_and_b32 s46, s47, exec_lo
	s_or_b32 s46, s4, s46
	s_and_not1_b32 exec_lo, exec_lo, s22
	s_cbranch_execz .LBB165_353
.LBB165_347:                            ;   Parent Loop BB165_31 Depth=1
                                        ; =>  This Inner Loop Header: Depth=2
	s_mov_b32 s4, exec_lo
	s_delay_alu instid0(VALU_DEP_2)
	v_cmpx_gt_u64_e64 s[8:9], v[8:9]
	s_cbranch_execz .LBB165_345
; %bb.348:                              ;   in Loop: Header=BB165_347 Depth=2
	ds_load_b64 v[4:5], v10
	s_wait_dscnt 0x0
	v_xor_b32_e32 v3, 0x80000000, v5
	v_and_b32_e32 v6, v4, v38
	s_delay_alu instid0(VALU_DEP_2) | instskip(NEXT) | instid1(VALU_DEP_1)
	v_and_b32_e32 v7, v3, v39
	v_cmp_eq_u64_e32 vcc_lo, v[6:7], v[32:33]
	s_and_b32 exec_lo, exec_lo, vcc_lo
	s_cbranch_execz .LBB165_345
; %bb.349:                              ;   in Loop: Header=BB165_347 Depth=2
	v_mov_b32_e32 v3, v21
	ds_store_b128 v21, v[2:5] offset:3072
	s_branch .LBB165_345
.LBB165_350:                            ;   in Loop: Header=BB165_347 Depth=2
	v_add_nc_u64_e32 v[8:9], s[34:35], v[8:9]
	v_add_nc_u32_e32 v10, s97, v10
	s_mov_b32 s47, 0
	s_delay_alu instid0(VALU_DEP_2)
	v_cmp_le_u64_e32 vcc_lo, s[20:21], v[8:9]
	s_or_not1_b32 s4, vcc_lo, exec_lo
	s_branch .LBB165_346
.LBB165_351:                            ;   in Loop: Header=BB165_31 Depth=1
                                        ; implicit-def: $sgpr24_sgpr25
	s_branch .LBB165_298
.LBB165_352:                            ;   in Loop: Header=BB165_31 Depth=1
                                        ; implicit-def: $sgpr8_sgpr9
	s_branch .LBB165_313
.LBB165_353:                            ;   in Loop: Header=BB165_31 Depth=1
	s_or_b32 exec_lo, exec_lo, s22
	s_delay_alu instid0(SALU_CYCLE_1)
	s_and_b32 s22, s46, exec_lo
.LBB165_354:                            ;   in Loop: Header=BB165_31 Depth=1
	s_or_b32 exec_lo, exec_lo, s26
.LBB165_355:                            ;   in Loop: Header=BB165_31 Depth=1
	s_delay_alu instid0(SALU_CYCLE_1)
	s_and_b32 vcc_lo, exec_lo, s23
	s_cbranch_vccz .LBB165_369
; %bb.356:                              ;   in Loop: Header=BB165_31 Depth=1
	s_and_b64 s[8:9], s[64:65], 0xffffffff00000000
	s_delay_alu instid0(SALU_CYCLE_1)
	s_cmp_lg_u64 s[8:9], 0
	s_cbranch_scc0 .LBB165_397
; %bb.357:                              ;   in Loop: Header=BB165_31 Depth=1
	s_cvt_f32_u32 s4, s34
	s_sub_nc_u64 s[20:21], 0, s[34:35]
	s_delay_alu instid0(SALU_CYCLE_2) | instskip(NEXT) | instid1(SALU_CYCLE_3)
	s_fmamk_f32 s4, s100, 0x0, s4
	v_s_rcp_f32 s4, s4
	s_delay_alu instid0(TRANS32_DEP_1) | instskip(NEXT) | instid1(SALU_CYCLE_3)
	s_mul_f32 s4, s4, 0x5f7ffffc
	s_mul_f32 s8, s4, 0x2f800000
	s_delay_alu instid0(SALU_CYCLE_3) | instskip(NEXT) | instid1(SALU_CYCLE_3)
	s_trunc_f32 s8, s8
	s_fmamk_f32 s4, s8, 0xcf800000, s4
	s_cvt_u32_f32 s9, s8
	s_delay_alu instid0(SALU_CYCLE_2) | instskip(NEXT) | instid1(SALU_CYCLE_3)
	s_cvt_u32_f32 s8, s4
	s_mul_u64 s[46:47], s[20:21], s[8:9]
	s_delay_alu instid0(SALU_CYCLE_1)
	s_mul_hi_u32 s67, s8, s47
	s_mul_i32 s66, s8, s47
	s_mul_hi_u32 s26, s8, s46
	s_mul_i32 s23, s9, s46
	s_add_nc_u64 s[66:67], s[26:27], s[66:67]
	s_mul_hi_u32 s4, s9, s46
	s_mul_hi_u32 s25, s9, s47
	s_add_co_u32 s23, s66, s23
	s_add_co_ci_u32 s26, s67, s4
	s_mul_i32 s46, s9, s47
	s_add_co_ci_u32 s47, s25, 0
	s_delay_alu instid0(SALU_CYCLE_1) | instskip(NEXT) | instid1(SALU_CYCLE_1)
	s_add_nc_u64 s[46:47], s[26:27], s[46:47]
	s_add_co_u32 s8, s8, s46
	s_cselect_b32 s4, -1, 0
	s_delay_alu instid0(SALU_CYCLE_1) | instskip(SKIP_1) | instid1(SALU_CYCLE_1)
	s_cmp_lg_u32 s4, 0
	s_add_co_ci_u32 s9, s9, s47
	s_mul_u64 s[20:21], s[20:21], s[8:9]
	s_delay_alu instid0(SALU_CYCLE_1)
	s_mul_hi_u32 s47, s8, s21
	s_mul_i32 s46, s8, s21
	s_mul_hi_u32 s26, s8, s20
	s_mul_i32 s23, s9, s20
	s_add_nc_u64 s[46:47], s[26:27], s[46:47]
	s_mul_hi_u32 s4, s9, s20
	s_mul_hi_u32 s25, s9, s21
	s_mul_i32 s20, s9, s21
	s_add_co_u32 s21, s46, s23
	s_add_co_ci_u32 s26, s47, s4
	s_add_co_ci_u32 s21, s25, 0
	s_delay_alu instid0(SALU_CYCLE_1) | instskip(NEXT) | instid1(SALU_CYCLE_1)
	s_add_nc_u64 s[20:21], s[26:27], s[20:21]
	s_add_co_u32 s4, s8, s20
	s_cselect_b32 s8, -1, 0
	s_mul_hi_u32 s26, s64, s4
	s_cmp_lg_u32 s8, 0
	s_mul_hi_u32 s23, s65, s4
	s_add_co_ci_u32 s20, s9, s21
	s_mul_i32 s4, s65, s4
	s_mul_hi_u32 s9, s64, s20
	s_mul_i32 s8, s64, s20
	s_mul_hi_u32 s21, s65, s20
	s_add_nc_u64 s[8:9], s[26:27], s[8:9]
	s_mul_i32 s20, s65, s20
	s_add_co_u32 s4, s8, s4
	s_add_co_ci_u32 s26, s9, s23
	s_add_co_ci_u32 s21, s21, 0
	s_delay_alu instid0(SALU_CYCLE_1) | instskip(NEXT) | instid1(SALU_CYCLE_1)
	s_add_nc_u64 s[8:9], s[26:27], s[20:21]
	s_and_b64 s[20:21], s[8:9], 0xffffffff00000000
	s_delay_alu instid0(SALU_CYCLE_1) | instskip(NEXT) | instid1(SALU_CYCLE_1)
	s_or_b32 s20, s20, s8
	s_mul_u64 s[8:9], s[34:35], s[20:21]
	s_delay_alu instid0(SALU_CYCLE_1) | instskip(SKIP_1) | instid1(SALU_CYCLE_1)
	s_sub_co_u32 s4, s64, s8
	s_cselect_b32 s8, -1, 0
	s_cmp_lg_u32 s8, 0
	s_sub_co_ci_u32 s8, s65, s9
	s_sub_co_u32 s9, s4, s34
	s_cselect_b32 s20, -1, 0
	s_delay_alu instid0(SALU_CYCLE_1) | instskip(SKIP_3) | instid1(SALU_CYCLE_1)
	s_cmp_lg_u32 s20, 0
	s_sub_co_ci_u32 s20, s8, 0
	s_sub_co_u32 s21, s9, s34
	s_cselect_b32 s23, -1, 0
	s_cmp_lg_u32 s23, 0
	s_sub_co_ci_u32 s23, s20, 0
	s_cmp_ge_u32 s9, s34
	s_cselect_b32 s25, -1, 0
	s_cmp_eq_u32 s20, 0
	s_cselect_b32 s25, s25, -1
	s_delay_alu instid0(SALU_CYCLE_1)
	s_cmp_lg_u32 s25, 0
	s_cselect_b32 s20, s23, s20
	s_cselect_b32 s21, s21, s9
	s_cmp_ge_u32 s4, s34
	s_cselect_b32 s9, -1, 0
	s_cmp_eq_u32 s8, 0
	s_cselect_b32 s9, s9, -1
	s_delay_alu instid0(SALU_CYCLE_1)
	s_cmp_lg_u32 s9, 0
	s_cselect_b32 s9, s20, s8
	s_cselect_b32 s8, s21, s4
	s_cbranch_execnz .LBB165_359
.LBB165_358:                            ;   in Loop: Header=BB165_31 Depth=1
	v_cvt_f32_u32_e32 v3, s34
	s_sub_co_i32 s8, 0, s34
	s_delay_alu instid0(VALU_DEP_1) | instskip(SKIP_1) | instid1(TRANS32_DEP_1)
	v_rcp_iflag_f32_e32 v3, v3
	v_nop
	v_mul_f32_e32 v3, 0x4f7ffffe, v3
	s_delay_alu instid0(VALU_DEP_1) | instskip(NEXT) | instid1(VALU_DEP_1)
	v_cvt_u32_f32_e32 v3, v3
	v_readfirstlane_b32 s4, v3
	s_mul_i32 s8, s8, s4
	s_delay_alu instid0(SALU_CYCLE_1) | instskip(NEXT) | instid1(SALU_CYCLE_1)
	s_mul_hi_u32 s8, s4, s8
	s_add_co_i32 s4, s4, s8
	s_delay_alu instid0(SALU_CYCLE_1) | instskip(NEXT) | instid1(SALU_CYCLE_1)
	s_mul_hi_u32 s4, s64, s4
	s_mul_i32 s4, s4, s34
	s_delay_alu instid0(SALU_CYCLE_1) | instskip(NEXT) | instid1(SALU_CYCLE_1)
	s_sub_co_i32 s4, s64, s4
	s_sub_co_i32 s8, s4, s34
	s_cmp_ge_u32 s4, s34
	s_cselect_b32 s4, s8, s4
	s_delay_alu instid0(SALU_CYCLE_1) | instskip(SKIP_2) | instid1(SALU_CYCLE_1)
	s_sub_co_i32 s8, s4, s34
	s_cmp_ge_u32 s4, s34
	s_cselect_b32 s26, s8, s4
	s_mov_b64 s[8:9], s[26:27]
.LBB165_359:                            ;   in Loop: Header=BB165_31 Depth=1
	s_delay_alu instid0(SALU_CYCLE_1)
	s_sub_nc_u64 s[8:9], s[64:65], s[8:9]
	s_mov_b32 s20, exec_lo
                                        ; implicit-def: $vgpr6_vgpr7
	v_cmpx_gt_u64_e64 s[8:9], v[0:1]
	s_cbranch_execz .LBB165_368
; %bb.360:                              ;   in Loop: Header=BB165_31 Depth=1
	v_mov_b64_e32 v[8:9], v[34:35]
	v_mov_b64_e32 v[10:11], v[0:1]
	s_mov_b32 s21, 0
                                        ; implicit-def: $sgpr23
	s_branch .LBB165_363
.LBB165_361:                            ;   in Loop: Header=BB165_363 Depth=2
	s_or_b32 exec_lo, exec_lo, s4
	s_wait_dscnt 0x0
	s_barrier_signal -1
	s_barrier_wait -1
	ds_load_b128 v[4:7], v21 offset:3072
	s_mov_b32 s4, -1
	s_mov_b32 s25, -1
	s_wait_dscnt 0x0
	s_barrier_signal -1
	s_barrier_wait -1
	v_cmp_eq_u64_e32 vcc_lo, 0, v[4:5]
	s_cbranch_vccnz .LBB165_366
.LBB165_362:                            ;   in Loop: Header=BB165_363 Depth=2
	s_and_b32 s4, exec_lo, s4
	s_delay_alu instid0(SALU_CYCLE_1) | instskip(SKIP_2) | instid1(SALU_CYCLE_1)
	s_or_b32 s21, s4, s21
	s_and_not1_b32 s4, s23, exec_lo
	s_and_b32 s23, s25, exec_lo
	s_or_b32 s23, s4, s23
	s_and_not1_b32 exec_lo, exec_lo, s21
	s_cbranch_execz .LBB165_367
.LBB165_363:                            ;   Parent Loop BB165_31 Depth=1
                                        ; =>  This Inner Loop Header: Depth=2
	s_mov_b32 s4, exec_lo
	s_delay_alu instid0(VALU_DEP_1)
	v_cmpx_gt_u64_e64 s[36:37], v[10:11]
	s_cbranch_execz .LBB165_361
; %bb.364:                              ;   in Loop: Header=BB165_363 Depth=2
	global_load_b64 v[4:5], v[8:9], off
	s_wait_loadcnt 0x0
	v_xor_b32_e32 v3, 0x80000000, v5
	v_and_b32_e32 v6, v4, v38
	s_delay_alu instid0(VALU_DEP_2) | instskip(NEXT) | instid1(VALU_DEP_1)
	v_and_b32_e32 v7, v3, v39
	v_cmp_eq_u64_e32 vcc_lo, v[6:7], v[32:33]
	s_and_b32 exec_lo, exec_lo, vcc_lo
	s_cbranch_execz .LBB165_361
; %bb.365:                              ;   in Loop: Header=BB165_363 Depth=2
	v_mov_b32_e32 v3, v21
	ds_store_b128 v21, v[2:5] offset:3072
	s_branch .LBB165_361
.LBB165_366:                            ;   in Loop: Header=BB165_363 Depth=2
	v_add_nc_u64_e32 v[10:11], s[34:35], v[10:11]
	v_add_nc_u64_e32 v[8:9], s[42:43], v[8:9]
	s_mov_b32 s25, 0
	s_delay_alu instid0(VALU_DEP_2)
	v_cmp_le_u64_e32 vcc_lo, s[8:9], v[10:11]
	s_or_not1_b32 s4, vcc_lo, exec_lo
	s_branch .LBB165_362
.LBB165_367:                            ;   in Loop: Header=BB165_31 Depth=1
	s_or_b32 exec_lo, exec_lo, s21
	s_delay_alu instid0(SALU_CYCLE_1) | instskip(SKIP_1) | instid1(SALU_CYCLE_1)
	s_and_not1_b32 s4, s22, exec_lo
	s_and_b32 s8, s23, exec_lo
	s_or_b32 s22, s4, s8
.LBB165_368:                            ;   in Loop: Header=BB165_31 Depth=1
	s_or_b32 exec_lo, exec_lo, s20
	s_mov_b32 s25, 0
	s_mov_b32 s79, -1
.LBB165_369:                            ;   in Loop: Header=BB165_31 Depth=1
	s_or_not1_b32 s4, s22, exec_lo
.LBB165_370:                            ;   in Loop: Header=BB165_31 Depth=1
	s_or_b32 exec_lo, exec_lo, s56
	s_mov_b32 s8, 0
	s_and_saveexec_b32 s22, s4
	s_cbranch_execz .LBB165_479
; %bb.371:                              ;   in Loop: Header=BB165_31 Depth=1
	v_mov_b64_e32 v[8:9], 1
	v_mov_b32_e32 v20, 1
	s_xor_b32 s4, s80, -1
	s_mov_b32 s9, 0
	s_and_saveexec_b32 s8, s4
	s_cbranch_execz .LBB165_380
; %bb.372:                              ;   in Loop: Header=BB165_31 Depth=1
	s_mov_b32 s4, exec_lo
	v_cmpx_ge_u64_e64 s[18:19], v[42:43]
	s_xor_b32 s4, exec_lo, s4
	s_cbranch_execz .LBB165_377
; %bb.373:                              ;   in Loop: Header=BB165_31 Depth=1
	ds_load_b64 v[4:5], v21 offset:5120
	v_and_b32_e32 v3, s15, v33
	v_and_b32_e32 v8, s14, v32
	s_lshl_b64 s[20:21], 2, s98
	v_or_b32_e32 v39, s13, v39
	v_or_b32_e32 v38, s12, v38
	;; [unrolled: 1-line block ×4, first 2 shown]
	s_wait_dscnt 0x0
	v_cmp_ne_u64_e32 vcc_lo, 0, v[4:5]
	s_cbranch_vccnz .LBB165_377
; %bb.374:                              ;   in Loop: Header=BB165_31 Depth=1
	s_and_saveexec_b32 s9, s5
; %bb.375:                              ;   in Loop: Header=BB165_31 Depth=1
	v_mov_b64_e32 v[4:5], s[18:19]
	ds_store_b64 v21, v[4:5] offset:5128
; %bb.376:                              ;   in Loop: Header=BB165_31 Depth=1
	s_or_b32 exec_lo, exec_lo, s9
	s_wait_dscnt 0x0
	s_barrier_signal -1
	s_barrier_wait -1
.LBB165_377:                            ;   in Loop: Header=BB165_31 Depth=1
	s_or_saveexec_b32 s4, s4
	v_mov_b32_e32 v20, 5
	s_mov_b32 s9, 0
	s_xor_b32 exec_lo, exec_lo, s4
; %bb.378:                              ;   in Loop: Header=BB165_31 Depth=1
	v_sub_nc_u64_e64 v[42:43], v[42:43], s[18:19]
	v_mov_b32_e32 v20, 0
	s_mov_b32 s9, exec_lo
; %bb.379:                              ;   in Loop: Header=BB165_31 Depth=1
	s_or_b32 exec_lo, exec_lo, s4
	s_delay_alu instid0(VALU_DEP_2)
	v_mov_b64_e32 v[8:9], v[42:43]
	s_and_b32 s9, s9, exec_lo
.LBB165_380:                            ;   in Loop: Header=BB165_31 Depth=1
	s_or_b32 exec_lo, exec_lo, s8
	s_mov_b32 s4, -1
                                        ; implicit-def: $sgpr80
                                        ; implicit-def: $sgpr82
	s_and_saveexec_b32 s23, s9
	s_cbranch_execz .LBB165_478
; %bb.381:                              ;   in Loop: Header=BB165_31 Depth=1
	s_delay_alu instid0(VALU_DEP_1) | instskip(SKIP_2) | instid1(SALU_CYCLE_1)
	v_cmp_eq_u64_e32 vcc_lo, 1, v[8:9]
	s_cmp_eq_u64 s[16:17], 1
                                        ; implicit-def: $sgpr82
                                        ; implicit-def: $sgpr80
	s_cselect_b32 s4, -1, 0
	s_and_b32 s83, s4, vcc_lo
	s_mov_b32 s4, -1
	s_and_saveexec_b32 s56, s83
	s_cbranch_execz .LBB165_415
; %bb.382:                              ;   in Loop: Header=BB165_31 Depth=1
	ds_load_b64 v[4:5], v21 offset:5120
	s_wait_dscnt 0x0
	s_barrier_signal -1
	s_barrier_wait -1
	v_readfirstlane_b32 s8, v4
	v_readfirstlane_b32 s9, v5
	s_and_saveexec_b32 s4, s6
; %bb.383:                              ;   in Loop: Header=BB165_31 Depth=1
	ds_store_b64 v58, v[36:37]
; %bb.384:                              ;   in Loop: Header=BB165_31 Depth=1
	s_or_b32 exec_lo, exec_lo, s4
	v_and_b32_e32 v3, s15, v33
	v_and_b32_e32 v4, s14, v32
	s_lshl_b64 s[18:19], 1, s98
	v_or_b32_e32 v39, s13, v39
	v_or_b32_e32 v38, s12, v38
	;; [unrolled: 1-line block ×4, first 2 shown]
	s_mov_b32 s80, -1
	s_mov_b32 s82, 0
	s_cmp_eq_u64 s[8:9], 0
	s_mov_b32 s20, 0
	s_mov_b32 s21, -1
	s_wait_dscnt 0x0
	s_barrier_signal -1
	s_barrier_wait -1
                                        ; implicit-def: $vgpr6_vgpr7
	s_cbranch_scc1 .LBB165_400
; %bb.385:                              ;   in Loop: Header=BB165_31 Depth=1
	s_add_nc_u64 s[18:19], s[8:9], s[62:63]
	s_delay_alu instid0(SALU_CYCLE_1) | instskip(NEXT) | instid1(SALU_CYCLE_1)
	s_and_b64 s[20:21], s[18:19], 0xffffffff00000000
	s_cmp_lg_u64 s[20:21], 0
	s_cbranch_scc0 .LBB165_432
; %bb.386:                              ;   in Loop: Header=BB165_31 Depth=1
	s_cvt_f32_u32 s4, s34
	s_sub_nc_u64 s[46:47], 0, s[34:35]
	s_delay_alu instid0(SALU_CYCLE_2) | instskip(NEXT) | instid1(SALU_CYCLE_3)
	s_fmamk_f32 s4, s100, 0x0, s4
	v_s_rcp_f32 s4, s4
	s_delay_alu instid0(TRANS32_DEP_1) | instskip(NEXT) | instid1(SALU_CYCLE_3)
	s_mul_f32 s4, s4, 0x5f7ffffc
	s_mul_f32 s20, s4, 0x2f800000
	s_delay_alu instid0(SALU_CYCLE_3) | instskip(NEXT) | instid1(SALU_CYCLE_3)
	s_trunc_f32 s20, s20
	s_fmamk_f32 s4, s20, 0xcf800000, s4
	s_cvt_u32_f32 s21, s20
	s_delay_alu instid0(SALU_CYCLE_2) | instskip(NEXT) | instid1(SALU_CYCLE_3)
	s_cvt_u32_f32 s20, s4
	s_mul_u64 s[66:67], s[46:47], s[20:21]
	s_delay_alu instid0(SALU_CYCLE_1)
	s_mul_hi_u32 s85, s20, s67
	s_mul_i32 s84, s20, s67
	s_mul_hi_u32 s26, s20, s66
	s_mul_i32 s57, s21, s66
	s_add_nc_u64 s[84:85], s[26:27], s[84:85]
	s_mul_hi_u32 s4, s21, s66
	s_mul_hi_u32 s70, s21, s67
	s_add_co_u32 s26, s84, s57
	s_add_co_ci_u32 s26, s85, s4
	s_mul_i32 s66, s21, s67
	s_add_co_ci_u32 s67, s70, 0
	s_delay_alu instid0(SALU_CYCLE_1) | instskip(NEXT) | instid1(SALU_CYCLE_1)
	s_add_nc_u64 s[66:67], s[26:27], s[66:67]
	s_add_co_u32 s20, s20, s66
	s_cselect_b32 s4, -1, 0
	s_delay_alu instid0(SALU_CYCLE_1) | instskip(SKIP_1) | instid1(SALU_CYCLE_1)
	s_cmp_lg_u32 s4, 0
	s_add_co_ci_u32 s21, s21, s67
	s_mul_u64 s[46:47], s[46:47], s[20:21]
	s_delay_alu instid0(SALU_CYCLE_1)
	s_mul_hi_u32 s67, s20, s47
	s_mul_i32 s66, s20, s47
	s_mul_hi_u32 s26, s20, s46
	s_mul_i32 s57, s21, s46
	s_add_nc_u64 s[66:67], s[26:27], s[66:67]
	s_mul_hi_u32 s4, s21, s46
	s_mul_hi_u32 s70, s21, s47
	s_add_co_u32 s26, s66, s57
	s_add_co_ci_u32 s26, s67, s4
	s_mul_i32 s46, s21, s47
	s_add_co_ci_u32 s47, s70, 0
	s_delay_alu instid0(SALU_CYCLE_1) | instskip(NEXT) | instid1(SALU_CYCLE_1)
	s_add_nc_u64 s[46:47], s[26:27], s[46:47]
	s_add_co_u32 s4, s20, s46
	s_cselect_b32 s20, -1, 0
	s_mul_hi_u32 s26, s18, s4
	s_cmp_lg_u32 s20, 0
	s_mul_hi_u32 s57, s19, s4
	s_add_co_ci_u32 s46, s21, s47
	s_mul_i32 s4, s19, s4
	s_mul_hi_u32 s21, s18, s46
	s_mul_i32 s20, s18, s46
	s_mul_hi_u32 s47, s19, s46
	s_add_nc_u64 s[20:21], s[26:27], s[20:21]
	s_mul_i32 s46, s19, s46
	s_add_co_u32 s4, s20, s4
	s_add_co_ci_u32 s26, s21, s57
	s_add_co_ci_u32 s47, s47, 0
	s_delay_alu instid0(SALU_CYCLE_1) | instskip(NEXT) | instid1(SALU_CYCLE_1)
	s_add_nc_u64 s[20:21], s[26:27], s[46:47]
	s_and_b64 s[46:47], s[20:21], 0xffffffff00000000
	s_delay_alu instid0(SALU_CYCLE_1) | instskip(NEXT) | instid1(SALU_CYCLE_1)
	s_or_b32 s46, s46, s20
	s_mul_u64 s[20:21], s[34:35], s[46:47]
	s_delay_alu instid0(SALU_CYCLE_1) | instskip(SKIP_1) | instid1(SALU_CYCLE_1)
	s_sub_co_u32 s4, s18, s20
	s_cselect_b32 s20, -1, 0
	s_cmp_lg_u32 s20, 0
	s_sub_co_ci_u32 s20, s19, s21
	s_sub_co_u32 s21, s4, s34
	s_cselect_b32 s26, -1, 0
	s_delay_alu instid0(SALU_CYCLE_1) | instskip(SKIP_3) | instid1(SALU_CYCLE_1)
	s_cmp_lg_u32 s26, 0
	s_sub_co_ci_u32 s26, s20, 0
	s_sub_co_u32 s46, s21, s34
	s_cselect_b32 s47, -1, 0
	s_cmp_lg_u32 s47, 0
	s_sub_co_ci_u32 s47, s26, 0
	s_cmp_ge_u32 s21, s34
	s_cselect_b32 s57, -1, 0
	s_cmp_eq_u32 s26, 0
	s_cselect_b32 s57, s57, -1
	s_delay_alu instid0(SALU_CYCLE_1)
	s_cmp_lg_u32 s57, 0
	s_cselect_b32 s26, s47, s26
	s_cselect_b32 s46, s46, s21
	s_cmp_ge_u32 s4, s34
	s_cselect_b32 s21, -1, 0
	s_cmp_eq_u32 s20, 0
	s_cselect_b32 s21, s21, -1
	s_delay_alu instid0(SALU_CYCLE_1)
	s_cmp_lg_u32 s21, 0
	s_cselect_b32 s21, s26, s20
	s_cselect_b32 s20, s46, s4
	s_cbranch_execnz .LBB165_388
.LBB165_387:                            ;   in Loop: Header=BB165_31 Depth=1
	v_cvt_f32_u32_e32 v3, s34
	s_sub_co_i32 s20, 0, s34
	s_delay_alu instid0(VALU_DEP_1) | instskip(SKIP_1) | instid1(TRANS32_DEP_1)
	v_rcp_iflag_f32_e32 v3, v3
	v_nop
	v_mul_f32_e32 v3, 0x4f7ffffe, v3
	s_delay_alu instid0(VALU_DEP_1) | instskip(NEXT) | instid1(VALU_DEP_1)
	v_cvt_u32_f32_e32 v3, v3
	v_readfirstlane_b32 s4, v3
	s_mul_i32 s20, s20, s4
	s_delay_alu instid0(SALU_CYCLE_1) | instskip(NEXT) | instid1(SALU_CYCLE_1)
	s_mul_hi_u32 s20, s4, s20
	s_add_co_i32 s4, s4, s20
	s_delay_alu instid0(SALU_CYCLE_1) | instskip(NEXT) | instid1(SALU_CYCLE_1)
	s_mul_hi_u32 s4, s18, s4
	s_mul_i32 s4, s4, s34
	s_delay_alu instid0(SALU_CYCLE_1) | instskip(NEXT) | instid1(SALU_CYCLE_1)
	s_sub_co_i32 s4, s18, s4
	s_sub_co_i32 s20, s4, s34
	s_cmp_ge_u32 s4, s34
	s_cselect_b32 s4, s20, s4
	s_delay_alu instid0(SALU_CYCLE_1) | instskip(SKIP_2) | instid1(SALU_CYCLE_1)
	s_sub_co_i32 s20, s4, s34
	s_cmp_ge_u32 s4, s34
	s_cselect_b32 s26, s20, s4
	s_mov_b64 s[20:21], s[26:27]
.LBB165_388:                            ;   in Loop: Header=BB165_31 Depth=1
	s_delay_alu instid0(SALU_CYCLE_1)
	s_sub_nc_u64 s[18:19], s[18:19], s[20:21]
	s_mov_b32 s21, 0
	s_mov_b32 s20, 0
	s_mov_b32 s26, exec_lo
                                        ; implicit-def: $vgpr6_vgpr7
	v_cmpx_gt_u64_e64 s[18:19], v[0:1]
	s_cbranch_execz .LBB165_399
; %bb.389:                              ;   in Loop: Header=BB165_31 Depth=1
	v_mov_b64_e32 v[10:11], v[0:1]
	v_mov_b32_e32 v12, v56
                                        ; implicit-def: $sgpr46
	s_branch .LBB165_392
.LBB165_390:                            ;   in Loop: Header=BB165_392 Depth=2
	s_or_b32 exec_lo, exec_lo, s4
	s_wait_dscnt 0x0
	s_barrier_signal -1
	s_barrier_wait -1
	ds_load_b128 v[4:7], v21 offset:3072
	s_mov_b32 s4, -1
	s_mov_b32 s47, -1
	s_wait_dscnt 0x0
	s_barrier_signal -1
	s_barrier_wait -1
	v_cmp_ne_u64_e32 vcc_lo, 0, v[4:5]
	s_cbranch_vccz .LBB165_395
.LBB165_391:                            ;   in Loop: Header=BB165_392 Depth=2
	s_and_b32 s4, exec_lo, s4
	s_delay_alu instid0(SALU_CYCLE_1) | instskip(SKIP_2) | instid1(SALU_CYCLE_1)
	s_or_b32 s20, s4, s20
	s_and_not1_b32 s4, s46, exec_lo
	s_and_b32 s46, s47, exec_lo
	s_or_b32 s46, s4, s46
	s_and_not1_b32 exec_lo, exec_lo, s20
	s_cbranch_execz .LBB165_398
.LBB165_392:                            ;   Parent Loop BB165_31 Depth=1
                                        ; =>  This Inner Loop Header: Depth=2
	s_mov_b32 s4, exec_lo
	s_delay_alu instid0(VALU_DEP_2)
	v_cmpx_gt_u64_e64 s[8:9], v[10:11]
	s_cbranch_execz .LBB165_390
; %bb.393:                              ;   in Loop: Header=BB165_392 Depth=2
	ds_load_b64 v[4:5], v12
	s_wait_dscnt 0x0
	v_xor_b32_e32 v3, 0x80000000, v5
	v_and_b32_e32 v6, v4, v38
	s_delay_alu instid0(VALU_DEP_2) | instskip(NEXT) | instid1(VALU_DEP_1)
	v_and_b32_e32 v7, v3, v39
	v_cmp_eq_u64_e32 vcc_lo, v[6:7], v[32:33]
	s_and_b32 exec_lo, exec_lo, vcc_lo
	s_cbranch_execz .LBB165_390
; %bb.394:                              ;   in Loop: Header=BB165_392 Depth=2
	v_mov_b32_e32 v3, v21
	ds_store_b128 v21, v[2:5] offset:3072
	s_branch .LBB165_390
.LBB165_395:                            ;   in Loop: Header=BB165_392 Depth=2
	v_add_nc_u64_e32 v[10:11], s[34:35], v[10:11]
	v_add_nc_u32_e32 v12, s97, v12
	s_mov_b32 s47, 0
	s_delay_alu instid0(VALU_DEP_2)
	v_cmp_le_u64_e32 vcc_lo, s[18:19], v[10:11]
	s_or_not1_b32 s4, vcc_lo, exec_lo
	s_branch .LBB165_391
.LBB165_396:                            ;   in Loop: Header=BB165_31 Depth=1
                                        ; implicit-def: $sgpr22_sgpr23
	s_branch .LBB165_342
.LBB165_397:                            ;   in Loop: Header=BB165_31 Depth=1
                                        ; implicit-def: $sgpr8_sgpr9
	s_branch .LBB165_358
.LBB165_398:                            ;   in Loop: Header=BB165_31 Depth=1
	s_or_b32 exec_lo, exec_lo, s20
	s_delay_alu instid0(SALU_CYCLE_1)
	s_and_b32 s20, s46, exec_lo
.LBB165_399:                            ;   in Loop: Header=BB165_31 Depth=1
	s_or_b32 exec_lo, exec_lo, s26
.LBB165_400:                            ;   in Loop: Header=BB165_31 Depth=1
	s_delay_alu instid0(SALU_CYCLE_1)
	s_and_b32 vcc_lo, exec_lo, s21
	s_cbranch_vccz .LBB165_414
; %bb.401:                              ;   in Loop: Header=BB165_31 Depth=1
	s_and_b64 s[8:9], s[64:65], 0xffffffff00000000
	s_delay_alu instid0(SALU_CYCLE_1)
	s_cmp_lg_u64 s[8:9], 0
	s_cbranch_scc0 .LBB165_433
; %bb.402:                              ;   in Loop: Header=BB165_31 Depth=1
	s_cvt_f32_u32 s4, s34
	s_sub_nc_u64 s[18:19], 0, s[34:35]
	s_delay_alu instid0(SALU_CYCLE_2) | instskip(NEXT) | instid1(SALU_CYCLE_3)
	s_fmamk_f32 s4, s100, 0x0, s4
	v_s_rcp_f32 s4, s4
	s_delay_alu instid0(TRANS32_DEP_1) | instskip(NEXT) | instid1(SALU_CYCLE_3)
	s_mul_f32 s4, s4, 0x5f7ffffc
	s_mul_f32 s8, s4, 0x2f800000
	s_delay_alu instid0(SALU_CYCLE_3) | instskip(NEXT) | instid1(SALU_CYCLE_3)
	s_trunc_f32 s8, s8
	s_fmamk_f32 s4, s8, 0xcf800000, s4
	s_cvt_u32_f32 s9, s8
	s_delay_alu instid0(SALU_CYCLE_2) | instskip(NEXT) | instid1(SALU_CYCLE_3)
	s_cvt_u32_f32 s8, s4
	s_mul_u64 s[46:47], s[18:19], s[8:9]
	s_delay_alu instid0(SALU_CYCLE_1)
	s_mul_hi_u32 s67, s8, s47
	s_mul_i32 s66, s8, s47
	s_mul_hi_u32 s26, s8, s46
	s_mul_i32 s21, s9, s46
	s_add_nc_u64 s[66:67], s[26:27], s[66:67]
	s_mul_hi_u32 s4, s9, s46
	s_mul_hi_u32 s57, s9, s47
	s_add_co_u32 s21, s66, s21
	s_add_co_ci_u32 s26, s67, s4
	s_mul_i32 s46, s9, s47
	s_add_co_ci_u32 s47, s57, 0
	s_delay_alu instid0(SALU_CYCLE_1) | instskip(NEXT) | instid1(SALU_CYCLE_1)
	s_add_nc_u64 s[46:47], s[26:27], s[46:47]
	s_add_co_u32 s8, s8, s46
	s_cselect_b32 s4, -1, 0
	s_delay_alu instid0(SALU_CYCLE_1) | instskip(SKIP_1) | instid1(SALU_CYCLE_1)
	s_cmp_lg_u32 s4, 0
	s_add_co_ci_u32 s9, s9, s47
	s_mul_u64 s[18:19], s[18:19], s[8:9]
	s_delay_alu instid0(SALU_CYCLE_1)
	s_mul_hi_u32 s47, s8, s19
	s_mul_i32 s46, s8, s19
	s_mul_hi_u32 s26, s8, s18
	s_mul_i32 s21, s9, s18
	s_add_nc_u64 s[46:47], s[26:27], s[46:47]
	s_mul_hi_u32 s4, s9, s18
	s_mul_hi_u32 s57, s9, s19
	s_mul_i32 s18, s9, s19
	s_add_co_u32 s19, s46, s21
	s_add_co_ci_u32 s26, s47, s4
	s_add_co_ci_u32 s19, s57, 0
	s_delay_alu instid0(SALU_CYCLE_1) | instskip(NEXT) | instid1(SALU_CYCLE_1)
	s_add_nc_u64 s[18:19], s[26:27], s[18:19]
	s_add_co_u32 s4, s8, s18
	s_cselect_b32 s8, -1, 0
	s_mul_hi_u32 s26, s64, s4
	s_cmp_lg_u32 s8, 0
	s_mul_hi_u32 s21, s65, s4
	s_add_co_ci_u32 s18, s9, s19
	s_mul_i32 s4, s65, s4
	s_mul_hi_u32 s9, s64, s18
	s_mul_i32 s8, s64, s18
	s_mul_hi_u32 s19, s65, s18
	s_add_nc_u64 s[8:9], s[26:27], s[8:9]
	s_mul_i32 s18, s65, s18
	s_add_co_u32 s4, s8, s4
	s_add_co_ci_u32 s26, s9, s21
	s_add_co_ci_u32 s19, s19, 0
	s_delay_alu instid0(SALU_CYCLE_1) | instskip(NEXT) | instid1(SALU_CYCLE_1)
	s_add_nc_u64 s[8:9], s[26:27], s[18:19]
	s_and_b64 s[18:19], s[8:9], 0xffffffff00000000
	s_delay_alu instid0(SALU_CYCLE_1) | instskip(NEXT) | instid1(SALU_CYCLE_1)
	s_or_b32 s18, s18, s8
	s_mul_u64 s[8:9], s[34:35], s[18:19]
	s_delay_alu instid0(SALU_CYCLE_1) | instskip(SKIP_1) | instid1(SALU_CYCLE_1)
	s_sub_co_u32 s4, s64, s8
	s_cselect_b32 s8, -1, 0
	s_cmp_lg_u32 s8, 0
	s_sub_co_ci_u32 s8, s65, s9
	s_sub_co_u32 s9, s4, s34
	s_cselect_b32 s18, -1, 0
	s_delay_alu instid0(SALU_CYCLE_1) | instskip(SKIP_3) | instid1(SALU_CYCLE_1)
	s_cmp_lg_u32 s18, 0
	s_sub_co_ci_u32 s18, s8, 0
	s_sub_co_u32 s19, s9, s34
	s_cselect_b32 s21, -1, 0
	s_cmp_lg_u32 s21, 0
	s_sub_co_ci_u32 s21, s18, 0
	s_cmp_ge_u32 s9, s34
	s_cselect_b32 s26, -1, 0
	s_cmp_eq_u32 s18, 0
	s_cselect_b32 s26, s26, -1
	s_delay_alu instid0(SALU_CYCLE_1)
	s_cmp_lg_u32 s26, 0
	s_cselect_b32 s18, s21, s18
	s_cselect_b32 s19, s19, s9
	s_cmp_ge_u32 s4, s34
	s_cselect_b32 s9, -1, 0
	s_cmp_eq_u32 s8, 0
	s_cselect_b32 s9, s9, -1
	s_delay_alu instid0(SALU_CYCLE_1)
	s_cmp_lg_u32 s9, 0
	s_cselect_b32 s9, s18, s8
	s_cselect_b32 s8, s19, s4
	s_cbranch_execnz .LBB165_404
.LBB165_403:                            ;   in Loop: Header=BB165_31 Depth=1
	v_cvt_f32_u32_e32 v3, s34
	s_sub_co_i32 s8, 0, s34
	s_delay_alu instid0(VALU_DEP_1) | instskip(SKIP_1) | instid1(TRANS32_DEP_1)
	v_rcp_iflag_f32_e32 v3, v3
	v_nop
	v_mul_f32_e32 v3, 0x4f7ffffe, v3
	s_delay_alu instid0(VALU_DEP_1) | instskip(NEXT) | instid1(VALU_DEP_1)
	v_cvt_u32_f32_e32 v3, v3
	v_readfirstlane_b32 s4, v3
	s_mul_i32 s8, s8, s4
	s_delay_alu instid0(SALU_CYCLE_1) | instskip(NEXT) | instid1(SALU_CYCLE_1)
	s_mul_hi_u32 s8, s4, s8
	s_add_co_i32 s4, s4, s8
	s_delay_alu instid0(SALU_CYCLE_1) | instskip(NEXT) | instid1(SALU_CYCLE_1)
	s_mul_hi_u32 s4, s64, s4
	s_mul_i32 s4, s4, s34
	s_delay_alu instid0(SALU_CYCLE_1) | instskip(NEXT) | instid1(SALU_CYCLE_1)
	s_sub_co_i32 s4, s64, s4
	s_sub_co_i32 s8, s4, s34
	s_cmp_ge_u32 s4, s34
	s_cselect_b32 s4, s8, s4
	s_delay_alu instid0(SALU_CYCLE_1) | instskip(SKIP_2) | instid1(SALU_CYCLE_1)
	s_sub_co_i32 s8, s4, s34
	s_cmp_ge_u32 s4, s34
	s_cselect_b32 s26, s8, s4
	s_mov_b64 s[8:9], s[26:27]
.LBB165_404:                            ;   in Loop: Header=BB165_31 Depth=1
	s_delay_alu instid0(SALU_CYCLE_1)
	s_sub_nc_u64 s[8:9], s[64:65], s[8:9]
	s_mov_b32 s18, exec_lo
                                        ; implicit-def: $vgpr6_vgpr7
	v_cmpx_gt_u64_e64 s[8:9], v[0:1]
	s_cbranch_execz .LBB165_413
; %bb.405:                              ;   in Loop: Header=BB165_31 Depth=1
	v_mov_b64_e32 v[10:11], v[34:35]
	v_mov_b64_e32 v[12:13], v[0:1]
	s_mov_b32 s19, 0
                                        ; implicit-def: $sgpr21
	s_branch .LBB165_408
.LBB165_406:                            ;   in Loop: Header=BB165_408 Depth=2
	s_or_b32 exec_lo, exec_lo, s4
	s_wait_dscnt 0x0
	s_barrier_signal -1
	s_barrier_wait -1
	ds_load_b128 v[4:7], v21 offset:3072
	s_mov_b32 s4, -1
	s_mov_b32 s26, -1
	s_wait_dscnt 0x0
	s_barrier_signal -1
	s_barrier_wait -1
	v_cmp_eq_u64_e32 vcc_lo, 0, v[4:5]
	s_cbranch_vccnz .LBB165_411
.LBB165_407:                            ;   in Loop: Header=BB165_408 Depth=2
	s_and_b32 s4, exec_lo, s4
	s_delay_alu instid0(SALU_CYCLE_1) | instskip(SKIP_2) | instid1(SALU_CYCLE_1)
	s_or_b32 s19, s4, s19
	s_and_not1_b32 s4, s21, exec_lo
	s_and_b32 s21, s26, exec_lo
	s_or_b32 s21, s4, s21
	s_and_not1_b32 exec_lo, exec_lo, s19
	s_cbranch_execz .LBB165_412
.LBB165_408:                            ;   Parent Loop BB165_31 Depth=1
                                        ; =>  This Inner Loop Header: Depth=2
	s_mov_b32 s4, exec_lo
	s_delay_alu instid0(VALU_DEP_1)
	v_cmpx_gt_u64_e64 s[36:37], v[12:13]
	s_cbranch_execz .LBB165_406
; %bb.409:                              ;   in Loop: Header=BB165_408 Depth=2
	global_load_b64 v[4:5], v[10:11], off
	s_wait_loadcnt 0x0
	v_xor_b32_e32 v3, 0x80000000, v5
	v_and_b32_e32 v6, v4, v38
	s_delay_alu instid0(VALU_DEP_2) | instskip(NEXT) | instid1(VALU_DEP_1)
	v_and_b32_e32 v7, v3, v39
	v_cmp_eq_u64_e32 vcc_lo, v[6:7], v[32:33]
	s_and_b32 exec_lo, exec_lo, vcc_lo
	s_cbranch_execz .LBB165_406
; %bb.410:                              ;   in Loop: Header=BB165_408 Depth=2
	v_mov_b32_e32 v3, v21
	ds_store_b128 v21, v[2:5] offset:3072
	s_branch .LBB165_406
.LBB165_411:                            ;   in Loop: Header=BB165_408 Depth=2
	v_add_nc_u64_e32 v[12:13], s[34:35], v[12:13]
	v_add_nc_u64_e32 v[10:11], s[42:43], v[10:11]
	s_mov_b32 s26, 0
	s_delay_alu instid0(VALU_DEP_2)
	v_cmp_le_u64_e32 vcc_lo, s[8:9], v[12:13]
	s_or_not1_b32 s4, vcc_lo, exec_lo
	s_branch .LBB165_407
.LBB165_412:                            ;   in Loop: Header=BB165_31 Depth=1
	s_or_b32 exec_lo, exec_lo, s19
	s_delay_alu instid0(SALU_CYCLE_1) | instskip(SKIP_1) | instid1(SALU_CYCLE_1)
	s_and_not1_b32 s4, s20, exec_lo
	s_and_b32 s8, s21, exec_lo
	s_or_b32 s20, s4, s8
.LBB165_413:                            ;   in Loop: Header=BB165_31 Depth=1
	s_or_b32 exec_lo, exec_lo, s18
	s_mov_b32 s80, 0
	s_mov_b32 s82, -1
.LBB165_414:                            ;   in Loop: Header=BB165_31 Depth=1
	s_or_not1_b32 s4, s20, exec_lo
.LBB165_415:                            ;   in Loop: Header=BB165_31 Depth=1
	s_or_b32 exec_lo, exec_lo, s56
	s_mov_b32 s8, 0
	s_and_saveexec_b32 s20, s4
	s_cbranch_execz .LBB165_477
; %bb.416:                              ;   in Loop: Header=BB165_31 Depth=1
	v_mov_b64_e32 v[10:11], 1
	v_mov_b32_e32 v20, 1
	s_xor_b32 s4, s83, -1
	s_mov_b32 s9, 0
	s_and_saveexec_b32 s8, s4
	s_cbranch_execz .LBB165_425
; %bb.417:                              ;   in Loop: Header=BB165_31 Depth=1
	s_mov_b32 s4, exec_lo
	v_cmpx_ge_u64_e64 s[16:17], v[8:9]
	s_xor_b32 s4, exec_lo, s4
	s_cbranch_execz .LBB165_422
; %bb.418:                              ;   in Loop: Header=BB165_31 Depth=1
	ds_load_b64 v[4:5], v21 offset:5120
	v_and_b32_e32 v3, s15, v33
	v_and_b32_e32 v10, s14, v32
	s_lshl_b64 s[18:19], 1, s98
	v_or_b32_e32 v39, s13, v39
	v_or_b32_e32 v38, s12, v38
	;; [unrolled: 1-line block ×4, first 2 shown]
	s_wait_dscnt 0x0
	v_cmp_ne_u64_e32 vcc_lo, 0, v[4:5]
	s_cbranch_vccnz .LBB165_422
; %bb.419:                              ;   in Loop: Header=BB165_31 Depth=1
	s_and_saveexec_b32 s9, s5
; %bb.420:                              ;   in Loop: Header=BB165_31 Depth=1
	v_mov_b64_e32 v[4:5], s[16:17]
	ds_store_b64 v21, v[4:5] offset:5128
; %bb.421:                              ;   in Loop: Header=BB165_31 Depth=1
	s_or_b32 exec_lo, exec_lo, s9
	s_wait_dscnt 0x0
	s_barrier_signal -1
	s_barrier_wait -1
.LBB165_422:                            ;   in Loop: Header=BB165_31 Depth=1
	s_or_saveexec_b32 s4, s4
	v_mov_b32_e32 v20, 5
	s_mov_b32 s9, 0
	s_xor_b32 exec_lo, exec_lo, s4
; %bb.423:                              ;   in Loop: Header=BB165_31 Depth=1
	v_sub_nc_u64_e64 v[8:9], v[8:9], s[16:17]
	v_mov_b32_e32 v20, 0
	s_mov_b32 s9, exec_lo
; %bb.424:                              ;   in Loop: Header=BB165_31 Depth=1
	s_or_b32 exec_lo, exec_lo, s4
	s_delay_alu instid0(VALU_DEP_2)
	v_mov_b64_e32 v[10:11], v[8:9]
	s_and_b32 s9, s9, exec_lo
.LBB165_425:                            ;   in Loop: Header=BB165_31 Depth=1
	s_or_b32 exec_lo, exec_lo, s8
	s_mov_b32 s4, -1
                                        ; implicit-def: $sgpr46
                                        ; implicit-def: $sgpr83
	s_and_saveexec_b32 s21, s9
	s_cbranch_execz .LBB165_476
; %bb.426:                              ;   in Loop: Header=BB165_31 Depth=1
	s_delay_alu instid0(VALU_DEP_1) | instskip(SKIP_2) | instid1(SALU_CYCLE_1)
	v_cmp_eq_u64_e32 vcc_lo, 1, v[10:11]
	s_cmp_eq_u64 s[10:11], 1
                                        ; implicit-def: $sgpr46
                                        ; implicit-def: $sgpr83
	s_cselect_b32 s4, -1, 0
	s_and_b32 s56, s4, vcc_lo
	s_mov_b32 s4, -1
	s_and_saveexec_b32 s57, s56
	s_cbranch_execz .LBB165_464
; %bb.427:                              ;   in Loop: Header=BB165_31 Depth=1
	ds_load_b64 v[4:5], v21 offset:5120
	s_wait_dscnt 0x0
	s_barrier_signal -1
	s_barrier_wait -1
	v_readfirstlane_b32 s8, v4
	v_readfirstlane_b32 s9, v5
	s_and_saveexec_b32 s4, s6
; %bb.428:                              ;   in Loop: Header=BB165_31 Depth=1
	ds_store_b64 v58, v[36:37]
; %bb.429:                              ;   in Loop: Header=BB165_31 Depth=1
	s_or_b32 exec_lo, exec_lo, s4
	v_and_b32_e32 v33, s15, v33
	v_and_b32_e32 v32, s14, v32
	v_or_b32_e32 v39, s13, v39
	v_or_b32_e32 v38, s12, v38
	s_mov_b32 s83, -1
	s_mov_b32 s46, 0
	s_cmp_eq_u64 s[8:9], 0
	s_mov_b32 s18, 0
	s_mov_b32 s19, -1
	s_wait_dscnt 0x0
	s_barrier_signal -1
	s_barrier_wait -1
                                        ; implicit-def: $vgpr6_vgpr7
	s_cbranch_scc1 .LBB165_447
; %bb.430:                              ;   in Loop: Header=BB165_31 Depth=1
	s_add_nc_u64 s[16:17], s[8:9], s[62:63]
	s_delay_alu instid0(SALU_CYCLE_1) | instskip(NEXT) | instid1(SALU_CYCLE_1)
	s_and_b64 s[18:19], s[16:17], 0xffffffff00000000
	s_cmp_lg_u64 s[18:19], 0
	s_cbranch_scc0 .LBB165_434
; %bb.431:                              ;   in Loop: Header=BB165_31 Depth=1
	s_cvt_f32_u32 s4, s34
	s_sub_nc_u64 s[66:67], 0, s[34:35]
	s_delay_alu instid0(SALU_CYCLE_2) | instskip(NEXT) | instid1(SALU_CYCLE_3)
	s_fmamk_f32 s4, s100, 0x0, s4
	v_s_rcp_f32 s4, s4
	s_delay_alu instid0(TRANS32_DEP_1) | instskip(NEXT) | instid1(SALU_CYCLE_3)
	s_mul_f32 s4, s4, 0x5f7ffffc
	s_mul_f32 s18, s4, 0x2f800000
	s_delay_alu instid0(SALU_CYCLE_3) | instskip(NEXT) | instid1(SALU_CYCLE_3)
	s_trunc_f32 s18, s18
	s_fmamk_f32 s4, s18, 0xcf800000, s4
	s_cvt_u32_f32 s19, s18
	s_delay_alu instid0(SALU_CYCLE_2) | instskip(NEXT) | instid1(SALU_CYCLE_3)
	s_cvt_u32_f32 s18, s4
	s_mul_u64 s[84:85], s[66:67], s[18:19]
	s_delay_alu instid0(SALU_CYCLE_1)
	s_mul_hi_u32 s87, s18, s85
	s_mul_i32 s86, s18, s85
	s_mul_hi_u32 s26, s18, s84
	s_mul_i32 s47, s19, s84
	s_add_nc_u64 s[86:87], s[26:27], s[86:87]
	s_mul_hi_u32 s4, s19, s84
	s_mul_hi_u32 s70, s19, s85
	s_add_co_u32 s26, s86, s47
	s_add_co_ci_u32 s26, s87, s4
	s_mul_i32 s84, s19, s85
	s_add_co_ci_u32 s85, s70, 0
	s_delay_alu instid0(SALU_CYCLE_1) | instskip(NEXT) | instid1(SALU_CYCLE_1)
	s_add_nc_u64 s[84:85], s[26:27], s[84:85]
	s_add_co_u32 s18, s18, s84
	s_cselect_b32 s4, -1, 0
	s_delay_alu instid0(SALU_CYCLE_1) | instskip(SKIP_1) | instid1(SALU_CYCLE_1)
	s_cmp_lg_u32 s4, 0
	s_add_co_ci_u32 s19, s19, s85
	s_mul_u64 s[66:67], s[66:67], s[18:19]
	s_delay_alu instid0(SALU_CYCLE_1)
	s_mul_hi_u32 s85, s18, s67
	s_mul_i32 s84, s18, s67
	s_mul_hi_u32 s26, s18, s66
	s_mul_i32 s47, s19, s66
	s_add_nc_u64 s[84:85], s[26:27], s[84:85]
	s_mul_hi_u32 s4, s19, s66
	s_mul_hi_u32 s70, s19, s67
	s_add_co_u32 s26, s84, s47
	s_add_co_ci_u32 s26, s85, s4
	s_mul_i32 s66, s19, s67
	s_add_co_ci_u32 s67, s70, 0
	s_delay_alu instid0(SALU_CYCLE_1) | instskip(NEXT) | instid1(SALU_CYCLE_1)
	s_add_nc_u64 s[66:67], s[26:27], s[66:67]
	s_add_co_u32 s4, s18, s66
	s_cselect_b32 s18, -1, 0
	s_mul_hi_u32 s26, s16, s4
	s_cmp_lg_u32 s18, 0
	s_mul_hi_u32 s47, s17, s4
	s_add_co_ci_u32 s66, s19, s67
	s_mul_i32 s4, s17, s4
	s_mul_hi_u32 s19, s16, s66
	s_mul_i32 s18, s16, s66
	s_mul_hi_u32 s67, s17, s66
	s_add_nc_u64 s[18:19], s[26:27], s[18:19]
	s_mul_i32 s66, s17, s66
	s_add_co_u32 s4, s18, s4
	s_add_co_ci_u32 s26, s19, s47
	s_add_co_ci_u32 s67, s67, 0
	s_delay_alu instid0(SALU_CYCLE_1) | instskip(NEXT) | instid1(SALU_CYCLE_1)
	s_add_nc_u64 s[18:19], s[26:27], s[66:67]
	s_and_b64 s[66:67], s[18:19], 0xffffffff00000000
	s_delay_alu instid0(SALU_CYCLE_1) | instskip(NEXT) | instid1(SALU_CYCLE_1)
	s_or_b32 s66, s66, s18
	s_mul_u64 s[18:19], s[34:35], s[66:67]
	s_delay_alu instid0(SALU_CYCLE_1) | instskip(SKIP_1) | instid1(SALU_CYCLE_1)
	s_sub_co_u32 s4, s16, s18
	s_cselect_b32 s18, -1, 0
	s_cmp_lg_u32 s18, 0
	s_sub_co_ci_u32 s18, s17, s19
	s_sub_co_u32 s19, s4, s34
	s_cselect_b32 s26, -1, 0
	s_delay_alu instid0(SALU_CYCLE_1) | instskip(SKIP_3) | instid1(SALU_CYCLE_1)
	s_cmp_lg_u32 s26, 0
	s_sub_co_ci_u32 s26, s18, 0
	s_sub_co_u32 s47, s19, s34
	s_cselect_b32 s66, -1, 0
	s_cmp_lg_u32 s66, 0
	s_sub_co_ci_u32 s66, s26, 0
	s_cmp_ge_u32 s19, s34
	s_cselect_b32 s67, -1, 0
	s_cmp_eq_u32 s26, 0
	s_cselect_b32 s67, s67, -1
	s_delay_alu instid0(SALU_CYCLE_1)
	s_cmp_lg_u32 s67, 0
	s_cselect_b32 s26, s66, s26
	s_cselect_b32 s47, s47, s19
	s_cmp_ge_u32 s4, s34
	s_cselect_b32 s19, -1, 0
	s_cmp_eq_u32 s18, 0
	s_cselect_b32 s19, s19, -1
	s_delay_alu instid0(SALU_CYCLE_1)
	s_cmp_lg_u32 s19, 0
	s_cselect_b32 s19, s26, s18
	s_cselect_b32 s18, s47, s4
	s_mov_b32 s4, 0
	s_branch .LBB165_435
.LBB165_432:                            ;   in Loop: Header=BB165_31 Depth=1
                                        ; implicit-def: $sgpr20_sgpr21
	s_branch .LBB165_387
.LBB165_433:                            ;   in Loop: Header=BB165_31 Depth=1
                                        ; implicit-def: $sgpr8_sgpr9
	s_branch .LBB165_403
.LBB165_434:                            ;   in Loop: Header=BB165_31 Depth=1
	s_mov_b32 s4, -1
                                        ; implicit-def: $sgpr18_sgpr19
.LBB165_435:                            ;   in Loop: Header=BB165_31 Depth=1
	s_delay_alu instid0(SALU_CYCLE_1)
	s_and_not1_b32 vcc_lo, exec_lo, s4
	s_cbranch_vccnz .LBB165_437
; %bb.436:                              ;   in Loop: Header=BB165_31 Depth=1
	v_cvt_f32_u32_e32 v3, s34
	s_sub_co_i32 s18, 0, s34
	s_delay_alu instid0(VALU_DEP_1) | instskip(SKIP_1) | instid1(TRANS32_DEP_1)
	v_rcp_iflag_f32_e32 v3, v3
	v_nop
	v_mul_f32_e32 v3, 0x4f7ffffe, v3
	s_delay_alu instid0(VALU_DEP_1) | instskip(NEXT) | instid1(VALU_DEP_1)
	v_cvt_u32_f32_e32 v3, v3
	v_readfirstlane_b32 s4, v3
	s_mul_i32 s18, s18, s4
	s_delay_alu instid0(SALU_CYCLE_1) | instskip(NEXT) | instid1(SALU_CYCLE_1)
	s_mul_hi_u32 s18, s4, s18
	s_add_co_i32 s4, s4, s18
	s_delay_alu instid0(SALU_CYCLE_1) | instskip(NEXT) | instid1(SALU_CYCLE_1)
	s_mul_hi_u32 s4, s16, s4
	s_mul_i32 s4, s4, s34
	s_delay_alu instid0(SALU_CYCLE_1) | instskip(NEXT) | instid1(SALU_CYCLE_1)
	s_sub_co_i32 s4, s16, s4
	s_sub_co_i32 s18, s4, s34
	s_cmp_ge_u32 s4, s34
	s_cselect_b32 s4, s18, s4
	s_delay_alu instid0(SALU_CYCLE_1) | instskip(SKIP_2) | instid1(SALU_CYCLE_1)
	s_sub_co_i32 s18, s4, s34
	s_cmp_ge_u32 s4, s34
	s_cselect_b32 s26, s18, s4
	s_mov_b64 s[18:19], s[26:27]
.LBB165_437:                            ;   in Loop: Header=BB165_31 Depth=1
	s_delay_alu instid0(SALU_CYCLE_1)
	s_sub_nc_u64 s[16:17], s[16:17], s[18:19]
	s_mov_b32 s19, 0
	s_mov_b32 s18, 0
	s_mov_b32 s26, exec_lo
                                        ; implicit-def: $vgpr6_vgpr7
	v_cmpx_gt_u64_e64 s[16:17], v[0:1]
	s_cbranch_execz .LBB165_446
; %bb.438:                              ;   in Loop: Header=BB165_31 Depth=1
	v_mov_b64_e32 v[8:9], v[0:1]
	v_mov_b32_e32 v12, v56
                                        ; implicit-def: $sgpr47
	s_branch .LBB165_441
.LBB165_439:                            ;   in Loop: Header=BB165_441 Depth=2
	s_or_b32 exec_lo, exec_lo, s4
	s_wait_dscnt 0x0
	s_barrier_signal -1
	s_barrier_wait -1
	ds_load_b128 v[4:7], v21 offset:3072
	s_mov_b32 s4, -1
	s_mov_b32 s66, -1
	s_wait_dscnt 0x0
	s_barrier_signal -1
	s_barrier_wait -1
	v_cmp_ne_u64_e32 vcc_lo, 0, v[4:5]
	s_cbranch_vccz .LBB165_444
.LBB165_440:                            ;   in Loop: Header=BB165_441 Depth=2
	s_and_b32 s4, exec_lo, s4
	s_delay_alu instid0(SALU_CYCLE_1) | instskip(SKIP_2) | instid1(SALU_CYCLE_1)
	s_or_b32 s18, s4, s18
	s_and_not1_b32 s4, s47, exec_lo
	s_and_b32 s47, s66, exec_lo
	s_or_b32 s47, s4, s47
	s_and_not1_b32 exec_lo, exec_lo, s18
	s_cbranch_execz .LBB165_445
.LBB165_441:                            ;   Parent Loop BB165_31 Depth=1
                                        ; =>  This Inner Loop Header: Depth=2
	s_mov_b32 s4, exec_lo
	s_delay_alu instid0(VALU_DEP_2)
	v_cmpx_gt_u64_e64 s[8:9], v[8:9]
	s_cbranch_execz .LBB165_439
; %bb.442:                              ;   in Loop: Header=BB165_441 Depth=2
	ds_load_b64 v[4:5], v12
	s_wait_dscnt 0x0
	v_xor_b32_e32 v3, 0x80000000, v5
	v_and_b32_e32 v6, v4, v38
	s_delay_alu instid0(VALU_DEP_2) | instskip(NEXT) | instid1(VALU_DEP_1)
	v_and_b32_e32 v7, v3, v39
	v_cmp_eq_u64_e32 vcc_lo, v[6:7], v[32:33]
	s_and_b32 exec_lo, exec_lo, vcc_lo
	s_cbranch_execz .LBB165_439
; %bb.443:                              ;   in Loop: Header=BB165_441 Depth=2
	v_mov_b32_e32 v3, v21
	ds_store_b128 v21, v[2:5] offset:3072
	s_branch .LBB165_439
.LBB165_444:                            ;   in Loop: Header=BB165_441 Depth=2
	v_add_nc_u64_e32 v[8:9], s[34:35], v[8:9]
	v_add_nc_u32_e32 v12, s97, v12
	s_mov_b32 s66, 0
	s_delay_alu instid0(VALU_DEP_2)
	v_cmp_le_u64_e32 vcc_lo, s[16:17], v[8:9]
	s_or_not1_b32 s4, vcc_lo, exec_lo
	s_branch .LBB165_440
.LBB165_445:                            ;   in Loop: Header=BB165_31 Depth=1
	s_or_b32 exec_lo, exec_lo, s18
	s_delay_alu instid0(SALU_CYCLE_1)
	s_and_b32 s18, s47, exec_lo
.LBB165_446:                            ;   in Loop: Header=BB165_31 Depth=1
	s_or_b32 exec_lo, exec_lo, s26
.LBB165_447:                            ;   in Loop: Header=BB165_31 Depth=1
	s_delay_alu instid0(SALU_CYCLE_1)
	s_and_b32 vcc_lo, exec_lo, s19
	s_cbranch_vccz .LBB165_463
; %bb.448:                              ;   in Loop: Header=BB165_31 Depth=1
	s_and_b64 s[8:9], s[64:65], 0xffffffff00000000
	s_delay_alu instid0(SALU_CYCLE_1)
	s_cmp_lg_u64 s[8:9], 0
	s_cbranch_scc0 .LBB165_450
; %bb.449:                              ;   in Loop: Header=BB165_31 Depth=1
	s_cvt_f32_u32 s4, s34
	s_sub_nc_u64 s[16:17], 0, s[34:35]
	s_delay_alu instid0(SALU_CYCLE_2) | instskip(NEXT) | instid1(SALU_CYCLE_3)
	s_fmamk_f32 s4, s100, 0x0, s4
	v_s_rcp_f32 s4, s4
	s_delay_alu instid0(TRANS32_DEP_1) | instskip(NEXT) | instid1(SALU_CYCLE_3)
	s_mul_f32 s4, s4, 0x5f7ffffc
	s_mul_f32 s8, s4, 0x2f800000
	s_delay_alu instid0(SALU_CYCLE_3) | instskip(NEXT) | instid1(SALU_CYCLE_3)
	s_trunc_f32 s8, s8
	s_fmamk_f32 s4, s8, 0xcf800000, s4
	s_cvt_u32_f32 s9, s8
	s_delay_alu instid0(SALU_CYCLE_2) | instskip(NEXT) | instid1(SALU_CYCLE_3)
	s_cvt_u32_f32 s8, s4
	s_mul_u64 s[46:47], s[16:17], s[8:9]
	s_delay_alu instid0(SALU_CYCLE_1)
	s_mul_hi_u32 s67, s8, s47
	s_mul_i32 s66, s8, s47
	s_mul_hi_u32 s26, s8, s46
	s_mul_i32 s19, s9, s46
	s_add_nc_u64 s[66:67], s[26:27], s[66:67]
	s_mul_hi_u32 s4, s9, s46
	s_mul_hi_u32 s70, s9, s47
	s_add_co_u32 s19, s66, s19
	s_add_co_ci_u32 s26, s67, s4
	s_mul_i32 s46, s9, s47
	s_add_co_ci_u32 s47, s70, 0
	s_delay_alu instid0(SALU_CYCLE_1) | instskip(NEXT) | instid1(SALU_CYCLE_1)
	s_add_nc_u64 s[46:47], s[26:27], s[46:47]
	s_add_co_u32 s8, s8, s46
	s_cselect_b32 s4, -1, 0
	s_delay_alu instid0(SALU_CYCLE_1) | instskip(SKIP_1) | instid1(SALU_CYCLE_1)
	s_cmp_lg_u32 s4, 0
	s_add_co_ci_u32 s9, s9, s47
	s_mul_u64 s[16:17], s[16:17], s[8:9]
	s_delay_alu instid0(SALU_CYCLE_1)
	s_mul_hi_u32 s47, s8, s17
	s_mul_i32 s46, s8, s17
	s_mul_hi_u32 s26, s8, s16
	s_mul_i32 s19, s9, s16
	s_add_nc_u64 s[46:47], s[26:27], s[46:47]
	s_mul_hi_u32 s4, s9, s16
	s_mul_hi_u32 s66, s9, s17
	s_mul_i32 s16, s9, s17
	s_add_co_u32 s17, s46, s19
	s_add_co_ci_u32 s26, s47, s4
	s_add_co_ci_u32 s17, s66, 0
	s_delay_alu instid0(SALU_CYCLE_1) | instskip(NEXT) | instid1(SALU_CYCLE_1)
	s_add_nc_u64 s[16:17], s[26:27], s[16:17]
	s_add_co_u32 s4, s8, s16
	s_cselect_b32 s8, -1, 0
	s_mul_hi_u32 s26, s64, s4
	s_cmp_lg_u32 s8, 0
	s_mul_hi_u32 s19, s65, s4
	s_add_co_ci_u32 s16, s9, s17
	s_mul_i32 s4, s65, s4
	s_mul_hi_u32 s9, s64, s16
	s_mul_i32 s8, s64, s16
	s_mul_hi_u32 s17, s65, s16
	s_add_nc_u64 s[8:9], s[26:27], s[8:9]
	s_mul_i32 s16, s65, s16
	s_add_co_u32 s4, s8, s4
	s_add_co_ci_u32 s26, s9, s19
	s_add_co_ci_u32 s17, s17, 0
	s_delay_alu instid0(SALU_CYCLE_1) | instskip(NEXT) | instid1(SALU_CYCLE_1)
	s_add_nc_u64 s[8:9], s[26:27], s[16:17]
	s_and_b64 s[16:17], s[8:9], 0xffffffff00000000
	s_delay_alu instid0(SALU_CYCLE_1) | instskip(NEXT) | instid1(SALU_CYCLE_1)
	s_or_b32 s16, s16, s8
	s_mul_u64 s[8:9], s[34:35], s[16:17]
	s_delay_alu instid0(SALU_CYCLE_1) | instskip(SKIP_1) | instid1(SALU_CYCLE_1)
	s_sub_co_u32 s4, s64, s8
	s_cselect_b32 s8, -1, 0
	s_cmp_lg_u32 s8, 0
	s_sub_co_ci_u32 s8, s65, s9
	s_sub_co_u32 s9, s4, s34
	s_cselect_b32 s16, -1, 0
	s_delay_alu instid0(SALU_CYCLE_1) | instskip(SKIP_3) | instid1(SALU_CYCLE_1)
	s_cmp_lg_u32 s16, 0
	s_sub_co_ci_u32 s16, s8, 0
	s_sub_co_u32 s17, s9, s34
	s_cselect_b32 s19, -1, 0
	s_cmp_lg_u32 s19, 0
	s_sub_co_ci_u32 s19, s16, 0
	s_cmp_ge_u32 s9, s34
	s_cselect_b32 s26, -1, 0
	s_cmp_eq_u32 s16, 0
	s_cselect_b32 s26, s26, -1
	s_delay_alu instid0(SALU_CYCLE_1)
	s_cmp_lg_u32 s26, 0
	s_cselect_b32 s16, s19, s16
	s_cselect_b32 s17, s17, s9
	s_cmp_ge_u32 s4, s34
	s_cselect_b32 s9, -1, 0
	s_cmp_eq_u32 s8, 0
	s_cselect_b32 s9, s9, -1
	s_delay_alu instid0(SALU_CYCLE_1)
	s_cmp_lg_u32 s9, 0
	s_cselect_b32 s9, s16, s8
	s_cselect_b32 s8, s17, s4
	s_mov_b32 s4, 0
	s_branch .LBB165_451
.LBB165_450:                            ;   in Loop: Header=BB165_31 Depth=1
	s_mov_b32 s4, -1
                                        ; implicit-def: $sgpr8_sgpr9
.LBB165_451:                            ;   in Loop: Header=BB165_31 Depth=1
	s_delay_alu instid0(SALU_CYCLE_1)
	s_and_not1_b32 vcc_lo, exec_lo, s4
	s_cbranch_vccnz .LBB165_453
; %bb.452:                              ;   in Loop: Header=BB165_31 Depth=1
	v_cvt_f32_u32_e32 v3, s34
	s_sub_co_i32 s8, 0, s34
	s_delay_alu instid0(VALU_DEP_1) | instskip(SKIP_1) | instid1(TRANS32_DEP_1)
	v_rcp_iflag_f32_e32 v3, v3
	v_nop
	v_mul_f32_e32 v3, 0x4f7ffffe, v3
	s_delay_alu instid0(VALU_DEP_1) | instskip(NEXT) | instid1(VALU_DEP_1)
	v_cvt_u32_f32_e32 v3, v3
	v_readfirstlane_b32 s4, v3
	s_mul_i32 s8, s8, s4
	s_delay_alu instid0(SALU_CYCLE_1) | instskip(NEXT) | instid1(SALU_CYCLE_1)
	s_mul_hi_u32 s8, s4, s8
	s_add_co_i32 s4, s4, s8
	s_delay_alu instid0(SALU_CYCLE_1) | instskip(NEXT) | instid1(SALU_CYCLE_1)
	s_mul_hi_u32 s4, s64, s4
	s_mul_i32 s4, s4, s34
	s_delay_alu instid0(SALU_CYCLE_1) | instskip(NEXT) | instid1(SALU_CYCLE_1)
	s_sub_co_i32 s4, s64, s4
	s_sub_co_i32 s8, s4, s34
	s_cmp_ge_u32 s4, s34
	s_cselect_b32 s4, s8, s4
	s_delay_alu instid0(SALU_CYCLE_1) | instskip(SKIP_2) | instid1(SALU_CYCLE_1)
	s_sub_co_i32 s8, s4, s34
	s_cmp_ge_u32 s4, s34
	s_cselect_b32 s26, s8, s4
	s_mov_b64 s[8:9], s[26:27]
.LBB165_453:                            ;   in Loop: Header=BB165_31 Depth=1
	s_delay_alu instid0(SALU_CYCLE_1)
	s_sub_nc_u64 s[8:9], s[64:65], s[8:9]
	s_mov_b32 s16, exec_lo
                                        ; implicit-def: $vgpr6_vgpr7
	v_cmpx_gt_u64_e64 s[8:9], v[0:1]
	s_cbranch_execz .LBB165_462
; %bb.454:                              ;   in Loop: Header=BB165_31 Depth=1
	v_mov_b64_e32 v[8:9], v[34:35]
	v_mov_b64_e32 v[12:13], v[0:1]
	s_mov_b32 s17, 0
                                        ; implicit-def: $sgpr19
	s_branch .LBB165_457
.LBB165_455:                            ;   in Loop: Header=BB165_457 Depth=2
	s_or_b32 exec_lo, exec_lo, s4
	s_wait_dscnt 0x0
	s_barrier_signal -1
	s_barrier_wait -1
	ds_load_b128 v[4:7], v21 offset:3072
	s_mov_b32 s4, -1
	s_mov_b32 s26, -1
	s_wait_dscnt 0x0
	s_barrier_signal -1
	s_barrier_wait -1
	v_cmp_eq_u64_e32 vcc_lo, 0, v[4:5]
	s_cbranch_vccnz .LBB165_460
.LBB165_456:                            ;   in Loop: Header=BB165_457 Depth=2
	s_and_b32 s4, exec_lo, s4
	s_delay_alu instid0(SALU_CYCLE_1) | instskip(SKIP_2) | instid1(SALU_CYCLE_1)
	s_or_b32 s17, s4, s17
	s_and_not1_b32 s4, s19, exec_lo
	s_and_b32 s19, s26, exec_lo
	s_or_b32 s19, s4, s19
	s_and_not1_b32 exec_lo, exec_lo, s17
	s_cbranch_execz .LBB165_461
.LBB165_457:                            ;   Parent Loop BB165_31 Depth=1
                                        ; =>  This Inner Loop Header: Depth=2
	s_mov_b32 s4, exec_lo
	s_delay_alu instid0(VALU_DEP_1)
	v_cmpx_gt_u64_e64 s[36:37], v[12:13]
	s_cbranch_execz .LBB165_455
; %bb.458:                              ;   in Loop: Header=BB165_457 Depth=2
	global_load_b64 v[4:5], v[8:9], off
	s_wait_loadcnt 0x0
	v_xor_b32_e32 v3, 0x80000000, v5
	v_and_b32_e32 v6, v4, v38
	s_delay_alu instid0(VALU_DEP_2) | instskip(NEXT) | instid1(VALU_DEP_1)
	v_and_b32_e32 v7, v3, v39
	v_cmp_eq_u64_e32 vcc_lo, v[6:7], v[32:33]
	s_and_b32 exec_lo, exec_lo, vcc_lo
	s_cbranch_execz .LBB165_455
; %bb.459:                              ;   in Loop: Header=BB165_457 Depth=2
	v_mov_b32_e32 v3, v21
	ds_store_b128 v21, v[2:5] offset:3072
	s_branch .LBB165_455
.LBB165_460:                            ;   in Loop: Header=BB165_457 Depth=2
	v_add_nc_u64_e32 v[12:13], s[34:35], v[12:13]
	v_add_nc_u64_e32 v[8:9], s[42:43], v[8:9]
	s_mov_b32 s26, 0
	s_delay_alu instid0(VALU_DEP_2)
	v_cmp_le_u64_e32 vcc_lo, s[8:9], v[12:13]
	s_or_not1_b32 s4, vcc_lo, exec_lo
	s_branch .LBB165_456
.LBB165_461:                            ;   in Loop: Header=BB165_31 Depth=1
	s_or_b32 exec_lo, exec_lo, s17
	s_delay_alu instid0(SALU_CYCLE_1) | instskip(SKIP_1) | instid1(SALU_CYCLE_1)
	s_and_not1_b32 s4, s18, exec_lo
	s_and_b32 s8, s19, exec_lo
	s_or_b32 s18, s4, s8
.LBB165_462:                            ;   in Loop: Header=BB165_31 Depth=1
	s_or_b32 exec_lo, exec_lo, s16
	s_mov_b32 s83, 0
	s_mov_b32 s46, -1
.LBB165_463:                            ;   in Loop: Header=BB165_31 Depth=1
	s_or_not1_b32 s4, s18, exec_lo
.LBB165_464:                            ;   in Loop: Header=BB165_31 Depth=1
	s_or_b32 exec_lo, exec_lo, s57
	s_mov_b32 s9, 0
	s_and_saveexec_b32 s8, s4
	s_cbranch_execz .LBB165_475
; %bb.465:                              ;   in Loop: Header=BB165_31 Depth=1
	v_mov_b64_e32 v[4:5], 1
	v_mov_b32_e32 v20, 1
	s_xor_b32 s4, s56, -1
	s_delay_alu instid0(SALU_CYCLE_1)
	s_and_saveexec_b32 s9, s4
	s_cbranch_execz .LBB165_474
; %bb.466:                              ;   in Loop: Header=BB165_31 Depth=1
	s_mov_b32 s4, exec_lo
	v_cmpx_ge_u64_e64 s[10:11], v[10:11]
	s_xor_b32 s4, exec_lo, s4
	s_cbranch_execz .LBB165_471
; %bb.467:                              ;   in Loop: Header=BB165_31 Depth=1
	ds_load_b64 v[4:5], v21 offset:5120
	v_and_b32_e32 v33, s15, v33
	v_and_b32_e32 v32, s14, v32
	v_or_b32_e32 v39, s13, v39
	v_or_b32_e32 v38, s12, v38
	s_wait_dscnt 0x0
	v_cmp_ne_u64_e32 vcc_lo, 0, v[4:5]
	s_cbranch_vccnz .LBB165_471
; %bb.468:                              ;   in Loop: Header=BB165_31 Depth=1
	s_and_saveexec_b32 s12, s5
; %bb.469:                              ;   in Loop: Header=BB165_31 Depth=1
	v_mov_b64_e32 v[4:5], s[10:11]
	ds_store_b64 v21, v[4:5] offset:5128
; %bb.470:                              ;   in Loop: Header=BB165_31 Depth=1
	s_or_b32 exec_lo, exec_lo, s12
	s_wait_dscnt 0x0
	s_barrier_signal -1
	s_barrier_wait -1
.LBB165_471:                            ;   in Loop: Header=BB165_31 Depth=1
	s_and_not1_saveexec_b32 s4, s4
; %bb.472:                              ;   in Loop: Header=BB165_31 Depth=1
	v_sub_nc_u64_e64 v[10:11], v[10:11], s[10:11]
; %bb.473:                              ;   in Loop: Header=BB165_31 Depth=1
	s_or_b32 exec_lo, exec_lo, s4
	s_delay_alu instid0(VALU_DEP_1)
	v_mov_b64_e32 v[4:5], v[10:11]
	v_mov_b32_e32 v20, 5
.LBB165_474:                            ;   in Loop: Header=BB165_31 Depth=1
	s_or_b32 exec_lo, exec_lo, s9
	s_delay_alu instid0(VALU_DEP_2)
	v_mov_b64_e32 v[10:11], v[4:5]
	s_mov_b32 s9, exec_lo
.LBB165_475:                            ;   in Loop: Header=BB165_31 Depth=1
	s_or_b32 exec_lo, exec_lo, s8
	s_delay_alu instid0(SALU_CYCLE_1)
	s_or_not1_b32 s4, s9, exec_lo
.LBB165_476:                            ;   in Loop: Header=BB165_31 Depth=1
	s_or_b32 exec_lo, exec_lo, s21
	s_delay_alu instid0(VALU_DEP_1)
	v_mov_b64_e32 v[8:9], v[10:11]
	s_and_not1_b32 s8, s82, exec_lo
	s_and_b32 s9, s46, exec_lo
	s_and_not1_b32 s10, s80, exec_lo
	s_and_b32 s11, s83, exec_lo
	s_or_b32 s82, s8, s9
	s_or_b32 s80, s10, s11
	s_and_b32 s8, s4, exec_lo
.LBB165_477:                            ;   in Loop: Header=BB165_31 Depth=1
	s_or_b32 exec_lo, exec_lo, s20
	s_delay_alu instid0(SALU_CYCLE_1)
	s_or_not1_b32 s4, s8, exec_lo
.LBB165_478:                            ;   in Loop: Header=BB165_31 Depth=1
	s_or_b32 exec_lo, exec_lo, s23
	v_mov_b64_e32 v[42:43], v[8:9]
	s_and_not1_b32 s8, s79, exec_lo
	s_and_b32 s9, s82, exec_lo
	s_and_not1_b32 s10, s25, exec_lo
	s_and_b32 s11, s80, exec_lo
	s_or_b32 s79, s8, s9
	s_or_b32 s25, s10, s11
	s_and_b32 s8, s4, exec_lo
.LBB165_479:                            ;   in Loop: Header=BB165_31 Depth=1
	s_or_b32 exec_lo, exec_lo, s22
	s_delay_alu instid0(SALU_CYCLE_1)
	s_or_not1_b32 s4, s8, exec_lo
.LBB165_480:                            ;   in Loop: Header=BB165_31 Depth=1
	s_or_b32 exec_lo, exec_lo, s7
	s_mov_b32 s7, s78
	s_mov_b32 s8, s77
	s_and_saveexec_b32 s9, s4
; %bb.481:                              ;   in Loop: Header=BB165_31 Depth=1
	v_cmp_ne_u32_e32 vcc_lo, 5, v20
	v_cmp_eq_u32_e64 s7, 5, v20
	s_and_not1_b32 s4, s77, exec_lo
	s_and_not1_b32 s10, s78, exec_lo
	s_and_b32 s8, vcc_lo, exec_lo
	s_and_b32 s7, s7, exec_lo
	s_or_b32 s8, s4, s8
	s_or_b32 s7, s10, s7
; %bb.482:                              ;   in Loop: Header=BB165_31 Depth=1
	s_or_b32 exec_lo, exec_lo, s9
	s_delay_alu instid0(SALU_CYCLE_1)
	s_and_not1_b32 s4, s81, exec_lo
	s_and_b32 s9, s79, exec_lo
	s_and_not1_b32 s10, s76, exec_lo
	s_and_b32 s11, s25, exec_lo
	s_or_b32 s81, s4, s9
	s_and_not1_b32 s4, s77, exec_lo
	s_and_b32 s8, s8, exec_lo
	s_and_not1_b32 s9, s78, exec_lo
	s_and_b32 s7, s7, exec_lo
	s_or_b32 s76, s10, s11
	s_or_b32 s77, s4, s8
	;; [unrolled: 1-line block ×3, first 2 shown]
.LBB165_483:                            ;   in Loop: Header=BB165_31 Depth=1
	s_or_b32 exec_lo, exec_lo, s24
	s_mov_b32 s79, 0
	s_mov_b32 s80, 0
	s_and_saveexec_b32 s4, s78
.LBB165_484:                            ;   in Loop: Header=BB165_31 Depth=1
	v_mov_b32_e32 v20, 0
	s_or_b32 s77, s77, exec_lo
.LBB165_485:                            ;   in Loop: Header=BB165_31 Depth=1
	s_or_b32 exec_lo, exec_lo, s4
	v_mov_b64_e32 v[40:41], v[42:43]
	s_and_not1_b32 s4, s53, exec_lo
	s_and_b32 s8, s81, exec_lo
	s_and_not1_b32 s9, s51, exec_lo
	s_and_b32 s10, s76, exec_lo
	s_or_b32 s53, s4, s8
	s_or_b32 s51, s9, s10
	s_and_not1_b32 s4, s55, exec_lo
	s_and_b32 s8, s80, exec_lo
	s_and_not1_b32 s9, s54, exec_lo
	s_and_b32 s10, s79, exec_lo
	s_mov_b32 s7, -1
	s_and_not1_b32 s52, s52, exec_lo
	s_or_b32 s55, s4, s8
	s_or_b32 s54, s9, s10
	s_and_saveexec_b32 s4, s77
	s_delay_alu instid0(SALU_CYCLE_1)
	s_xor_b32 s4, exec_lo, s4
	s_cbranch_execz .LBB165_30
; %bb.486:                              ;   in Loop: Header=BB165_31 Depth=1
	s_mov_b32 s8, -1
	s_mov_b32 s9, exec_lo
	v_cmpx_eq_u32_e32 0, v20
	s_cbranch_execz .LBB165_29
; %bb.487:                              ;   in Loop: Header=BB165_31 Depth=1
	s_xor_b32 s102, s102, 1
	s_add_co_i32 s10, s98, -2
	s_cmp_eq_u32 s98, 0
	s_mov_b32 s98, s10
	s_cselect_b32 s7, -1, 0
	s_xor_b32 s8, exec_lo, -1
	s_or_not1_b32 s7, s7, exec_lo
	s_branch .LBB165_29
.LBB165_488:
	s_or_b32 exec_lo, exec_lo, s99
	s_xor_b32 s6, s50, -1
	s_xor_b32 s8, s104, -1
	s_xor_b32 s9, vcc_hi, -1
	s_xor_b32 s10, s101, -1
	s_xor_b32 s4, s103, -1
	s_mov_b32 s7, 0
	s_and_saveexec_b32 s11, s10
	s_delay_alu instid0(SALU_CYCLE_1)
	s_xor_b32 s16, exec_lo, s11
	s_cbranch_execnz .LBB165_493
; %bb.489:
	s_and_not1_saveexec_b32 s0, s16
	s_cbranch_execnz .LBB165_512
.LBB165_490:
	s_or_b32 exec_lo, exec_lo, s0
	s_and_saveexec_b32 s0, s7
.LBB165_491:
	; divergent unreachable
.LBB165_492:
	s_sendmsg sendmsg(MSG_DEALLOC_VGPRS)
	s_endpgm
.LBB165_493:
	s_and_saveexec_b32 s10, s9
	s_delay_alu instid0(SALU_CYCLE_1)
	s_xor_b32 s17, exec_lo, s10
	s_cbranch_execz .LBB165_510
; %bb.494:
	s_and_saveexec_b32 s9, s8
	s_delay_alu instid0(SALU_CYCLE_1)
	s_xor_b32 s18, exec_lo, s9
	s_cbranch_execz .LBB165_508
; %bb.495:
	s_and_saveexec_b32 s8, s6
	s_delay_alu instid0(SALU_CYCLE_1)
	s_xor_b32 s19, exec_lo, s8
	s_cbranch_execz .LBB165_506
; %bb.496:
	s_and_saveexec_b32 s6, s4
	s_delay_alu instid0(SALU_CYCLE_1)
	s_xor_b32 s4, exec_lo, s6
; %bb.497:
	v_xor_b32_e32 v33, 0x80000000, v33
	s_delay_alu instid0(VALU_DEP_1)
	v_mov_b64_e32 v[6:7], v[32:33]
; %bb.498:
	s_or_b32 exec_lo, exec_lo, s4
	s_and_saveexec_b32 s4, s5
; %bb.499:
	v_mov_b64_e32 v[2:3], 0
	v_mov_b32_e32 v4, 0
	ds_store_b64 v4, v[2:3] offset:5136
; %bb.500:
	s_or_b32 exec_lo, exec_lo, s4
	v_mov_b64_e32 v[2:3], 0
	s_wait_dscnt 0x0
	s_barrier_signal -1
	s_barrier_wait -1
	s_and_saveexec_b32 s4, s3
	s_cbranch_execz .LBB165_502
; %bb.501:
	global_load_b64 v[2:3], v[18:19], off
.LBB165_502:
	s_wait_xcnt 0x0
	s_or_b32 exec_lo, exec_lo, s4
	s_clause 0x1
	s_load_b64 s[6:7], s[0:1], 0x368
	s_load_b64 s[8:9], s[0:1], 0x510
	v_readlane_b32 s10, v74, 0
	v_readlane_b32 s11, v74, 1
	s_wait_xcnt 0x0
	s_add_nc_u64 s[0:1], s[36:37], 31
	s_mov_b64 s[4:5], 0xffffffffffffffe0
	v_readlane_b32 s14, v74, 6
	v_readlane_b32 s15, v74, 7
	s_mul_u64 s[12:13], s[10:11], s[40:41]
	s_and_b64 s[10:11], s[0:1], s[4:5]
	v_readlane_b32 s4, v74, 2
	v_readlane_b32 s5, v74, 3
	s_lshl_b64 s[0:1], s[12:13], 3
	v_readlane_b32 s12, v74, 4
	v_readlane_b32 s13, v74, 5
	v_cmp_gt_u64_e32 vcc_lo, s[10:11], v[0:1]
	s_mul_u64 s[4:5], s[4:5], s[48:49]
	s_delay_alu instid0(SALU_CYCLE_1)
	s_lshl_b64 s[4:5], s[4:5], 3
	s_add_nc_u64 s[0:1], s[12:13], s[0:1]
	s_lshl_b64 s[12:13], s[28:29], 3
	s_add_nc_u64 s[4:5], s[14:15], s[4:5]
	;; [unrolled: 2-line block ×3, first 2 shown]
	s_add_nc_u64 s[14:15], s[4:5], s[14:15]
	s_mov_b32 s0, -1
	s_mov_b32 s5, 0
	s_mov_b32 s1, 0
	s_and_saveexec_b32 s20, vcc_lo
	s_cbranch_execnz .LBB165_513
; %bb.503:
	s_or_b32 exec_lo, exec_lo, s20
	s_and_saveexec_b32 s4, s0
	s_cbranch_execnz .LBB165_528
.LBB165_504:
	s_or_b32 exec_lo, exec_lo, s4
	s_and_saveexec_b32 s0, s1
	s_delay_alu instid0(SALU_CYCLE_1)
	s_xor_b32 s0, exec_lo, s0
	s_cbranch_execnz .LBB165_551
.LBB165_505:
	s_or_b32 exec_lo, exec_lo, s0
	s_wait_kmcnt 0x0
	s_and_b32 s7, s5, exec_lo
.LBB165_506:
	s_and_not1_saveexec_b32 s0, s19
	s_cbranch_execnz .LBB165_553
.LBB165_507:
	s_or_b32 exec_lo, exec_lo, s0
	s_delay_alu instid0(SALU_CYCLE_1)
	s_and_b32 s7, s7, exec_lo
.LBB165_508:
	s_and_not1_saveexec_b32 s0, s18
	s_cbranch_execnz .LBB165_552
.LBB165_509:
	s_or_b32 exec_lo, exec_lo, s0
	s_delay_alu instid0(SALU_CYCLE_1)
	s_and_b32 s7, s7, exec_lo
.LBB165_510:
	s_and_not1_saveexec_b32 s0, s17
	s_cbranch_execnz .LBB165_547
.LBB165_511:
	s_or_b32 exec_lo, exec_lo, s0
	s_delay_alu instid0(SALU_CYCLE_1)
	s_and_b32 s7, s7, exec_lo
	s_and_not1_saveexec_b32 s0, s16
	s_cbranch_execz .LBB165_490
.LBB165_512:
	s_or_b32 s7, s7, exec_lo
	s_trap 2
	s_or_b32 exec_lo, exec_lo, s0
	s_and_saveexec_b32 s0, s7
	s_cbranch_execnz .LBB165_491
	s_branch .LBB165_492
.LBB165_513:
	v_add_nc_u64_e32 v[4:5], s[34:35], v[0:1]
	v_readlane_b32 s0, v74, 14
	v_readlane_b32 s1, v74, 15
	v_mov_b64_e32 v[22:23], v[0:1]
	s_mov_b32 s21, 0
                                        ; implicit-def: $sgpr22
                                        ; implicit-def: $vgpr20_vgpr21
	v_mov_b32_e32 v9, 0
	v_mul_u64_e32 v[10:11], s[30:31], v[4:5]
	v_xor_b32_e32 v5, 0x80000000, v7
	v_mov_b32_e32 v4, v6
	s_delay_alu instid0(VALU_DEP_3)
	v_lshl_add_u64 v[10:11], v[10:11], 3, s[0:1]
	s_branch .LBB165_515
.LBB165_514:                            ;   in Loop: Header=BB165_515 Depth=1
	s_or_b32 exec_lo, exec_lo, s23
	s_xor_b32 s0, s4, -1
	s_and_b32 s1, exec_lo, s1
	v_mov_b64_e32 v[2:3], v[14:15]
	v_mov_b64_e32 v[22:23], v[12:13]
	s_or_b32 s21, s1, s21
	s_and_not1_b32 s1, s22, exec_lo
	s_and_b32 s0, s0, exec_lo
	s_delay_alu instid0(SALU_CYCLE_1)
	s_or_b32 s22, s1, s0
	s_and_not1_b32 exec_lo, exec_lo, s21
	s_cbranch_execz .LBB165_527
.LBB165_515:                            ; =>This Inner Loop Header: Depth=1
	v_add_nc_u64_e32 v[12:13], s[34:35], v[22:23]
	v_mov_b64_e32 v[14:15], 0
	s_mov_b32 s1, exec_lo
	s_delay_alu instid0(VALU_DEP_2)
	v_cmpx_gt_u64_e64 s[36:37], v[12:13]
	s_cbranch_execz .LBB165_517
; %bb.516:                              ;   in Loop: Header=BB165_515 Depth=1
	global_load_b64 v[14:15], v[10:11], off
.LBB165_517:                            ;   in Loop: Header=BB165_515 Depth=1
	s_wait_xcnt 0x0
	s_or_b32 exec_lo, exec_lo, s1
	s_wait_loadcnt 0x0
	v_xor_b32_e32 v25, 0x80000000, v3
	v_mov_b32_e32 v24, v2
	s_delay_alu instid0(VALU_DEP_1) | instskip(NEXT) | instid1(VALU_DEP_1)
	v_cmp_gt_u64_e64 s0, v[24:25], v[4:5]
	v_cndmask_b32_e64 v8, 0, 1, s0
	v_cmp_lt_u64_e64 s0, v[24:25], v[4:5]
	s_delay_alu instid0(VALU_DEP_1) | instskip(SKIP_1) | instid1(VALU_DEP_2)
	v_cndmask_b32_e64 v17, 0, 1, s0
	v_cmp_gt_u64_e64 s0, s[36:37], v[22:23]
	v_cndmask_b32_e64 v8, v17, v8, s93
	s_delay_alu instid0(VALU_DEP_1) | instskip(NEXT) | instid1(VALU_DEP_1)
	v_and_b32_e32 v8, 1, v8
	v_cmp_eq_u32_e64 s1, 1, v8
	s_and_b32 s4, s0, s1
	s_delay_alu instid0(SALU_CYCLE_1) | instskip(NEXT) | instid1(VALU_DEP_1)
	v_cndmask_b32_e64 v8, 0, 1, s4
	v_cmp_ne_u32_e64 s0, 0, v8
	s_cmp_lg_u32 s0, 0
	s_cselect_b32 s1, -1, 0
	s_delay_alu instid0(SALU_CYCLE_1) | instskip(NEXT) | instid1(SALU_CYCLE_1)
	s_and_b32 s1, s2, s1
	s_and_saveexec_b32 s23, s1
	s_cbranch_execz .LBB165_521
; %bb.518:                              ;   in Loop: Header=BB165_515 Depth=1
	s_mov_b32 s26, exec_lo
	s_bcnt1_i32_b32 s24, s0
	v_mbcnt_lo_u32_b32 v17, s26, 0
	s_mov_b32 s25, exec_lo
                                        ; implicit-def: $vgpr20_vgpr21
	s_delay_alu instid0(VALU_DEP_1)
	v_cmpx_eq_u32_e32 0, v17
	s_cbranch_execz .LBB165_520
; %bb.519:                              ;   in Loop: Header=BB165_515 Depth=1
	s_bcnt1_i32_b32 s1, s26
	s_delay_alu instid0(SALU_CYCLE_1) | instskip(NEXT) | instid1(SALU_CYCLE_1)
	s_mul_i32 s1, s24, s1
	v_mov_b32_e32 v8, s1
	s_wait_dscnt 0x0
	ds_add_rtn_u64 v[20:21], v9, v[8:9] offset:5136
.LBB165_520:                            ;   in Loop: Header=BB165_515 Depth=1
	s_or_b32 exec_lo, exec_lo, s25
	s_wait_dscnt 0x0
	v_readfirstlane_b32 s27, v21
	v_readfirstlane_b32 s26, v20
	s_delay_alu instid0(VALU_DEP_1)
	v_mad_nc_u64_u32 v[20:21], s24, v17, s[26:27]
.LBB165_521:                            ;   in Loop: Header=BB165_515 Depth=1
	s_or_b32 exec_lo, exec_lo, s23
	s_wait_dscnt 0x1
	ds_bpermute_b32 v20, v9, v20
	s_wait_dscnt 0x1
	ds_bpermute_b32 v21, v9, v21
	s_mov_b32 s1, -1
	s_mov_b32 s24, -1
	s_and_saveexec_b32 s23, s4
	s_cbranch_execz .LBB165_525
; %bb.522:                              ;   in Loop: Header=BB165_515 Depth=1
	v_and_b32_e32 v8, s0, v16
	s_mov_b32 s4, 0
	s_mov_b32 s24, exec_lo
	s_delay_alu instid0(VALU_DEP_1) | instskip(SKIP_1) | instid1(VALU_DEP_1)
	v_bcnt_u32_b32 v8, v8, 0
	s_wait_dscnt 0x0
	v_add_nc_u64_e32 v[24:25], v[20:21], v[8:9]
	s_delay_alu instid0(VALU_DEP_1)
	v_cmpx_gt_u64_e64 s[38:39], v[24:25]
	s_cbranch_execz .LBB165_524
; %bb.523:                              ;   in Loop: Header=BB165_515 Depth=1
	s_wait_kmcnt 0x0
	v_mul_u64_e32 v[26:27], s[6:7], v[24:25]
	v_mul_u64_e32 v[24:25], s[8:9], v[24:25]
	s_mov_b32 s4, exec_lo
	s_delay_alu instid0(VALU_DEP_2) | instskip(NEXT) | instid1(VALU_DEP_2)
	v_lshl_add_u64 v[26:27], v[26:27], 3, s[12:13]
	v_lshl_add_u64 v[24:25], v[24:25], 3, s[14:15]
	global_store_b64 v[26:27], v[2:3], off
	global_store_b64 v[24:25], v[22:23], off
.LBB165_524:                            ;   in Loop: Header=BB165_515 Depth=1
	s_wait_xcnt 0x0
	s_or_b32 exec_lo, exec_lo, s24
	s_delay_alu instid0(SALU_CYCLE_1)
	s_or_not1_b32 s24, s4, exec_lo
.LBB165_525:                            ;   in Loop: Header=BB165_515 Depth=1
	s_or_b32 exec_lo, exec_lo, s23
	s_mov_b32 s4, -1
	s_and_saveexec_b32 s23, s24
	s_cbranch_execz .LBB165_514
; %bb.526:                              ;   in Loop: Header=BB165_515 Depth=1
	v_cmp_le_u64_e64 s0, s[10:11], v[12:13]
	v_add_nc_u64_e32 v[10:11], s[42:43], v[10:11]
	s_xor_b32 s4, exec_lo, -1
	s_or_not1_b32 s1, s0, exec_lo
	s_branch .LBB165_514
.LBB165_527:
	s_or_b32 exec_lo, exec_lo, s21
	s_delay_alu instid0(SALU_CYCLE_1)
	s_mov_b32 s1, exec_lo
	s_or_not1_b32 s0, s22, exec_lo
	s_or_b32 exec_lo, exec_lo, s20
	s_and_saveexec_b32 s4, s0
	s_cbranch_execz .LBB165_504
.LBB165_528:
	v_mov_b64_e32 v[14:15], 0
	s_wait_storecnt 0x0
	s_wait_loadcnt_dscnt 0x0
	s_barrier_signal -1
	s_barrier_wait -1
	s_and_saveexec_b32 s0, s3
	s_cbranch_execz .LBB165_530
; %bb.529:
	global_load_b64 v[14:15], v[18:19], off
.LBB165_530:
	s_wait_xcnt 0x0
	s_or_b32 exec_lo, exec_lo, s0
	s_mov_b32 s0, 0
	s_and_saveexec_b32 s3, vcc_lo
	s_cbranch_execz .LBB165_550
; %bb.531:
	v_add_nc_u64_e32 v[2:3], s[34:35], v[0:1]
	v_readlane_b32 s20, v74, 14
	v_readlane_b32 s21, v74, 15
	v_mov_b32_e32 v5, 0
	s_mov_b32 s5, 0
                                        ; implicit-def: $vgpr12_vgpr13
	v_mul_u64_e32 v[2:3], s[30:31], v[2:3]
	s_delay_alu instid0(VALU_DEP_1)
	v_lshl_add_u64 v[2:3], v[2:3], 3, s[20:21]
                                        ; implicit-def: $sgpr20
	s_branch .LBB165_534
.LBB165_532:                            ;   in Loop: Header=BB165_534 Depth=1
	s_or_b32 exec_lo, exec_lo, s23
	s_delay_alu instid0(SALU_CYCLE_1)
	s_or_not1_b32 s23, s21, exec_lo
	s_or_not1_b32 s22, s22, exec_lo
.LBB165_533:                            ;   in Loop: Header=BB165_534 Depth=1
	s_or_b32 exec_lo, exec_lo, s0
	s_xor_b32 s0, s23, -1
	s_and_b32 s21, exec_lo, s22
	v_mov_b64_e32 v[0:1], v[8:9]
	v_mov_b64_e32 v[14:15], v[10:11]
	s_or_b32 s5, s21, s5
	s_and_not1_b32 s20, s20, exec_lo
	s_and_b32 s0, s0, exec_lo
	s_delay_alu instid0(SALU_CYCLE_1)
	s_or_b32 s20, s20, s0
	s_and_not1_b32 exec_lo, exec_lo, s5
	s_cbranch_execz .LBB165_548
.LBB165_534:                            ; =>This Inner Loop Header: Depth=1
	v_add_nc_u64_e32 v[8:9], s[34:35], v[0:1]
	v_mov_b64_e32 v[10:11], 0
	s_mov_b32 s0, exec_lo
	s_delay_alu instid0(VALU_DEP_2)
	v_cmpx_gt_u64_e64 s[36:37], v[8:9]
	s_cbranch_execz .LBB165_536
; %bb.535:                              ;   in Loop: Header=BB165_534 Depth=1
	global_load_b64 v[10:11], v[2:3], off
.LBB165_536:                            ;   in Loop: Header=BB165_534 Depth=1
	s_wait_xcnt 0x0
	s_or_b32 exec_lo, exec_lo, s0
	v_cmp_gt_u64_e32 vcc_lo, s[36:37], v[0:1]
	s_wait_loadcnt 0x0
	v_cmp_eq_u64_e64 s0, v[14:15], v[6:7]
	s_and_b32 s21, vcc_lo, s0
	s_delay_alu instid0(SALU_CYCLE_1) | instskip(NEXT) | instid1(VALU_DEP_1)
	v_cndmask_b32_e64 v4, 0, 1, s21
	v_cmp_ne_u32_e32 vcc_lo, 0, v4
	s_cmp_lg_u32 vcc_lo, 0
	s_cselect_b32 s0, -1, 0
	s_delay_alu instid0(SALU_CYCLE_1) | instskip(NEXT) | instid1(SALU_CYCLE_1)
	s_and_b32 s0, s2, s0
	s_and_saveexec_b32 s22, s0
	s_cbranch_execz .LBB165_540
; %bb.537:                              ;   in Loop: Header=BB165_534 Depth=1
	s_mov_b32 s25, exec_lo
	s_bcnt1_i32_b32 s23, vcc_lo
	v_mbcnt_lo_u32_b32 v14, s25, 0
	s_mov_b32 s24, exec_lo
                                        ; implicit-def: $vgpr12_vgpr13
	s_delay_alu instid0(VALU_DEP_1)
	v_cmpx_eq_u32_e32 0, v14
; %bb.538:                              ;   in Loop: Header=BB165_534 Depth=1
	s_bcnt1_i32_b32 s0, s25
	s_delay_alu instid0(SALU_CYCLE_1) | instskip(NEXT) | instid1(SALU_CYCLE_1)
	s_mul_i32 s0, s23, s0
	v_mov_b32_e32 v4, s0
	ds_add_rtn_u64 v[12:13], v5, v[4:5] offset:5136
; %bb.539:                              ;   in Loop: Header=BB165_534 Depth=1
	s_or_b32 exec_lo, exec_lo, s24
	s_wait_dscnt 0x0
	v_readfirstlane_b32 s25, v13
	v_readfirstlane_b32 s24, v12
	s_delay_alu instid0(VALU_DEP_1)
	v_mad_nc_u64_u32 v[12:13], s23, v14, s[24:25]
.LBB165_540:                            ;   in Loop: Header=BB165_534 Depth=1
	s_or_b32 exec_lo, exec_lo, s22
	ds_bpermute_b32 v12, v5, v12
	ds_bpermute_b32 v13, v5, v13
	s_cmp_eq_u32 vcc_lo, 0
	s_mov_b32 s22, -1
	s_cselect_b32 s23, -1, 0
	s_wait_dscnt 0x0
	v_cmp_gt_u64_e64 s0, s[38:39], v[12:13]
	s_or_b32 s24, s23, s0
	s_mov_b32 s23, -1
	s_and_saveexec_b32 s0, s24
	s_cbranch_execz .LBB165_533
; %bb.541:                              ;   in Loop: Header=BB165_534 Depth=1
	v_and_b32_e32 v4, vcc_lo, v16
	v_sub_nc_u64_e32 v[14:15], s[38:39], v[12:13]
	s_mov_b32 s24, -1
	s_delay_alu instid0(VALU_DEP_2) | instskip(NEXT) | instid1(VALU_DEP_1)
	v_bcnt_u32_b32 v4, v4, 0
	v_bcnt_u32_b32 v4, 0, v4
	s_delay_alu instid0(VALU_DEP_1)
	v_cmp_gt_u64_e32 vcc_lo, v[14:15], v[4:5]
	s_and_b32 s25, s21, vcc_lo
	s_mov_b32 s21, -1
	s_and_saveexec_b32 s23, s25
	s_cbranch_execz .LBB165_545
; %bb.542:                              ;   in Loop: Header=BB165_534 Depth=1
	v_add_nc_u64_e32 v[14:15], v[12:13], v[4:5]
	s_mov_b32 s24, 0
	s_mov_b32 s21, exec_lo
	s_delay_alu instid0(VALU_DEP_1)
	v_cmpx_gt_u64_e64 s[38:39], v[14:15]
	s_cbranch_execz .LBB165_544
; %bb.543:                              ;   in Loop: Header=BB165_534 Depth=1
	s_wait_kmcnt 0x0
	v_mul_u64_e32 v[18:19], s[6:7], v[14:15]
	v_mul_u64_e32 v[14:15], s[8:9], v[14:15]
	s_mov_b32 s24, exec_lo
	s_delay_alu instid0(VALU_DEP_2) | instskip(NEXT) | instid1(VALU_DEP_2)
	v_lshl_add_u64 v[18:19], v[18:19], 3, s[12:13]
	v_lshl_add_u64 v[14:15], v[14:15], 3, s[14:15]
	global_store_b64 v[18:19], v[6:7], off
	global_store_b64 v[14:15], v[0:1], off
.LBB165_544:                            ;   in Loop: Header=BB165_534 Depth=1
	s_wait_xcnt 0x0
	s_or_b32 exec_lo, exec_lo, s21
	s_delay_alu instid0(SALU_CYCLE_1)
	s_xor_b32 s21, exec_lo, -1
	s_or_not1_b32 s24, s24, exec_lo
.LBB165_545:                            ;   in Loop: Header=BB165_534 Depth=1
	s_or_b32 exec_lo, exec_lo, s23
	s_and_saveexec_b32 s23, s24
	s_cbranch_execz .LBB165_532
; %bb.546:                              ;   in Loop: Header=BB165_534 Depth=1
	v_cmp_le_u64_e32 vcc_lo, s[10:11], v[8:9]
	v_add_nc_u64_e32 v[2:3], s[42:43], v[2:3]
	s_or_b32 s21, s21, exec_lo
	s_or_not1_b32 s22, vcc_lo, exec_lo
	s_branch .LBB165_532
.LBB165_547:
	s_or_b32 s7, s7, exec_lo
	s_trap 2
	s_branch .LBB165_511
.LBB165_548:
	s_or_b32 exec_lo, exec_lo, s5
	s_mov_b32 s0, 0
	s_and_saveexec_b32 s2, s20
	s_delay_alu instid0(SALU_CYCLE_1)
	s_xor_b32 s2, exec_lo, s2
	s_cbranch_execnz .LBB165_554
.LBB165_549:
	s_or_b32 exec_lo, exec_lo, s2
	s_delay_alu instid0(SALU_CYCLE_1)
	s_and_b32 s0, s0, exec_lo
.LBB165_550:
	s_or_b32 exec_lo, exec_lo, s3
	s_delay_alu instid0(SALU_CYCLE_1) | instskip(SKIP_3) | instid1(SALU_CYCLE_1)
	s_and_b32 s5, s0, exec_lo
	s_and_not1_b32 s1, s1, exec_lo
	s_or_b32 exec_lo, exec_lo, s4
	s_and_saveexec_b32 s0, s1
	s_xor_b32 s0, exec_lo, s0
	s_cbranch_execz .LBB165_505
.LBB165_551:
	s_or_b32 s5, s5, exec_lo
	s_trap 2
	s_branch .LBB165_505
.LBB165_552:
	s_or_b32 s7, s7, exec_lo
	s_trap 2
	s_branch .LBB165_509
.LBB165_553:
	s_or_b32 s7, s7, exec_lo
	s_trap 2
	s_branch .LBB165_507
.LBB165_554:
	s_mov_b32 s0, exec_lo
	s_trap 2
	s_branch .LBB165_549
	.section	.rodata,"a",@progbits
	.p2align	6, 0x0
	.amdhsa_kernel _ZN2at6native6sbtopk10gatherTopKIlmLin1ELb0EEEvNS_4cuda6detail10TensorInfoIKT_T0_EES8_S8_bS8_S8_NS5_IS6_S8_EES8_NS5_IlS8_EES8_PS6_
		.amdhsa_group_segment_fixed_size 5152
		.amdhsa_private_segment_fixed_size 0
		.amdhsa_kernarg_size 1568
		.amdhsa_user_sgpr_count 2
		.amdhsa_user_sgpr_dispatch_ptr 0
		.amdhsa_user_sgpr_queue_ptr 0
		.amdhsa_user_sgpr_kernarg_segment_ptr 1
		.amdhsa_user_sgpr_dispatch_id 0
		.amdhsa_user_sgpr_kernarg_preload_length 0
		.amdhsa_user_sgpr_kernarg_preload_offset 0
		.amdhsa_user_sgpr_private_segment_size 0
		.amdhsa_wavefront_size32 1
		.amdhsa_uses_dynamic_stack 0
		.amdhsa_enable_private_segment 0
		.amdhsa_system_sgpr_workgroup_id_x 1
		.amdhsa_system_sgpr_workgroup_id_y 1
		.amdhsa_system_sgpr_workgroup_id_z 1
		.amdhsa_system_sgpr_workgroup_info 0
		.amdhsa_system_vgpr_workitem_id 0
		.amdhsa_next_free_vgpr 75
		.amdhsa_next_free_sgpr 105
		.amdhsa_named_barrier_count 0
		.amdhsa_reserve_vcc 1
		.amdhsa_float_round_mode_32 0
		.amdhsa_float_round_mode_16_64 0
		.amdhsa_float_denorm_mode_32 3
		.amdhsa_float_denorm_mode_16_64 3
		.amdhsa_fp16_overflow 0
		.amdhsa_memory_ordered 1
		.amdhsa_forward_progress 1
		.amdhsa_inst_pref_size 209
		.amdhsa_round_robin_scheduling 0
		.amdhsa_exception_fp_ieee_invalid_op 0
		.amdhsa_exception_fp_denorm_src 0
		.amdhsa_exception_fp_ieee_div_zero 0
		.amdhsa_exception_fp_ieee_overflow 0
		.amdhsa_exception_fp_ieee_underflow 0
		.amdhsa_exception_fp_ieee_inexact 0
		.amdhsa_exception_int_div_zero 0
	.end_amdhsa_kernel
	.section	.text._ZN2at6native6sbtopk10gatherTopKIlmLin1ELb0EEEvNS_4cuda6detail10TensorInfoIKT_T0_EES8_S8_bS8_S8_NS5_IS6_S8_EES8_NS5_IlS8_EES8_PS6_,"axG",@progbits,_ZN2at6native6sbtopk10gatherTopKIlmLin1ELb0EEEvNS_4cuda6detail10TensorInfoIKT_T0_EES8_S8_bS8_S8_NS5_IS6_S8_EES8_NS5_IlS8_EES8_PS6_,comdat
.Lfunc_end165:
	.size	_ZN2at6native6sbtopk10gatherTopKIlmLin1ELb0EEEvNS_4cuda6detail10TensorInfoIKT_T0_EES8_S8_bS8_S8_NS5_IS6_S8_EES8_NS5_IlS8_EES8_PS6_, .Lfunc_end165-_ZN2at6native6sbtopk10gatherTopKIlmLin1ELb0EEEvNS_4cuda6detail10TensorInfoIKT_T0_EES8_S8_bS8_S8_NS5_IS6_S8_EES8_NS5_IlS8_EES8_PS6_
                                        ; -- End function
	.set _ZN2at6native6sbtopk10gatherTopKIlmLin1ELb0EEEvNS_4cuda6detail10TensorInfoIKT_T0_EES8_S8_bS8_S8_NS5_IS6_S8_EES8_NS5_IlS8_EES8_PS6_.num_vgpr, 75
	.set _ZN2at6native6sbtopk10gatherTopKIlmLin1ELb0EEEvNS_4cuda6detail10TensorInfoIKT_T0_EES8_S8_bS8_S8_NS5_IS6_S8_EES8_NS5_IlS8_EES8_PS6_.num_agpr, 0
	.set _ZN2at6native6sbtopk10gatherTopKIlmLin1ELb0EEEvNS_4cuda6detail10TensorInfoIKT_T0_EES8_S8_bS8_S8_NS5_IS6_S8_EES8_NS5_IlS8_EES8_PS6_.numbered_sgpr, 105
	.set _ZN2at6native6sbtopk10gatherTopKIlmLin1ELb0EEEvNS_4cuda6detail10TensorInfoIKT_T0_EES8_S8_bS8_S8_NS5_IS6_S8_EES8_NS5_IlS8_EES8_PS6_.num_named_barrier, 0
	.set _ZN2at6native6sbtopk10gatherTopKIlmLin1ELb0EEEvNS_4cuda6detail10TensorInfoIKT_T0_EES8_S8_bS8_S8_NS5_IS6_S8_EES8_NS5_IlS8_EES8_PS6_.private_seg_size, 0
	.set _ZN2at6native6sbtopk10gatherTopKIlmLin1ELb0EEEvNS_4cuda6detail10TensorInfoIKT_T0_EES8_S8_bS8_S8_NS5_IS6_S8_EES8_NS5_IlS8_EES8_PS6_.uses_vcc, 1
	.set _ZN2at6native6sbtopk10gatherTopKIlmLin1ELb0EEEvNS_4cuda6detail10TensorInfoIKT_T0_EES8_S8_bS8_S8_NS5_IS6_S8_EES8_NS5_IlS8_EES8_PS6_.uses_flat_scratch, 0
	.set _ZN2at6native6sbtopk10gatherTopKIlmLin1ELb0EEEvNS_4cuda6detail10TensorInfoIKT_T0_EES8_S8_bS8_S8_NS5_IS6_S8_EES8_NS5_IlS8_EES8_PS6_.has_dyn_sized_stack, 0
	.set _ZN2at6native6sbtopk10gatherTopKIlmLin1ELb0EEEvNS_4cuda6detail10TensorInfoIKT_T0_EES8_S8_bS8_S8_NS5_IS6_S8_EES8_NS5_IlS8_EES8_PS6_.has_recursion, 0
	.set _ZN2at6native6sbtopk10gatherTopKIlmLin1ELb0EEEvNS_4cuda6detail10TensorInfoIKT_T0_EES8_S8_bS8_S8_NS5_IS6_S8_EES8_NS5_IlS8_EES8_PS6_.has_indirect_call, 0
	.section	.AMDGPU.csdata,"",@progbits
; Kernel info:
; codeLenInByte = 26632
; TotalNumSgprs: 107
; NumVgprs: 75
; ScratchSize: 0
; MemoryBound: 0
; FloatMode: 240
; IeeeMode: 1
; LDSByteSize: 5152 bytes/workgroup (compile time only)
; SGPRBlocks: 0
; VGPRBlocks: 4
; NumSGPRsForWavesPerEU: 107
; NumVGPRsForWavesPerEU: 75
; NamedBarCnt: 0
; Occupancy: 12
; WaveLimiterHint : 1
; COMPUTE_PGM_RSRC2:SCRATCH_EN: 0
; COMPUTE_PGM_RSRC2:USER_SGPR: 2
; COMPUTE_PGM_RSRC2:TRAP_HANDLER: 0
; COMPUTE_PGM_RSRC2:TGID_X_EN: 1
; COMPUTE_PGM_RSRC2:TGID_Y_EN: 1
; COMPUTE_PGM_RSRC2:TGID_Z_EN: 1
; COMPUTE_PGM_RSRC2:TIDIG_COMP_CNT: 0
	.section	.text._ZN2at6native6mbtopk23computeBlockDigitCountsIsmjLi1EEEvNS_4cuda6detail10TensorInfoIKT_T0_EEjPjjS8_iijT1_PSB_Ps,"axG",@progbits,_ZN2at6native6mbtopk23computeBlockDigitCountsIsmjLi1EEEvNS_4cuda6detail10TensorInfoIKT_T0_EEjPjjS8_iijT1_PSB_Ps,comdat
	.protected	_ZN2at6native6mbtopk23computeBlockDigitCountsIsmjLi1EEEvNS_4cuda6detail10TensorInfoIKT_T0_EEjPjjS8_iijT1_PSB_Ps ; -- Begin function _ZN2at6native6mbtopk23computeBlockDigitCountsIsmjLi1EEEvNS_4cuda6detail10TensorInfoIKT_T0_EEjPjjS8_iijT1_PSB_Ps
	.globl	_ZN2at6native6mbtopk23computeBlockDigitCountsIsmjLi1EEEvNS_4cuda6detail10TensorInfoIKT_T0_EEjPjjS8_iijT1_PSB_Ps
	.p2align	8
	.type	_ZN2at6native6mbtopk23computeBlockDigitCountsIsmjLi1EEEvNS_4cuda6detail10TensorInfoIKT_T0_EEjPjjS8_iijT1_PSB_Ps,@function
_ZN2at6native6mbtopk23computeBlockDigitCountsIsmjLi1EEEvNS_4cuda6detail10TensorInfoIKT_T0_EEjPjjS8_iijT1_PSB_Ps: ; @_ZN2at6native6mbtopk23computeBlockDigitCountsIsmjLi1EEEvNS_4cuda6detail10TensorInfoIKT_T0_EEjPjjS8_iijT1_PSB_Ps
; %bb.0:
	s_load_b128 s[4:7], s[0:1], 0x1c0
	s_bfe_u32 s2, ttmp6, 0x40010
	s_and_b32 s8, ttmp7, 0xffff
	s_add_co_i32 s9, s2, 1
	s_bfe_u32 s10, ttmp6, 0x40004
	s_mul_i32 s9, s8, s9
	s_load_b64 s[2:3], s[0:1], 0x1e0
	s_add_co_i32 s10, s10, s9
	s_bfe_u32 s11, ttmp6, 0x4000c
	s_bfe_u32 s13, ttmp6, 0x40014
	s_add_co_i32 s11, s11, 1
	s_and_b32 s12, ttmp6, 15
	s_mul_i32 s11, ttmp9, s11
	s_add_co_i32 s13, s13, 1
	s_add_co_i32 s12, s12, s11
	s_getreg_b32 s14, hwreg(HW_REG_IB_STS2, 6, 4)
	s_wait_kmcnt 0x0
	s_cvt_f32_u32 s9, s6
	s_delay_alu instid0(SALU_CYCLE_3) | instskip(SKIP_1) | instid1(SALU_CYCLE_1)
	v_rcp_iflag_f32_e32 v1, s9
	s_lshr_b32 s9, ttmp7, 16
	s_mul_i32 s11, s9, s13
	s_bfe_u32 s13, ttmp6, 0x40008
	s_delay_alu instid0(SALU_CYCLE_1) | instskip(SKIP_1) | instid1(TRANS32_DEP_1)
	s_add_co_i32 s13, s13, s11
	v_nop
	v_readfirstlane_b32 s15, v1
	s_cmp_eq_u32 s14, 0
	s_cselect_b32 s9, s9, s13
	s_load_b32 s13, s[0:1], 0x1b0
	s_mul_f32 s11, s15, 0x4f7ffffe
	s_mul_i32 s3, s3, s9
	s_cselect_b32 s9, ttmp9, s12
	s_cselect_b32 s8, s8, s10
	s_cvt_u32_f32 s11, s11
	s_sub_co_i32 s10, 0, s6
	s_add_co_i32 s3, s3, s8
	s_delay_alu instid0(SALU_CYCLE_1) | instskip(SKIP_3) | instid1(SALU_CYCLE_1)
	s_mul_i32 s16, s3, s2
	s_mul_i32 s10, s10, s11
	s_add_co_i32 s16, s16, s9
	s_mul_hi_u32 s2, s11, s10
	s_add_co_i32 s11, s11, s2
	s_delay_alu instid0(SALU_CYCLE_1) | instskip(NEXT) | instid1(SALU_CYCLE_1)
	s_mul_hi_u32 s2, s16, s11
	s_mul_i32 s3, s2, s6
	s_add_co_i32 s8, s2, 1
	s_sub_co_i32 s3, s16, s3
	s_delay_alu instid0(SALU_CYCLE_1)
	s_sub_co_i32 s9, s3, s6
	s_cmp_ge_u32 s3, s6
	s_cselect_b32 s2, s8, s2
	s_cselect_b32 s3, s9, s3
	s_add_co_i32 s8, s2, 1
	s_cmp_ge_u32 s3, s6
	s_cselect_b32 s12, s8, s2
	s_wait_kmcnt 0x0
	s_cmp_ge_u32 s12, s13
	s_mov_b32 s13, 0
	s_cbranch_scc1 .LBB166_21
; %bb.1:
	v_cmp_gt_u32_e32 vcc_lo, 0x100, v0
	v_lshlrev_b32_e32 v1, 2, v0
	s_and_saveexec_b32 s2, vcc_lo
; %bb.2:
	v_mov_b32_e32 v2, 0
	ds_store_b32 v1, v2
; %bb.3:
	s_or_b32 exec_lo, exec_lo, s2
	s_clause 0x1
	s_load_b32 s17, s[0:1], 0x1a0
	s_load_b128 s[8:11], s[0:1], 0x1d0
	s_mul_i32 s2, s12, s6
	s_mov_b32 s15, 0
	s_sub_co_i32 s19, s16, s2
	s_wait_dscnt 0x0
	s_mul_i32 s2, s5, s19
	s_add_co_i32 s19, s19, 1
	s_lshl_b32 s18, s2, 8
	s_barrier_signal -1
	s_barrier_wait -1
	s_wait_kmcnt 0x0
	s_sub_co_i32 s14, s17, s18
	s_delay_alu instid0(SALU_CYCLE_1) | instskip(NEXT) | instid1(SALU_CYCLE_1)
	s_add_nc_u64 s[2:3], s[14:15], 0xff
	s_lshr_b64 s[2:3], s[2:3], 8
	s_cmp_lt_u32 s19, s6
	s_cselect_b32 s6, s5, s2
	s_delay_alu instid0(SALU_CYCLE_1)
	s_cmp_lt_i32 s6, 1
	s_cbranch_scc1 .LBB166_19
; %bb.4:
	s_clause 0x2
	s_load_b64 s[20:21], s[0:1], 0xd0
	s_load_b64 s[2:3], s[0:1], 0x1b8
	;; [unrolled: 1-line block ×3, first 2 shown]
	s_load_b32 s14, s[8:9], s12 offset:0x0 scale_offset
	v_add_nc_u32_e32 v6, s18, v0
	s_wait_kmcnt 0x0
	s_mul_u64 s[0:1], s[20:21], s[12:13]
	s_delay_alu instid0(SALU_CYCLE_1)
	s_lshl_b64 s[8:9], s[0:1], 1
	s_and_b32 s1, s4, 0xff
	s_cmp_eq_u32 s6, 1
	s_add_nc_u64 s[4:5], s[22:23], s[8:9]
	s_cbranch_scc1 .LBB166_14
; %bb.5:
	v_dual_mov_b32 v3, 0 :: v_dual_mov_b32 v7, 1
	v_mov_b32_e32 v2, v6
	s_and_b32 s8, s6, 0x7ffffffe
	s_mov_b32 s9, 0
	s_branch .LBB166_7
.LBB166_6:                              ;   in Loop: Header=BB166_7 Depth=1
	s_or_b32 exec_lo, exec_lo, s12
	v_add_nc_u32_e32 v2, 0x200, v2
	s_add_co_i32 s9, s9, 2
	s_delay_alu instid0(SALU_CYCLE_1)
	s_cmp_eq_u32 s8, s9
	s_cbranch_scc1 .LBB166_13
.LBB166_7:                              ; =>This Inner Loop Header: Depth=1
	s_mov_b32 s12, exec_lo
	v_cmpx_gt_u32_e64 s17, v2
	s_cbranch_execz .LBB166_10
; %bb.8:                                ;   in Loop: Header=BB166_7 Depth=1
	v_mul_u64_e32 v[4:5], s[2:3], v[2:3]
	s_delay_alu instid0(VALU_DEP_1) | instskip(SKIP_4) | instid1(VALU_DEP_1)
	v_lshl_add_u64 v[4:5], v[4:5], 1, s[4:5]
	global_load_i16 v4, v[4:5], off
	s_wait_loadcnt 0x0
	s_wait_xcnt 0x0
	v_add_nc_u32_e32 v4, 0x8000, v4
	v_bitop3_b32 v5, v4, s7, s14 bitop3:0x48
	s_delay_alu instid0(VALU_DEP_1)
	v_cmp_eq_u32_e64 s0, 0, v5
	s_and_b32 exec_lo, exec_lo, s0
; %bb.9:                                ;   in Loop: Header=BB166_7 Depth=1
	v_bfe_u32 v4, v4, s1, 8
	s_delay_alu instid0(VALU_DEP_1)
	v_lshlrev_b32_e32 v4, 2, v4
	ds_add_u32 v4, v7
.LBB166_10:                             ;   in Loop: Header=BB166_7 Depth=1
	s_or_b32 exec_lo, exec_lo, s12
	v_add_nc_u32_e32 v4, 0x100, v2
	s_mov_b32 s12, exec_lo
	s_delay_alu instid0(VALU_DEP_1)
	v_cmpx_gt_u32_e64 s17, v4
	s_cbranch_execz .LBB166_6
; %bb.11:                               ;   in Loop: Header=BB166_7 Depth=1
	v_mov_b32_e32 v5, v3
	s_delay_alu instid0(VALU_DEP_1) | instskip(NEXT) | instid1(VALU_DEP_1)
	v_mul_u64_e32 v[4:5], s[2:3], v[4:5]
	v_lshl_add_u64 v[4:5], v[4:5], 1, s[4:5]
	global_load_i16 v4, v[4:5], off
	s_wait_loadcnt 0x0
	v_add_nc_u32_e32 v4, 0x8000, v4
	s_delay_alu instid0(VALU_DEP_1) | instskip(NEXT) | instid1(VALU_DEP_1)
	v_bitop3_b32 v5, v4, s7, s14 bitop3:0x48
	v_cmp_eq_u32_e64 s0, 0, v5
	s_and_b32 exec_lo, exec_lo, s0
	s_cbranch_execz .LBB166_6
; %bb.12:                               ;   in Loop: Header=BB166_7 Depth=1
	v_bfe_u32 v4, v4, s1, 8
	s_delay_alu instid0(VALU_DEP_1)
	v_lshlrev_b32_e32 v4, 2, v4
	ds_add_u32 v4, v7
	s_branch .LBB166_6
.LBB166_13:
	s_lshl_b32 s15, s8, 8
.LBB166_14:
	s_bitcmp0_b32 s6, 0
	s_cbranch_scc1 .LBB166_19
; %bb.15:
	v_add_nc_u32_e32 v2, s15, v6
	s_mov_b32 s6, exec_lo
	s_delay_alu instid0(VALU_DEP_1)
	v_cmpx_gt_u32_e64 s17, v2
	s_cbranch_execz .LBB166_18
; %bb.16:
	v_mov_b32_e32 v3, 0
	s_delay_alu instid0(VALU_DEP_1) | instskip(NEXT) | instid1(VALU_DEP_1)
	v_mul_u64_e32 v[2:3], s[2:3], v[2:3]
	v_lshl_add_u64 v[2:3], v[2:3], 1, s[4:5]
	global_load_i16 v2, v[2:3], off
	s_wait_loadcnt 0x0
	v_add_nc_u32_e32 v2, 0x8000, v2
	s_delay_alu instid0(VALU_DEP_1) | instskip(NEXT) | instid1(VALU_DEP_1)
	v_bitop3_b32 v3, v2, s7, s14 bitop3:0x48
	v_cmp_eq_u32_e64 s0, 0, v3
	s_and_b32 exec_lo, exec_lo, s0
; %bb.17:
	v_bfe_u32 v2, v2, s1, 8
	s_delay_alu instid0(VALU_DEP_1)
	v_dual_mov_b32 v3, 1 :: v_dual_lshlrev_b32 v2, 2, v2
	ds_add_u32 v2, v3
.LBB166_18:
	s_or_b32 exec_lo, exec_lo, s6
.LBB166_19:
	s_wait_dscnt 0x0
	s_barrier_signal -1
	s_barrier_wait -1
	s_and_saveexec_b32 s0, vcc_lo
	s_cbranch_execz .LBB166_21
; %bb.20:
	ds_load_b32 v1, v1
	v_lshl_or_b32 v0, s16, 8, v0
	s_wait_dscnt 0x0
	global_store_b16 v0, v1, s[10:11] scale_offset
.LBB166_21:
	s_endpgm
	.section	.rodata,"a",@progbits
	.p2align	6, 0x0
	.amdhsa_kernel _ZN2at6native6mbtopk23computeBlockDigitCountsIsmjLi1EEEvNS_4cuda6detail10TensorInfoIKT_T0_EEjPjjS8_iijT1_PSB_Ps
		.amdhsa_group_segment_fixed_size 1024
		.amdhsa_private_segment_fixed_size 0
		.amdhsa_kernarg_size 736
		.amdhsa_user_sgpr_count 2
		.amdhsa_user_sgpr_dispatch_ptr 0
		.amdhsa_user_sgpr_queue_ptr 0
		.amdhsa_user_sgpr_kernarg_segment_ptr 1
		.amdhsa_user_sgpr_dispatch_id 0
		.amdhsa_user_sgpr_kernarg_preload_length 0
		.amdhsa_user_sgpr_kernarg_preload_offset 0
		.amdhsa_user_sgpr_private_segment_size 0
		.amdhsa_wavefront_size32 1
		.amdhsa_uses_dynamic_stack 0
		.amdhsa_enable_private_segment 0
		.amdhsa_system_sgpr_workgroup_id_x 1
		.amdhsa_system_sgpr_workgroup_id_y 1
		.amdhsa_system_sgpr_workgroup_id_z 1
		.amdhsa_system_sgpr_workgroup_info 0
		.amdhsa_system_vgpr_workitem_id 0
		.amdhsa_next_free_vgpr 8
		.amdhsa_next_free_sgpr 24
		.amdhsa_named_barrier_count 0
		.amdhsa_reserve_vcc 1
		.amdhsa_float_round_mode_32 0
		.amdhsa_float_round_mode_16_64 0
		.amdhsa_float_denorm_mode_32 3
		.amdhsa_float_denorm_mode_16_64 3
		.amdhsa_fp16_overflow 0
		.amdhsa_memory_ordered 1
		.amdhsa_forward_progress 1
		.amdhsa_inst_pref_size 8
		.amdhsa_round_robin_scheduling 0
		.amdhsa_exception_fp_ieee_invalid_op 0
		.amdhsa_exception_fp_denorm_src 0
		.amdhsa_exception_fp_ieee_div_zero 0
		.amdhsa_exception_fp_ieee_overflow 0
		.amdhsa_exception_fp_ieee_underflow 0
		.amdhsa_exception_fp_ieee_inexact 0
		.amdhsa_exception_int_div_zero 0
	.end_amdhsa_kernel
	.section	.text._ZN2at6native6mbtopk23computeBlockDigitCountsIsmjLi1EEEvNS_4cuda6detail10TensorInfoIKT_T0_EEjPjjS8_iijT1_PSB_Ps,"axG",@progbits,_ZN2at6native6mbtopk23computeBlockDigitCountsIsmjLi1EEEvNS_4cuda6detail10TensorInfoIKT_T0_EEjPjjS8_iijT1_PSB_Ps,comdat
.Lfunc_end166:
	.size	_ZN2at6native6mbtopk23computeBlockDigitCountsIsmjLi1EEEvNS_4cuda6detail10TensorInfoIKT_T0_EEjPjjS8_iijT1_PSB_Ps, .Lfunc_end166-_ZN2at6native6mbtopk23computeBlockDigitCountsIsmjLi1EEEvNS_4cuda6detail10TensorInfoIKT_T0_EEjPjjS8_iijT1_PSB_Ps
                                        ; -- End function
	.set _ZN2at6native6mbtopk23computeBlockDigitCountsIsmjLi1EEEvNS_4cuda6detail10TensorInfoIKT_T0_EEjPjjS8_iijT1_PSB_Ps.num_vgpr, 8
	.set _ZN2at6native6mbtopk23computeBlockDigitCountsIsmjLi1EEEvNS_4cuda6detail10TensorInfoIKT_T0_EEjPjjS8_iijT1_PSB_Ps.num_agpr, 0
	.set _ZN2at6native6mbtopk23computeBlockDigitCountsIsmjLi1EEEvNS_4cuda6detail10TensorInfoIKT_T0_EEjPjjS8_iijT1_PSB_Ps.numbered_sgpr, 24
	.set _ZN2at6native6mbtopk23computeBlockDigitCountsIsmjLi1EEEvNS_4cuda6detail10TensorInfoIKT_T0_EEjPjjS8_iijT1_PSB_Ps.num_named_barrier, 0
	.set _ZN2at6native6mbtopk23computeBlockDigitCountsIsmjLi1EEEvNS_4cuda6detail10TensorInfoIKT_T0_EEjPjjS8_iijT1_PSB_Ps.private_seg_size, 0
	.set _ZN2at6native6mbtopk23computeBlockDigitCountsIsmjLi1EEEvNS_4cuda6detail10TensorInfoIKT_T0_EEjPjjS8_iijT1_PSB_Ps.uses_vcc, 1
	.set _ZN2at6native6mbtopk23computeBlockDigitCountsIsmjLi1EEEvNS_4cuda6detail10TensorInfoIKT_T0_EEjPjjS8_iijT1_PSB_Ps.uses_flat_scratch, 0
	.set _ZN2at6native6mbtopk23computeBlockDigitCountsIsmjLi1EEEvNS_4cuda6detail10TensorInfoIKT_T0_EEjPjjS8_iijT1_PSB_Ps.has_dyn_sized_stack, 0
	.set _ZN2at6native6mbtopk23computeBlockDigitCountsIsmjLi1EEEvNS_4cuda6detail10TensorInfoIKT_T0_EEjPjjS8_iijT1_PSB_Ps.has_recursion, 0
	.set _ZN2at6native6mbtopk23computeBlockDigitCountsIsmjLi1EEEvNS_4cuda6detail10TensorInfoIKT_T0_EEjPjjS8_iijT1_PSB_Ps.has_indirect_call, 0
	.section	.AMDGPU.csdata,"",@progbits
; Kernel info:
; codeLenInByte = 980
; TotalNumSgprs: 26
; NumVgprs: 8
; ScratchSize: 0
; MemoryBound: 0
; FloatMode: 240
; IeeeMode: 1
; LDSByteSize: 1024 bytes/workgroup (compile time only)
; SGPRBlocks: 0
; VGPRBlocks: 0
; NumSGPRsForWavesPerEU: 26
; NumVGPRsForWavesPerEU: 8
; NamedBarCnt: 0
; Occupancy: 16
; WaveLimiterHint : 1
; COMPUTE_PGM_RSRC2:SCRATCH_EN: 0
; COMPUTE_PGM_RSRC2:USER_SGPR: 2
; COMPUTE_PGM_RSRC2:TRAP_HANDLER: 0
; COMPUTE_PGM_RSRC2:TGID_X_EN: 1
; COMPUTE_PGM_RSRC2:TGID_Y_EN: 1
; COMPUTE_PGM_RSRC2:TGID_Z_EN: 1
; COMPUTE_PGM_RSRC2:TIDIG_COMP_CNT: 0
	.section	.text._ZN2at6native6mbtopk10gatherTopKIsmLi1EEEvNS_4cuda6detail10TensorInfoIKT_T0_EES8_S8_bjS8_NS5_IS6_S8_EES8_NS5_IlS8_EES8_jjPS6_PjSD_j,"axG",@progbits,_ZN2at6native6mbtopk10gatherTopKIsmLi1EEEvNS_4cuda6detail10TensorInfoIKT_T0_EES8_S8_bjS8_NS5_IS6_S8_EES8_NS5_IlS8_EES8_jjPS6_PjSD_j,comdat
	.protected	_ZN2at6native6mbtopk10gatherTopKIsmLi1EEEvNS_4cuda6detail10TensorInfoIKT_T0_EES8_S8_bjS8_NS5_IS6_S8_EES8_NS5_IlS8_EES8_jjPS6_PjSD_j ; -- Begin function _ZN2at6native6mbtopk10gatherTopKIsmLi1EEEvNS_4cuda6detail10TensorInfoIKT_T0_EES8_S8_bjS8_NS5_IS6_S8_EES8_NS5_IlS8_EES8_jjPS6_PjSD_j
	.globl	_ZN2at6native6mbtopk10gatherTopKIsmLi1EEEvNS_4cuda6detail10TensorInfoIKT_T0_EES8_S8_bjS8_NS5_IS6_S8_EES8_NS5_IlS8_EES8_jjPS6_PjSD_j
	.p2align	8
	.type	_ZN2at6native6mbtopk10gatherTopKIsmLi1EEEvNS_4cuda6detail10TensorInfoIKT_T0_EES8_S8_bjS8_NS5_IS6_S8_EES8_NS5_IlS8_EES8_jjPS6_PjSD_j,@function
_ZN2at6native6mbtopk10gatherTopKIsmLi1EEEvNS_4cuda6detail10TensorInfoIKT_T0_EES8_S8_bjS8_NS5_IS6_S8_EES8_NS5_IlS8_EES8_jjPS6_PjSD_j: ; @_ZN2at6native6mbtopk10gatherTopKIsmLi1EEEvNS_4cuda6detail10TensorInfoIKT_T0_EES8_S8_bjS8_NS5_IS6_S8_EES8_NS5_IlS8_EES8_jjPS6_PjSD_j
; %bb.0:
	s_bfe_u32 s2, ttmp6, 0x40010
	s_and_b32 s4, ttmp7, 0xffff
	s_add_co_i32 s5, s2, 1
	s_clause 0x1
	s_load_b32 s6, s[0:1], 0x530
	s_load_b64 s[2:3], s[0:1], 0x538
	s_bfe_u32 s8, ttmp6, 0x4000c
	s_mul_i32 s5, s4, s5
	s_bfe_u32 s7, ttmp6, 0x40004
	s_add_co_i32 s8, s8, 1
	s_bfe_u32 s9, ttmp6, 0x40014
	s_add_co_i32 s7, s7, s5
	s_and_b32 s5, ttmp6, 15
	s_mul_i32 s8, ttmp9, s8
	s_lshr_b32 s10, ttmp7, 16
	s_add_co_i32 s9, s9, 1
	s_add_co_i32 s5, s5, s8
	s_mul_i32 s8, s10, s9
	s_bfe_u32 s9, ttmp6, 0x40008
	s_getreg_b32 s11, hwreg(HW_REG_IB_STS2, 6, 4)
	s_add_co_i32 s9, s9, s8
	s_cmp_eq_u32 s11, 0
	s_cselect_b32 s8, s10, s9
	s_cselect_b32 s4, s4, s7
	s_wait_kmcnt 0x0
	s_mul_i32 s3, s3, s8
	s_cselect_b32 s5, ttmp9, s5
	s_add_co_i32 s3, s3, s4
	s_delay_alu instid0(SALU_CYCLE_1) | instskip(NEXT) | instid1(SALU_CYCLE_1)
	s_mul_i32 s2, s3, s2
	s_add_co_i32 s2, s2, s5
	s_delay_alu instid0(SALU_CYCLE_1)
	s_cmp_ge_u32 s2, s6
	s_cbranch_scc1 .LBB167_42
; %bb.1:
	s_load_b64 s[16:17], s[0:1], 0x510
	s_wait_kmcnt 0x0
	s_cvt_f32_u32 s3, s17
	s_sub_co_i32 s4, 0, s17
	s_lshl_b32 s28, s16, 8
	s_delay_alu instid0(SALU_CYCLE_1) | instskip(SKIP_1) | instid1(TRANS32_DEP_1)
	v_rcp_iflag_f32_e32 v1, s3
	v_nop
	v_readfirstlane_b32 s3, v1
	s_mul_f32 s3, s3, 0x4f7ffffe
	s_delay_alu instid0(SALU_CYCLE_3) | instskip(NEXT) | instid1(SALU_CYCLE_3)
	s_cvt_u32_f32 s3, s3
	s_mul_i32 s4, s4, s3
	s_delay_alu instid0(SALU_CYCLE_1) | instskip(NEXT) | instid1(SALU_CYCLE_1)
	s_mul_hi_u32 s4, s3, s4
	s_add_co_i32 s3, s3, s4
	s_load_b128 s[4:7], s[0:1], 0x1a0
	s_mul_hi_u32 s3, s2, s3
	s_delay_alu instid0(SALU_CYCLE_1) | instskip(SKIP_2) | instid1(SALU_CYCLE_1)
	s_mul_i32 s8, s3, s17
	s_add_co_i32 s9, s3, 1
	s_sub_co_i32 s8, s2, s8
	s_sub_co_i32 s10, s8, s17
	s_cmp_ge_u32 s8, s17
	s_cselect_b32 s3, s9, s3
	s_cselect_b32 s8, s10, s8
	s_add_co_i32 s9, s3, 1
	s_cmp_ge_u32 s8, s17
	s_cselect_b32 s18, s9, s3
	s_delay_alu instid0(SALU_CYCLE_1) | instskip(NEXT) | instid1(SALU_CYCLE_1)
	s_mul_i32 s12, s18, s17
	s_sub_co_i32 s29, s2, s12
	s_delay_alu instid0(SALU_CYCLE_1) | instskip(NEXT) | instid1(SALU_CYCLE_1)
	s_add_co_i32 s2, s29, 1
	s_cmp_lt_u32 s2, s17
	s_cbranch_scc1 .LBB167_3
; %bb.2:
	s_mul_i32 s2, s29, s28
	s_mov_b32 s3, 0
	s_wait_kmcnt 0x0
	s_sub_nc_u64 s[8:9], s[4:5], s[2:3]
	s_delay_alu instid0(SALU_CYCLE_1) | instskip(NEXT) | instid1(SALU_CYCLE_1)
	s_add_nc_u64 s[8:9], s[8:9], 0xff
	s_ashr_i32 s2, s9, 31
	s_delay_alu instid0(SALU_CYCLE_1) | instskip(NEXT) | instid1(SALU_CYCLE_1)
	s_lshr_b32 s2, s2, 24
	s_add_nc_u64 s[2:3], s[8:9], s[2:3]
	s_delay_alu instid0(SALU_CYCLE_1) | instskip(NEXT) | instid1(SALU_CYCLE_1)
	s_lshr_b64 s[2:3], s[2:3], 8
	s_mov_b32 s16, s2
.LBB167_3:
	s_load_b128 s[8:11], s[0:1], 0x518
	v_mov_b32_e32 v1, s18
	v_cmp_ne_u32_e64 s2, 0, v0
	v_cmp_eq_u32_e64 s3, 0, v0
	s_mov_b32 s19, 0
	s_wait_kmcnt 0x0
	global_load_u16 v5, v1, s[8:9] scale_offset
	s_wait_xcnt 0x0
	s_and_saveexec_b32 s26, s3
	s_cbranch_execz .LBB167_19
; %bb.4:
	s_load_b64 s[20:21], s[0:1], 0x528
	s_mov_b32 s13, s19
	s_delay_alu instid0(SALU_CYCLE_1)
	s_lshl_b64 s[22:23], s[12:13], 2
	s_cmp_lt_u32 s17, 4
	s_cbranch_scc1 .LBB167_16
; %bb.5:
	s_mov_b32 s27, 0
	s_mov_b64 s[8:9], 0
	s_mov_b32 s30, 0
.LBB167_6:                              ; =>This Inner Loop Header: Depth=1
	s_add_nc_u64 s[24:25], s[10:11], s[22:23]
	s_cmp_ge_u32 s30, s29
	s_load_b128 s[12:15], s[24:25], 0x0
	s_wait_kmcnt 0x0
	s_add_nc_u64 s[24:25], s[20:21], s[22:23]
	s_cbranch_scc0 .LBB167_13
; %bb.7:                                ;   in Loop: Header=BB167_6 Depth=1
	s_add_co_i32 s31, s30, 1
	s_delay_alu instid0(SALU_CYCLE_1)
	s_cmp_ge_u32 s31, s29
	s_cbranch_scc0 .LBB167_14
.LBB167_8:                              ;   in Loop: Header=BB167_6 Depth=1
	s_add_co_i32 s31, s31, 1
	s_delay_alu instid0(SALU_CYCLE_1)
	s_cmp_ge_u32 s31, s29
	s_cbranch_scc0 .LBB167_15
.LBB167_9:                              ;   in Loop: Header=BB167_6 Depth=1
	s_add_co_i32 s31, s31, 1
	s_delay_alu instid0(SALU_CYCLE_1)
	s_cmp_ge_u32 s31, s29
	s_cbranch_scc1 .LBB167_11
.LBB167_10:                             ;   in Loop: Header=BB167_6 Depth=1
	s_load_b32 s24, s[24:25], 0xc
	s_add_co_i32 s9, s15, s9
	s_wait_kmcnt 0x0
	s_add_co_i32 s8, s24, s8
.LBB167_11:                             ;   in Loop: Header=BB167_6 Depth=1
	s_add_co_i32 s12, s12, s27
	s_add_nc_u64 s[10:11], s[10:11], 16
	s_add_co_i32 s12, s12, s13
	s_add_co_i32 s13, s31, 4
	;; [unrolled: 1-line block ×3, first 2 shown]
	s_add_nc_u64 s[20:21], s[20:21], 16
	s_add_co_i32 s27, s12, s15
	s_add_co_i32 s12, s31, 1
	s_cmp_ge_u32 s13, s17
	s_cbranch_scc1 .LBB167_17
; %bb.12:                               ;   in Loop: Header=BB167_6 Depth=1
	s_mov_b32 s30, s12
	s_branch .LBB167_6
.LBB167_13:                             ;   in Loop: Header=BB167_6 Depth=1
	s_load_b32 s31, s[24:25], 0x0
	s_add_co_i32 s9, s12, s9
	s_wait_kmcnt 0x0
	s_add_co_i32 s8, s31, s8
	s_add_co_i32 s31, s30, 1
	s_delay_alu instid0(SALU_CYCLE_1)
	s_cmp_ge_u32 s31, s29
	s_cbranch_scc1 .LBB167_8
.LBB167_14:                             ;   in Loop: Header=BB167_6 Depth=1
	s_load_b32 s33, s[24:25], 0x4
	s_add_co_i32 s9, s13, s9
	s_wait_kmcnt 0x0
	s_add_co_i32 s8, s33, s8
	s_add_co_i32 s31, s31, 1
	s_delay_alu instid0(SALU_CYCLE_1)
	s_cmp_ge_u32 s31, s29
	s_cbranch_scc1 .LBB167_9
.LBB167_15:                             ;   in Loop: Header=BB167_6 Depth=1
	s_load_b32 s33, s[24:25], 0x8
	s_add_co_i32 s9, s14, s9
	s_wait_kmcnt 0x0
	s_add_co_i32 s8, s33, s8
	s_add_co_i32 s31, s31, 1
	s_delay_alu instid0(SALU_CYCLE_1)
	s_cmp_ge_u32 s31, s29
	s_cbranch_scc0 .LBB167_10
	s_branch .LBB167_11
.LBB167_16:
	s_mov_b64 s[8:9], 0
	s_add_nc_u64 s[10:11], s[10:11], s[22:23]
	s_wait_kmcnt 0x0
	s_add_nc_u64 s[12:13], s[20:21], s[22:23]
	s_mov_b32 s27, s19
	s_mov_b32 s14, s19
	s_delay_alu instid0(SALU_CYCLE_1)
	s_cmp_ge_u32 s14, s17
	s_cbranch_scc0 .LBB167_40
	s_branch .LBB167_18
.LBB167_17:
	s_add_co_i32 s14, s30, 4
	s_add_nc_u64 s[12:13], s[20:21], s[22:23]
	s_add_nc_u64 s[10:11], s[10:11], s[22:23]
	s_cmp_ge_u32 s14, s17
	s_cbranch_scc0 .LBB167_40
.LBB167_18:
	v_dual_mov_b32 v2, s8 :: v_dual_mov_b32 v3, s27
	v_dual_mov_b32 v4, s9 :: v_dual_mov_b32 v1, 0
	ds_store_b96 v1, v[2:4] offset:1056
.LBB167_19:
	s_or_b32 exec_lo, exec_lo, s26
	s_clause 0x5
	s_load_b64 s[20:21], s[0:1], 0x0
	s_load_b64 s[22:23], s[0:1], 0xd0
	s_load_b128 s[8:11], s[0:1], 0x1b8
	s_load_b64 s[24:25], s[0:1], 0x290
	s_load_b128 s[12:15], s[0:1], 0x360
	s_load_b64 s[26:27], s[0:1], 0x438
	s_cmp_eq_u32 s16, 0
	s_wait_loadcnt_dscnt 0x0
	s_barrier_signal -1
	s_barrier_wait -1
	s_cbranch_scc1 .LBB167_42
; %bb.20:
	v_dual_mov_b32 v7, 0 :: v_dual_lshrrev_b32 v9, 3, v0
	s_wait_kmcnt 0x0
	s_mul_u64 s[22:23], s[22:23], s[18:19]
	s_mul_u64 s[24:25], s[24:25], s[18:19]
	;; [unrolled: 1-line block ×3, first 2 shown]
	ds_load_b96 v[2:4], v7 offset:1056
	s_clause 0x1
	s_load_b32 s17, s[0:1], 0x1b0
	s_load_b64 s[18:19], s[0:1], 0x508
	v_dual_add_nc_u32 v11, -1, v0 :: v_dual_lshlrev_b32 v13, 5, v0
	v_mad_u32 v6, s29, s28, v0
	v_bfe_i32 v1, v5, 0, 16
	v_and_b32_e32 v12, 0xfc, v0
	s_delay_alu instid0(VALU_DEP_4)
	v_dual_lshrrev_b32 v10, 3, v11 :: v_dual_bitop2_b32 v14, 28, v9 bitop3:0x40
	v_mbcnt_lo_u32_b32 v8, -1, 0
	s_wait_xcnt 0x0
	v_cmp_gt_u32_e64 s0, 32, v0
	s_lshl_b64 s[22:23], s[22:23], 1
	v_and_b32_e32 v15, 0x1ffffffc, v10
	s_lshl_b64 s[24:25], s[24:25], 1
	s_lshl_b64 s[26:27], s[26:27], 3
	v_add_nc_u32_e32 v9, 0x8000, v1
	v_lshl_add_u32 v10, v0, 2, v14
	v_lshl_add_u32 v11, v11, 2, v15
	v_bfe_i32 v14, v8, 4, 1
	s_add_nc_u64 s[20:21], s[20:21], s[22:23]
	s_wait_dscnt 0x0
	v_dual_add_nc_u32 v0, v2, v3 :: v_dual_add_nc_u32 v12, v12, v13
	v_dual_add_nc_u32 v15, -1, v8 :: v_dual_bitop2_b32 v13, 15, v8 bitop3:0x40
	s_wait_kmcnt 0x0
	s_bitcmp1_b32 s17, 0
	s_add_nc_u64 s[10:11], s[10:11], s[24:25]
	s_add_nc_u64 s[14:15], s[14:15], s[26:27]
	s_cselect_b32 s1, -1, 0
                                        ; implicit-def: $vgpr16
	s_branch .LBB167_23
.LBB167_21:                             ;   in Loop: Header=BB167_23 Depth=1
	s_wait_xcnt 0x0
	s_or_b32 exec_lo, exec_lo, s17
	v_add_nc_u32_e32 v0, v1, v0
.LBB167_22:                             ;   in Loop: Header=BB167_23 Depth=1
	v_add_nc_u32_e32 v4, v17, v4
	v_add_nc_u32_e32 v6, 0x100, v6
	s_add_co_i32 s16, s16, -1
	s_delay_alu instid0(SALU_CYCLE_1)
	s_cmp_lg_u32 s16, 0
	s_cbranch_scc0 .LBB167_42
.LBB167_23:                             ; =>This Inner Loop Header: Depth=1
	v_dual_mov_b32 v1, v7 :: v_dual_mov_b32 v2, v7
	s_mov_b32 s17, exec_lo
	v_cmpx_gt_u64_e64 s[4:5], v[6:7]
	s_cbranch_execz .LBB167_25
; %bb.24:                               ;   in Loop: Header=BB167_23 Depth=1
	v_mul_u64_e32 v[2:3], s[8:9], v[6:7]
	s_delay_alu instid0(VALU_DEP_1) | instskip(SKIP_3) | instid1(VALU_DEP_1)
	v_lshl_add_u64 v[2:3], v[2:3], 1, s[20:21]
	global_load_u16 v16, v[2:3], off
	s_wait_loadcnt 0x0
	v_bfe_i32 v1, v16, 0, 16
	v_add_nc_u32_e32 v1, 0x8000, v1
	s_delay_alu instid0(VALU_DEP_1)
	v_cmp_gt_u32_e32 vcc_lo, v1, v9
	s_wait_xcnt 0x0
	v_cndmask_b32_e64 v2, 0, 1, vcc_lo
	v_cmp_lt_u32_e32 vcc_lo, v1, v9
	v_cndmask_b32_e64 v1, 0, 1, vcc_lo
	v_cmp_eq_u16_e32 vcc_lo, v16, v5
	s_delay_alu instid0(VALU_DEP_2) | instskip(SKIP_1) | instid1(VALU_DEP_2)
	v_cndmask_b32_e64 v1, v1, v2, s1
	v_cndmask_b32_e64 v2, 0, 1, vcc_lo
	v_and_b32_e32 v1, 1, v1
.LBB167_25:                             ;   in Loop: Header=BB167_23 Depth=1
	s_or_b32 exec_lo, exec_lo, s17
	ds_store_b32 v10, v1
	s_wait_dscnt 0x0
	s_barrier_signal -1
	s_barrier_wait -1
	s_and_saveexec_b32 s17, s0
	s_cbranch_execz .LBB167_27
; %bb.26:                               ;   in Loop: Header=BB167_23 Depth=1
	ds_load_2addr_b32 v[18:19], v12 offset1:1
	ds_load_2addr_b32 v[20:21], v12 offset0:2 offset1:3
	ds_load_2addr_b32 v[22:23], v12 offset0:4 offset1:5
	;; [unrolled: 1-line block ×3, first 2 shown]
	v_cmp_ne_u32_e32 vcc_lo, 0, v13
	; wave barrier
	s_wait_dscnt 0x3
	v_add_nc_u32_e32 v3, v19, v18
	s_wait_dscnt 0x2
	s_delay_alu instid0(VALU_DEP_1) | instskip(SKIP_1) | instid1(VALU_DEP_1)
	v_add3_u32 v3, v3, v20, v21
	s_wait_dscnt 0x1
	v_add3_u32 v3, v3, v22, v23
	s_wait_dscnt 0x0
	s_delay_alu instid0(VALU_DEP_1) | instskip(NEXT) | instid1(VALU_DEP_1)
	v_add3_u32 v3, v3, v24, v25
	v_mov_b32_dpp v17, v3 row_shr:1 row_mask:0xf bank_mask:0xf
	s_delay_alu instid0(VALU_DEP_1) | instskip(SKIP_1) | instid1(VALU_DEP_2)
	v_cndmask_b32_e32 v17, 0, v17, vcc_lo
	v_cmp_lt_u32_e32 vcc_lo, 1, v13
	v_add_nc_u32_e32 v3, v17, v3
	s_delay_alu instid0(VALU_DEP_1) | instskip(NEXT) | instid1(VALU_DEP_1)
	v_mov_b32_dpp v17, v3 row_shr:2 row_mask:0xf bank_mask:0xf
	v_cndmask_b32_e32 v17, 0, v17, vcc_lo
	v_cmp_lt_u32_e32 vcc_lo, 3, v13
	s_delay_alu instid0(VALU_DEP_2) | instskip(NEXT) | instid1(VALU_DEP_1)
	v_add_nc_u32_e32 v3, v3, v17
	v_mov_b32_dpp v17, v3 row_shr:4 row_mask:0xf bank_mask:0xf
	s_delay_alu instid0(VALU_DEP_1) | instskip(SKIP_1) | instid1(VALU_DEP_2)
	v_cndmask_b32_e32 v17, 0, v17, vcc_lo
	v_cmp_lt_u32_e32 vcc_lo, 7, v13
	v_add_nc_u32_e32 v3, v3, v17
	s_delay_alu instid0(VALU_DEP_1) | instskip(NEXT) | instid1(VALU_DEP_1)
	v_mov_b32_dpp v17, v3 row_shr:8 row_mask:0xf bank_mask:0xf
	v_cndmask_b32_e32 v17, 0, v17, vcc_lo
	v_cmp_gt_i32_e32 vcc_lo, 0, v15
	s_delay_alu instid0(VALU_DEP_2) | instskip(SKIP_4) | instid1(VALU_DEP_1)
	v_add_nc_u32_e32 v3, v3, v17
	v_cndmask_b32_e32 v19, v15, v8, vcc_lo
	ds_swizzle_b32 v17, v3 offset:swizzle(BROADCAST,32,15)
	s_wait_dscnt 0x0
	v_dual_lshlrev_b32 v19, 2, v19 :: v_dual_bitop2_b32 v17, v14, v17 bitop3:0x40
	v_add_nc_u32_e32 v3, v3, v17
	ds_bpermute_b32 v3, v19, v3
	s_wait_dscnt 0x0
	v_add_nc_u32_e32 v3, v3, v18
	s_delay_alu instid0(VALU_DEP_1)
	v_cndmask_b32_e64 v3, v3, v1, s3
	ds_store_b32 v12, v3
	; wave barrier
	ds_load_2addr_b32 v[18:19], v12 offset0:1 offset1:2
	ds_load_2addr_b32 v[20:21], v12 offset0:3 offset1:4
	;; [unrolled: 1-line block ×3, first 2 shown]
	ds_load_b32 v17, v12 offset:28
	s_wait_dscnt 0x3
	v_add_nc_u32_e32 v3, v18, v3
	s_delay_alu instid0(VALU_DEP_1) | instskip(SKIP_1) | instid1(VALU_DEP_1)
	v_add_nc_u32_e32 v18, v19, v3
	s_wait_dscnt 0x2
	v_add_nc_u32_e32 v19, v20, v18
	s_delay_alu instid0(VALU_DEP_1) | instskip(SKIP_1) | instid1(VALU_DEP_1)
	v_add_nc_u32_e32 v20, v21, v19
	;; [unrolled: 4-line block ×3, first 2 shown]
	s_wait_dscnt 0x0
	v_add_nc_u32_e32 v17, v17, v22
	ds_store_2addr_b32 v12, v3, v18 offset0:1 offset1:2
	ds_store_2addr_b32 v12, v19, v20 offset0:3 offset1:4
	;; [unrolled: 1-line block ×3, first 2 shown]
	ds_store_b32 v12, v17 offset:28
.LBB167_27:                             ;   in Loop: Header=BB167_23 Depth=1
	s_or_b32 exec_lo, exec_lo, s17
	v_mov_b32_e32 v3, 0
	s_wait_dscnt 0x0
	s_barrier_signal -1
	s_barrier_wait -1
	s_and_saveexec_b32 s17, s2
; %bb.28:                               ;   in Loop: Header=BB167_23 Depth=1
	ds_load_b32 v3, v11
; %bb.29:                               ;   in Loop: Header=BB167_23 Depth=1
	s_or_b32 exec_lo, exec_lo, s17
	ds_load_b32 v17, v7 offset:1048
	s_mov_b32 s17, exec_lo
	s_wait_dscnt 0x0
	s_barrier_signal -1
	s_barrier_wait -1
	v_cmpx_ne_u32_e32 0, v1
	s_cbranch_execz .LBB167_31
; %bb.30:                               ;   in Loop: Header=BB167_23 Depth=1
	v_add_nc_u32_e32 v18, v3, v4
	v_mov_b32_e32 v19, v7
	s_delay_alu instid0(VALU_DEP_1) | instskip(SKIP_1) | instid1(VALU_DEP_2)
	v_mul_u64_e32 v[20:21], s[12:13], v[18:19]
	v_mul_u64_e32 v[18:19], s[18:19], v[18:19]
	v_lshl_add_u64 v[20:21], v[20:21], 1, s[10:11]
	s_delay_alu instid0(VALU_DEP_2)
	v_lshl_add_u64 v[18:19], v[18:19], 3, s[14:15]
	global_store_b16 v[20:21], v16, off
	global_store_b64 v[18:19], v[6:7], off
.LBB167_31:                             ;   in Loop: Header=BB167_23 Depth=1
	s_wait_xcnt 0x0
	s_or_b32 exec_lo, exec_lo, s17
	v_mov_b32_e32 v1, v7
	s_delay_alu instid0(VALU_DEP_1)
	v_cmp_le_u64_e32 vcc_lo, s[6:7], v[0:1]
	s_cbranch_vccnz .LBB167_22
; %bb.32:                               ;   in Loop: Header=BB167_23 Depth=1
	ds_store_b32 v10, v2
	s_wait_storecnt_dscnt 0x0
	s_barrier_signal -1
	s_barrier_wait -1
	s_and_saveexec_b32 s17, s0
	s_cbranch_execz .LBB167_34
; %bb.33:                               ;   in Loop: Header=BB167_23 Depth=1
	ds_load_2addr_b32 v[18:19], v12 offset1:1
	ds_load_2addr_b32 v[20:21], v12 offset0:2 offset1:3
	ds_load_2addr_b32 v[22:23], v12 offset0:4 offset1:5
	;; [unrolled: 1-line block ×3, first 2 shown]
	v_cmp_ne_u32_e32 vcc_lo, 0, v13
	; wave barrier
	s_wait_dscnt 0x3
	v_add_nc_u32_e32 v1, v19, v18
	s_wait_dscnt 0x2
	s_delay_alu instid0(VALU_DEP_1) | instskip(SKIP_1) | instid1(VALU_DEP_1)
	v_add3_u32 v1, v1, v20, v21
	s_wait_dscnt 0x1
	v_add3_u32 v1, v1, v22, v23
	s_wait_dscnt 0x0
	s_delay_alu instid0(VALU_DEP_1) | instskip(NEXT) | instid1(VALU_DEP_1)
	v_add3_u32 v1, v1, v24, v25
	v_mov_b32_dpp v3, v1 row_shr:1 row_mask:0xf bank_mask:0xf
	s_delay_alu instid0(VALU_DEP_1) | instskip(SKIP_1) | instid1(VALU_DEP_2)
	v_cndmask_b32_e32 v3, 0, v3, vcc_lo
	v_cmp_lt_u32_e32 vcc_lo, 1, v13
	v_add_nc_u32_e32 v1, v3, v1
	s_delay_alu instid0(VALU_DEP_1) | instskip(NEXT) | instid1(VALU_DEP_1)
	v_mov_b32_dpp v3, v1 row_shr:2 row_mask:0xf bank_mask:0xf
	v_cndmask_b32_e32 v3, 0, v3, vcc_lo
	v_cmp_lt_u32_e32 vcc_lo, 3, v13
	s_delay_alu instid0(VALU_DEP_2) | instskip(NEXT) | instid1(VALU_DEP_1)
	v_add_nc_u32_e32 v1, v1, v3
	v_mov_b32_dpp v3, v1 row_shr:4 row_mask:0xf bank_mask:0xf
	s_delay_alu instid0(VALU_DEP_1) | instskip(SKIP_1) | instid1(VALU_DEP_2)
	v_cndmask_b32_e32 v3, 0, v3, vcc_lo
	v_cmp_lt_u32_e32 vcc_lo, 7, v13
	v_add_nc_u32_e32 v1, v1, v3
	s_delay_alu instid0(VALU_DEP_1) | instskip(NEXT) | instid1(VALU_DEP_1)
	v_mov_b32_dpp v3, v1 row_shr:8 row_mask:0xf bank_mask:0xf
	v_cndmask_b32_e32 v3, 0, v3, vcc_lo
	v_cmp_gt_i32_e32 vcc_lo, 0, v15
	s_delay_alu instid0(VALU_DEP_2) | instskip(SKIP_4) | instid1(VALU_DEP_1)
	v_dual_add_nc_u32 v1, v1, v3 :: v_dual_cndmask_b32 v19, v15, v8, vcc_lo
	ds_swizzle_b32 v3, v1 offset:swizzle(BROADCAST,32,15)
	v_lshlrev_b32_e32 v19, 2, v19
	s_wait_dscnt 0x0
	v_and_b32_e32 v3, v14, v3
	v_add_nc_u32_e32 v1, v1, v3
	ds_bpermute_b32 v1, v19, v1
	s_wait_dscnt 0x0
	v_add_nc_u32_e32 v1, v1, v18
	s_delay_alu instid0(VALU_DEP_1)
	v_cndmask_b32_e64 v1, v1, v2, s3
	ds_store_b32 v12, v1
	; wave barrier
	ds_load_2addr_b32 v[18:19], v12 offset0:1 offset1:2
	ds_load_2addr_b32 v[20:21], v12 offset0:3 offset1:4
	;; [unrolled: 1-line block ×3, first 2 shown]
	ds_load_b32 v3, v12 offset:28
	s_wait_dscnt 0x3
	v_add_nc_u32_e32 v1, v18, v1
	s_delay_alu instid0(VALU_DEP_1) | instskip(SKIP_1) | instid1(VALU_DEP_1)
	v_add_nc_u32_e32 v18, v19, v1
	s_wait_dscnt 0x2
	v_add_nc_u32_e32 v19, v20, v18
	s_delay_alu instid0(VALU_DEP_1) | instskip(SKIP_1) | instid1(VALU_DEP_1)
	v_add_nc_u32_e32 v20, v21, v19
	;; [unrolled: 4-line block ×3, first 2 shown]
	s_wait_dscnt 0x0
	v_add_nc_u32_e32 v3, v3, v22
	ds_store_2addr_b32 v12, v1, v18 offset0:1 offset1:2
	ds_store_2addr_b32 v12, v19, v20 offset0:3 offset1:4
	;; [unrolled: 1-line block ×3, first 2 shown]
	ds_store_b32 v12, v3 offset:28
.LBB167_34:                             ;   in Loop: Header=BB167_23 Depth=1
	s_or_b32 exec_lo, exec_lo, s17
	v_mov_b32_e32 v3, 0
	s_wait_dscnt 0x0
	s_barrier_signal -1
	s_barrier_wait -1
	s_and_saveexec_b32 s17, s2
; %bb.35:                               ;   in Loop: Header=BB167_23 Depth=1
	ds_load_b32 v3, v11
; %bb.36:                               ;   in Loop: Header=BB167_23 Depth=1
	s_or_b32 exec_lo, exec_lo, s17
	ds_load_b32 v1, v7 offset:1048
	s_mov_b32 s17, exec_lo
	s_wait_dscnt 0x0
	s_barrier_signal -1
	s_barrier_wait -1
	v_cmpx_ne_u32_e32 0, v2
	s_cbranch_execz .LBB167_21
; %bb.37:                               ;   in Loop: Header=BB167_23 Depth=1
	v_add_nc_u32_e32 v2, v3, v0
	v_mov_b32_e32 v3, v7
	s_delay_alu instid0(VALU_DEP_1)
	v_cmp_gt_u64_e32 vcc_lo, s[6:7], v[2:3]
	s_and_b32 exec_lo, exec_lo, vcc_lo
	s_cbranch_execz .LBB167_21
; %bb.38:                               ;   in Loop: Header=BB167_23 Depth=1
	v_mul_u64_e32 v[18:19], s[12:13], v[2:3]
	v_mul_u64_e32 v[2:3], s[18:19], v[2:3]
	s_delay_alu instid0(VALU_DEP_2) | instskip(NEXT) | instid1(VALU_DEP_2)
	v_lshl_add_u64 v[18:19], v[18:19], 1, s[10:11]
	v_lshl_add_u64 v[2:3], v[2:3], 3, s[14:15]
	global_store_b16 v[18:19], v16, off
	global_store_b64 v[2:3], v[6:7], off
	s_branch .LBB167_21
.LBB167_39:                             ;   in Loop: Header=BB167_40 Depth=1
	s_add_co_i32 s14, s14, 1
	s_wait_kmcnt 0x0
	s_add_co_i32 s27, s15, s27
	s_add_nc_u64 s[10:11], s[10:11], 4
	s_cmp_lt_u32 s14, s17
	s_add_nc_u64 s[12:13], s[12:13], 4
	s_cbranch_scc0 .LBB167_18
.LBB167_40:                             ; =>This Inner Loop Header: Depth=1
	s_load_b32 s15, s[10:11], 0x0
	s_cmp_ge_u32 s14, s29
	s_cbranch_scc1 .LBB167_39
; %bb.41:                               ;   in Loop: Header=BB167_40 Depth=1
	s_load_b32 s20, s[12:13], 0x0
	s_wait_kmcnt 0x0
	s_add_co_i32 s9, s15, s9
	s_add_co_i32 s8, s20, s8
	s_branch .LBB167_39
.LBB167_42:
	s_endpgm
	.section	.rodata,"a",@progbits
	.p2align	6, 0x0
	.amdhsa_kernel _ZN2at6native6mbtopk10gatherTopKIsmLi1EEEvNS_4cuda6detail10TensorInfoIKT_T0_EES8_S8_bjS8_NS5_IS6_S8_EES8_NS5_IlS8_EES8_jjPS6_PjSD_j
		.amdhsa_group_segment_fixed_size 1068
		.amdhsa_private_segment_fixed_size 0
		.amdhsa_kernarg_size 1592
		.amdhsa_user_sgpr_count 2
		.amdhsa_user_sgpr_dispatch_ptr 0
		.amdhsa_user_sgpr_queue_ptr 0
		.amdhsa_user_sgpr_kernarg_segment_ptr 1
		.amdhsa_user_sgpr_dispatch_id 0
		.amdhsa_user_sgpr_kernarg_preload_length 0
		.amdhsa_user_sgpr_kernarg_preload_offset 0
		.amdhsa_user_sgpr_private_segment_size 0
		.amdhsa_wavefront_size32 1
		.amdhsa_uses_dynamic_stack 0
		.amdhsa_enable_private_segment 0
		.amdhsa_system_sgpr_workgroup_id_x 1
		.amdhsa_system_sgpr_workgroup_id_y 1
		.amdhsa_system_sgpr_workgroup_id_z 1
		.amdhsa_system_sgpr_workgroup_info 0
		.amdhsa_system_vgpr_workitem_id 0
		.amdhsa_next_free_vgpr 26
		.amdhsa_next_free_sgpr 34
		.amdhsa_named_barrier_count 0
		.amdhsa_reserve_vcc 1
		.amdhsa_float_round_mode_32 0
		.amdhsa_float_round_mode_16_64 0
		.amdhsa_float_denorm_mode_32 3
		.amdhsa_float_denorm_mode_16_64 3
		.amdhsa_fp16_overflow 0
		.amdhsa_memory_ordered 1
		.amdhsa_forward_progress 1
		.amdhsa_inst_pref_size 20
		.amdhsa_round_robin_scheduling 0
		.amdhsa_exception_fp_ieee_invalid_op 0
		.amdhsa_exception_fp_denorm_src 0
		.amdhsa_exception_fp_ieee_div_zero 0
		.amdhsa_exception_fp_ieee_overflow 0
		.amdhsa_exception_fp_ieee_underflow 0
		.amdhsa_exception_fp_ieee_inexact 0
		.amdhsa_exception_int_div_zero 0
	.end_amdhsa_kernel
	.section	.text._ZN2at6native6mbtopk10gatherTopKIsmLi1EEEvNS_4cuda6detail10TensorInfoIKT_T0_EES8_S8_bjS8_NS5_IS6_S8_EES8_NS5_IlS8_EES8_jjPS6_PjSD_j,"axG",@progbits,_ZN2at6native6mbtopk10gatherTopKIsmLi1EEEvNS_4cuda6detail10TensorInfoIKT_T0_EES8_S8_bjS8_NS5_IS6_S8_EES8_NS5_IlS8_EES8_jjPS6_PjSD_j,comdat
.Lfunc_end167:
	.size	_ZN2at6native6mbtopk10gatherTopKIsmLi1EEEvNS_4cuda6detail10TensorInfoIKT_T0_EES8_S8_bjS8_NS5_IS6_S8_EES8_NS5_IlS8_EES8_jjPS6_PjSD_j, .Lfunc_end167-_ZN2at6native6mbtopk10gatherTopKIsmLi1EEEvNS_4cuda6detail10TensorInfoIKT_T0_EES8_S8_bjS8_NS5_IS6_S8_EES8_NS5_IlS8_EES8_jjPS6_PjSD_j
                                        ; -- End function
	.set _ZN2at6native6mbtopk10gatherTopKIsmLi1EEEvNS_4cuda6detail10TensorInfoIKT_T0_EES8_S8_bjS8_NS5_IS6_S8_EES8_NS5_IlS8_EES8_jjPS6_PjSD_j.num_vgpr, 26
	.set _ZN2at6native6mbtopk10gatherTopKIsmLi1EEEvNS_4cuda6detail10TensorInfoIKT_T0_EES8_S8_bjS8_NS5_IS6_S8_EES8_NS5_IlS8_EES8_jjPS6_PjSD_j.num_agpr, 0
	.set _ZN2at6native6mbtopk10gatherTopKIsmLi1EEEvNS_4cuda6detail10TensorInfoIKT_T0_EES8_S8_bjS8_NS5_IS6_S8_EES8_NS5_IlS8_EES8_jjPS6_PjSD_j.numbered_sgpr, 34
	.set _ZN2at6native6mbtopk10gatherTopKIsmLi1EEEvNS_4cuda6detail10TensorInfoIKT_T0_EES8_S8_bjS8_NS5_IS6_S8_EES8_NS5_IlS8_EES8_jjPS6_PjSD_j.num_named_barrier, 0
	.set _ZN2at6native6mbtopk10gatherTopKIsmLi1EEEvNS_4cuda6detail10TensorInfoIKT_T0_EES8_S8_bjS8_NS5_IS6_S8_EES8_NS5_IlS8_EES8_jjPS6_PjSD_j.private_seg_size, 0
	.set _ZN2at6native6mbtopk10gatherTopKIsmLi1EEEvNS_4cuda6detail10TensorInfoIKT_T0_EES8_S8_bjS8_NS5_IS6_S8_EES8_NS5_IlS8_EES8_jjPS6_PjSD_j.uses_vcc, 1
	.set _ZN2at6native6mbtopk10gatherTopKIsmLi1EEEvNS_4cuda6detail10TensorInfoIKT_T0_EES8_S8_bjS8_NS5_IS6_S8_EES8_NS5_IlS8_EES8_jjPS6_PjSD_j.uses_flat_scratch, 0
	.set _ZN2at6native6mbtopk10gatherTopKIsmLi1EEEvNS_4cuda6detail10TensorInfoIKT_T0_EES8_S8_bjS8_NS5_IS6_S8_EES8_NS5_IlS8_EES8_jjPS6_PjSD_j.has_dyn_sized_stack, 0
	.set _ZN2at6native6mbtopk10gatherTopKIsmLi1EEEvNS_4cuda6detail10TensorInfoIKT_T0_EES8_S8_bjS8_NS5_IS6_S8_EES8_NS5_IlS8_EES8_jjPS6_PjSD_j.has_recursion, 0
	.set _ZN2at6native6mbtopk10gatherTopKIsmLi1EEEvNS_4cuda6detail10TensorInfoIKT_T0_EES8_S8_bjS8_NS5_IS6_S8_EES8_NS5_IlS8_EES8_jjPS6_PjSD_j.has_indirect_call, 0
	.section	.AMDGPU.csdata,"",@progbits
; Kernel info:
; codeLenInByte = 2500
; TotalNumSgprs: 36
; NumVgprs: 26
; ScratchSize: 0
; MemoryBound: 0
; FloatMode: 240
; IeeeMode: 1
; LDSByteSize: 1068 bytes/workgroup (compile time only)
; SGPRBlocks: 0
; VGPRBlocks: 1
; NumSGPRsForWavesPerEU: 36
; NumVGPRsForWavesPerEU: 26
; NamedBarCnt: 0
; Occupancy: 16
; WaveLimiterHint : 1
; COMPUTE_PGM_RSRC2:SCRATCH_EN: 0
; COMPUTE_PGM_RSRC2:USER_SGPR: 2
; COMPUTE_PGM_RSRC2:TRAP_HANDLER: 0
; COMPUTE_PGM_RSRC2:TGID_X_EN: 1
; COMPUTE_PGM_RSRC2:TGID_Y_EN: 1
; COMPUTE_PGM_RSRC2:TGID_Z_EN: 1
; COMPUTE_PGM_RSRC2:TIDIG_COMP_CNT: 0
	.section	.text._ZN2at6native6sbtopk10gatherTopKIsmLi1ELb0EEEvNS_4cuda6detail10TensorInfoIKT_T0_EES8_S8_bS8_S8_NS5_IS6_S8_EES8_NS5_IlS8_EES8_PS6_,"axG",@progbits,_ZN2at6native6sbtopk10gatherTopKIsmLi1ELb0EEEvNS_4cuda6detail10TensorInfoIKT_T0_EES8_S8_bS8_S8_NS5_IS6_S8_EES8_NS5_IlS8_EES8_PS6_,comdat
	.protected	_ZN2at6native6sbtopk10gatherTopKIsmLi1ELb0EEEvNS_4cuda6detail10TensorInfoIKT_T0_EES8_S8_bS8_S8_NS5_IS6_S8_EES8_NS5_IlS8_EES8_PS6_ ; -- Begin function _ZN2at6native6sbtopk10gatherTopKIsmLi1ELb0EEEvNS_4cuda6detail10TensorInfoIKT_T0_EES8_S8_bS8_S8_NS5_IS6_S8_EES8_NS5_IlS8_EES8_PS6_
	.globl	_ZN2at6native6sbtopk10gatherTopKIsmLi1ELb0EEEvNS_4cuda6detail10TensorInfoIKT_T0_EES8_S8_bS8_S8_NS5_IS6_S8_EES8_NS5_IlS8_EES8_PS6_
	.p2align	8
	.type	_ZN2at6native6sbtopk10gatherTopKIsmLi1ELb0EEEvNS_4cuda6detail10TensorInfoIKT_T0_EES8_S8_bS8_S8_NS5_IS6_S8_EES8_NS5_IlS8_EES8_PS6_,@function
_ZN2at6native6sbtopk10gatherTopKIsmLi1ELb0EEEvNS_4cuda6detail10TensorInfoIKT_T0_EES8_S8_bS8_S8_NS5_IS6_S8_EES8_NS5_IlS8_EES8_PS6_: ; @_ZN2at6native6sbtopk10gatherTopKIsmLi1ELb0EEEvNS_4cuda6detail10TensorInfoIKT_T0_EES8_S8_bS8_S8_NS5_IS6_S8_EES8_NS5_IlS8_EES8_PS6_
; %bb.0:
	s_clause 0x1
	s_load_b128 s[28:31], s[0:1], 0x1b8
	s_load_b64 s[8:9], s[0:1], 0x520
	s_bfe_u32 s2, ttmp6, 0x40010
	s_and_b32 s3, ttmp7, 0xffff
	s_add_co_i32 s2, s2, 1
	s_bfe_u32 s5, ttmp6, 0x4000c
	s_mul_i32 s2, s3, s2
	s_bfe_u32 s4, ttmp6, 0x40004
	s_add_co_i32 s5, s5, 1
	s_bfe_u32 s6, ttmp6, 0x40014
	s_add_co_i32 s4, s4, s2
	s_and_b32 s2, ttmp6, 15
	s_mul_i32 s5, ttmp9, s5
	s_lshr_b32 s7, ttmp7, 16
	s_add_co_i32 s6, s6, 1
	s_add_co_i32 s2, s2, s5
	s_mul_i32 s5, s7, s6
	s_bfe_u32 s6, ttmp6, 0x40008
	s_getreg_b32 s10, hwreg(HW_REG_IB_STS2, 6, 4)
	s_add_co_i32 s6, s6, s5
	s_cmp_eq_u32 s10, 0
	s_mov_b32 s15, 0
	s_cselect_b32 s5, s7, s6
	s_cselect_b32 s3, s3, s4
	s_wait_kmcnt 0x0
	s_mul_i32 s5, s9, s5
	s_cselect_b32 s9, ttmp9, s2
	s_add_co_i32 s2, s5, s3
	s_delay_alu instid0(SALU_CYCLE_1) | instskip(NEXT) | instid1(SALU_CYCLE_1)
	s_mul_i32 s2, s2, s8
	s_add_co_i32 s14, s2, s9
	s_delay_alu instid0(SALU_CYCLE_1)
	v_cmp_le_u64_e64 s2, s[28:29], s[14:15]
	s_and_b32 vcc_lo, exec_lo, s2
	s_cbranch_vccnz .LBB168_472
; %bb.1:
	s_clause 0x2
	s_load_b128 s[36:39], s[0:1], 0x1a0
	s_load_b64 s[6:7], s[0:1], 0xd0
	s_load_b64 s[2:3], s[0:1], 0x0
	v_cmp_eq_u32_e64 s5, 0, v0
	s_add_nc_u64 s[10:11], s[0:1], 0x520
	s_and_saveexec_b32 s4, s5
	s_cbranch_execz .LBB168_3
; %bb.2:
	s_wait_kmcnt 0x0
	v_dual_mov_b32 v2, 0 :: v_dual_mov_b32 v4, s36
	s_delay_alu instid0(VALU_DEP_1)
	v_dual_mov_b32 v5, s37 :: v_dual_mov_b32 v3, v2
	ds_store_b32 v2, v2 offset:5144
	ds_store_b128 v2, v[2:5] offset:5120
.LBB168_3:
	s_or_b32 exec_lo, exec_lo, s4
	s_load_b64 s[12:13], s[0:1], 0x440
                                        ; implicit-def: $vgpr54 : SGPR spill to VGPR lane
	v_dual_mov_b32 v3, 0 :: v_dual_add_nc_u32 v2, 2, v0
	v_lshlrev_b32_e32 v39, 3, v0
	s_wait_dscnt 0x0
	s_delay_alu instid0(VALU_DEP_2)
	v_dual_mov_b32 v45, 0 :: v_dual_mov_b32 v17, v3
	s_wait_kmcnt 0x0
	v_max_u64 v[6:7], s[36:37], v[2:3]
	v_dual_mov_b32 v1, v3 :: v_dual_bitop2_b32 v2, 6, v39 bitop3:0x54
	v_lshlrev_b32_e32 v16, 2, v0
	s_barrier_signal -1
	s_barrier_wait -1
	s_delay_alu instid0(VALU_DEP_2) | instskip(SKIP_3) | instid1(VALU_DEP_3)
	v_mul_u64_e32 v[18:19], s[30:31], v[2:3]
	v_dual_mov_b32 v42, 0 :: v_dual_bitop2_b32 v2, 4, v39 bitop3:0x54
	v_mul_u64_e32 v[4:5], s[30:31], v[0:1]
	v_mbcnt_lo_u32_b32 v13, -1, 0
	v_mul_u64_e32 v[22:23], s[30:31], v[2:3]
	v_writelane_b32 v54, s12, 0
	v_dual_lshlrev_b32 v38, 1, v0 :: v_dual_bitop2_b32 v2, 2, v39 bitop3:0x54
	v_mov_b32_e32 v9, -1
	v_not_b32_e32 v8, v0
	v_writelane_b32 v54, s13, 1
	s_delay_alu instid0(VALU_DEP_4)
	v_mul_u64_e32 v[26:27], s[30:31], v[2:3]
	v_cmp_gt_u32_e32 vcc_lo, 32, v0
	v_lshlrev_b64_e64 v[10:11], v13, -1
	s_mov_b32 s29, 0
	v_writelane_b32 v54, s14, 2
	s_mul_u64 s[12:13], s[6:7], s[14:15]
	s_load_b64 s[6:7], s[0:1], 0x370
	s_lshl_b64 s[12:13], s[12:13], 1
	v_cmp_lt_u64_e64 s33, 0x600, s[36:37]
	v_writelane_b32 v54, s15, 3
	s_load_b32 s14, s[10:11], 0xc
	s_add_nc_u64 s[42:43], s[2:3], s[12:13]
	v_cmp_gt_u64_e64 s3, s[36:37], v[0:1]
	v_add_nc_u64_e32 v[6:7], v[6:7], v[8:9]
	v_add_nc_u32_e32 v40, 0xc00, v38
	v_mov_b64_e32 v[30:31], s[38:39]
	s_mov_b32 s35, s29
	v_cmp_eq_u32_e64 s2, 0, v13
	v_mov_b32_e32 v44, 0
	v_not_b32_e32 v12, v10
	v_dual_mov_b32 v21, v7 :: v_dual_bitop2_b32 v20, -4, v6 bitop3:0x40
	v_lshlrev_b64_e32 v[28:29], 3, v[4:5]
	v_lshl_add_u64 v[14:15], v[4:5], 1, s[42:43]
	v_lshl_or_b32 v43, v13, 3, 0xc00
	s_mov_b32 s58, s30
	s_wait_kmcnt 0x0
	v_writelane_b32 v54, s6, 4
	v_add_nc_u64_e32 v[24:25], v[20:21], v[0:1]
	s_mov_b32 s59, s31
	s_mov_b32 s60, s30
	s_mov_b32 s61, s31
	v_writelane_b32 v54, s7, 5
	s_load_b64 s[6:7], s[0:1], 0x298
	s_mov_b32 s62, s30
	s_mov_b32 s63, s31
	;; [unrolled: 1-line block ×6, first 2 shown]
                                        ; implicit-def: $sgpr97
                                        ; implicit-def: $sgpr101
                                        ; implicit-def: $sgpr100
                                        ; implicit-def: $sgpr102
                                        ; implicit-def: $sgpr99
                                        ; implicit-def: $sgpr46
                                        ; implicit-def: $sgpr47
                                        ; implicit-def: $sgpr103
                                        ; implicit-def: $vcc_hi
                                        ; implicit-def: $sgpr104
	s_load_b32 s4, s[0:1], 0x1b0
	s_wait_kmcnt 0x0
	v_writelane_b32 v54, s6, 6
	v_writelane_b32 v54, s7, 7
	s_load_b64 s[6:7], s[0:1], 0x1c8
	s_bitcmp1_b32 s4, 0
	s_cselect_b32 s4, -1, 0
	s_and_b32 s34, s14, 0xffff
	s_bfe_u32 s12, s14, 0xb0005
	s_xor_b32 s87, s4, -1
	s_add_nc_u64 s[54:55], s[34:35], -1
	s_delay_alu instid0(SALU_CYCLE_1)
	s_add_nc_u64 s[56:57], s[54:55], s[36:37]
	s_wait_kmcnt 0x0
	v_writelane_b32 v54, s6, 8
	v_writelane_b32 v54, s7, 9
	v_cmp_gt_i32_e64 s7, 4, v13
	v_cmp_gt_u32_e64 s6, 2, v0
	s_and_b32 s86, vcc_lo, s7
	s_movk_i32 s7, 0x3e0
	s_cmp_gt_u32 s34, 31
	v_and_or_b32 v41, v0, s7, 0xc00
	v_cmp_lt_u64_e64 s7, 3, v[6:7]
	s_cselect_b32 s88, -1, 0
	s_cmp_lt_u32 s9, s8
	s_cselect_b32 s28, 12, 18
	s_add_co_i32 s8, s12, -1
	s_bfe_u32 s89, s34, 0x30005
	s_and_b32 s8, s8, 0xffff
	v_writelane_b32 v54, s7, 10
	s_cmp_gt_u32 s8, 6
	v_cmp_ne_u64_e64 s7, v[6:7], v[20:21]
	s_cselect_b32 s90, -1, 0
	s_and_b32 s91, s12, 0x7f8
	s_cmp_lg_u32 s89, 0
	s_mul_u64 s[12:13], s[30:31], s[34:35]
	s_cselect_b32 s92, -1, 0
	s_lshl_b64 s[64:65], s[30:31], 1
	s_lshl_b64 s[66:67], s[30:31], 3
	s_lshl_b32 s93, s34, 1
	s_lshl_b64 s[40:41], s[12:13], 1
	s_and_b64 s[68:69], s[36:37], 0xffffffff00000000
	s_add_nc_u64 s[70:71], s[10:11], s[28:29]
	v_writelane_b32 v54, s7, 11
	s_branch .LBB168_6
.LBB168_4:                              ;   in Loop: Header=BB168_6 Depth=1
	s_or_b32 exec_lo, exec_lo, s12
	v_mov_b64_e32 v[30:31], v[4:5]
	s_and_not1_b32 s7, s104, exec_lo
	s_and_b32 s8, s11, exec_lo
	s_and_not1_b32 vcc_hi, vcc_hi, exec_lo
	s_or_b32 s104, s7, s8
	s_and_not1_b32 s103, s103, exec_lo
	s_and_not1_b32 s47, s47, exec_lo
	;; [unrolled: 1-line block ×3, first 2 shown]
	s_or_not1_b32 s10, s10, exec_lo
.LBB168_5:                              ;   in Loop: Header=BB168_6 Depth=1
	s_or_b32 exec_lo, exec_lo, s9
	s_delay_alu instid0(SALU_CYCLE_1) | instskip(NEXT) | instid1(SALU_CYCLE_1)
	s_and_b32 s9, exec_lo, s10
	s_or_b32 s96, s9, s96
	s_and_not1_b32 s9, s99, exec_lo
	s_and_b32 s10, s104, exec_lo
	s_and_not1_b32 s11, s102, exec_lo
	s_or_b32 s99, s9, s10
	s_and_b32 s9, vcc_hi, exec_lo
	s_and_not1_b32 s10, s100, exec_lo
	s_and_b32 s12, s103, exec_lo
	s_or_b32 s102, s11, s9
	s_or_b32 s100, s10, s12
	s_and_not1_b32 s9, s101, exec_lo
	s_and_b32 s10, s47, exec_lo
	s_and_not1_b32 s11, s97, exec_lo
	s_and_b32 s12, s46, exec_lo
	s_or_b32 s101, s9, s10
	s_or_b32 s97, s11, s12
	s_and_not1_b32 exec_lo, exec_lo, s96
	s_cbranch_execz .LBB168_468
.LBB168_6:                              ; =>This Loop Header: Depth=1
                                        ;     Child Loop BB168_11 Depth 2
                                        ;     Child Loop BB168_25 Depth 2
	;; [unrolled: 1-line block ×25, first 2 shown]
	ds_load_b128 v[4:7], v3 offset:5120
	s_wait_dscnt 0x0
	v_readfirstlane_b32 s73, v5
	v_readfirstlane_b32 s72, v4
	s_cmp_lg_u64 s[72:73], 0
	s_cbranch_scc1 .LBB168_38
; %bb.7:                                ;   in Loop: Header=BB168_6 Depth=1
	s_and_b32 vcc_lo, exec_lo, s33
	s_cbranch_vccz .LBB168_19
; %bb.8:                                ;   in Loop: Header=BB168_6 Depth=1
	v_cmp_gt_u64_e32 vcc_lo, 0x601, v[6:7]
	s_mov_b32 s11, 0
	s_mov_b32 s9, 0
	s_cbranch_vccz .LBB168_20
; %bb.9:                                ;   in Loop: Header=BB168_6 Depth=1
	global_load_u16 v2, v3, s[70:71]
	global_load_u16 v10, v[14:15], off
	s_mov_b32 s12, 0
	s_wait_loadcnt 0x1
	v_and_b32_e32 v2, 0xffff, v2
	s_delay_alu instid0(VALU_DEP_1) | instskip(SKIP_1) | instid1(VALU_DEP_1)
	v_mul_u64_e32 v[4:5], s[64:65], v[2:3]
	v_add_nc_u32_e32 v8, v0, v2
	v_mad_nc_u64_u32 v[6:7], s64, v8, s[42:43]
	s_delay_alu instid0(VALU_DEP_1)
	v_mad_u32 v7, s65, v8, v7
	v_mov_b64_e32 v[8:9], v[0:1]
	s_branch .LBB168_11
.LBB168_10:                             ;   in Loop: Header=BB168_11 Depth=2
	s_or_b32 exec_lo, exec_lo, s10
	v_add_nc_u64_e32 v[6:7], v[6:7], v[4:5]
	v_mov_b32_e32 v10, v11
	s_and_not1_b32 exec_lo, exec_lo, s12
	s_cbranch_execz .LBB168_92
.LBB168_11:                             ;   Parent Loop BB168_6 Depth=1
                                        ; =>  This Inner Loop Header: Depth=2
	s_delay_alu instid0(VALU_DEP_1) | instskip(SKIP_3) | instid1(VALU_DEP_2)
	v_add_nc_u64_e32 v[8:9], v[8:9], v[2:3]
	s_wait_dscnt 0x0
	v_dual_mov_b32 v32, 0 :: v_dual_mov_b32 v11, 0
	s_mov_b32 s10, exec_lo
	v_cmp_le_u64_e32 vcc_lo, s[36:37], v[8:9]
	s_wait_xcnt 0x0
	v_cmpx_gt_u64_e64 s[36:37], v[8:9]
	s_cbranch_execz .LBB168_13
; %bb.12:                               ;   in Loop: Header=BB168_11 Depth=2
	global_load_u16 v11, v[6:7], off
.LBB168_13:                             ;   in Loop: Header=BB168_11 Depth=2
	s_wait_xcnt 0x0
	s_or_b32 exec_lo, exec_lo, s10
	s_wait_loadcnt 0x0
	v_bfe_i32 v33, v10, 0, 16
	s_delay_alu instid0(VALU_DEP_1) | instskip(NEXT) | instid1(VALU_DEP_1)
	v_add_nc_u32_e32 v33, 0x8000, v33
	v_and_b32_e32 v33, v33, v44
	s_delay_alu instid0(VALU_DEP_1) | instskip(SKIP_2) | instid1(SALU_CYCLE_1)
	v_cmp_eq_u32_e64 s9, v33, v42
	s_cmp_lg_u32 s9, 0
	s_cselect_b32 s10, -1, 0
	s_and_b32 s10, s2, s10
	s_delay_alu instid0(SALU_CYCLE_1)
	s_and_saveexec_b32 s13, s10
	s_cbranch_execz .LBB168_17
; %bb.14:                               ;   in Loop: Header=BB168_11 Depth=2
	s_mov_b32 s16, exec_lo
	s_bcnt1_i32_b32 s14, s9
	v_mbcnt_lo_u32_b32 v32, s16, 0
	s_mov_b32 s15, exec_lo
                                        ; implicit-def: $vgpr33
	s_delay_alu instid0(VALU_DEP_1)
	v_cmpx_eq_u32_e32 0, v32
; %bb.15:                               ;   in Loop: Header=BB168_11 Depth=2
	s_bcnt1_i32_b32 s10, s16
	s_delay_alu instid0(SALU_CYCLE_1) | instskip(NEXT) | instid1(SALU_CYCLE_1)
	s_mul_i32 s10, s14, s10
	v_mov_b32_e32 v33, s10
	ds_add_rtn_u32 v33, v3, v33 offset:5144
; %bb.16:                               ;   in Loop: Header=BB168_11 Depth=2
	s_or_b32 exec_lo, exec_lo, s15
	s_wait_dscnt 0x0
	v_readfirstlane_b32 s10, v33
	s_delay_alu instid0(VALU_DEP_1)
	v_mad_u32_u24 v32, s14, v32, s10
.LBB168_17:                             ;   in Loop: Header=BB168_11 Depth=2
	s_or_b32 exec_lo, exec_lo, s13
	ds_bpermute_b32 v32, v3, v32
	s_and_b32 s10, exec_lo, vcc_lo
	s_delay_alu instid0(SALU_CYCLE_1)
	s_or_b32 s12, s10, s12
	s_and_saveexec_b32 s10, s9
	s_cbranch_execz .LBB168_10
; %bb.18:                               ;   in Loop: Header=BB168_11 Depth=2
	v_and_b32_e32 v33, s9, v12
	s_delay_alu instid0(VALU_DEP_1) | instskip(NEXT) | instid1(VALU_DEP_1)
	v_bcnt_u32_b32 v33, v33, 0
	v_lshlrev_b32_e32 v33, 1, v33
	s_wait_dscnt 0x0
	s_delay_alu instid0(VALU_DEP_1)
	v_lshl_add_u32 v32, v32, 1, v33
	ds_store_b16 v32, v10
	s_branch .LBB168_10
.LBB168_19:                             ;   in Loop: Header=BB168_6 Depth=1
	s_mov_b32 s11, -1
	s_mov_b32 s9, 0
.LBB168_20:                             ;   in Loop: Header=BB168_6 Depth=1
	s_and_b32 vcc_lo, exec_lo, s11
	s_cbranch_vccz .LBB168_36
.LBB168_21:                             ;   in Loop: Header=BB168_6 Depth=1
	s_and_saveexec_b32 s9, s3
	s_cbranch_execz .LBB168_33
; %bb.22:                               ;   in Loop: Header=BB168_6 Depth=1
	global_load_u16 v4, v3, s[70:71]
	global_load_u16 v34, v[14:15], off
	s_mov_b32 s14, exec_lo
	v_mov_b32_e32 v8, v0
	s_wait_loadcnt 0x1
	v_and_b32_e32 v2, 0xffff, v4
	v_readfirstlane_b32 s10, v4
	s_delay_alu instid0(VALU_DEP_2) | instskip(SKIP_1) | instid1(VALU_DEP_1)
	v_add_nc_u32_e32 v2, v2, v0
	s_wait_xcnt 0x0
	v_cmpx_gt_u64_e64 s[36:37], v[2:3]
	s_cbranch_execz .LBB168_32
; %bb.23:                               ;   in Loop: Header=BB168_6 Depth=1
	s_and_b32 s28, s10, 0xffff
	v_mov_b64_e32 v[6:7], v[0:1]
	v_mov_b64_e32 v[4:5], v[2:3]
	v_readlane_b32 s7, v54, 10
	s_cmp_eq_u32 s28, 1
	s_mov_b32 s11, -1
	s_cselect_b32 s10, -1, 0
                                        ; implicit-def: $vgpr8_vgpr9
	s_delay_alu instid0(SALU_CYCLE_1) | instskip(NEXT) | instid1(SALU_CYCLE_1)
	s_and_b32 s12, s7, s10
	s_and_saveexec_b32 s10, s12
	s_cbranch_execz .LBB168_27
; %bb.24:                               ;   in Loop: Header=BB168_6 Depth=1
	v_add_nc_u64_e32 v[8:9], 3, v[2:3]
	v_add_nc_u64_e32 v[6:7], 2, v[2:3]
	;; [unrolled: 1-line block ×3, first 2 shown]
	v_mov_b64_e32 v[32:33], v[20:21]
	s_wait_loadcnt 0x0
	v_dual_mov_b32 v35, v38 :: v_dual_lshlrev_b32 v36, 16, v34
	s_mov_b32 s11, 0
	v_mov_b64_e32 v[10:11], v[8:9]
	v_mov_b64_e32 v[8:9], v[6:7]
	;; [unrolled: 1-line block ×4, first 2 shown]
.LBB168_25:                             ;   Parent Loop BB168_6 Depth=1
                                        ; =>  This Inner Loop Header: Depth=2
	s_delay_alu instid0(VALU_DEP_2) | instskip(NEXT) | instid1(VALU_DEP_4)
	v_mul_u64_e32 v[46:47], s[30:31], v[6:7]
	v_mul_u64_e32 v[48:49], s[60:61], v[8:9]
	s_delay_alu instid0(VALU_DEP_3)
	v_mul_u64_e32 v[50:51], s[58:59], v[4:5]
	v_mul_u64_e32 v[52:53], s[62:63], v[10:11]
	v_add_nc_u64_e32 v[32:33], -4, v[32:33]
	v_add_nc_u64_e32 v[10:11], 4, v[10:11]
	v_add_nc_u64_e32 v[8:9], 4, v[8:9]
	;; [unrolled: 1-line block ×4, first 2 shown]
	v_cmp_eq_u64_e32 vcc_lo, 0, v[32:33]
	s_or_b32 s11, vcc_lo, s11
	v_lshl_add_u64 v[46:47], v[46:47], 1, s[42:43]
	v_lshl_add_u64 v[48:49], v[48:49], 1, s[42:43]
	;; [unrolled: 1-line block ×4, first 2 shown]
	s_clause 0x3
	global_load_u16 v37, v[46:47], off
	global_load_u16 v46, v[48:49], off
	;; [unrolled: 1-line block ×4, first 2 shown]
	s_wait_loadcnt 0x2
	v_perm_b32 v37, v46, v37, 0x5040100
	s_wait_loadcnt 0x1
	v_alignbit_b32 v36, v47, v36, 16
	s_wait_loadcnt 0x0
	v_perm_b32 v46, v34, v46, 0x5040100
	ds_store_b64 v35, v[36:37]
	v_dual_mov_b32 v36, v46 :: v_dual_add_nc_u32 v35, 8, v35
	s_wait_xcnt 0x0
	s_and_not1_b32 exec_lo, exec_lo, s11
	s_cbranch_execnz .LBB168_25
; %bb.26:                               ;   in Loop: Header=BB168_6 Depth=1
	s_or_b32 exec_lo, exec_lo, s11
	v_add_nc_u64_e32 v[4:5], v[2:3], v[20:21]
	v_mov_b64_e32 v[6:7], v[24:25]
	v_readlane_b32 s7, v54, 11
	s_or_not1_b32 s11, s7, exec_lo
	v_add_nc_u64_e32 v[8:9], -1, v[4:5]
.LBB168_27:                             ;   in Loop: Header=BB168_6 Depth=1
	s_or_b32 exec_lo, exec_lo, s10
	s_and_saveexec_b32 s15, s11
	s_cbranch_execz .LBB168_31
; %bb.28:                               ;   in Loop: Header=BB168_6 Depth=1
	v_mad_nc_u64_u32 v[8:9], s64, v4, s[42:43]
	s_sub_nc_u64 s[10:11], 0, s[28:29]
	s_mul_u64 s[12:13], s[64:65], s[28:29]
	s_mov_b32 s16, 0
	s_delay_alu instid0(VALU_DEP_1) | instskip(NEXT) | instid1(VALU_DEP_1)
	v_mad_u32 v2, s65, v4, v9
	v_mad_u32 v9, s64, v5, v2
.LBB168_29:                             ;   Parent Loop BB168_6 Depth=1
                                        ; =>  This Inner Loop Header: Depth=2
	global_load_u16 v2, v[8:9], off
	v_mov_b64_e32 v[10:11], v[4:5]
	v_lshlrev_b32_e32 v6, 1, v6
	s_wait_xcnt 0x0
	v_add_nc_u64_e32 v[8:9], s[12:13], v[8:9]
	s_wait_loadcnt 0x1
	ds_store_b16 v6, v34
	v_add_nc_u64_e32 v[4:5], s[28:29], v[10:11]
	v_mov_b64_e32 v[6:7], v[10:11]
	s_delay_alu instid0(VALU_DEP_2)
	v_cmp_le_u64_e32 vcc_lo, s[36:37], v[4:5]
	s_or_b32 s16, vcc_lo, s16
	s_wait_loadcnt 0x0
	v_mov_b32_e32 v34, v2
	s_and_not1_b32 exec_lo, exec_lo, s16
	s_cbranch_execnz .LBB168_29
; %bb.30:                               ;   in Loop: Header=BB168_6 Depth=1
	s_or_b32 exec_lo, exec_lo, s16
	v_add_nc_u64_e32 v[8:9], s[10:11], v[4:5]
	v_mov_b32_e32 v34, v2
.LBB168_31:                             ;   in Loop: Header=BB168_6 Depth=1
	s_or_b32 exec_lo, exec_lo, s15
.LBB168_32:                             ;   in Loop: Header=BB168_6 Depth=1
	s_delay_alu instid0(SALU_CYCLE_1) | instskip(NEXT) | instid1(VALU_DEP_1)
	s_or_b32 exec_lo, exec_lo, s14
	v_lshlrev_b32_e32 v2, 1, v8
	s_wait_loadcnt 0x0
	ds_store_b16 v2, v34
.LBB168_33:                             ;   in Loop: Header=BB168_6 Depth=1
	s_or_b32 exec_lo, exec_lo, s9
	s_wait_dscnt 0x0
	s_barrier_signal -1
	s_barrier_wait -1
	s_and_saveexec_b32 s9, s5
; %bb.34:                               ;   in Loop: Header=BB168_6 Depth=1
	v_mov_b64_e32 v[4:5], s[36:37]
	ds_store_b64 v3, v[4:5] offset:5120
; %bb.35:                               ;   in Loop: Header=BB168_6 Depth=1
	s_or_b32 exec_lo, exec_lo, s9
	s_mov_b32 s9, -1
	s_wait_dscnt 0x0
	s_barrier_signal -1
	s_barrier_wait -1
.LBB168_36:                             ;   in Loop: Header=BB168_6 Depth=1
	s_and_b32 vcc_lo, exec_lo, s9
	s_mov_b64 s[72:73], 0
	s_cbranch_vccz .LBB168_38
; %bb.37:                               ;   in Loop: Header=BB168_6 Depth=1
	ds_load_b64 v[4:5], v3 offset:5120
	s_wait_dscnt 0x0
	v_readfirstlane_b32 s72, v4
	v_readfirstlane_b32 s73, v5
.LBB168_38:                             ;   in Loop: Header=BB168_6 Depth=1
	s_delay_alu instid0(VALU_DEP_2)
	s_cmp_lt_i32 s72, 1
	s_mov_b32 s9, -1
                                        ; implicit-def: $vgpr4_vgpr5
                                        ; implicit-def: $vgpr8_vgpr9
	s_cbranch_scc1 .LBB168_48
; %bb.39:                               ;   in Loop: Header=BB168_6 Depth=1
	s_and_b32 vcc_lo, exec_lo, s9
	s_cbranch_vccnz .LBB168_62
.LBB168_40:                             ;   in Loop: Header=BB168_6 Depth=1
	s_lshl_b32 s9, s98, 7
	s_and_saveexec_b32 s10, s2
	s_cbranch_execz .LBB168_42
.LBB168_41:                             ;   in Loop: Header=BB168_6 Depth=1
	v_lshl_add_u32 v2, s9, 3, v41
	ds_store_b128 v2, v[4:7]
	ds_store_b128 v2, v[8:11] offset:16
.LBB168_42:                             ;   in Loop: Header=BB168_6 Depth=1
	s_or_b32 exec_lo, exec_lo, s10
	s_wait_dscnt 0x0
	s_barrier_signal -1
	s_barrier_wait -1
	s_and_saveexec_b32 s10, s86
	s_cbranch_execz .LBB168_76
; %bb.43:                               ;   in Loop: Header=BB168_6 Depth=1
	v_mov_b64_e32 v[4:5], 0
	s_and_not1_b32 vcc_lo, exec_lo, s88
	s_cbranch_vccnz .LBB168_75
; %bb.44:                               ;   in Loop: Header=BB168_6 Depth=1
	v_mov_b64_e32 v[4:5], 0
	s_and_not1_b32 vcc_lo, exec_lo, s90
	s_cbranch_vccnz .LBB168_72
; %bb.45:                               ;   in Loop: Header=BB168_6 Depth=1
	v_lshl_add_u32 v2, s98, 10, v43
	s_mov_b32 s11, 0
.LBB168_46:                             ;   Parent Loop BB168_6 Depth=1
                                        ; =>  This Inner Loop Header: Depth=2
	ds_load_2addr_b64 v[6:9], v2 offset1:4
	ds_load_2addr_b64 v[32:35], v2 offset0:8 offset1:12
	s_add_co_i32 s11, s11, 8
	s_delay_alu instid0(SALU_CYCLE_1) | instskip(SKIP_2) | instid1(VALU_DEP_1)
	s_cmp_eq_u32 s91, s11
	s_wait_dscnt 0x1
	v_add_nc_u64_e32 v[4:5], v[6:7], v[4:5]
	v_add_nc_u64_e32 v[8:9], v[8:9], v[4:5]
	ds_load_2addr_b64 v[4:7], v2 offset0:16 offset1:20
	s_wait_dscnt 0x1
	v_add_nc_u64_e32 v[8:9], v[32:33], v[8:9]
	s_delay_alu instid0(VALU_DEP_1) | instskip(SKIP_4) | instid1(VALU_DEP_1)
	v_add_nc_u64_e32 v[32:33], v[34:35], v[8:9]
	ds_load_2addr_b64 v[8:11], v2 offset0:24 offset1:28
	v_add_nc_u32_e32 v2, 0x100, v2
	s_wait_dscnt 0x1
	v_add_nc_u64_e32 v[4:5], v[4:5], v[32:33]
	v_add_nc_u64_e32 v[4:5], v[6:7], v[4:5]
	s_wait_dscnt 0x0
	s_delay_alu instid0(VALU_DEP_1) | instskip(NEXT) | instid1(VALU_DEP_1)
	v_add_nc_u64_e32 v[4:5], v[8:9], v[4:5]
	v_add_nc_u64_e32 v[4:5], v[10:11], v[4:5]
	s_cbranch_scc0 .LBB168_46
; %bb.47:                               ;   in Loop: Header=BB168_6 Depth=1
	s_mov_b32 s11, s91
	s_and_not1_b32 vcc_lo, exec_lo, s92
	s_cbranch_vccz .LBB168_73
	s_branch .LBB168_75
.LBB168_48:                             ;   in Loop: Header=BB168_6 Depth=1
	global_load_u16 v2, v3, s[70:71]
	s_mov_b32 s75, s29
	s_wait_loadcnt 0x0
	v_readfirstlane_b32 s9, v2
	s_and_b32 s9, 0xffff, s9
	s_delay_alu instid0(SALU_CYCLE_1)
	s_lshl_b32 s74, s9, 2
	s_cmp_lg_u64 s[68:69], 0
	s_cbranch_scc0 .LBB168_71
; %bb.49:                               ;   in Loop: Header=BB168_6 Depth=1
	s_cvt_f32_u32 s9, s74
	s_sub_nc_u64 s[12:13], 0, s[74:75]
	s_delay_alu instid0(SALU_CYCLE_2) | instskip(NEXT) | instid1(SALU_CYCLE_3)
	s_fmamk_f32 s9, s94, 0x0, s9
	v_s_rcp_f32 s9, s9
	s_delay_alu instid0(TRANS32_DEP_1) | instskip(NEXT) | instid1(SALU_CYCLE_3)
	s_mul_f32 s9, s9, 0x5f7ffffc
	s_mul_f32 s10, s9, 0x2f800000
	s_delay_alu instid0(SALU_CYCLE_3) | instskip(NEXT) | instid1(SALU_CYCLE_3)
	s_trunc_f32 s10, s10
	s_fmamk_f32 s9, s10, 0xcf800000, s9
	s_cvt_u32_f32 s11, s10
	s_delay_alu instid0(SALU_CYCLE_2) | instskip(NEXT) | instid1(SALU_CYCLE_3)
	s_cvt_u32_f32 s10, s9
	s_mul_u64 s[14:15], s[12:13], s[10:11]
	s_delay_alu instid0(SALU_CYCLE_1)
	s_mul_hi_u32 s17, s10, s15
	s_mul_i32 s16, s10, s15
	s_mul_hi_u32 s28, s10, s14
	s_mul_i32 s18, s11, s14
	s_add_nc_u64 s[16:17], s[28:29], s[16:17]
	s_mul_hi_u32 s9, s11, s14
	s_mul_hi_u32 s19, s11, s15
	s_mul_i32 s14, s11, s15
	s_add_co_u32 s15, s16, s18
	s_add_co_ci_u32 s28, s17, s9
	s_add_co_ci_u32 s15, s19, 0
	s_delay_alu instid0(SALU_CYCLE_1) | instskip(NEXT) | instid1(SALU_CYCLE_1)
	s_add_nc_u64 s[14:15], s[28:29], s[14:15]
	s_add_co_u32 s10, s10, s14
	s_cselect_b32 s9, -1, 0
	s_delay_alu instid0(SALU_CYCLE_1) | instskip(SKIP_1) | instid1(SALU_CYCLE_1)
	s_cmp_lg_u32 s9, 0
	s_add_co_ci_u32 s11, s11, s15
	s_mul_u64 s[12:13], s[12:13], s[10:11]
	s_delay_alu instid0(SALU_CYCLE_1)
	s_mul_hi_u32 s15, s10, s13
	s_mul_i32 s14, s10, s13
	s_mul_hi_u32 s28, s10, s12
	s_mul_i32 s16, s11, s12
	s_add_nc_u64 s[14:15], s[28:29], s[14:15]
	s_mul_hi_u32 s9, s11, s12
	s_mul_hi_u32 s17, s11, s13
	s_mul_i32 s12, s11, s13
	s_add_co_u32 s13, s14, s16
	s_add_co_ci_u32 s28, s15, s9
	s_add_co_ci_u32 s13, s17, 0
	s_delay_alu instid0(SALU_CYCLE_1) | instskip(NEXT) | instid1(SALU_CYCLE_1)
	s_add_nc_u64 s[12:13], s[28:29], s[12:13]
	s_add_co_u32 s9, s10, s12
	s_cselect_b32 s10, -1, 0
	s_mul_hi_u32 s28, s36, s9
	s_cmp_lg_u32 s10, 0
	s_mul_hi_u32 s14, s37, s9
	s_add_co_ci_u32 s12, s11, s13
	s_mul_i32 s9, s37, s9
	s_mul_hi_u32 s11, s36, s12
	s_mul_i32 s10, s36, s12
	s_mul_hi_u32 s13, s37, s12
	s_add_nc_u64 s[10:11], s[28:29], s[10:11]
	s_mul_i32 s12, s37, s12
	s_add_co_u32 s9, s10, s9
	s_add_co_ci_u32 s28, s11, s14
	s_add_co_ci_u32 s13, s13, 0
	s_delay_alu instid0(SALU_CYCLE_1) | instskip(NEXT) | instid1(SALU_CYCLE_1)
	s_add_nc_u64 s[10:11], s[28:29], s[12:13]
	s_and_b64 s[12:13], s[10:11], 0xffffffff00000000
	s_delay_alu instid0(SALU_CYCLE_1) | instskip(NEXT) | instid1(SALU_CYCLE_1)
	s_or_b32 s12, s12, s10
	s_mul_u64 s[10:11], s[74:75], s[12:13]
	s_delay_alu instid0(SALU_CYCLE_1) | instskip(SKIP_1) | instid1(SALU_CYCLE_1)
	s_sub_co_u32 s9, s36, s10
	s_cselect_b32 s10, -1, 0
	s_cmp_lg_u32 s10, 0
	s_sub_co_ci_u32 s10, s37, s11
	s_sub_co_u32 s11, s9, s74
	s_cselect_b32 s12, -1, 0
	s_delay_alu instid0(SALU_CYCLE_1) | instskip(SKIP_3) | instid1(SALU_CYCLE_1)
	s_cmp_lg_u32 s12, 0
	s_sub_co_ci_u32 s12, s10, 0
	s_sub_co_u32 s13, s11, s74
	s_cselect_b32 s14, -1, 0
	s_cmp_lg_u32 s14, 0
	s_sub_co_ci_u32 s14, s12, 0
	s_cmp_ge_u32 s11, s74
	s_cselect_b32 s15, -1, 0
	s_cmp_eq_u32 s12, 0
	s_cselect_b32 s15, s15, -1
	s_delay_alu instid0(SALU_CYCLE_1)
	s_cmp_lg_u32 s15, 0
	s_cselect_b32 s12, s14, s12
	s_cselect_b32 s13, s13, s11
	s_cmp_ge_u32 s9, s74
	s_cselect_b32 s11, -1, 0
	s_cmp_eq_u32 s10, 0
	s_cselect_b32 s11, s11, -1
	s_delay_alu instid0(SALU_CYCLE_1)
	s_cmp_lg_u32 s11, 0
	s_cselect_b32 s11, s12, s10
	s_cselect_b32 s10, s13, s9
	s_cbranch_execnz .LBB168_51
.LBB168_50:                             ;   in Loop: Header=BB168_6 Depth=1
	v_cvt_f32_u32_e32 v4, s74
	s_sub_co_i32 s10, 0, s74
	s_delay_alu instid0(VALU_DEP_1) | instskip(SKIP_1) | instid1(TRANS32_DEP_1)
	v_rcp_iflag_f32_e32 v4, v4
	v_nop
	v_mul_f32_e32 v4, 0x4f7ffffe, v4
	s_delay_alu instid0(VALU_DEP_1) | instskip(NEXT) | instid1(VALU_DEP_1)
	v_cvt_u32_f32_e32 v4, v4
	v_readfirstlane_b32 s9, v4
	s_mul_i32 s10, s10, s9
	s_delay_alu instid0(SALU_CYCLE_1) | instskip(NEXT) | instid1(SALU_CYCLE_1)
	s_mul_hi_u32 s10, s9, s10
	s_add_co_i32 s9, s9, s10
	s_delay_alu instid0(SALU_CYCLE_1) | instskip(NEXT) | instid1(SALU_CYCLE_1)
	s_mul_hi_u32 s9, s36, s9
	s_mul_i32 s9, s9, s74
	s_delay_alu instid0(SALU_CYCLE_1) | instskip(NEXT) | instid1(SALU_CYCLE_1)
	s_sub_co_i32 s9, s36, s9
	s_sub_co_i32 s10, s9, s74
	s_cmp_ge_u32 s9, s74
	s_cselect_b32 s9, s10, s9
	s_delay_alu instid0(SALU_CYCLE_1) | instskip(SKIP_2) | instid1(SALU_CYCLE_1)
	s_sub_co_i32 s10, s9, s74
	s_cmp_ge_u32 s9, s74
	s_cselect_b32 s28, s10, s9
	s_mov_b64 s[10:11], s[28:29]
.LBB168_51:                             ;   in Loop: Header=BB168_6 Depth=1
	v_mov_b64_e32 v[4:5], 0
	v_mov_b64_e32 v[6:7], 0
	;; [unrolled: 1-line block ×4, first 2 shown]
	v_and_b32_e32 v2, 0xffff, v2
	s_sub_nc_u64 s[76:77], s[36:37], s[10:11]
	s_mov_b32 s48, exec_lo
	v_cmpx_gt_u64_e64 s[76:77], v[16:17]
	s_cbranch_execz .LBB168_55
; %bb.52:                               ;   in Loop: Header=BB168_6 Depth=1
	v_mul_u64_e32 v[32:33], s[66:67], v[2:3]
	v_mov_b64_e32 v[34:35], s[42:43]
	v_mov_b64_e32 v[36:37], v[16:17]
	s_mov_b64 s[78:79], 0
	s_mov_b32 s49, 0
	s_mov_b64 s[80:81], 0
	s_mov_b64 s[82:83], 0
	;; [unrolled: 1-line block ×3, first 2 shown]
.LBB168_53:                             ;   Parent Loop BB168_6 Depth=1
                                        ; =>  This Inner Loop Header: Depth=2
	v_add_nc_u64_e32 v[4:5], v[34:35], v[28:29]
	v_add_nc_u64_e32 v[6:7], v[34:35], v[26:27]
	;; [unrolled: 1-line block ×6, first 2 shown]
	s_clause 0x3
	global_load_i16 v4, v[4:5], off
	global_load_i16 v5, v[6:7], off
	;; [unrolled: 1-line block ×4, first 2 shown]
	v_cmp_le_u64_e32 vcc_lo, s[76:77], v[36:37]
	s_wait_loadcnt 0x3
	v_add_nc_u32_e32 v4, 0x8000, v4
	s_wait_loadcnt 0x2
	v_add_nc_u32_e32 v5, 0x8000, v5
	;; [unrolled: 2-line block ×4, first 2 shown]
	v_and_b32_e32 v8, v4, v44
	v_and_b32_e32 v9, v5, v44
	v_bfe_u32 v4, v4, s95, 2
	v_bfe_u32 v5, v5, s95, 2
	v_and_b32_e32 v10, v6, v44
	v_bfe_u32 v6, v6, s95, 2
	v_and_b32_e32 v11, v7, v44
	v_bfe_u32 v7, v7, s95, 2
	v_cmp_eq_u32_e64 s9, v8, v42
	v_cmp_eq_u32_e64 s10, v9, v42
	v_cmp_eq_u32_e64 s13, 0, v4
	v_cmp_eq_u32_e64 s14, 0, v5
	v_cmp_eq_u32_e64 s11, v10, v42
	v_cmp_eq_u32_e64 s15, 0, v6
	v_cmp_eq_u32_e64 s17, 1, v4
	v_cmp_eq_u32_e64 s18, 1, v5
	v_cmp_eq_u32_e64 s12, v11, v42
	v_cmp_eq_u32_e64 s16, 0, v7
	v_cmp_eq_u32_e64 s19, 1, v6
	v_cmp_eq_u32_e64 s21, 2, v4
	v_cmp_eq_u32_e64 s22, 2, v5
	v_cmp_eq_u32_e64 s25, 3, v4
	v_cmp_eq_u32_e64 s26, 3, v5
	s_and_b32 s13, s9, s13
	s_and_b32 s14, s10, s14
	v_cmp_eq_u32_e64 s20, 1, v7
	v_cmp_eq_u32_e64 s23, 2, v6
	;; [unrolled: 1-line block ×3, first 2 shown]
	s_and_b32 s15, s11, s15
	s_and_b32 s17, s9, s17
	;; [unrolled: 1-line block ×3, first 2 shown]
	v_cndmask_b32_e64 v4, 0, 1, s13
	v_cndmask_b32_e64 v5, 0, 1, s14
	v_cmp_eq_u32_e64 s24, 2, v7
	v_cmp_eq_u32_e64 s28, 3, v7
	s_and_b32 s16, s12, s16
	s_and_b32 s19, s11, s19
	;; [unrolled: 1-line block ×4, first 2 shown]
	v_cndmask_b32_e64 v6, 0, 1, s15
	v_cndmask_b32_e64 v8, 0, 1, s17
	;; [unrolled: 1-line block ×3, first 2 shown]
	s_and_b32 s9, s9, s25
	s_and_b32 s10, s10, s26
	;; [unrolled: 1-line block ×4, first 2 shown]
	v_cndmask_b32_e64 v7, 0, 1, s16
	v_cndmask_b32_e64 v10, 0, 1, s19
	;; [unrolled: 1-line block ×4, first 2 shown]
	s_and_b32 s11, s11, s27
	v_cndmask_b32_e64 v50, 0, 1, s9
	v_cndmask_b32_e64 v51, 0, 1, s10
	v_cmp_ne_u32_e64 s9, 0, v4
	v_cmp_ne_u32_e64 s10, 0, v5
	s_and_b32 s24, s12, s24
	v_cndmask_b32_e64 v11, 0, 1, s20
	v_cndmask_b32_e64 v48, 0, 1, s23
	s_and_b32 s12, s12, s28
	v_cndmask_b32_e64 v52, 0, 1, s11
	v_cmp_ne_u32_e64 s11, 0, v6
	v_cmp_ne_u32_e64 s13, 0, v8
	;; [unrolled: 1-line block ×3, first 2 shown]
	v_cndmask_b32_e64 v49, 0, 1, s24
	v_cndmask_b32_e64 v53, 0, 1, s12
	v_cmp_ne_u32_e64 s12, 0, v7
	v_cmp_ne_u32_e64 s15, 0, v10
	;; [unrolled: 1-line block ×4, first 2 shown]
	s_bcnt1_i32_b32 s9, s9
	s_bcnt1_i32_b32 s10, s10
	v_cmp_ne_u32_e64 s16, 0, v11
	v_cmp_ne_u32_e64 s19, 0, v48
	;; [unrolled: 1-line block ×4, first 2 shown]
	s_bcnt1_i32_b32 s11, s11
	s_bcnt1_i32_b32 s13, s13
	;; [unrolled: 1-line block ×3, first 2 shown]
	s_add_co_i32 s9, s10, s9
	v_cmp_ne_u32_e64 s20, 0, v49
	v_cmp_ne_u32_e64 s23, 0, v52
	s_bcnt1_i32_b32 s12, s12
	s_bcnt1_i32_b32 s15, s15
	;; [unrolled: 1-line block ×4, first 2 shown]
	s_add_co_i32 s10, s14, s13
	s_add_co_i32 s9, s9, s11
	v_cmp_ne_u32_e64 s24, 0, v53
	s_bcnt1_i32_b32 s16, s16
	s_bcnt1_i32_b32 s19, s19
	;; [unrolled: 1-line block ×4, first 2 shown]
	s_add_co_i32 s13, s18, s17
	s_add_co_i32 s10, s10, s15
	s_add_co_i32 s28, s9, s12
	s_bcnt1_i32_b32 s20, s20
	s_bcnt1_i32_b32 s23, s23
	s_add_co_i32 s14, s22, s21
	s_add_co_i32 s11, s13, s19
	s_add_nc_u64 s[84:85], s[84:85], s[28:29]
	s_add_co_i32 s28, s10, s16
	s_bcnt1_i32_b32 s24, s24
	s_add_co_i32 s13, s14, s23
	s_add_nc_u64 s[82:83], s[82:83], s[28:29]
	s_add_co_i32 s28, s11, s20
	v_mov_b64_e32 v[4:5], s[84:85]
	s_add_nc_u64 s[80:81], s[80:81], s[28:29]
	s_add_co_i32 s28, s13, s24
	v_mov_b64_e32 v[6:7], s[82:83]
	s_add_nc_u64 s[78:79], s[78:79], s[28:29]
	v_mov_b64_e32 v[8:9], s[80:81]
	v_mov_b64_e32 v[10:11], s[78:79]
	s_or_b32 s49, vcc_lo, s49
	s_delay_alu instid0(SALU_CYCLE_1)
	s_and_not1_b32 exec_lo, exec_lo, s49
	s_cbranch_execnz .LBB168_53
; %bb.54:                               ;   in Loop: Header=BB168_6 Depth=1
	s_or_b32 exec_lo, exec_lo, s49
.LBB168_55:                             ;   in Loop: Header=BB168_6 Depth=1
	s_delay_alu instid0(SALU_CYCLE_1) | instskip(SKIP_2) | instid1(VALU_DEP_1)
	s_or_b32 exec_lo, exec_lo, s48
	v_add_nc_u64_e32 v[32:33], s[76:77], v[0:1]
	s_mov_b32 s12, exec_lo
	v_cmpx_gt_u64_e64 s[36:37], v[32:33]
	s_cbranch_execz .LBB168_61
; %bb.56:                               ;   in Loop: Header=BB168_6 Depth=1
	v_mul_u64_e32 v[34:35], s[30:31], v[32:33]
	s_mov_b32 s13, 0
	s_delay_alu instid0(VALU_DEP_1)
	v_lshl_add_u64 v[34:35], v[34:35], 1, s[42:43]
	global_load_u16 v35, v[34:35], off
	s_branch .LBB168_58
.LBB168_57:                             ;   in Loop: Header=BB168_58 Depth=2
	s_wait_xcnt 0x0
	s_or_b32 exec_lo, exec_lo, s10
	s_wait_loadcnt 0x0
	v_bfe_i32 v35, v35, 0, 16
	s_and_b32 s11, exec_lo, vcc_lo
	s_delay_alu instid0(SALU_CYCLE_1) | instskip(NEXT) | instid1(VALU_DEP_1)
	s_or_b32 s13, s11, s13
	v_add_nc_u32_e32 v35, 0x8000, v35
	s_delay_alu instid0(VALU_DEP_1) | instskip(SKIP_1) | instid1(VALU_DEP_2)
	v_and_b32_e32 v36, v35, v44
	v_bfe_u32 v35, v35, s95, 2
	v_cmp_eq_u32_e64 s9, v36, v42
	s_delay_alu instid0(VALU_DEP_2)
	v_cmp_eq_u32_e64 s10, 0, v35
	v_cmp_eq_u32_e32 vcc_lo, 1, v35
	s_and_b32 s10, s9, s10
	s_and_b32 s11, s9, vcc_lo
	v_cndmask_b32_e64 v36, 0, 1, s10
	v_cmp_eq_u32_e64 s10, 2, v35
	v_cmp_eq_u32_e32 vcc_lo, 3, v35
	v_cndmask_b32_e64 v37, 0, 1, s11
	s_delay_alu instid0(VALU_DEP_4)
	v_cmp_ne_u32_e64 s11, 0, v36
	s_and_b32 s10, s9, s10
	s_and_b32 s9, s9, vcc_lo
	v_cndmask_b32_e64 v35, 0, 1, s10
	v_cndmask_b32_e64 v36, 0, 1, s9
	v_cmp_ne_u32_e64 s10, 0, v37
	s_bcnt1_i32_b32 s28, s11
	v_cmp_ne_u32_e32 vcc_lo, 0, v35
	v_cmp_ne_u32_e64 s9, 0, v36
	v_add_nc_u64_e32 v[4:5], s[28:29], v[4:5]
	s_bcnt1_i32_b32 s28, s10
	v_mov_b32_e32 v35, v34
	v_add_nc_u64_e32 v[6:7], s[28:29], v[6:7]
	s_bcnt1_i32_b32 s28, vcc_lo
	s_delay_alu instid0(SALU_CYCLE_1) | instskip(SKIP_1) | instid1(SALU_CYCLE_1)
	v_add_nc_u64_e32 v[8:9], s[28:29], v[8:9]
	s_bcnt1_i32_b32 s28, s9
	v_add_nc_u64_e32 v[10:11], s[28:29], v[10:11]
	s_and_not1_b32 exec_lo, exec_lo, s13
	s_cbranch_execz .LBB168_60
.LBB168_58:                             ;   Parent Loop BB168_6 Depth=1
                                        ; =>  This Inner Loop Header: Depth=2
	v_add_nc_u64_e32 v[32:33], v[32:33], v[2:3]
	s_wait_xcnt 0x0
	v_mov_b32_e32 v34, 0
	s_mov_b32 s10, exec_lo
	s_delay_alu instid0(VALU_DEP_2)
	v_cmp_le_u64_e32 vcc_lo, s[36:37], v[32:33]
	v_cmpx_gt_u64_e64 s[36:37], v[32:33]
	s_cbranch_execz .LBB168_57
; %bb.59:                               ;   in Loop: Header=BB168_58 Depth=2
	v_mul_u64_e32 v[36:37], s[30:31], v[32:33]
	s_delay_alu instid0(VALU_DEP_1)
	v_lshl_add_u64 v[36:37], v[36:37], 1, s[42:43]
	global_load_u16 v34, v[36:37], off
	s_branch .LBB168_57
.LBB168_60:                             ;   in Loop: Header=BB168_6 Depth=1
	s_or_b32 exec_lo, exec_lo, s13
.LBB168_61:                             ;   in Loop: Header=BB168_6 Depth=1
	s_delay_alu instid0(SALU_CYCLE_1)
	s_or_b32 exec_lo, exec_lo, s12
	s_branch .LBB168_40
.LBB168_62:                             ;   in Loop: Header=BB168_6 Depth=1
	global_load_u16 v2, v3, s[70:71]
	s_mov_b32 s75, s29
	v_mov_b64_e32 v[6:7], 0
	v_mov_b64_e32 v[8:9], 0
	;; [unrolled: 1-line block ×3, first 2 shown]
	s_mov_b32 s49, exec_lo
	s_wait_loadcnt 0x0
	v_readfirstlane_b32 s9, v2
	v_and_b32_e32 v2, 0xffff, v2
	s_and_b32 s48, 0xffff, s9
	s_delay_alu instid0(SALU_CYCLE_1) | instskip(NEXT) | instid1(SALU_CYCLE_1)
	s_lshl_b32 s76, s48, 2
	s_cvt_f32_u32 s9, s76
	s_sub_co_i32 s10, 0, s76
	s_delay_alu instid0(SALU_CYCLE_2) | instskip(SKIP_1) | instid1(TRANS32_DEP_1)
	v_rcp_iflag_f32_e32 v4, s9
	v_nop
	v_readfirstlane_b32 s9, v4
	s_mul_f32 s9, s9, 0x4f7ffffe
	s_delay_alu instid0(SALU_CYCLE_3) | instskip(NEXT) | instid1(SALU_CYCLE_3)
	s_cvt_u32_f32 s9, s9
	s_mul_i32 s10, s10, s9
	s_delay_alu instid0(SALU_CYCLE_1) | instskip(NEXT) | instid1(SALU_CYCLE_1)
	s_mul_hi_u32 s10, s9, s10
	s_add_co_i32 s9, s9, s10
	s_delay_alu instid0(SALU_CYCLE_1) | instskip(NEXT) | instid1(SALU_CYCLE_1)
	s_mul_hi_u32 s9, s72, s9
	s_mul_i32 s10, s9, s76
	s_add_co_i32 s11, s9, 1
	s_sub_co_i32 s10, s72, s10
	s_delay_alu instid0(SALU_CYCLE_1)
	s_sub_co_i32 s12, s10, s76
	s_cmp_ge_u32 s10, s76
	s_cselect_b32 s9, s11, s9
	s_cselect_b32 s10, s12, s10
	s_add_co_i32 s11, s9, 1
	s_cmp_ge_u32 s10, s76
	s_cselect_b32 s74, s11, s9
	s_delay_alu instid0(SALU_CYCLE_1) | instskip(NEXT) | instid1(VALU_DEP_1)
	v_mul_u64_e32 v[4:5], s[74:75], v[2:3]
	v_lshlrev_b64_e32 v[32:33], 2, v[4:5]
	v_mov_b64_e32 v[4:5], 0
	s_delay_alu instid0(VALU_DEP_2)
	v_cmpx_gt_u64_e64 v[32:33], v[16:17]
	s_cbranch_execz .LBB168_66
; %bb.63:                               ;   in Loop: Header=BB168_6 Depth=1
	v_mov_b64_e32 v[34:35], v[16:17]
	v_mov_b32_e32 v36, v39
	s_mov_b32 s77, s29
	s_lshl_b32 s75, s48, 3
	s_mov_b64 s[78:79], 0
	s_mov_b32 s50, 0
	s_mov_b64 s[80:81], 0
	s_mov_b64 s[82:83], 0
	;; [unrolled: 1-line block ×3, first 2 shown]
.LBB168_64:                             ;   Parent Loop BB168_6 Depth=1
                                        ; =>  This Inner Loop Header: Depth=2
	ds_load_b64 v[4:5], v36
	v_add_nc_u32_e32 v36, s75, v36
	v_add_nc_u64_e32 v[34:35], s[76:77], v[34:35]
	s_delay_alu instid0(VALU_DEP_1)
	v_cmp_ge_u64_e32 vcc_lo, v[34:35], v[32:33]
	s_wait_dscnt 0x0
	v_bfe_i32 v6, v4, 0, 16
	v_ashrrev_i32_e32 v4, 16, v4
	v_bfe_i32 v7, v5, 0, 16
	v_ashrrev_i32_e32 v5, 16, v5
	s_delay_alu instid0(VALU_DEP_4) | instskip(NEXT) | instid1(VALU_DEP_4)
	v_add_nc_u32_e32 v6, 0x8000, v6
	v_add_nc_u32_e32 v4, 0x8000, v4
	s_delay_alu instid0(VALU_DEP_4) | instskip(NEXT) | instid1(VALU_DEP_4)
	v_add_nc_u32_e32 v7, 0x8000, v7
	v_add_nc_u32_e32 v5, 0x8000, v5
	s_delay_alu instid0(VALU_DEP_4) | instskip(NEXT) | instid1(VALU_DEP_4)
	v_and_b32_e32 v8, v6, v44
	v_and_b32_e32 v9, v4, v44
	v_bfe_u32 v6, v6, s95, 2
	v_bfe_u32 v4, v4, s95, 2
	v_and_b32_e32 v10, v7, v44
	v_bfe_u32 v7, v7, s95, 2
	v_and_b32_e32 v11, v5, v44
	v_bfe_u32 v5, v5, s95, 2
	v_cmp_eq_u32_e64 s9, v8, v42
	v_cmp_eq_u32_e64 s10, v9, v42
	;; [unrolled: 1-line block ×15, first 2 shown]
	s_and_b32 s13, s9, s13
	s_and_b32 s14, s10, s14
	v_cmp_eq_u32_e64 s20, 1, v5
	v_cmp_eq_u32_e64 s23, 2, v7
	;; [unrolled: 1-line block ×5, first 2 shown]
	s_and_b32 s15, s11, s15
	s_and_b32 s17, s9, s17
	;; [unrolled: 1-line block ×3, first 2 shown]
	v_cndmask_b32_e64 v4, 0, 1, s13
	v_cndmask_b32_e64 v5, 0, 1, s14
	s_and_b32 s16, s12, s16
	s_and_b32 s19, s11, s19
	s_and_b32 s21, s9, s21
	s_and_b32 s22, s10, s22
	v_cndmask_b32_e64 v6, 0, 1, s15
	v_cndmask_b32_e64 v8, 0, 1, s17
	;; [unrolled: 1-line block ×3, first 2 shown]
	s_and_b32 s9, s9, s25
	s_and_b32 s10, s10, s26
	;; [unrolled: 1-line block ×4, first 2 shown]
	v_cndmask_b32_e64 v7, 0, 1, s16
	v_cndmask_b32_e64 v10, 0, 1, s19
	;; [unrolled: 1-line block ×4, first 2 shown]
	s_and_b32 s11, s11, s27
	v_cndmask_b32_e64 v49, 0, 1, s9
	v_cndmask_b32_e64 v50, 0, 1, s10
	v_cmp_ne_u32_e64 s9, 0, v4
	v_cmp_ne_u32_e64 s10, 0, v5
	s_and_b32 s24, s12, s24
	v_cndmask_b32_e64 v11, 0, 1, s20
	v_cndmask_b32_e64 v47, 0, 1, s23
	s_and_b32 s12, s12, s28
	v_cndmask_b32_e64 v51, 0, 1, s11
	v_cmp_ne_u32_e64 s11, 0, v6
	v_cmp_ne_u32_e64 s13, 0, v8
	;; [unrolled: 1-line block ×3, first 2 shown]
	v_cndmask_b32_e64 v48, 0, 1, s24
	v_cndmask_b32_e64 v52, 0, 1, s12
	v_cmp_ne_u32_e64 s12, 0, v7
	v_cmp_ne_u32_e64 s15, 0, v10
	;; [unrolled: 1-line block ×4, first 2 shown]
	s_bcnt1_i32_b32 s9, s9
	s_bcnt1_i32_b32 s10, s10
	v_cmp_ne_u32_e64 s16, 0, v11
	v_cmp_ne_u32_e64 s19, 0, v47
	;; [unrolled: 1-line block ×4, first 2 shown]
	s_bcnt1_i32_b32 s11, s11
	s_bcnt1_i32_b32 s13, s13
	;; [unrolled: 1-line block ×3, first 2 shown]
	s_add_co_i32 s9, s10, s9
	v_cmp_ne_u32_e64 s20, 0, v48
	v_cmp_ne_u32_e64 s23, 0, v51
	s_bcnt1_i32_b32 s12, s12
	s_bcnt1_i32_b32 s15, s15
	;; [unrolled: 1-line block ×4, first 2 shown]
	s_add_co_i32 s10, s14, s13
	s_add_co_i32 s9, s9, s11
	v_cmp_ne_u32_e64 s24, 0, v52
	s_bcnt1_i32_b32 s16, s16
	s_bcnt1_i32_b32 s19, s19
	;; [unrolled: 1-line block ×4, first 2 shown]
	s_add_co_i32 s13, s18, s17
	s_add_co_i32 s10, s10, s15
	;; [unrolled: 1-line block ×3, first 2 shown]
	s_bcnt1_i32_b32 s20, s20
	s_bcnt1_i32_b32 s23, s23
	s_add_co_i32 s14, s22, s21
	s_add_co_i32 s11, s13, s19
	s_add_nc_u64 s[84:85], s[84:85], s[28:29]
	s_add_co_i32 s28, s10, s16
	s_bcnt1_i32_b32 s24, s24
	s_add_co_i32 s13, s14, s23
	s_add_nc_u64 s[82:83], s[82:83], s[28:29]
	s_add_co_i32 s28, s11, s20
	v_mov_b64_e32 v[4:5], s[84:85]
	s_add_nc_u64 s[80:81], s[80:81], s[28:29]
	s_add_co_i32 s28, s13, s24
	v_mov_b64_e32 v[6:7], s[82:83]
	s_add_nc_u64 s[78:79], s[78:79], s[28:29]
	v_mov_b64_e32 v[8:9], s[80:81]
	v_mov_b64_e32 v[10:11], s[78:79]
	s_or_b32 s50, vcc_lo, s50
	s_delay_alu instid0(SALU_CYCLE_1)
	s_and_not1_b32 exec_lo, exec_lo, s50
	s_cbranch_execnz .LBB168_64
; %bb.65:                               ;   in Loop: Header=BB168_6 Depth=1
	s_or_b32 exec_lo, exec_lo, s50
.LBB168_66:                             ;   in Loop: Header=BB168_6 Depth=1
	s_delay_alu instid0(SALU_CYCLE_1) | instskip(SKIP_3) | instid1(VALU_DEP_1)
	s_or_b32 exec_lo, exec_lo, s49
	v_add_nc_u64_e32 v[32:33], v[32:33], v[0:1]
	s_and_b64 s[14:15], s[72:73], 0x7fffffff
	s_mov_b32 s16, exec_lo
	v_cmpx_gt_u64_e64 s[14:15], v[32:33]
	s_cbranch_execz .LBB168_70
; %bb.67:                               ;   in Loop: Header=BB168_6 Depth=1
	s_mul_i32 s9, s74, s48
	s_lshl_b32 s18, s48, 1
	v_lshl_add_u32 v34, s9, 3, v38
	s_mov_b32 s17, 0
.LBB168_68:                             ;   Parent Loop BB168_6 Depth=1
                                        ; =>  This Inner Loop Header: Depth=2
	ds_load_i16 v35, v34
	v_add_nc_u64_e32 v[32:33], v[32:33], v[2:3]
	v_add_nc_u32_e32 v34, s18, v34
	s_delay_alu instid0(VALU_DEP_2) | instskip(SKIP_2) | instid1(VALU_DEP_1)
	v_cmp_le_u64_e32 vcc_lo, s[14:15], v[32:33]
	s_wait_dscnt 0x0
	v_add_nc_u32_e32 v35, 0x8000, v35
	v_and_b32_e32 v36, v35, v44
	v_bfe_u32 v35, v35, s95, 2
	s_delay_alu instid0(VALU_DEP_2) | instskip(NEXT) | instid1(VALU_DEP_2)
	v_cmp_eq_u32_e64 s9, v36, v42
	v_cmp_eq_u32_e64 s10, 0, v35
	;; [unrolled: 1-line block ×5, first 2 shown]
	s_and_b32 s10, s9, s10
	s_delay_alu instid0(SALU_CYCLE_1) | instskip(SKIP_1) | instid1(SALU_CYCLE_1)
	v_cndmask_b32_e64 v35, 0, 1, s10
	s_and_b32 s10, s9, s11
	v_cndmask_b32_e64 v36, 0, 1, s10
	s_and_b32 s10, s9, s12
	s_and_b32 s9, s9, s13
	v_cndmask_b32_e64 v37, 0, 1, s10
	v_cndmask_b32_e64 v46, 0, 1, s9
	v_cmp_ne_u32_e64 s9, 0, v35
	v_cmp_ne_u32_e64 s10, 0, v36
	s_delay_alu instid0(VALU_DEP_4) | instskip(NEXT) | instid1(VALU_DEP_4)
	v_cmp_ne_u32_e64 s11, 0, v37
	v_cmp_ne_u32_e64 s12, 0, v46
	s_bcnt1_i32_b32 s28, s9
	s_delay_alu instid0(SALU_CYCLE_1) | instskip(SKIP_1) | instid1(SALU_CYCLE_1)
	v_add_nc_u64_e32 v[4:5], s[28:29], v[4:5]
	s_bcnt1_i32_b32 s28, s10
	v_add_nc_u64_e32 v[6:7], s[28:29], v[6:7]
	s_bcnt1_i32_b32 s28, s11
	s_delay_alu instid0(SALU_CYCLE_1)
	v_add_nc_u64_e32 v[8:9], s[28:29], v[8:9]
	s_bcnt1_i32_b32 s28, s12
	s_or_b32 s17, vcc_lo, s17
	v_add_nc_u64_e32 v[10:11], s[28:29], v[10:11]
	s_and_not1_b32 exec_lo, exec_lo, s17
	s_cbranch_execnz .LBB168_68
; %bb.69:                               ;   in Loop: Header=BB168_6 Depth=1
	s_or_b32 exec_lo, exec_lo, s17
.LBB168_70:                             ;   in Loop: Header=BB168_6 Depth=1
	s_delay_alu instid0(SALU_CYCLE_1)
	s_or_b32 exec_lo, exec_lo, s16
	s_lshl_b32 s9, s98, 7
	s_and_saveexec_b32 s10, s2
	s_cbranch_execnz .LBB168_41
	s_branch .LBB168_42
.LBB168_71:                             ;   in Loop: Header=BB168_6 Depth=1
                                        ; implicit-def: $sgpr10_sgpr11
	s_branch .LBB168_50
.LBB168_72:                             ;   in Loop: Header=BB168_6 Depth=1
	s_mov_b32 s11, 0
	s_and_not1_b32 vcc_lo, exec_lo, s92
	s_cbranch_vccnz .LBB168_75
.LBB168_73:                             ;   in Loop: Header=BB168_6 Depth=1
	s_lshl_b32 s12, s98, 10
	s_lshl_b32 s11, s11, 5
	s_delay_alu instid0(SALU_CYCLE_1)
	v_add3_u32 v2, s12, s11, v43
	s_mov_b32 s11, s89
.LBB168_74:                             ;   Parent Loop BB168_6 Depth=1
                                        ; =>  This Inner Loop Header: Depth=2
	ds_load_b64 v[6:7], v2
	v_add_nc_u32_e32 v2, 32, v2
	s_add_co_i32 s11, s11, -1
	s_delay_alu instid0(SALU_CYCLE_1)
	s_cmp_lg_u32 s11, 0
	s_wait_dscnt 0x0
	v_add_nc_u64_e32 v[4:5], v[6:7], v[4:5]
	s_cbranch_scc1 .LBB168_74
.LBB168_75:                             ;   in Loop: Header=BB168_6 Depth=1
	v_add_lshl_u32 v2, s9, v13, 3
	ds_store_b64 v2, v[4:5] offset:3072
.LBB168_76:                             ;   in Loop: Header=BB168_6 Depth=1
	s_or_b32 exec_lo, exec_lo, s10
	s_lshl_b32 s9, s9, 3
	s_wait_dscnt 0x0
	v_mov_b32_e32 v2, s9
	s_barrier_signal -1
	s_barrier_wait -1
	v_cmp_eq_u64_e64 s9, 1, v[30:31]
	ds_load_b128 v[4:7], v2 offset:3072
	ds_load_b128 v[8:11], v2 offset:3088
	s_lshl_b32 s24, 3, s95
	s_mov_b32 s75, -1
	s_not_b32 s25, s24
	s_mov_b32 s26, 0
	s_and_not1_b32 vcc_lo, exec_lo, s87
	s_mov_b32 s72, 0
	s_mov_b32 s27, 0
                                        ; implicit-def: $sgpr73
                                        ; implicit-def: $sgpr74
                                        ; implicit-def: $vgpr2
	s_wait_dscnt 0x1
	v_readfirstlane_b32 s13, v5
	v_readfirstlane_b32 s12, v4
	;; [unrolled: 1-line block ×4, first 2 shown]
	s_wait_dscnt 0x0
	v_readfirstlane_b32 s17, v9
	v_readfirstlane_b32 s16, v8
	;; [unrolled: 1-line block ×4, first 2 shown]
                                        ; implicit-def: $vgpr4_vgpr5
                                        ; implicit-def: $vgpr10
                                        ; implicit-def: $vgpr11
                                        ; implicit-def: $vgpr8
	s_cbranch_vccnz .LBB168_271
; %bb.77:                               ;   in Loop: Header=BB168_6 Depth=1
	s_cmp_eq_u64 s[12:13], 1
	v_dual_mov_b32 v10, v42 :: v_dual_mov_b32 v11, v44
	v_mov_b32_e32 v8, v45
	s_cselect_b32 s10, -1, 0
                                        ; implicit-def: $sgpr74
                                        ; implicit-def: $sgpr73
	s_delay_alu instid0(SALU_CYCLE_1)
	s_and_b32 s77, s10, s9
	s_mov_b32 s10, -1
	s_and_saveexec_b32 s27, s77
	s_cbranch_execz .LBB168_112
; %bb.78:                               ;   in Loop: Header=BB168_6 Depth=1
	ds_load_b64 v[4:5], v3 offset:5120
	s_wait_dscnt 0x0
	s_barrier_signal -1
	s_barrier_wait -1
	v_readfirstlane_b32 s10, v4
	v_readfirstlane_b32 s11, v5
	s_and_saveexec_b32 s20, s6
; %bb.79:                               ;   in Loop: Header=BB168_6 Depth=1
	ds_store_b16 v40, v3
; %bb.80:                               ;   in Loop: Header=BB168_6 Depth=1
	s_or_b32 exec_lo, exec_lo, s20
	v_and_b32_e32 v10, s25, v42
	v_or_b32_e32 v11, s24, v44
	s_mov_b32 s73, -1
	s_mov_b32 s74, 0
	s_cmp_eq_u64 s[10:11], 0
	s_mov_b32 s22, 0
	s_mov_b32 s23, -1
	s_wait_dscnt 0x0
	s_barrier_signal -1
	s_barrier_wait -1
                                        ; implicit-def: $vgpr8
	s_cbranch_scc1 .LBB168_97
; %bb.81:                               ;   in Loop: Header=BB168_6 Depth=1
	s_add_nc_u64 s[20:21], s[10:11], s[54:55]
	s_delay_alu instid0(SALU_CYCLE_1) | instskip(NEXT) | instid1(SALU_CYCLE_1)
	s_and_b64 s[22:23], s[20:21], 0xffffffff00000000
	s_cmp_lg_u64 s[22:23], 0
	s_cbranch_scc0 .LBB168_138
; %bb.82:                               ;   in Loop: Header=BB168_6 Depth=1
	s_cvt_f32_u32 s7, s34
	s_sub_nc_u64 s[44:45], 0, s[34:35]
	s_delay_alu instid0(SALU_CYCLE_2) | instskip(NEXT) | instid1(SALU_CYCLE_3)
	s_fmamk_f32 s7, s94, 0x0, s7
	v_s_rcp_f32 s7, s7
	s_delay_alu instid0(TRANS32_DEP_1) | instskip(NEXT) | instid1(SALU_CYCLE_3)
	s_mul_f32 s7, s7, 0x5f7ffffc
	s_mul_f32 s8, s7, 0x2f800000
	s_delay_alu instid0(SALU_CYCLE_3) | instskip(NEXT) | instid1(SALU_CYCLE_3)
	s_trunc_f32 s8, s8
	s_fmamk_f32 s7, s8, 0xcf800000, s7
	s_cvt_u32_f32 s23, s8
	s_delay_alu instid0(SALU_CYCLE_2) | instskip(NEXT) | instid1(SALU_CYCLE_3)
	s_cvt_u32_f32 s22, s7
	s_mul_u64 s[48:49], s[44:45], s[22:23]
	s_delay_alu instid0(SALU_CYCLE_1)
	s_mul_hi_u32 s51, s22, s49
	s_mul_i32 s50, s22, s49
	s_mul_hi_u32 s28, s22, s48
	s_mul_i32 s8, s23, s48
	s_add_nc_u64 s[50:51], s[28:29], s[50:51]
	s_mul_hi_u32 s7, s23, s48
	s_mul_hi_u32 s52, s23, s49
	s_add_co_u32 s8, s50, s8
	s_add_co_ci_u32 s28, s51, s7
	s_mul_i32 s48, s23, s49
	s_add_co_ci_u32 s49, s52, 0
	s_delay_alu instid0(SALU_CYCLE_1) | instskip(NEXT) | instid1(SALU_CYCLE_1)
	s_add_nc_u64 s[48:49], s[28:29], s[48:49]
	s_add_co_u32 s22, s22, s48
	s_cselect_b32 s7, -1, 0
	s_delay_alu instid0(SALU_CYCLE_1) | instskip(SKIP_1) | instid1(SALU_CYCLE_1)
	s_cmp_lg_u32 s7, 0
	s_add_co_ci_u32 s23, s23, s49
	s_mul_u64 s[44:45], s[44:45], s[22:23]
	s_delay_alu instid0(SALU_CYCLE_1)
	s_mul_hi_u32 s49, s22, s45
	s_mul_i32 s48, s22, s45
	s_mul_hi_u32 s28, s22, s44
	s_mul_i32 s8, s23, s44
	s_add_nc_u64 s[48:49], s[28:29], s[48:49]
	s_mul_hi_u32 s7, s23, s44
	s_mul_hi_u32 s50, s23, s45
	s_add_co_u32 s8, s48, s8
	s_add_co_ci_u32 s28, s49, s7
	s_mul_i32 s44, s23, s45
	s_add_co_ci_u32 s45, s50, 0
	s_delay_alu instid0(SALU_CYCLE_1) | instskip(NEXT) | instid1(SALU_CYCLE_1)
	s_add_nc_u64 s[44:45], s[28:29], s[44:45]
	s_add_co_u32 s7, s22, s44
	s_cselect_b32 s8, -1, 0
	s_mul_hi_u32 s28, s20, s7
	s_cmp_lg_u32 s8, 0
	s_mul_hi_u32 s8, s21, s7
	s_add_co_ci_u32 s44, s23, s45
	s_mul_i32 s7, s21, s7
	s_mul_hi_u32 s23, s20, s44
	s_mul_i32 s22, s20, s44
	s_mul_hi_u32 s45, s21, s44
	s_add_nc_u64 s[22:23], s[28:29], s[22:23]
	s_mul_i32 s44, s21, s44
	s_add_co_u32 s7, s22, s7
	s_add_co_ci_u32 s28, s23, s8
	s_add_co_ci_u32 s45, s45, 0
	s_delay_alu instid0(SALU_CYCLE_1) | instskip(NEXT) | instid1(SALU_CYCLE_1)
	s_add_nc_u64 s[22:23], s[28:29], s[44:45]
	s_and_b64 s[44:45], s[22:23], 0xffffffff00000000
	s_delay_alu instid0(SALU_CYCLE_1) | instskip(NEXT) | instid1(SALU_CYCLE_1)
	s_or_b32 s44, s44, s22
	s_mul_u64 s[22:23], s[34:35], s[44:45]
	s_delay_alu instid0(SALU_CYCLE_1) | instskip(SKIP_1) | instid1(SALU_CYCLE_1)
	s_sub_co_u32 s7, s20, s22
	s_cselect_b32 s8, -1, 0
	s_cmp_lg_u32 s8, 0
	s_sub_co_ci_u32 s8, s21, s23
	s_sub_co_u32 s22, s7, s34
	s_cselect_b32 s23, -1, 0
	s_delay_alu instid0(SALU_CYCLE_1) | instskip(SKIP_3) | instid1(SALU_CYCLE_1)
	s_cmp_lg_u32 s23, 0
	s_sub_co_ci_u32 s23, s8, 0
	s_sub_co_u32 s28, s22, s34
	s_cselect_b32 s44, -1, 0
	s_cmp_lg_u32 s44, 0
	s_sub_co_ci_u32 s44, s23, 0
	s_cmp_ge_u32 s22, s34
	s_cselect_b32 s45, -1, 0
	s_cmp_eq_u32 s23, 0
	s_cselect_b32 s45, s45, -1
	s_delay_alu instid0(SALU_CYCLE_1)
	s_cmp_lg_u32 s45, 0
	s_cselect_b32 s23, s44, s23
	s_cselect_b32 s22, s28, s22
	s_cmp_ge_u32 s7, s34
	s_cselect_b32 s28, -1, 0
	s_cmp_eq_u32 s8, 0
	s_cselect_b32 s28, s28, -1
	s_delay_alu instid0(SALU_CYCLE_1)
	s_cmp_lg_u32 s28, 0
	s_cselect_b32 s23, s23, s8
	s_cselect_b32 s22, s22, s7
	s_cbranch_execnz .LBB168_84
.LBB168_83:                             ;   in Loop: Header=BB168_6 Depth=1
	v_cvt_f32_u32_e32 v2, s34
	s_sub_co_i32 s8, 0, s34
	s_delay_alu instid0(VALU_DEP_1) | instskip(SKIP_1) | instid1(TRANS32_DEP_1)
	v_rcp_iflag_f32_e32 v2, v2
	v_nop
	v_mul_f32_e32 v2, 0x4f7ffffe, v2
	s_delay_alu instid0(VALU_DEP_1) | instskip(NEXT) | instid1(VALU_DEP_1)
	v_cvt_u32_f32_e32 v2, v2
	v_readfirstlane_b32 s7, v2
	s_mul_i32 s8, s8, s7
	s_delay_alu instid0(SALU_CYCLE_1) | instskip(NEXT) | instid1(SALU_CYCLE_1)
	s_mul_hi_u32 s8, s7, s8
	s_add_co_i32 s7, s7, s8
	s_delay_alu instid0(SALU_CYCLE_1) | instskip(NEXT) | instid1(SALU_CYCLE_1)
	s_mul_hi_u32 s7, s20, s7
	s_mul_i32 s7, s7, s34
	s_delay_alu instid0(SALU_CYCLE_1) | instskip(NEXT) | instid1(SALU_CYCLE_1)
	s_sub_co_i32 s7, s20, s7
	s_sub_co_i32 s8, s7, s34
	s_cmp_ge_u32 s7, s34
	s_cselect_b32 s7, s8, s7
	s_delay_alu instid0(SALU_CYCLE_1) | instskip(SKIP_2) | instid1(SALU_CYCLE_1)
	s_sub_co_i32 s8, s7, s34
	s_cmp_ge_u32 s7, s34
	s_cselect_b32 s28, s8, s7
	s_mov_b64 s[22:23], s[28:29]
.LBB168_84:                             ;   in Loop: Header=BB168_6 Depth=1
	s_delay_alu instid0(SALU_CYCLE_1)
	s_sub_nc_u64 s[20:21], s[20:21], s[22:23]
	s_mov_b32 s23, 0
	s_mov_b32 s22, 0
	s_mov_b32 s28, exec_lo
                                        ; implicit-def: $vgpr8
	v_cmpx_gt_u64_e64 s[20:21], v[0:1]
	s_cbranch_execz .LBB168_96
; %bb.85:                               ;   in Loop: Header=BB168_6 Depth=1
	v_mov_b64_e32 v[4:5], v[0:1]
	v_mov_b32_e32 v2, v38
                                        ; implicit-def: $sgpr48
	s_branch .LBB168_88
.LBB168_86:                             ;   in Loop: Header=BB168_88 Depth=2
	s_or_b32 exec_lo, exec_lo, s49
	s_wait_dscnt 0x0
	s_barrier_signal -1
	s_barrier_wait -1
	ds_load_b32 v6, v3 offset:3072
	s_mov_b32 s49, -1
	s_mov_b32 s50, -1
	s_wait_dscnt 0x0
	s_barrier_signal -1
	s_barrier_wait -1
	v_and_b32_e32 v7, 0xffff, v6
	s_delay_alu instid0(VALU_DEP_1)
	v_cmp_ne_u32_e32 vcc_lo, 0, v7
	s_cbranch_vccz .LBB168_91
.LBB168_87:                             ;   in Loop: Header=BB168_88 Depth=2
	s_and_b32 s7, exec_lo, s49
	s_delay_alu instid0(SALU_CYCLE_1) | instskip(SKIP_2) | instid1(SALU_CYCLE_1)
	s_or_b32 s22, s7, s22
	s_and_not1_b32 s7, s48, exec_lo
	s_and_b32 s8, s50, exec_lo
	s_or_b32 s48, s7, s8
	s_and_not1_b32 exec_lo, exec_lo, s22
	s_cbranch_execz .LBB168_95
.LBB168_88:                             ;   Parent Loop BB168_6 Depth=1
                                        ; =>  This Inner Loop Header: Depth=2
	s_mov_b32 s49, exec_lo
	s_delay_alu instid0(VALU_DEP_2)
	v_cmpx_gt_u64_e64 s[10:11], v[4:5]
	s_cbranch_execz .LBB168_86
; %bb.89:                               ;   in Loop: Header=BB168_88 Depth=2
	ds_load_u16 v6, v2
	s_wait_dscnt 0x0
	v_bfe_i32 v7, v6, 0, 16
	s_delay_alu instid0(VALU_DEP_1) | instskip(NEXT) | instid1(VALU_DEP_1)
	v_add_nc_u32_e32 v7, 0x8000, v7
	v_and_b32_e32 v7, v7, v11
	s_delay_alu instid0(VALU_DEP_1)
	v_cmp_eq_u32_e32 vcc_lo, v7, v10
	s_and_b32 exec_lo, exec_lo, vcc_lo
	s_cbranch_execz .LBB168_86
; %bb.90:                               ;   in Loop: Header=BB168_88 Depth=2
	v_perm_b32 v6, v6, 1, 0x5040100
	ds_store_b32 v3, v6 offset:3072
	s_branch .LBB168_86
.LBB168_91:                             ;   in Loop: Header=BB168_88 Depth=2
	v_add_nc_u64_e32 v[4:5], s[34:35], v[4:5]
	v_add_nc_u32_e32 v2, s93, v2
	s_mov_b32 s50, 0
	s_delay_alu instid0(VALU_DEP_2)
	v_cmp_le_u64_e32 vcc_lo, s[20:21], v[4:5]
	s_or_not1_b32 s49, vcc_lo, exec_lo
	s_branch .LBB168_87
.LBB168_92:                             ;   in Loop: Header=BB168_6 Depth=1
	s_or_b32 exec_lo, exec_lo, s12
	s_wait_dscnt 0x0
	s_barrier_signal -1
	s_barrier_wait -1
	s_and_saveexec_b32 s9, s5
	s_cbranch_execz .LBB168_94
; %bb.93:                               ;   in Loop: Header=BB168_6 Depth=1
	ds_load_b32 v4, v3 offset:5144
	s_wait_dscnt 0x0
	v_ashrrev_i32_e32 v5, 31, v4
	ds_store_b64 v3, v[4:5] offset:5120
.LBB168_94:                             ;   in Loop: Header=BB168_6 Depth=1
	s_or_b32 exec_lo, exec_lo, s9
	s_wait_dscnt 0x0
	s_barrier_signal -1
	s_mov_b32 s9, -1
	s_barrier_wait -1
	s_and_b32 vcc_lo, exec_lo, s11
	s_cbranch_vccnz .LBB168_21
	s_branch .LBB168_36
.LBB168_95:                             ;   in Loop: Header=BB168_6 Depth=1
	s_or_b32 exec_lo, exec_lo, s22
	v_lshrrev_b32_e32 v8, 16, v6
	s_and_b32 s22, s48, exec_lo
.LBB168_96:                             ;   in Loop: Header=BB168_6 Depth=1
	s_or_b32 exec_lo, exec_lo, s28
.LBB168_97:                             ;   in Loop: Header=BB168_6 Depth=1
	s_delay_alu instid0(SALU_CYCLE_1)
	s_and_b32 vcc_lo, exec_lo, s23
	s_cbranch_vccz .LBB168_111
; %bb.98:                               ;   in Loop: Header=BB168_6 Depth=1
	s_and_b64 s[10:11], s[56:57], 0xffffffff00000000
	s_delay_alu instid0(SALU_CYCLE_1)
	s_cmp_lg_u64 s[10:11], 0
	s_cbranch_scc0 .LBB168_139
; %bb.99:                               ;   in Loop: Header=BB168_6 Depth=1
	s_cvt_f32_u32 s7, s34
	s_sub_nc_u64 s[20:21], 0, s[34:35]
	s_delay_alu instid0(SALU_CYCLE_2) | instskip(NEXT) | instid1(SALU_CYCLE_3)
	s_fmamk_f32 s7, s94, 0x0, s7
	v_s_rcp_f32 s7, s7
	s_delay_alu instid0(TRANS32_DEP_1) | instskip(NEXT) | instid1(SALU_CYCLE_3)
	s_mul_f32 s7, s7, 0x5f7ffffc
	s_mul_f32 s8, s7, 0x2f800000
	s_delay_alu instid0(SALU_CYCLE_3) | instskip(NEXT) | instid1(SALU_CYCLE_3)
	s_trunc_f32 s8, s8
	s_fmamk_f32 s7, s8, 0xcf800000, s7
	s_cvt_u32_f32 s11, s8
	s_delay_alu instid0(SALU_CYCLE_2) | instskip(NEXT) | instid1(SALU_CYCLE_3)
	s_cvt_u32_f32 s10, s7
	s_mul_u64 s[44:45], s[20:21], s[10:11]
	s_delay_alu instid0(SALU_CYCLE_1)
	s_mul_hi_u32 s49, s10, s45
	s_mul_i32 s48, s10, s45
	s_mul_hi_u32 s28, s10, s44
	s_mul_i32 s8, s11, s44
	s_add_nc_u64 s[48:49], s[28:29], s[48:49]
	s_mul_hi_u32 s7, s11, s44
	s_mul_hi_u32 s23, s11, s45
	s_add_co_u32 s8, s48, s8
	s_add_co_ci_u32 s28, s49, s7
	s_mul_i32 s44, s11, s45
	s_add_co_ci_u32 s45, s23, 0
	s_delay_alu instid0(SALU_CYCLE_1) | instskip(NEXT) | instid1(SALU_CYCLE_1)
	s_add_nc_u64 s[44:45], s[28:29], s[44:45]
	s_add_co_u32 s10, s10, s44
	s_cselect_b32 s7, -1, 0
	s_delay_alu instid0(SALU_CYCLE_1) | instskip(SKIP_1) | instid1(SALU_CYCLE_1)
	s_cmp_lg_u32 s7, 0
	s_add_co_ci_u32 s11, s11, s45
	s_mul_u64 s[20:21], s[20:21], s[10:11]
	s_delay_alu instid0(SALU_CYCLE_1)
	s_mul_hi_u32 s45, s10, s21
	s_mul_i32 s44, s10, s21
	s_mul_hi_u32 s28, s10, s20
	s_mul_i32 s8, s11, s20
	s_add_nc_u64 s[44:45], s[28:29], s[44:45]
	s_mul_hi_u32 s7, s11, s20
	s_mul_hi_u32 s23, s11, s21
	s_add_co_u32 s8, s44, s8
	s_add_co_ci_u32 s28, s45, s7
	s_mul_i32 s20, s11, s21
	s_add_co_ci_u32 s21, s23, 0
	s_delay_alu instid0(SALU_CYCLE_1) | instskip(NEXT) | instid1(SALU_CYCLE_1)
	s_add_nc_u64 s[20:21], s[28:29], s[20:21]
	s_add_co_u32 s7, s10, s20
	s_cselect_b32 s8, -1, 0
	s_mul_hi_u32 s28, s56, s7
	s_cmp_lg_u32 s8, 0
	s_mul_hi_u32 s8, s57, s7
	s_add_co_ci_u32 s20, s11, s21
	s_mul_i32 s7, s57, s7
	s_mul_hi_u32 s11, s56, s20
	s_mul_i32 s10, s56, s20
	s_mul_hi_u32 s21, s57, s20
	s_add_nc_u64 s[10:11], s[28:29], s[10:11]
	s_mul_i32 s20, s57, s20
	s_add_co_u32 s7, s10, s7
	s_add_co_ci_u32 s28, s11, s8
	s_add_co_ci_u32 s21, s21, 0
	s_delay_alu instid0(SALU_CYCLE_1) | instskip(NEXT) | instid1(SALU_CYCLE_1)
	s_add_nc_u64 s[10:11], s[28:29], s[20:21]
	s_and_b64 s[20:21], s[10:11], 0xffffffff00000000
	s_delay_alu instid0(SALU_CYCLE_1) | instskip(NEXT) | instid1(SALU_CYCLE_1)
	s_or_b32 s20, s20, s10
	s_mul_u64 s[10:11], s[34:35], s[20:21]
	s_delay_alu instid0(SALU_CYCLE_1) | instskip(SKIP_1) | instid1(SALU_CYCLE_1)
	s_sub_co_u32 s7, s56, s10
	s_cselect_b32 s8, -1, 0
	s_cmp_lg_u32 s8, 0
	s_sub_co_ci_u32 s8, s57, s11
	s_sub_co_u32 s10, s7, s34
	s_cselect_b32 s11, -1, 0
	s_delay_alu instid0(SALU_CYCLE_1) | instskip(SKIP_3) | instid1(SALU_CYCLE_1)
	s_cmp_lg_u32 s11, 0
	s_sub_co_ci_u32 s11, s8, 0
	s_sub_co_u32 s20, s10, s34
	s_cselect_b32 s21, -1, 0
	s_cmp_lg_u32 s21, 0
	s_sub_co_ci_u32 s21, s11, 0
	s_cmp_ge_u32 s10, s34
	s_cselect_b32 s23, -1, 0
	s_cmp_eq_u32 s11, 0
	s_cselect_b32 s23, s23, -1
	s_delay_alu instid0(SALU_CYCLE_1)
	s_cmp_lg_u32 s23, 0
	s_cselect_b32 s11, s21, s11
	s_cselect_b32 s10, s20, s10
	s_cmp_ge_u32 s7, s34
	s_cselect_b32 s20, -1, 0
	s_cmp_eq_u32 s8, 0
	s_cselect_b32 s20, s20, -1
	s_delay_alu instid0(SALU_CYCLE_1)
	s_cmp_lg_u32 s20, 0
	s_cselect_b32 s11, s11, s8
	s_cselect_b32 s10, s10, s7
	s_cbranch_execnz .LBB168_101
.LBB168_100:                            ;   in Loop: Header=BB168_6 Depth=1
	v_cvt_f32_u32_e32 v2, s34
	s_sub_co_i32 s8, 0, s34
	s_delay_alu instid0(VALU_DEP_1) | instskip(SKIP_1) | instid1(TRANS32_DEP_1)
	v_rcp_iflag_f32_e32 v2, v2
	v_nop
	v_mul_f32_e32 v2, 0x4f7ffffe, v2
	s_delay_alu instid0(VALU_DEP_1) | instskip(NEXT) | instid1(VALU_DEP_1)
	v_cvt_u32_f32_e32 v2, v2
	v_readfirstlane_b32 s7, v2
	s_mul_i32 s8, s8, s7
	s_delay_alu instid0(SALU_CYCLE_1) | instskip(NEXT) | instid1(SALU_CYCLE_1)
	s_mul_hi_u32 s8, s7, s8
	s_add_co_i32 s7, s7, s8
	s_delay_alu instid0(SALU_CYCLE_1) | instskip(NEXT) | instid1(SALU_CYCLE_1)
	s_mul_hi_u32 s7, s56, s7
	s_mul_i32 s7, s7, s34
	s_delay_alu instid0(SALU_CYCLE_1) | instskip(NEXT) | instid1(SALU_CYCLE_1)
	s_sub_co_i32 s7, s56, s7
	s_sub_co_i32 s8, s7, s34
	s_cmp_ge_u32 s7, s34
	s_cselect_b32 s7, s8, s7
	s_delay_alu instid0(SALU_CYCLE_1) | instskip(SKIP_2) | instid1(SALU_CYCLE_1)
	s_sub_co_i32 s8, s7, s34
	s_cmp_ge_u32 s7, s34
	s_cselect_b32 s28, s8, s7
	s_mov_b64 s[10:11], s[28:29]
.LBB168_101:                            ;   in Loop: Header=BB168_6 Depth=1
	s_delay_alu instid0(SALU_CYCLE_1)
	s_sub_nc_u64 s[10:11], s[56:57], s[10:11]
	s_mov_b32 s20, exec_lo
                                        ; implicit-def: $vgpr8
	v_cmpx_gt_u64_e64 s[10:11], v[0:1]
	s_cbranch_execz .LBB168_110
; %bb.102:                              ;   in Loop: Header=BB168_6 Depth=1
	v_mov_b64_e32 v[4:5], v[14:15]
	v_mov_b64_e32 v[6:7], v[0:1]
	s_mov_b32 s21, 0
                                        ; implicit-def: $sgpr23
	s_branch .LBB168_105
.LBB168_103:                            ;   in Loop: Header=BB168_105 Depth=2
	s_or_b32 exec_lo, exec_lo, s28
	s_wait_dscnt 0x0
	s_barrier_signal -1
	s_barrier_wait -1
	ds_load_b32 v2, v3 offset:3072
	s_mov_b32 s28, -1
	s_mov_b32 s48, -1
	s_wait_dscnt 0x0
	s_barrier_signal -1
	s_barrier_wait -1
	v_and_b32_e32 v8, 0xffff, v2
	s_delay_alu instid0(VALU_DEP_1)
	v_cmp_ne_u32_e32 vcc_lo, 0, v8
	s_cbranch_vccz .LBB168_108
.LBB168_104:                            ;   in Loop: Header=BB168_105 Depth=2
	s_and_b32 s7, exec_lo, s28
	s_delay_alu instid0(SALU_CYCLE_1) | instskip(SKIP_2) | instid1(SALU_CYCLE_1)
	s_or_b32 s21, s7, s21
	s_and_not1_b32 s7, s23, exec_lo
	s_and_b32 s8, s48, exec_lo
	s_or_b32 s23, s7, s8
	s_and_not1_b32 exec_lo, exec_lo, s21
	s_cbranch_execz .LBB168_109
.LBB168_105:                            ;   Parent Loop BB168_6 Depth=1
                                        ; =>  This Inner Loop Header: Depth=2
	s_mov_b32 s28, exec_lo
	s_delay_alu instid0(VALU_DEP_1)
	v_cmpx_gt_u64_e64 s[36:37], v[6:7]
	s_cbranch_execz .LBB168_103
; %bb.106:                              ;   in Loop: Header=BB168_105 Depth=2
	global_load_u16 v2, v[4:5], off
	s_wait_loadcnt 0x0
	v_bfe_i32 v8, v2, 0, 16
	s_delay_alu instid0(VALU_DEP_1) | instskip(NEXT) | instid1(VALU_DEP_1)
	v_add_nc_u32_e32 v8, 0x8000, v8
	v_and_b32_e32 v8, v8, v11
	s_delay_alu instid0(VALU_DEP_1)
	v_cmp_eq_u32_e32 vcc_lo, v8, v10
	s_and_b32 exec_lo, exec_lo, vcc_lo
	s_cbranch_execz .LBB168_103
; %bb.107:                              ;   in Loop: Header=BB168_105 Depth=2
	v_perm_b32 v2, v2, 1, 0x5040100
	ds_store_b32 v3, v2 offset:3072
	s_branch .LBB168_103
.LBB168_108:                            ;   in Loop: Header=BB168_105 Depth=2
	v_add_nc_u64_e32 v[6:7], s[34:35], v[6:7]
	v_add_nc_u64_e32 v[4:5], s[40:41], v[4:5]
	s_mov_b32 s48, 0
	s_delay_alu instid0(VALU_DEP_2)
	v_cmp_le_u64_e32 vcc_lo, s[10:11], v[6:7]
	s_or_not1_b32 s28, vcc_lo, exec_lo
	s_branch .LBB168_104
.LBB168_109:                            ;   in Loop: Header=BB168_6 Depth=1
	s_or_b32 exec_lo, exec_lo, s21
	v_lshrrev_b32_e32 v8, 16, v2
	s_and_not1_b32 s7, s22, exec_lo
	s_and_b32 s8, s23, exec_lo
	s_delay_alu instid0(SALU_CYCLE_1)
	s_or_b32 s22, s7, s8
.LBB168_110:                            ;   in Loop: Header=BB168_6 Depth=1
	s_or_b32 exec_lo, exec_lo, s20
	s_mov_b32 s73, 0
	s_mov_b32 s74, -1
.LBB168_111:                            ;   in Loop: Header=BB168_6 Depth=1
	s_or_not1_b32 s10, s22, exec_lo
.LBB168_112:                            ;   in Loop: Header=BB168_6 Depth=1
	s_or_b32 exec_lo, exec_lo, s27
	s_mov_b32 s75, 0
	s_mov_b32 s72, 0
	;; [unrolled: 1-line block ×3, first 2 shown]
                                        ; implicit-def: $vgpr4_vgpr5
                                        ; implicit-def: $vgpr2
	s_and_saveexec_b32 s76, s10
	s_cbranch_execz .LBB168_270
; %bb.113:                              ;   in Loop: Header=BB168_6 Depth=1
	v_mov_b64_e32 v[4:5], 1
	v_mov_b32_e32 v2, 1
	s_xor_b32 s7, s77, -1
	s_mov_b32 s11, 0
	s_and_saveexec_b32 s10, s7
	s_cbranch_execz .LBB168_122
; %bb.114:                              ;   in Loop: Header=BB168_6 Depth=1
	s_mov_b32 s7, exec_lo
	v_cmpx_ge_u64_e64 s[12:13], v[30:31]
	s_xor_b32 s11, exec_lo, s7
	s_cbranch_execz .LBB168_119
; %bb.115:                              ;   in Loop: Header=BB168_6 Depth=1
	ds_load_b64 v[4:5], v3 offset:5120
	v_and_b32_e32 v10, s25, v10
	v_or_b32_e32 v11, s24, v11
	s_wait_dscnt 0x0
	v_cmp_ne_u64_e32 vcc_lo, 0, v[4:5]
	s_cbranch_vccnz .LBB168_119
; %bb.116:                              ;   in Loop: Header=BB168_6 Depth=1
	s_and_saveexec_b32 s20, s5
; %bb.117:                              ;   in Loop: Header=BB168_6 Depth=1
	v_mov_b64_e32 v[4:5], s[12:13]
	ds_store_b64 v3, v[4:5] offset:5128
; %bb.118:                              ;   in Loop: Header=BB168_6 Depth=1
	s_or_b32 exec_lo, exec_lo, s20
	s_wait_dscnt 0x0
	s_barrier_signal -1
	s_barrier_wait -1
.LBB168_119:                            ;   in Loop: Header=BB168_6 Depth=1
	s_or_saveexec_b32 s11, s11
	v_mov_b64_e32 v[4:5], v[30:31]
	v_mov_b32_e32 v2, 8
	s_mov_b32 s20, 0
	s_xor_b32 exec_lo, exec_lo, s11
; %bb.120:                              ;   in Loop: Header=BB168_6 Depth=1
	v_sub_nc_u64_e64 v[4:5], v[30:31], s[12:13]
	v_mov_b32_e32 v2, 0
	s_mov_b32 s20, exec_lo
; %bb.121:                              ;   in Loop: Header=BB168_6 Depth=1
	s_or_b32 exec_lo, exec_lo, s11
	s_delay_alu instid0(SALU_CYCLE_1)
	s_and_b32 s11, s20, exec_lo
.LBB168_122:                            ;   in Loop: Header=BB168_6 Depth=1
	s_or_b32 exec_lo, exec_lo, s10
	s_mov_b32 s10, -1
                                        ; implicit-def: $sgpr72
                                        ; implicit-def: $sgpr77
	s_and_saveexec_b32 s7, s11
	s_delay_alu instid0(SALU_CYCLE_1)
	s_xor_b32 s27, exec_lo, s7
	s_cbranch_execz .LBB168_267
; %bb.123:                              ;   in Loop: Header=BB168_6 Depth=1
	v_cmp_eq_u64_e32 vcc_lo, 1, v[4:5]
	s_cmp_eq_u64 s[14:15], 1
                                        ; implicit-def: $sgpr77
                                        ; implicit-def: $sgpr72
	s_cselect_b32 s10, -1, 0
	s_delay_alu instid0(SALU_CYCLE_1)
	s_and_b32 s79, s10, vcc_lo
	s_mov_b32 s10, -1
	s_and_saveexec_b32 s78, s79
	s_cbranch_execz .LBB168_157
; %bb.124:                              ;   in Loop: Header=BB168_6 Depth=1
	ds_load_b64 v[6:7], v3 offset:5120
	s_wait_dscnt 0x0
	s_barrier_signal -1
	s_barrier_wait -1
	v_readfirstlane_b32 s10, v6
	v_readfirstlane_b32 s11, v7
	s_and_saveexec_b32 s20, s6
; %bb.125:                              ;   in Loop: Header=BB168_6 Depth=1
	ds_store_b16 v40, v3
; %bb.126:                              ;   in Loop: Header=BB168_6 Depth=1
	s_or_b32 exec_lo, exec_lo, s20
	s_lshl_b32 s20, 1, s95
	v_or_b32_e32 v11, s24, v11
	v_and_or_b32 v10, v10, s25, s20
	s_mov_b32 s72, -1
	s_mov_b32 s77, 0
	s_cmp_eq_u64 s[10:11], 0
	s_mov_b32 s22, 0
	s_mov_b32 s23, -1
	s_wait_dscnt 0x0
	s_barrier_signal -1
	s_barrier_wait -1
                                        ; implicit-def: $vgpr8
	s_cbranch_scc1 .LBB168_142
; %bb.127:                              ;   in Loop: Header=BB168_6 Depth=1
	s_add_nc_u64 s[20:21], s[10:11], s[54:55]
	s_delay_alu instid0(SALU_CYCLE_1) | instskip(NEXT) | instid1(SALU_CYCLE_1)
	s_and_b64 s[22:23], s[20:21], 0xffffffff00000000
	s_cmp_lg_u64 s[22:23], 0
	s_cbranch_scc0 .LBB168_183
; %bb.128:                              ;   in Loop: Header=BB168_6 Depth=1
	s_cvt_f32_u32 s22, s34
	s_sub_nc_u64 s[48:49], 0, s[34:35]
	s_delay_alu instid0(SALU_CYCLE_2) | instskip(NEXT) | instid1(SALU_CYCLE_3)
	s_fmamk_f32 s22, s94, 0x0, s22
	v_s_rcp_f32 s22, s22
	s_delay_alu instid0(TRANS32_DEP_1) | instskip(NEXT) | instid1(SALU_CYCLE_3)
	s_mul_f32 s22, s22, 0x5f7ffffc
	s_mul_f32 s23, s22, 0x2f800000
	s_delay_alu instid0(SALU_CYCLE_3) | instskip(NEXT) | instid1(SALU_CYCLE_3)
	s_trunc_f32 s23, s23
	s_fmamk_f32 s22, s23, 0xcf800000, s22
	s_cvt_u32_f32 s23, s23
	s_delay_alu instid0(SALU_CYCLE_2) | instskip(NEXT) | instid1(SALU_CYCLE_3)
	s_cvt_u32_f32 s22, s22
	s_mul_u64 s[50:51], s[48:49], s[22:23]
	s_delay_alu instid0(SALU_CYCLE_1)
	s_mul_hi_u32 s53, s22, s51
	s_mul_i32 s52, s22, s51
	s_mul_hi_u32 s28, s22, s50
	s_mul_i32 s45, s23, s50
	s_add_nc_u64 s[52:53], s[28:29], s[52:53]
	s_mul_hi_u32 s44, s23, s50
	s_mul_hi_u32 s80, s23, s51
	s_add_co_u32 s28, s52, s45
	s_add_co_ci_u32 s28, s53, s44
	s_mul_i32 s50, s23, s51
	s_add_co_ci_u32 s51, s80, 0
	s_delay_alu instid0(SALU_CYCLE_1) | instskip(NEXT) | instid1(SALU_CYCLE_1)
	s_add_nc_u64 s[50:51], s[28:29], s[50:51]
	s_add_co_u32 s22, s22, s50
	s_cselect_b32 s28, -1, 0
	s_delay_alu instid0(SALU_CYCLE_1) | instskip(SKIP_1) | instid1(SALU_CYCLE_1)
	s_cmp_lg_u32 s28, 0
	s_add_co_ci_u32 s23, s23, s51
	s_mul_u64 s[48:49], s[48:49], s[22:23]
	s_delay_alu instid0(SALU_CYCLE_1)
	s_mul_hi_u32 s51, s22, s49
	s_mul_i32 s50, s22, s49
	s_mul_hi_u32 s28, s22, s48
	s_mul_i32 s45, s23, s48
	s_add_nc_u64 s[50:51], s[28:29], s[50:51]
	s_mul_hi_u32 s44, s23, s48
	s_mul_hi_u32 s52, s23, s49
	s_add_co_u32 s28, s50, s45
	s_add_co_ci_u32 s28, s51, s44
	s_mul_i32 s48, s23, s49
	s_add_co_ci_u32 s49, s52, 0
	s_delay_alu instid0(SALU_CYCLE_1) | instskip(NEXT) | instid1(SALU_CYCLE_1)
	s_add_nc_u64 s[48:49], s[28:29], s[48:49]
	s_add_co_u32 s22, s22, s48
	s_cselect_b32 s44, -1, 0
	s_mul_hi_u32 s28, s20, s22
	s_cmp_lg_u32 s44, 0
	s_mul_hi_u32 s44, s21, s22
	s_add_co_ci_u32 s45, s23, s49
	s_mul_i32 s49, s21, s22
	s_mul_hi_u32 s23, s20, s45
	s_mul_i32 s22, s20, s45
	s_mul_hi_u32 s50, s21, s45
	s_add_nc_u64 s[22:23], s[28:29], s[22:23]
	s_mul_i32 s48, s21, s45
	s_add_co_u32 s22, s22, s49
	s_add_co_ci_u32 s28, s23, s44
	s_add_co_ci_u32 s49, s50, 0
	s_delay_alu instid0(SALU_CYCLE_1) | instskip(NEXT) | instid1(SALU_CYCLE_1)
	s_add_nc_u64 s[22:23], s[28:29], s[48:49]
	s_and_b64 s[48:49], s[22:23], 0xffffffff00000000
	s_delay_alu instid0(SALU_CYCLE_1) | instskip(NEXT) | instid1(SALU_CYCLE_1)
	s_or_b32 s48, s48, s22
	s_mul_u64 s[22:23], s[34:35], s[48:49]
	s_delay_alu instid0(SALU_CYCLE_1) | instskip(SKIP_1) | instid1(SALU_CYCLE_1)
	s_sub_co_u32 s22, s20, s22
	s_cselect_b32 s28, -1, 0
	s_cmp_lg_u32 s28, 0
	s_sub_co_ci_u32 s23, s21, s23
	s_sub_co_u32 s28, s22, s34
	s_cselect_b32 s44, -1, 0
	s_delay_alu instid0(SALU_CYCLE_1) | instskip(SKIP_3) | instid1(SALU_CYCLE_1)
	s_cmp_lg_u32 s44, 0
	s_sub_co_ci_u32 s44, s23, 0
	s_sub_co_u32 s45, s28, s34
	s_cselect_b32 s48, -1, 0
	s_cmp_lg_u32 s48, 0
	s_sub_co_ci_u32 s48, s44, 0
	s_cmp_ge_u32 s28, s34
	s_cselect_b32 s49, -1, 0
	s_cmp_eq_u32 s44, 0
	s_cselect_b32 s49, s49, -1
	s_delay_alu instid0(SALU_CYCLE_1)
	s_cmp_lg_u32 s49, 0
	s_cselect_b32 s44, s48, s44
	s_cselect_b32 s28, s45, s28
	s_cmp_ge_u32 s22, s34
	s_cselect_b32 s45, -1, 0
	s_cmp_eq_u32 s23, 0
	s_cselect_b32 s45, s45, -1
	s_delay_alu instid0(SALU_CYCLE_1)
	s_cmp_lg_u32 s45, 0
	s_cselect_b32 s23, s44, s23
	s_cselect_b32 s22, s28, s22
	s_cbranch_execnz .LBB168_130
.LBB168_129:                            ;   in Loop: Header=BB168_6 Depth=1
	v_cvt_f32_u32_e32 v6, s34
	s_sub_co_i32 s23, 0, s34
	s_delay_alu instid0(VALU_DEP_1) | instskip(SKIP_1) | instid1(TRANS32_DEP_1)
	v_rcp_iflag_f32_e32 v6, v6
	v_nop
	v_mul_f32_e32 v6, 0x4f7ffffe, v6
	s_delay_alu instid0(VALU_DEP_1) | instskip(NEXT) | instid1(VALU_DEP_1)
	v_cvt_u32_f32_e32 v6, v6
	v_readfirstlane_b32 s22, v6
	s_mul_i32 s23, s23, s22
	s_delay_alu instid0(SALU_CYCLE_1) | instskip(NEXT) | instid1(SALU_CYCLE_1)
	s_mul_hi_u32 s23, s22, s23
	s_add_co_i32 s22, s22, s23
	s_delay_alu instid0(SALU_CYCLE_1) | instskip(NEXT) | instid1(SALU_CYCLE_1)
	s_mul_hi_u32 s22, s20, s22
	s_mul_i32 s22, s22, s34
	s_delay_alu instid0(SALU_CYCLE_1) | instskip(NEXT) | instid1(SALU_CYCLE_1)
	s_sub_co_i32 s22, s20, s22
	s_sub_co_i32 s23, s22, s34
	s_cmp_ge_u32 s22, s34
	s_cselect_b32 s22, s23, s22
	s_delay_alu instid0(SALU_CYCLE_1) | instskip(SKIP_2) | instid1(SALU_CYCLE_1)
	s_sub_co_i32 s23, s22, s34
	s_cmp_ge_u32 s22, s34
	s_cselect_b32 s28, s23, s22
	s_mov_b64 s[22:23], s[28:29]
.LBB168_130:                            ;   in Loop: Header=BB168_6 Depth=1
	s_delay_alu instid0(SALU_CYCLE_1)
	s_sub_nc_u64 s[20:21], s[20:21], s[22:23]
	s_mov_b32 s23, 0
	s_mov_b32 s22, 0
	s_mov_b32 s28, exec_lo
                                        ; implicit-def: $vgpr8
	v_cmpx_gt_u64_e64 s[20:21], v[0:1]
	s_cbranch_execz .LBB168_141
; %bb.131:                              ;   in Loop: Header=BB168_6 Depth=1
	v_mov_b64_e32 v[6:7], v[0:1]
	v_mov_b32_e32 v8, v38
                                        ; implicit-def: $sgpr48
	s_branch .LBB168_134
.LBB168_132:                            ;   in Loop: Header=BB168_134 Depth=2
	s_or_b32 exec_lo, exec_lo, s49
	s_wait_dscnt 0x0
	s_barrier_signal -1
	s_barrier_wait -1
	ds_load_b32 v9, v3 offset:3072
	s_mov_b32 s49, -1
	s_mov_b32 s50, -1
	s_wait_dscnt 0x0
	s_barrier_signal -1
	s_barrier_wait -1
	v_and_b32_e32 v32, 0xffff, v9
	s_delay_alu instid0(VALU_DEP_1)
	v_cmp_ne_u32_e32 vcc_lo, 0, v32
	s_cbranch_vccz .LBB168_137
.LBB168_133:                            ;   in Loop: Header=BB168_134 Depth=2
	s_and_b32 s7, exec_lo, s49
	s_delay_alu instid0(SALU_CYCLE_1) | instskip(SKIP_2) | instid1(SALU_CYCLE_1)
	s_or_b32 s22, s7, s22
	s_and_not1_b32 s7, s48, exec_lo
	s_and_b32 s8, s50, exec_lo
	s_or_b32 s48, s7, s8
	s_and_not1_b32 exec_lo, exec_lo, s22
	s_cbranch_execz .LBB168_140
.LBB168_134:                            ;   Parent Loop BB168_6 Depth=1
                                        ; =>  This Inner Loop Header: Depth=2
	s_mov_b32 s49, exec_lo
	s_delay_alu instid0(VALU_DEP_2)
	v_cmpx_gt_u64_e64 s[10:11], v[6:7]
	s_cbranch_execz .LBB168_132
; %bb.135:                              ;   in Loop: Header=BB168_134 Depth=2
	ds_load_u16 v9, v8
	s_wait_dscnt 0x0
	v_bfe_i32 v32, v9, 0, 16
	s_delay_alu instid0(VALU_DEP_1) | instskip(NEXT) | instid1(VALU_DEP_1)
	v_add_nc_u32_e32 v32, 0x8000, v32
	v_and_b32_e32 v32, v32, v11
	s_delay_alu instid0(VALU_DEP_1)
	v_cmp_eq_u32_e32 vcc_lo, v32, v10
	s_and_b32 exec_lo, exec_lo, vcc_lo
	s_cbranch_execz .LBB168_132
; %bb.136:                              ;   in Loop: Header=BB168_134 Depth=2
	v_perm_b32 v9, v9, 1, 0x5040100
	ds_store_b32 v3, v9 offset:3072
	s_branch .LBB168_132
.LBB168_137:                            ;   in Loop: Header=BB168_134 Depth=2
	v_add_nc_u64_e32 v[6:7], s[34:35], v[6:7]
	v_add_nc_u32_e32 v8, s93, v8
	s_mov_b32 s50, 0
	s_delay_alu instid0(VALU_DEP_2)
	v_cmp_le_u64_e32 vcc_lo, s[20:21], v[6:7]
	s_or_not1_b32 s49, vcc_lo, exec_lo
	s_branch .LBB168_133
.LBB168_138:                            ;   in Loop: Header=BB168_6 Depth=1
                                        ; implicit-def: $sgpr22_sgpr23
	s_branch .LBB168_83
.LBB168_139:                            ;   in Loop: Header=BB168_6 Depth=1
                                        ; implicit-def: $sgpr10_sgpr11
	s_branch .LBB168_100
.LBB168_140:                            ;   in Loop: Header=BB168_6 Depth=1
	s_or_b32 exec_lo, exec_lo, s22
	v_lshrrev_b32_e32 v8, 16, v9
	s_and_b32 s22, s48, exec_lo
.LBB168_141:                            ;   in Loop: Header=BB168_6 Depth=1
	s_or_b32 exec_lo, exec_lo, s28
.LBB168_142:                            ;   in Loop: Header=BB168_6 Depth=1
	s_delay_alu instid0(SALU_CYCLE_1)
	s_and_b32 vcc_lo, exec_lo, s23
	s_cbranch_vccz .LBB168_156
; %bb.143:                              ;   in Loop: Header=BB168_6 Depth=1
	s_and_b64 s[10:11], s[56:57], 0xffffffff00000000
	s_delay_alu instid0(SALU_CYCLE_1)
	s_cmp_lg_u64 s[10:11], 0
	s_cbranch_scc0 .LBB168_184
; %bb.144:                              ;   in Loop: Header=BB168_6 Depth=1
	s_cvt_f32_u32 s10, s34
	s_sub_nc_u64 s[20:21], 0, s[34:35]
	s_delay_alu instid0(SALU_CYCLE_2) | instskip(NEXT) | instid1(SALU_CYCLE_3)
	s_fmamk_f32 s10, s94, 0x0, s10
	v_s_rcp_f32 s10, s10
	s_delay_alu instid0(TRANS32_DEP_1) | instskip(NEXT) | instid1(SALU_CYCLE_3)
	s_mul_f32 s10, s10, 0x5f7ffffc
	s_mul_f32 s11, s10, 0x2f800000
	s_delay_alu instid0(SALU_CYCLE_3) | instskip(NEXT) | instid1(SALU_CYCLE_3)
	s_trunc_f32 s11, s11
	s_fmamk_f32 s10, s11, 0xcf800000, s10
	s_cvt_u32_f32 s11, s11
	s_delay_alu instid0(SALU_CYCLE_2) | instskip(NEXT) | instid1(SALU_CYCLE_3)
	s_cvt_u32_f32 s10, s10
	s_mul_u64 s[48:49], s[20:21], s[10:11]
	s_delay_alu instid0(SALU_CYCLE_1)
	s_mul_hi_u32 s51, s10, s49
	s_mul_i32 s50, s10, s49
	s_mul_hi_u32 s28, s10, s48
	s_mul_i32 s44, s11, s48
	s_add_nc_u64 s[50:51], s[28:29], s[50:51]
	s_mul_hi_u32 s23, s11, s48
	s_mul_hi_u32 s45, s11, s49
	s_add_co_u32 s28, s50, s44
	s_add_co_ci_u32 s28, s51, s23
	s_mul_i32 s48, s11, s49
	s_add_co_ci_u32 s49, s45, 0
	s_delay_alu instid0(SALU_CYCLE_1) | instskip(NEXT) | instid1(SALU_CYCLE_1)
	s_add_nc_u64 s[48:49], s[28:29], s[48:49]
	s_add_co_u32 s10, s10, s48
	s_cselect_b32 s23, -1, 0
	s_delay_alu instid0(SALU_CYCLE_1) | instskip(SKIP_1) | instid1(SALU_CYCLE_1)
	s_cmp_lg_u32 s23, 0
	s_add_co_ci_u32 s11, s11, s49
	s_mul_u64 s[20:21], s[20:21], s[10:11]
	s_delay_alu instid0(SALU_CYCLE_1)
	s_mul_hi_u32 s49, s10, s21
	s_mul_i32 s48, s10, s21
	s_mul_hi_u32 s28, s10, s20
	s_mul_i32 s44, s11, s20
	s_add_nc_u64 s[48:49], s[28:29], s[48:49]
	s_mul_hi_u32 s23, s11, s20
	s_mul_hi_u32 s45, s11, s21
	s_mul_i32 s20, s11, s21
	s_add_co_u32 s21, s48, s44
	s_add_co_ci_u32 s28, s49, s23
	s_add_co_ci_u32 s21, s45, 0
	s_delay_alu instid0(SALU_CYCLE_1) | instskip(NEXT) | instid1(SALU_CYCLE_1)
	s_add_nc_u64 s[20:21], s[28:29], s[20:21]
	s_add_co_u32 s10, s10, s20
	s_cselect_b32 s20, -1, 0
	s_mul_hi_u32 s28, s56, s10
	s_cmp_lg_u32 s20, 0
	s_mul_hi_u32 s23, s57, s10
	s_add_co_ci_u32 s20, s11, s21
	s_mul_i32 s21, s57, s10
	s_mul_hi_u32 s11, s56, s20
	s_mul_i32 s10, s56, s20
	s_mul_hi_u32 s44, s57, s20
	s_add_nc_u64 s[10:11], s[28:29], s[10:11]
	s_mul_i32 s20, s57, s20
	s_add_co_u32 s10, s10, s21
	s_add_co_ci_u32 s28, s11, s23
	s_add_co_ci_u32 s21, s44, 0
	s_delay_alu instid0(SALU_CYCLE_1) | instskip(NEXT) | instid1(SALU_CYCLE_1)
	s_add_nc_u64 s[10:11], s[28:29], s[20:21]
	s_and_b64 s[20:21], s[10:11], 0xffffffff00000000
	s_delay_alu instid0(SALU_CYCLE_1) | instskip(NEXT) | instid1(SALU_CYCLE_1)
	s_or_b32 s20, s20, s10
	s_mul_u64 s[10:11], s[34:35], s[20:21]
	s_delay_alu instid0(SALU_CYCLE_1) | instskip(SKIP_1) | instid1(SALU_CYCLE_1)
	s_sub_co_u32 s10, s56, s10
	s_cselect_b32 s20, -1, 0
	s_cmp_lg_u32 s20, 0
	s_sub_co_ci_u32 s11, s57, s11
	s_sub_co_u32 s20, s10, s34
	s_cselect_b32 s21, -1, 0
	s_delay_alu instid0(SALU_CYCLE_1) | instskip(SKIP_3) | instid1(SALU_CYCLE_1)
	s_cmp_lg_u32 s21, 0
	s_sub_co_ci_u32 s21, s11, 0
	s_sub_co_u32 s23, s20, s34
	s_cselect_b32 s28, -1, 0
	s_cmp_lg_u32 s28, 0
	s_sub_co_ci_u32 s28, s21, 0
	s_cmp_ge_u32 s20, s34
	s_cselect_b32 s44, -1, 0
	s_cmp_eq_u32 s21, 0
	s_cselect_b32 s44, s44, -1
	s_delay_alu instid0(SALU_CYCLE_1)
	s_cmp_lg_u32 s44, 0
	s_cselect_b32 s21, s28, s21
	s_cselect_b32 s20, s23, s20
	s_cmp_ge_u32 s10, s34
	s_cselect_b32 s23, -1, 0
	s_cmp_eq_u32 s11, 0
	s_cselect_b32 s23, s23, -1
	s_delay_alu instid0(SALU_CYCLE_1)
	s_cmp_lg_u32 s23, 0
	s_cselect_b32 s11, s21, s11
	s_cselect_b32 s10, s20, s10
	s_cbranch_execnz .LBB168_146
.LBB168_145:                            ;   in Loop: Header=BB168_6 Depth=1
	v_cvt_f32_u32_e32 v6, s34
	s_sub_co_i32 s11, 0, s34
	s_delay_alu instid0(VALU_DEP_1) | instskip(SKIP_1) | instid1(TRANS32_DEP_1)
	v_rcp_iflag_f32_e32 v6, v6
	v_nop
	v_mul_f32_e32 v6, 0x4f7ffffe, v6
	s_delay_alu instid0(VALU_DEP_1) | instskip(NEXT) | instid1(VALU_DEP_1)
	v_cvt_u32_f32_e32 v6, v6
	v_readfirstlane_b32 s10, v6
	s_mul_i32 s11, s11, s10
	s_delay_alu instid0(SALU_CYCLE_1) | instskip(NEXT) | instid1(SALU_CYCLE_1)
	s_mul_hi_u32 s11, s10, s11
	s_add_co_i32 s10, s10, s11
	s_delay_alu instid0(SALU_CYCLE_1) | instskip(NEXT) | instid1(SALU_CYCLE_1)
	s_mul_hi_u32 s10, s56, s10
	s_mul_i32 s10, s10, s34
	s_delay_alu instid0(SALU_CYCLE_1) | instskip(NEXT) | instid1(SALU_CYCLE_1)
	s_sub_co_i32 s10, s56, s10
	s_sub_co_i32 s11, s10, s34
	s_cmp_ge_u32 s10, s34
	s_cselect_b32 s10, s11, s10
	s_delay_alu instid0(SALU_CYCLE_1) | instskip(SKIP_2) | instid1(SALU_CYCLE_1)
	s_sub_co_i32 s11, s10, s34
	s_cmp_ge_u32 s10, s34
	s_cselect_b32 s28, s11, s10
	s_mov_b64 s[10:11], s[28:29]
.LBB168_146:                            ;   in Loop: Header=BB168_6 Depth=1
	s_delay_alu instid0(SALU_CYCLE_1)
	s_sub_nc_u64 s[10:11], s[56:57], s[10:11]
	s_mov_b32 s20, exec_lo
                                        ; implicit-def: $vgpr8
	v_nop
	v_cmpx_gt_u64_e64 s[10:11], v[0:1]
	s_cbranch_execz .LBB168_155
; %bb.147:                              ;   in Loop: Header=BB168_6 Depth=1
	v_mov_b64_e32 v[6:7], v[14:15]
	v_mov_b64_e32 v[8:9], v[0:1]
	s_mov_b32 s21, 0
                                        ; implicit-def: $sgpr23
	s_branch .LBB168_150
.LBB168_148:                            ;   in Loop: Header=BB168_150 Depth=2
	s_or_b32 exec_lo, exec_lo, s28
	s_wait_dscnt 0x0
	s_barrier_signal -1
	s_barrier_wait -1
	ds_load_b32 v32, v3 offset:3072
	s_mov_b32 s28, -1
	s_mov_b32 s48, -1
	s_wait_dscnt 0x0
	s_barrier_signal -1
	s_barrier_wait -1
	v_and_b32_e32 v33, 0xffff, v32
	s_delay_alu instid0(VALU_DEP_1)
	v_cmp_eq_u32_e32 vcc_lo, 0, v33
	s_cbranch_vccnz .LBB168_153
.LBB168_149:                            ;   in Loop: Header=BB168_150 Depth=2
	s_and_b32 s7, exec_lo, s28
	s_delay_alu instid0(SALU_CYCLE_1) | instskip(SKIP_2) | instid1(SALU_CYCLE_1)
	s_or_b32 s21, s7, s21
	s_and_not1_b32 s7, s23, exec_lo
	s_and_b32 s8, s48, exec_lo
	s_or_b32 s23, s7, s8
	s_and_not1_b32 exec_lo, exec_lo, s21
	s_cbranch_execz .LBB168_154
.LBB168_150:                            ;   Parent Loop BB168_6 Depth=1
                                        ; =>  This Inner Loop Header: Depth=2
	s_mov_b32 s28, exec_lo
	s_delay_alu instid0(VALU_DEP_1)
	v_cmpx_gt_u64_e64 s[36:37], v[8:9]
	s_cbranch_execz .LBB168_148
; %bb.151:                              ;   in Loop: Header=BB168_150 Depth=2
	global_load_u16 v32, v[6:7], off
	s_wait_loadcnt 0x0
	v_bfe_i32 v33, v32, 0, 16
	s_delay_alu instid0(VALU_DEP_1) | instskip(NEXT) | instid1(VALU_DEP_1)
	v_add_nc_u32_e32 v33, 0x8000, v33
	v_and_b32_e32 v33, v33, v11
	s_delay_alu instid0(VALU_DEP_1)
	v_cmp_eq_u32_e32 vcc_lo, v33, v10
	s_and_b32 exec_lo, exec_lo, vcc_lo
	s_cbranch_execz .LBB168_148
; %bb.152:                              ;   in Loop: Header=BB168_150 Depth=2
	v_perm_b32 v32, v32, 1, 0x5040100
	ds_store_b32 v3, v32 offset:3072
	s_branch .LBB168_148
.LBB168_153:                            ;   in Loop: Header=BB168_150 Depth=2
	v_add_nc_u64_e32 v[8:9], s[34:35], v[8:9]
	v_add_nc_u64_e32 v[6:7], s[40:41], v[6:7]
	s_mov_b32 s48, 0
	s_delay_alu instid0(VALU_DEP_2)
	v_cmp_le_u64_e32 vcc_lo, s[10:11], v[8:9]
	s_or_not1_b32 s28, vcc_lo, exec_lo
	s_branch .LBB168_149
.LBB168_154:                            ;   in Loop: Header=BB168_6 Depth=1
	s_or_b32 exec_lo, exec_lo, s21
	v_lshrrev_b32_e32 v8, 16, v32
	s_and_not1_b32 s7, s22, exec_lo
	s_and_b32 s8, s23, exec_lo
	s_delay_alu instid0(SALU_CYCLE_1)
	s_or_b32 s22, s7, s8
.LBB168_155:                            ;   in Loop: Header=BB168_6 Depth=1
	s_or_b32 exec_lo, exec_lo, s20
	s_mov_b32 s72, 0
	s_mov_b32 s77, -1
.LBB168_156:                            ;   in Loop: Header=BB168_6 Depth=1
	s_or_not1_b32 s10, s22, exec_lo
.LBB168_157:                            ;   in Loop: Header=BB168_6 Depth=1
	s_or_b32 exec_lo, exec_lo, s78
	s_mov_b32 s11, 0
	s_and_saveexec_b32 s78, s10
	s_cbranch_execz .LBB168_266
; %bb.158:                              ;   in Loop: Header=BB168_6 Depth=1
	v_mov_b64_e32 v[6:7], 1
	v_mov_b32_e32 v2, 1
	s_xor_b32 s20, s79, -1
	s_delay_alu instid0(SALU_CYCLE_1)
	s_and_saveexec_b32 s10, s20
	s_cbranch_execz .LBB168_167
; %bb.159:                              ;   in Loop: Header=BB168_6 Depth=1
	s_mov_b32 s11, exec_lo
	v_cmpx_ge_u64_e64 s[14:15], v[4:5]
	s_xor_b32 s11, exec_lo, s11
	s_cbranch_execz .LBB168_164
; %bb.160:                              ;   in Loop: Header=BB168_6 Depth=1
	ds_load_b64 v[6:7], v3 offset:5120
	s_lshl_b32 s20, 1, s95
	v_or_b32_e32 v11, s24, v11
	v_and_or_b32 v10, v10, s25, s20
	s_wait_dscnt 0x0
	v_cmp_ne_u64_e32 vcc_lo, 0, v[6:7]
	s_cbranch_vccnz .LBB168_164
; %bb.161:                              ;   in Loop: Header=BB168_6 Depth=1
	s_and_saveexec_b32 s20, s5
; %bb.162:                              ;   in Loop: Header=BB168_6 Depth=1
	v_mov_b64_e32 v[6:7], s[14:15]
	ds_store_b64 v3, v[6:7] offset:5128
; %bb.163:                              ;   in Loop: Header=BB168_6 Depth=1
	s_or_b32 exec_lo, exec_lo, s20
	s_wait_dscnt 0x0
	s_barrier_signal -1
	s_barrier_wait -1
.LBB168_164:                            ;   in Loop: Header=BB168_6 Depth=1
	s_or_saveexec_b32 s11, s11
	v_mov_b32_e32 v2, 8
	s_mov_b32 s20, 0
	s_xor_b32 exec_lo, exec_lo, s11
; %bb.165:                              ;   in Loop: Header=BB168_6 Depth=1
	v_sub_nc_u64_e64 v[4:5], v[4:5], s[14:15]
	v_mov_b32_e32 v2, 0
	s_mov_b32 s20, exec_lo
; %bb.166:                              ;   in Loop: Header=BB168_6 Depth=1
	s_or_b32 exec_lo, exec_lo, s11
	s_delay_alu instid0(VALU_DEP_2)
	v_mov_b64_e32 v[6:7], v[4:5]
	s_and_b32 s11, s20, exec_lo
.LBB168_167:                            ;   in Loop: Header=BB168_6 Depth=1
	s_or_b32 exec_lo, exec_lo, s10
	s_mov_b32 s10, -1
                                        ; implicit-def: $sgpr80
                                        ; implicit-def: $sgpr81
	s_and_saveexec_b32 s79, s11
	s_cbranch_execz .LBB168_265
; %bb.168:                              ;   in Loop: Header=BB168_6 Depth=1
	s_delay_alu instid0(VALU_DEP_1) | instskip(SKIP_2) | instid1(SALU_CYCLE_1)
	v_cmp_eq_u64_e32 vcc_lo, 1, v[6:7]
	s_cmp_eq_u64 s[16:17], 1
                                        ; implicit-def: $sgpr81
                                        ; implicit-def: $sgpr80
	s_cselect_b32 s10, -1, 0
	s_and_b32 s83, s10, vcc_lo
	s_mov_b32 s10, -1
	s_and_saveexec_b32 s82, s83
	s_cbranch_execz .LBB168_202
; %bb.169:                              ;   in Loop: Header=BB168_6 Depth=1
	ds_load_b64 v[4:5], v3 offset:5120
	s_wait_dscnt 0x0
	s_barrier_signal -1
	s_barrier_wait -1
	v_readfirstlane_b32 s10, v4
	v_readfirstlane_b32 s11, v5
	s_and_saveexec_b32 s20, s6
; %bb.170:                              ;   in Loop: Header=BB168_6 Depth=1
	ds_store_b16 v40, v3
; %bb.171:                              ;   in Loop: Header=BB168_6 Depth=1
	s_or_b32 exec_lo, exec_lo, s20
	s_lshl_b32 s20, 2, s95
	v_or_b32_e32 v11, s24, v11
	v_and_or_b32 v10, v10, s25, s20
	s_mov_b32 s80, -1
	s_mov_b32 s81, 0
	s_cmp_eq_u64 s[10:11], 0
	s_mov_b32 s22, 0
	s_mov_b32 s23, -1
	s_wait_dscnt 0x0
	s_barrier_signal -1
	s_barrier_wait -1
                                        ; implicit-def: $vgpr8
	s_cbranch_scc1 .LBB168_187
; %bb.172:                              ;   in Loop: Header=BB168_6 Depth=1
	s_add_nc_u64 s[20:21], s[10:11], s[54:55]
	s_delay_alu instid0(SALU_CYCLE_1) | instskip(NEXT) | instid1(SALU_CYCLE_1)
	s_and_b64 s[22:23], s[20:21], 0xffffffff00000000
	s_cmp_lg_u64 s[22:23], 0
	s_cbranch_scc0 .LBB168_219
; %bb.173:                              ;   in Loop: Header=BB168_6 Depth=1
	s_cvt_f32_u32 s22, s34
	s_sub_nc_u64 s[48:49], 0, s[34:35]
	s_delay_alu instid0(SALU_CYCLE_2) | instskip(NEXT) | instid1(SALU_CYCLE_3)
	s_fmamk_f32 s22, s94, 0x0, s22
	v_s_rcp_f32 s22, s22
	s_delay_alu instid0(TRANS32_DEP_1) | instskip(NEXT) | instid1(SALU_CYCLE_3)
	s_mul_f32 s22, s22, 0x5f7ffffc
	s_mul_f32 s23, s22, 0x2f800000
	s_delay_alu instid0(SALU_CYCLE_3) | instskip(NEXT) | instid1(SALU_CYCLE_3)
	s_trunc_f32 s23, s23
	s_fmamk_f32 s22, s23, 0xcf800000, s22
	s_cvt_u32_f32 s23, s23
	s_delay_alu instid0(SALU_CYCLE_2) | instskip(NEXT) | instid1(SALU_CYCLE_3)
	s_cvt_u32_f32 s22, s22
	s_mul_u64 s[50:51], s[48:49], s[22:23]
	s_delay_alu instid0(SALU_CYCLE_1)
	s_mul_hi_u32 s53, s22, s51
	s_mul_i32 s52, s22, s51
	s_mul_hi_u32 s28, s22, s50
	s_mul_i32 s45, s23, s50
	s_add_nc_u64 s[52:53], s[28:29], s[52:53]
	s_mul_hi_u32 s44, s23, s50
	s_mul_hi_u32 s84, s23, s51
	s_add_co_u32 s28, s52, s45
	s_add_co_ci_u32 s28, s53, s44
	s_mul_i32 s50, s23, s51
	s_add_co_ci_u32 s51, s84, 0
	s_delay_alu instid0(SALU_CYCLE_1) | instskip(NEXT) | instid1(SALU_CYCLE_1)
	s_add_nc_u64 s[50:51], s[28:29], s[50:51]
	s_add_co_u32 s22, s22, s50
	s_cselect_b32 s28, -1, 0
	s_delay_alu instid0(SALU_CYCLE_1) | instskip(SKIP_1) | instid1(SALU_CYCLE_1)
	s_cmp_lg_u32 s28, 0
	s_add_co_ci_u32 s23, s23, s51
	s_mul_u64 s[48:49], s[48:49], s[22:23]
	s_delay_alu instid0(SALU_CYCLE_1)
	s_mul_hi_u32 s51, s22, s49
	s_mul_i32 s50, s22, s49
	s_mul_hi_u32 s28, s22, s48
	s_mul_i32 s45, s23, s48
	s_add_nc_u64 s[50:51], s[28:29], s[50:51]
	s_mul_hi_u32 s44, s23, s48
	s_mul_hi_u32 s52, s23, s49
	s_add_co_u32 s28, s50, s45
	s_add_co_ci_u32 s28, s51, s44
	s_mul_i32 s48, s23, s49
	s_add_co_ci_u32 s49, s52, 0
	s_delay_alu instid0(SALU_CYCLE_1) | instskip(NEXT) | instid1(SALU_CYCLE_1)
	s_add_nc_u64 s[48:49], s[28:29], s[48:49]
	s_add_co_u32 s22, s22, s48
	s_cselect_b32 s44, -1, 0
	s_mul_hi_u32 s28, s20, s22
	s_cmp_lg_u32 s44, 0
	s_mul_hi_u32 s44, s21, s22
	s_add_co_ci_u32 s45, s23, s49
	s_mul_i32 s49, s21, s22
	s_mul_hi_u32 s23, s20, s45
	s_mul_i32 s22, s20, s45
	s_mul_hi_u32 s50, s21, s45
	s_add_nc_u64 s[22:23], s[28:29], s[22:23]
	s_mul_i32 s48, s21, s45
	s_add_co_u32 s22, s22, s49
	s_add_co_ci_u32 s28, s23, s44
	s_add_co_ci_u32 s49, s50, 0
	s_delay_alu instid0(SALU_CYCLE_1) | instskip(NEXT) | instid1(SALU_CYCLE_1)
	s_add_nc_u64 s[22:23], s[28:29], s[48:49]
	s_and_b64 s[48:49], s[22:23], 0xffffffff00000000
	s_delay_alu instid0(SALU_CYCLE_1) | instskip(NEXT) | instid1(SALU_CYCLE_1)
	s_or_b32 s48, s48, s22
	s_mul_u64 s[22:23], s[34:35], s[48:49]
	s_delay_alu instid0(SALU_CYCLE_1) | instskip(SKIP_1) | instid1(SALU_CYCLE_1)
	s_sub_co_u32 s22, s20, s22
	s_cselect_b32 s28, -1, 0
	s_cmp_lg_u32 s28, 0
	s_sub_co_ci_u32 s23, s21, s23
	s_sub_co_u32 s28, s22, s34
	s_cselect_b32 s44, -1, 0
	s_delay_alu instid0(SALU_CYCLE_1) | instskip(SKIP_3) | instid1(SALU_CYCLE_1)
	s_cmp_lg_u32 s44, 0
	s_sub_co_ci_u32 s44, s23, 0
	s_sub_co_u32 s45, s28, s34
	s_cselect_b32 s48, -1, 0
	s_cmp_lg_u32 s48, 0
	s_sub_co_ci_u32 s48, s44, 0
	s_cmp_ge_u32 s28, s34
	s_cselect_b32 s49, -1, 0
	s_cmp_eq_u32 s44, 0
	s_cselect_b32 s49, s49, -1
	s_delay_alu instid0(SALU_CYCLE_1)
	s_cmp_lg_u32 s49, 0
	s_cselect_b32 s44, s48, s44
	s_cselect_b32 s28, s45, s28
	s_cmp_ge_u32 s22, s34
	s_cselect_b32 s45, -1, 0
	s_cmp_eq_u32 s23, 0
	s_cselect_b32 s45, s45, -1
	s_delay_alu instid0(SALU_CYCLE_1)
	s_cmp_lg_u32 s45, 0
	s_cselect_b32 s23, s44, s23
	s_cselect_b32 s22, s28, s22
	s_cbranch_execnz .LBB168_175
.LBB168_174:                            ;   in Loop: Header=BB168_6 Depth=1
	v_cvt_f32_u32_e32 v4, s34
	s_sub_co_i32 s23, 0, s34
	s_delay_alu instid0(VALU_DEP_1) | instskip(SKIP_1) | instid1(TRANS32_DEP_1)
	v_rcp_iflag_f32_e32 v4, v4
	v_nop
	v_mul_f32_e32 v4, 0x4f7ffffe, v4
	s_delay_alu instid0(VALU_DEP_1) | instskip(NEXT) | instid1(VALU_DEP_1)
	v_cvt_u32_f32_e32 v4, v4
	v_readfirstlane_b32 s22, v4
	s_mul_i32 s23, s23, s22
	s_delay_alu instid0(SALU_CYCLE_1) | instskip(NEXT) | instid1(SALU_CYCLE_1)
	s_mul_hi_u32 s23, s22, s23
	s_add_co_i32 s22, s22, s23
	s_delay_alu instid0(SALU_CYCLE_1) | instskip(NEXT) | instid1(SALU_CYCLE_1)
	s_mul_hi_u32 s22, s20, s22
	s_mul_i32 s22, s22, s34
	s_delay_alu instid0(SALU_CYCLE_1) | instskip(NEXT) | instid1(SALU_CYCLE_1)
	s_sub_co_i32 s22, s20, s22
	s_sub_co_i32 s23, s22, s34
	s_cmp_ge_u32 s22, s34
	s_cselect_b32 s22, s23, s22
	s_delay_alu instid0(SALU_CYCLE_1) | instskip(SKIP_2) | instid1(SALU_CYCLE_1)
	s_sub_co_i32 s23, s22, s34
	s_cmp_ge_u32 s22, s34
	s_cselect_b32 s28, s23, s22
	s_mov_b64 s[22:23], s[28:29]
.LBB168_175:                            ;   in Loop: Header=BB168_6 Depth=1
	s_delay_alu instid0(SALU_CYCLE_1)
	s_sub_nc_u64 s[20:21], s[20:21], s[22:23]
	s_mov_b32 s23, 0
	s_mov_b32 s22, 0
	s_mov_b32 s28, exec_lo
                                        ; implicit-def: $vgpr8
	v_cmpx_gt_u64_e64 s[20:21], v[0:1]
	s_cbranch_execz .LBB168_186
; %bb.176:                              ;   in Loop: Header=BB168_6 Depth=1
	v_mov_b64_e32 v[4:5], v[0:1]
	v_mov_b32_e32 v8, v38
                                        ; implicit-def: $sgpr48
	s_branch .LBB168_179
.LBB168_177:                            ;   in Loop: Header=BB168_179 Depth=2
	s_or_b32 exec_lo, exec_lo, s49
	s_wait_dscnt 0x0
	s_barrier_signal -1
	s_barrier_wait -1
	ds_load_b32 v9, v3 offset:3072
	s_mov_b32 s49, -1
	s_mov_b32 s50, -1
	s_wait_dscnt 0x0
	s_barrier_signal -1
	s_barrier_wait -1
	v_and_b32_e32 v32, 0xffff, v9
	s_delay_alu instid0(VALU_DEP_1)
	v_cmp_ne_u32_e32 vcc_lo, 0, v32
	s_cbranch_vccz .LBB168_182
.LBB168_178:                            ;   in Loop: Header=BB168_179 Depth=2
	s_and_b32 s7, exec_lo, s49
	s_delay_alu instid0(SALU_CYCLE_1) | instskip(SKIP_2) | instid1(SALU_CYCLE_1)
	s_or_b32 s22, s7, s22
	s_and_not1_b32 s7, s48, exec_lo
	s_and_b32 s8, s50, exec_lo
	s_or_b32 s48, s7, s8
	s_and_not1_b32 exec_lo, exec_lo, s22
	s_cbranch_execz .LBB168_185
.LBB168_179:                            ;   Parent Loop BB168_6 Depth=1
                                        ; =>  This Inner Loop Header: Depth=2
	s_mov_b32 s49, exec_lo
	s_delay_alu instid0(VALU_DEP_2)
	v_cmpx_gt_u64_e64 s[10:11], v[4:5]
	s_cbranch_execz .LBB168_177
; %bb.180:                              ;   in Loop: Header=BB168_179 Depth=2
	ds_load_u16 v9, v8
	s_wait_dscnt 0x0
	v_bfe_i32 v32, v9, 0, 16
	s_delay_alu instid0(VALU_DEP_1) | instskip(NEXT) | instid1(VALU_DEP_1)
	v_add_nc_u32_e32 v32, 0x8000, v32
	v_and_b32_e32 v32, v32, v11
	s_delay_alu instid0(VALU_DEP_1)
	v_cmp_eq_u32_e32 vcc_lo, v32, v10
	s_and_b32 exec_lo, exec_lo, vcc_lo
	s_cbranch_execz .LBB168_177
; %bb.181:                              ;   in Loop: Header=BB168_179 Depth=2
	v_perm_b32 v9, v9, 1, 0x5040100
	ds_store_b32 v3, v9 offset:3072
	s_branch .LBB168_177
.LBB168_182:                            ;   in Loop: Header=BB168_179 Depth=2
	v_add_nc_u64_e32 v[4:5], s[34:35], v[4:5]
	v_add_nc_u32_e32 v8, s93, v8
	s_mov_b32 s50, 0
	s_delay_alu instid0(VALU_DEP_2)
	v_cmp_le_u64_e32 vcc_lo, s[20:21], v[4:5]
	s_or_not1_b32 s49, vcc_lo, exec_lo
	s_branch .LBB168_178
.LBB168_183:                            ;   in Loop: Header=BB168_6 Depth=1
                                        ; implicit-def: $sgpr22_sgpr23
	s_branch .LBB168_129
.LBB168_184:                            ;   in Loop: Header=BB168_6 Depth=1
                                        ; implicit-def: $sgpr10_sgpr11
	s_branch .LBB168_145
.LBB168_185:                            ;   in Loop: Header=BB168_6 Depth=1
	s_or_b32 exec_lo, exec_lo, s22
	v_lshrrev_b32_e32 v8, 16, v9
	s_and_b32 s22, s48, exec_lo
.LBB168_186:                            ;   in Loop: Header=BB168_6 Depth=1
	s_or_b32 exec_lo, exec_lo, s28
.LBB168_187:                            ;   in Loop: Header=BB168_6 Depth=1
	s_delay_alu instid0(SALU_CYCLE_1)
	s_and_b32 vcc_lo, exec_lo, s23
	s_cbranch_vccz .LBB168_201
; %bb.188:                              ;   in Loop: Header=BB168_6 Depth=1
	s_and_b64 s[10:11], s[56:57], 0xffffffff00000000
	s_delay_alu instid0(SALU_CYCLE_1)
	s_cmp_lg_u64 s[10:11], 0
	s_cbranch_scc0 .LBB168_220
; %bb.189:                              ;   in Loop: Header=BB168_6 Depth=1
	s_cvt_f32_u32 s10, s34
	s_sub_nc_u64 s[20:21], 0, s[34:35]
	s_delay_alu instid0(SALU_CYCLE_2) | instskip(NEXT) | instid1(SALU_CYCLE_3)
	s_fmamk_f32 s10, s94, 0x0, s10
	v_s_rcp_f32 s10, s10
	s_delay_alu instid0(TRANS32_DEP_1) | instskip(NEXT) | instid1(SALU_CYCLE_3)
	s_mul_f32 s10, s10, 0x5f7ffffc
	s_mul_f32 s11, s10, 0x2f800000
	s_delay_alu instid0(SALU_CYCLE_3) | instskip(NEXT) | instid1(SALU_CYCLE_3)
	s_trunc_f32 s11, s11
	s_fmamk_f32 s10, s11, 0xcf800000, s10
	s_cvt_u32_f32 s11, s11
	s_delay_alu instid0(SALU_CYCLE_2) | instskip(NEXT) | instid1(SALU_CYCLE_3)
	s_cvt_u32_f32 s10, s10
	s_mul_u64 s[48:49], s[20:21], s[10:11]
	s_delay_alu instid0(SALU_CYCLE_1)
	s_mul_hi_u32 s51, s10, s49
	s_mul_i32 s50, s10, s49
	s_mul_hi_u32 s28, s10, s48
	s_mul_i32 s44, s11, s48
	s_add_nc_u64 s[50:51], s[28:29], s[50:51]
	s_mul_hi_u32 s23, s11, s48
	s_mul_hi_u32 s45, s11, s49
	s_add_co_u32 s28, s50, s44
	s_add_co_ci_u32 s28, s51, s23
	s_mul_i32 s48, s11, s49
	s_add_co_ci_u32 s49, s45, 0
	s_delay_alu instid0(SALU_CYCLE_1) | instskip(NEXT) | instid1(SALU_CYCLE_1)
	s_add_nc_u64 s[48:49], s[28:29], s[48:49]
	s_add_co_u32 s10, s10, s48
	s_cselect_b32 s23, -1, 0
	s_delay_alu instid0(SALU_CYCLE_1) | instskip(SKIP_1) | instid1(SALU_CYCLE_1)
	s_cmp_lg_u32 s23, 0
	s_add_co_ci_u32 s11, s11, s49
	s_mul_u64 s[20:21], s[20:21], s[10:11]
	s_delay_alu instid0(SALU_CYCLE_1)
	s_mul_hi_u32 s49, s10, s21
	s_mul_i32 s48, s10, s21
	s_mul_hi_u32 s28, s10, s20
	s_mul_i32 s44, s11, s20
	s_add_nc_u64 s[48:49], s[28:29], s[48:49]
	s_mul_hi_u32 s23, s11, s20
	s_mul_hi_u32 s45, s11, s21
	s_mul_i32 s20, s11, s21
	s_add_co_u32 s21, s48, s44
	s_add_co_ci_u32 s28, s49, s23
	s_add_co_ci_u32 s21, s45, 0
	s_delay_alu instid0(SALU_CYCLE_1) | instskip(NEXT) | instid1(SALU_CYCLE_1)
	s_add_nc_u64 s[20:21], s[28:29], s[20:21]
	s_add_co_u32 s10, s10, s20
	s_cselect_b32 s20, -1, 0
	s_mul_hi_u32 s28, s56, s10
	s_cmp_lg_u32 s20, 0
	s_mul_hi_u32 s23, s57, s10
	s_add_co_ci_u32 s20, s11, s21
	s_mul_i32 s21, s57, s10
	s_mul_hi_u32 s11, s56, s20
	s_mul_i32 s10, s56, s20
	s_mul_hi_u32 s44, s57, s20
	s_add_nc_u64 s[10:11], s[28:29], s[10:11]
	s_mul_i32 s20, s57, s20
	s_add_co_u32 s10, s10, s21
	s_add_co_ci_u32 s28, s11, s23
	s_add_co_ci_u32 s21, s44, 0
	s_delay_alu instid0(SALU_CYCLE_1) | instskip(NEXT) | instid1(SALU_CYCLE_1)
	s_add_nc_u64 s[10:11], s[28:29], s[20:21]
	s_and_b64 s[20:21], s[10:11], 0xffffffff00000000
	s_delay_alu instid0(SALU_CYCLE_1) | instskip(NEXT) | instid1(SALU_CYCLE_1)
	s_or_b32 s20, s20, s10
	s_mul_u64 s[10:11], s[34:35], s[20:21]
	s_delay_alu instid0(SALU_CYCLE_1) | instskip(SKIP_1) | instid1(SALU_CYCLE_1)
	s_sub_co_u32 s10, s56, s10
	s_cselect_b32 s20, -1, 0
	s_cmp_lg_u32 s20, 0
	s_sub_co_ci_u32 s11, s57, s11
	s_sub_co_u32 s20, s10, s34
	s_cselect_b32 s21, -1, 0
	s_delay_alu instid0(SALU_CYCLE_1) | instskip(SKIP_3) | instid1(SALU_CYCLE_1)
	s_cmp_lg_u32 s21, 0
	s_sub_co_ci_u32 s21, s11, 0
	s_sub_co_u32 s23, s20, s34
	s_cselect_b32 s28, -1, 0
	s_cmp_lg_u32 s28, 0
	s_sub_co_ci_u32 s28, s21, 0
	s_cmp_ge_u32 s20, s34
	s_cselect_b32 s44, -1, 0
	s_cmp_eq_u32 s21, 0
	s_cselect_b32 s44, s44, -1
	s_delay_alu instid0(SALU_CYCLE_1)
	s_cmp_lg_u32 s44, 0
	s_cselect_b32 s21, s28, s21
	s_cselect_b32 s20, s23, s20
	s_cmp_ge_u32 s10, s34
	s_cselect_b32 s23, -1, 0
	s_cmp_eq_u32 s11, 0
	s_cselect_b32 s23, s23, -1
	s_delay_alu instid0(SALU_CYCLE_1)
	s_cmp_lg_u32 s23, 0
	s_cselect_b32 s11, s21, s11
	s_cselect_b32 s10, s20, s10
	s_cbranch_execnz .LBB168_191
.LBB168_190:                            ;   in Loop: Header=BB168_6 Depth=1
	v_cvt_f32_u32_e32 v4, s34
	s_sub_co_i32 s11, 0, s34
	s_delay_alu instid0(VALU_DEP_1) | instskip(SKIP_1) | instid1(TRANS32_DEP_1)
	v_rcp_iflag_f32_e32 v4, v4
	v_nop
	v_mul_f32_e32 v4, 0x4f7ffffe, v4
	s_delay_alu instid0(VALU_DEP_1) | instskip(NEXT) | instid1(VALU_DEP_1)
	v_cvt_u32_f32_e32 v4, v4
	v_readfirstlane_b32 s10, v4
	s_mul_i32 s11, s11, s10
	s_delay_alu instid0(SALU_CYCLE_1) | instskip(NEXT) | instid1(SALU_CYCLE_1)
	s_mul_hi_u32 s11, s10, s11
	s_add_co_i32 s10, s10, s11
	s_delay_alu instid0(SALU_CYCLE_1) | instskip(NEXT) | instid1(SALU_CYCLE_1)
	s_mul_hi_u32 s10, s56, s10
	s_mul_i32 s10, s10, s34
	s_delay_alu instid0(SALU_CYCLE_1) | instskip(NEXT) | instid1(SALU_CYCLE_1)
	s_sub_co_i32 s10, s56, s10
	s_sub_co_i32 s11, s10, s34
	s_cmp_ge_u32 s10, s34
	s_cselect_b32 s10, s11, s10
	s_delay_alu instid0(SALU_CYCLE_1) | instskip(SKIP_2) | instid1(SALU_CYCLE_1)
	s_sub_co_i32 s11, s10, s34
	s_cmp_ge_u32 s10, s34
	s_cselect_b32 s28, s11, s10
	s_mov_b64 s[10:11], s[28:29]
.LBB168_191:                            ;   in Loop: Header=BB168_6 Depth=1
	s_delay_alu instid0(SALU_CYCLE_1)
	s_sub_nc_u64 s[10:11], s[56:57], s[10:11]
	s_mov_b32 s20, exec_lo
                                        ; implicit-def: $vgpr8
	v_nop
	v_cmpx_gt_u64_e64 s[10:11], v[0:1]
	s_cbranch_execz .LBB168_200
; %bb.192:                              ;   in Loop: Header=BB168_6 Depth=1
	v_mov_b64_e32 v[4:5], v[14:15]
	v_mov_b64_e32 v[8:9], v[0:1]
	s_mov_b32 s21, 0
                                        ; implicit-def: $sgpr23
	s_branch .LBB168_195
.LBB168_193:                            ;   in Loop: Header=BB168_195 Depth=2
	s_or_b32 exec_lo, exec_lo, s28
	s_wait_dscnt 0x0
	s_barrier_signal -1
	s_barrier_wait -1
	ds_load_b32 v32, v3 offset:3072
	s_mov_b32 s28, -1
	s_mov_b32 s48, -1
	s_wait_dscnt 0x0
	s_barrier_signal -1
	s_barrier_wait -1
	v_and_b32_e32 v33, 0xffff, v32
	s_delay_alu instid0(VALU_DEP_1)
	v_cmp_eq_u32_e32 vcc_lo, 0, v33
	s_cbranch_vccnz .LBB168_198
.LBB168_194:                            ;   in Loop: Header=BB168_195 Depth=2
	s_and_b32 s7, exec_lo, s28
	s_delay_alu instid0(SALU_CYCLE_1) | instskip(SKIP_2) | instid1(SALU_CYCLE_1)
	s_or_b32 s21, s7, s21
	s_and_not1_b32 s7, s23, exec_lo
	s_and_b32 s8, s48, exec_lo
	s_or_b32 s23, s7, s8
	s_and_not1_b32 exec_lo, exec_lo, s21
	s_cbranch_execz .LBB168_199
.LBB168_195:                            ;   Parent Loop BB168_6 Depth=1
                                        ; =>  This Inner Loop Header: Depth=2
	s_mov_b32 s28, exec_lo
	s_delay_alu instid0(VALU_DEP_1)
	v_cmpx_gt_u64_e64 s[36:37], v[8:9]
	s_cbranch_execz .LBB168_193
; %bb.196:                              ;   in Loop: Header=BB168_195 Depth=2
	global_load_u16 v32, v[4:5], off
	s_wait_loadcnt 0x0
	v_bfe_i32 v33, v32, 0, 16
	s_delay_alu instid0(VALU_DEP_1) | instskip(NEXT) | instid1(VALU_DEP_1)
	v_add_nc_u32_e32 v33, 0x8000, v33
	v_and_b32_e32 v33, v33, v11
	s_delay_alu instid0(VALU_DEP_1)
	v_cmp_eq_u32_e32 vcc_lo, v33, v10
	s_and_b32 exec_lo, exec_lo, vcc_lo
	s_cbranch_execz .LBB168_193
; %bb.197:                              ;   in Loop: Header=BB168_195 Depth=2
	v_perm_b32 v32, v32, 1, 0x5040100
	ds_store_b32 v3, v32 offset:3072
	s_branch .LBB168_193
.LBB168_198:                            ;   in Loop: Header=BB168_195 Depth=2
	v_add_nc_u64_e32 v[8:9], s[34:35], v[8:9]
	v_add_nc_u64_e32 v[4:5], s[40:41], v[4:5]
	s_mov_b32 s48, 0
	s_delay_alu instid0(VALU_DEP_2)
	v_cmp_le_u64_e32 vcc_lo, s[10:11], v[8:9]
	s_or_not1_b32 s28, vcc_lo, exec_lo
	s_branch .LBB168_194
.LBB168_199:                            ;   in Loop: Header=BB168_6 Depth=1
	s_or_b32 exec_lo, exec_lo, s21
	v_lshrrev_b32_e32 v8, 16, v32
	s_and_not1_b32 s7, s22, exec_lo
	s_and_b32 s8, s23, exec_lo
	s_delay_alu instid0(SALU_CYCLE_1)
	s_or_b32 s22, s7, s8
.LBB168_200:                            ;   in Loop: Header=BB168_6 Depth=1
	s_or_b32 exec_lo, exec_lo, s20
	s_mov_b32 s80, 0
	s_mov_b32 s81, -1
.LBB168_201:                            ;   in Loop: Header=BB168_6 Depth=1
	s_or_not1_b32 s10, s22, exec_lo
.LBB168_202:                            ;   in Loop: Header=BB168_6 Depth=1
	s_or_b32 exec_lo, exec_lo, s82
	s_mov_b32 s11, 0
	s_and_saveexec_b32 s82, s10
	s_cbranch_execz .LBB168_264
; %bb.203:                              ;   in Loop: Header=BB168_6 Depth=1
	v_mov_b64_e32 v[4:5], 1
	v_mov_b32_e32 v2, 1
	s_xor_b32 s20, s83, -1
	s_delay_alu instid0(SALU_CYCLE_1)
	s_and_saveexec_b32 s10, s20
	s_cbranch_execz .LBB168_212
; %bb.204:                              ;   in Loop: Header=BB168_6 Depth=1
	s_mov_b32 s11, exec_lo
	v_cmpx_ge_u64_e64 s[16:17], v[6:7]
	s_xor_b32 s11, exec_lo, s11
	s_cbranch_execz .LBB168_209
; %bb.205:                              ;   in Loop: Header=BB168_6 Depth=1
	ds_load_b64 v[4:5], v3 offset:5120
	s_lshl_b32 s20, 2, s95
	v_or_b32_e32 v11, s24, v11
	v_and_or_b32 v10, v10, s25, s20
	s_wait_dscnt 0x0
	v_cmp_ne_u64_e32 vcc_lo, 0, v[4:5]
	s_cbranch_vccnz .LBB168_209
; %bb.206:                              ;   in Loop: Header=BB168_6 Depth=1
	s_and_saveexec_b32 s20, s5
; %bb.207:                              ;   in Loop: Header=BB168_6 Depth=1
	v_mov_b64_e32 v[4:5], s[16:17]
	ds_store_b64 v3, v[4:5] offset:5128
; %bb.208:                              ;   in Loop: Header=BB168_6 Depth=1
	s_or_b32 exec_lo, exec_lo, s20
	s_wait_dscnt 0x0
	s_barrier_signal -1
	s_barrier_wait -1
.LBB168_209:                            ;   in Loop: Header=BB168_6 Depth=1
	s_or_saveexec_b32 s11, s11
	v_mov_b32_e32 v2, 8
	s_mov_b32 s20, 0
	s_xor_b32 exec_lo, exec_lo, s11
; %bb.210:                              ;   in Loop: Header=BB168_6 Depth=1
	v_sub_nc_u64_e64 v[6:7], v[6:7], s[16:17]
	v_mov_b32_e32 v2, 0
	s_mov_b32 s20, exec_lo
; %bb.211:                              ;   in Loop: Header=BB168_6 Depth=1
	s_or_b32 exec_lo, exec_lo, s11
	s_delay_alu instid0(VALU_DEP_2)
	v_mov_b64_e32 v[4:5], v[6:7]
	s_and_b32 s11, s20, exec_lo
.LBB168_212:                            ;   in Loop: Header=BB168_6 Depth=1
	s_or_b32 exec_lo, exec_lo, s10
	s_mov_b32 s10, -1
                                        ; implicit-def: $sgpr49
                                        ; implicit-def: $sgpr48
	s_and_saveexec_b32 s83, s11
	s_cbranch_execz .LBB168_263
; %bb.213:                              ;   in Loop: Header=BB168_6 Depth=1
	s_delay_alu instid0(VALU_DEP_1) | instskip(SKIP_3) | instid1(SALU_CYCLE_1)
	v_cmp_eq_u64_e32 vcc_lo, 1, v[4:5]
	s_cmp_eq_u64 s[18:19], 1
	s_mov_b32 s11, -1
	s_cselect_b32 s10, -1, 0
                                        ; implicit-def: $sgpr49
                                        ; implicit-def: $sgpr48
	s_and_b32 s84, s10, vcc_lo
	s_delay_alu instid0(SALU_CYCLE_1)
	s_and_saveexec_b32 s85, s84
	s_cbranch_execz .LBB168_251
; %bb.214:                              ;   in Loop: Header=BB168_6 Depth=1
	ds_load_b64 v[6:7], v3 offset:5120
	s_wait_dscnt 0x0
	s_barrier_signal -1
	s_barrier_wait -1
	v_readfirstlane_b32 s10, v6
	v_readfirstlane_b32 s11, v7
	s_and_saveexec_b32 s20, s6
; %bb.215:                              ;   in Loop: Header=BB168_6 Depth=1
	ds_store_b16 v40, v3
; %bb.216:                              ;   in Loop: Header=BB168_6 Depth=1
	s_or_b32 exec_lo, exec_lo, s20
	v_or_b32_e32 v10, s24, v10
	v_or_b32_e32 v11, s24, v11
	s_mov_b32 s48, -1
	s_mov_b32 s49, 0
	s_cmp_eq_u64 s[10:11], 0
	s_mov_b32 s22, 0
	s_mov_b32 s23, -1
	s_wait_dscnt 0x0
	s_barrier_signal -1
	s_barrier_wait -1
                                        ; implicit-def: $vgpr8
	s_cbranch_scc1 .LBB168_234
; %bb.217:                              ;   in Loop: Header=BB168_6 Depth=1
	s_add_nc_u64 s[20:21], s[10:11], s[54:55]
	s_delay_alu instid0(SALU_CYCLE_1) | instskip(NEXT) | instid1(SALU_CYCLE_1)
	s_and_b64 s[22:23], s[20:21], 0xffffffff00000000
	s_cmp_lg_u64 s[22:23], 0
	s_cbranch_scc0 .LBB168_221
; %bb.218:                              ;   in Loop: Header=BB168_6 Depth=1
	s_cvt_f32_u32 s22, s34
	s_sub_nc_u64 s[50:51], 0, s[34:35]
	s_delay_alu instid0(SALU_CYCLE_2) | instskip(NEXT) | instid1(SALU_CYCLE_3)
	s_fmamk_f32 s22, s94, 0x0, s22
	v_s_rcp_f32 s22, s22
	s_delay_alu instid0(TRANS32_DEP_1) | instskip(NEXT) | instid1(SALU_CYCLE_3)
	s_mul_f32 s22, s22, 0x5f7ffffc
	s_mul_f32 s23, s22, 0x2f800000
	s_delay_alu instid0(SALU_CYCLE_3) | instskip(NEXT) | instid1(SALU_CYCLE_3)
	s_trunc_f32 s23, s23
	s_fmamk_f32 s22, s23, 0xcf800000, s22
	s_cvt_u32_f32 s23, s23
	s_delay_alu instid0(SALU_CYCLE_2) | instskip(NEXT) | instid1(SALU_CYCLE_3)
	s_cvt_u32_f32 s22, s22
	s_mul_u64 s[52:53], s[50:51], s[22:23]
	s_delay_alu instid0(SALU_CYCLE_1)
	s_mul_hi_u32 s45, s22, s53
	s_mul_i32 s44, s22, s53
	s_mul_hi_u32 s28, s22, s52
	s_mul_i32 s8, s23, s52
	s_add_nc_u64 s[44:45], s[28:29], s[44:45]
	s_mul_hi_u32 vcc_lo, s23, s52
	s_mul_hi_u32 s7, s23, s53
	s_add_co_u32 s8, s44, s8
	s_add_co_ci_u32 s28, s45, vcc_lo
	s_mul_i32 s52, s23, s53
	s_add_co_ci_u32 s53, s7, 0
	s_delay_alu instid0(SALU_CYCLE_1) | instskip(NEXT) | instid1(SALU_CYCLE_1)
	s_add_nc_u64 s[44:45], s[28:29], s[52:53]
	s_add_co_u32 s22, s22, s44
	s_cselect_b32 s7, -1, 0
	s_delay_alu instid0(SALU_CYCLE_1) | instskip(SKIP_1) | instid1(SALU_CYCLE_1)
	s_cmp_lg_u32 s7, 0
	s_add_co_ci_u32 s23, s23, s45
	s_mul_u64 s[44:45], s[50:51], s[22:23]
	s_delay_alu instid0(SALU_CYCLE_1)
	s_mul_hi_u32 s51, s22, s45
	s_mul_i32 s50, s22, s45
	s_mul_hi_u32 s28, s22, s44
	s_mul_i32 s8, s23, s44
	s_add_nc_u64 s[50:51], s[28:29], s[50:51]
	s_mul_hi_u32 s7, s23, s44
	s_mul_hi_u32 s52, s23, s45
	s_add_co_u32 s8, s50, s8
	s_add_co_ci_u32 s28, s51, s7
	s_mul_i32 s44, s23, s45
	s_add_co_ci_u32 s45, s52, 0
	s_delay_alu instid0(SALU_CYCLE_1) | instskip(NEXT) | instid1(SALU_CYCLE_1)
	s_add_nc_u64 s[44:45], s[28:29], s[44:45]
	s_add_co_u32 s7, s22, s44
	s_cselect_b32 s8, -1, 0
	s_mul_hi_u32 s28, s20, s7
	s_cmp_lg_u32 s8, 0
	s_mul_hi_u32 s8, s21, s7
	s_add_co_ci_u32 s44, s23, s45
	s_mul_i32 s7, s21, s7
	s_mul_hi_u32 s23, s20, s44
	s_mul_i32 s22, s20, s44
	s_mul_hi_u32 s45, s21, s44
	s_add_nc_u64 s[22:23], s[28:29], s[22:23]
	s_mul_i32 s44, s21, s44
	s_add_co_u32 s7, s22, s7
	s_add_co_ci_u32 s28, s23, s8
	s_add_co_ci_u32 s45, s45, 0
	s_delay_alu instid0(SALU_CYCLE_1) | instskip(NEXT) | instid1(SALU_CYCLE_1)
	s_add_nc_u64 s[22:23], s[28:29], s[44:45]
	s_and_b64 s[44:45], s[22:23], 0xffffffff00000000
	s_delay_alu instid0(SALU_CYCLE_1) | instskip(NEXT) | instid1(SALU_CYCLE_1)
	s_or_b32 s44, s44, s22
	s_mul_u64 s[22:23], s[34:35], s[44:45]
	s_delay_alu instid0(SALU_CYCLE_1) | instskip(SKIP_1) | instid1(SALU_CYCLE_1)
	s_sub_co_u32 s7, s20, s22
	s_cselect_b32 s8, -1, 0
	s_cmp_lg_u32 s8, 0
	s_sub_co_ci_u32 s8, s21, s23
	s_sub_co_u32 s22, s7, s34
	s_cselect_b32 s23, -1, 0
	s_delay_alu instid0(SALU_CYCLE_1) | instskip(SKIP_3) | instid1(SALU_CYCLE_1)
	s_cmp_lg_u32 s23, 0
	s_sub_co_ci_u32 s23, s8, 0
	s_sub_co_u32 s28, s22, s34
	s_cselect_b32 s44, -1, 0
	s_cmp_lg_u32 s44, 0
	s_sub_co_ci_u32 s44, s23, 0
	s_cmp_ge_u32 s22, s34
	s_cselect_b32 s45, -1, 0
	s_cmp_eq_u32 s23, 0
	s_cselect_b32 s45, s45, -1
	s_delay_alu instid0(SALU_CYCLE_1)
	s_cmp_lg_u32 s45, 0
	s_cselect_b32 s23, s44, s23
	s_cselect_b32 s22, s28, s22
	s_cmp_ge_u32 s7, s34
	s_cselect_b32 s28, -1, 0
	s_cmp_eq_u32 s8, 0
	s_cselect_b32 s28, s28, -1
	s_delay_alu instid0(SALU_CYCLE_1)
	s_cmp_lg_u32 s28, 0
	s_mov_b32 s28, 0
	s_cselect_b32 s23, s23, s8
	s_cselect_b32 s22, s22, s7
	s_branch .LBB168_222
.LBB168_219:                            ;   in Loop: Header=BB168_6 Depth=1
                                        ; implicit-def: $sgpr22_sgpr23
	s_branch .LBB168_174
.LBB168_220:                            ;   in Loop: Header=BB168_6 Depth=1
                                        ; implicit-def: $sgpr10_sgpr11
	s_branch .LBB168_190
.LBB168_221:                            ;   in Loop: Header=BB168_6 Depth=1
	s_mov_b32 s28, -1
                                        ; implicit-def: $sgpr22_sgpr23
.LBB168_222:                            ;   in Loop: Header=BB168_6 Depth=1
	s_delay_alu instid0(SALU_CYCLE_1)
	s_and_not1_b32 vcc_lo, exec_lo, s28
	s_cbranch_vccnz .LBB168_224
; %bb.223:                              ;   in Loop: Header=BB168_6 Depth=1
	v_cvt_f32_u32_e32 v6, s34
	s_sub_co_i32 s23, 0, s34
	s_delay_alu instid0(VALU_DEP_1) | instskip(SKIP_1) | instid1(TRANS32_DEP_1)
	v_rcp_iflag_f32_e32 v6, v6
	v_nop
	v_mul_f32_e32 v6, 0x4f7ffffe, v6
	s_delay_alu instid0(VALU_DEP_1) | instskip(NEXT) | instid1(VALU_DEP_1)
	v_cvt_u32_f32_e32 v6, v6
	v_readfirstlane_b32 s22, v6
	s_mul_i32 s23, s23, s22
	s_delay_alu instid0(SALU_CYCLE_1) | instskip(NEXT) | instid1(SALU_CYCLE_1)
	s_mul_hi_u32 s23, s22, s23
	s_add_co_i32 s22, s22, s23
	s_delay_alu instid0(SALU_CYCLE_1) | instskip(NEXT) | instid1(SALU_CYCLE_1)
	s_mul_hi_u32 s22, s20, s22
	s_mul_i32 s22, s22, s34
	s_delay_alu instid0(SALU_CYCLE_1) | instskip(NEXT) | instid1(SALU_CYCLE_1)
	s_sub_co_i32 s22, s20, s22
	s_sub_co_i32 s23, s22, s34
	s_cmp_ge_u32 s22, s34
	s_cselect_b32 s22, s23, s22
	s_delay_alu instid0(SALU_CYCLE_1) | instskip(SKIP_2) | instid1(SALU_CYCLE_1)
	s_sub_co_i32 s23, s22, s34
	s_cmp_ge_u32 s22, s34
	s_cselect_b32 s28, s23, s22
	s_mov_b64 s[22:23], s[28:29]
.LBB168_224:                            ;   in Loop: Header=BB168_6 Depth=1
	s_delay_alu instid0(SALU_CYCLE_1)
	s_sub_nc_u64 s[20:21], s[20:21], s[22:23]
	s_mov_b32 s23, 0
	s_mov_b32 s22, 0
	s_mov_b32 s28, exec_lo
                                        ; implicit-def: $vgpr8
	v_cmpx_gt_u64_e64 s[20:21], v[0:1]
	s_cbranch_execz .LBB168_233
; %bb.225:                              ;   in Loop: Header=BB168_6 Depth=1
	v_mov_b64_e32 v[6:7], v[0:1]
	v_mov_b32_e32 v8, v38
                                        ; implicit-def: $sgpr50
	s_branch .LBB168_228
.LBB168_226:                            ;   in Loop: Header=BB168_228 Depth=2
	s_or_b32 exec_lo, exec_lo, s51
	s_wait_dscnt 0x0
	s_barrier_signal -1
	s_barrier_wait -1
	ds_load_b32 v9, v3 offset:3072
	s_mov_b32 s51, -1
	s_mov_b32 s52, -1
	s_wait_dscnt 0x0
	s_barrier_signal -1
	s_barrier_wait -1
	v_and_b32_e32 v32, 0xffff, v9
	s_delay_alu instid0(VALU_DEP_1)
	v_cmp_ne_u32_e32 vcc_lo, 0, v32
	s_cbranch_vccz .LBB168_231
.LBB168_227:                            ;   in Loop: Header=BB168_228 Depth=2
	s_and_b32 s7, exec_lo, s51
	s_delay_alu instid0(SALU_CYCLE_1) | instskip(SKIP_2) | instid1(SALU_CYCLE_1)
	s_or_b32 s22, s7, s22
	s_and_not1_b32 s7, s50, exec_lo
	s_and_b32 s8, s52, exec_lo
	s_or_b32 s50, s7, s8
	s_and_not1_b32 exec_lo, exec_lo, s22
	s_cbranch_execz .LBB168_232
.LBB168_228:                            ;   Parent Loop BB168_6 Depth=1
                                        ; =>  This Inner Loop Header: Depth=2
	s_mov_b32 s51, exec_lo
	s_delay_alu instid0(VALU_DEP_2)
	v_cmpx_gt_u64_e64 s[10:11], v[6:7]
	s_cbranch_execz .LBB168_226
; %bb.229:                              ;   in Loop: Header=BB168_228 Depth=2
	ds_load_u16 v9, v8
	s_wait_dscnt 0x0
	v_bfe_i32 v32, v9, 0, 16
	s_delay_alu instid0(VALU_DEP_1) | instskip(NEXT) | instid1(VALU_DEP_1)
	v_add_nc_u32_e32 v32, 0x8000, v32
	v_and_b32_e32 v32, v32, v11
	s_delay_alu instid0(VALU_DEP_1)
	v_cmp_eq_u32_e32 vcc_lo, v32, v10
	s_and_b32 exec_lo, exec_lo, vcc_lo
	s_cbranch_execz .LBB168_226
; %bb.230:                              ;   in Loop: Header=BB168_228 Depth=2
	v_perm_b32 v9, v9, 1, 0x5040100
	ds_store_b32 v3, v9 offset:3072
	s_branch .LBB168_226
.LBB168_231:                            ;   in Loop: Header=BB168_228 Depth=2
	v_add_nc_u64_e32 v[6:7], s[34:35], v[6:7]
	v_add_nc_u32_e32 v8, s93, v8
	s_mov_b32 s52, 0
	s_delay_alu instid0(VALU_DEP_2)
	v_cmp_le_u64_e32 vcc_lo, s[20:21], v[6:7]
	s_or_not1_b32 s51, vcc_lo, exec_lo
	s_branch .LBB168_227
.LBB168_232:                            ;   in Loop: Header=BB168_6 Depth=1
	s_or_b32 exec_lo, exec_lo, s22
	v_lshrrev_b32_e32 v8, 16, v9
	s_and_b32 s22, s50, exec_lo
.LBB168_233:                            ;   in Loop: Header=BB168_6 Depth=1
	s_or_b32 exec_lo, exec_lo, s28
.LBB168_234:                            ;   in Loop: Header=BB168_6 Depth=1
	s_delay_alu instid0(SALU_CYCLE_1)
	s_and_b32 vcc_lo, exec_lo, s23
	s_cbranch_vccz .LBB168_250
; %bb.235:                              ;   in Loop: Header=BB168_6 Depth=1
	s_and_b64 s[10:11], s[56:57], 0xffffffff00000000
	s_delay_alu instid0(SALU_CYCLE_1)
	s_cmp_lg_u64 s[10:11], 0
	s_cbranch_scc0 .LBB168_237
; %bb.236:                              ;   in Loop: Header=BB168_6 Depth=1
	s_cvt_f32_u32 s7, s34
	s_sub_nc_u64 s[20:21], 0, s[34:35]
	s_delay_alu instid0(SALU_CYCLE_2) | instskip(NEXT) | instid1(SALU_CYCLE_3)
	s_fmamk_f32 s7, s94, 0x0, s7
	v_s_rcp_f32 s7, s7
	s_delay_alu instid0(TRANS32_DEP_1) | instskip(NEXT) | instid1(SALU_CYCLE_3)
	s_mul_f32 s7, s7, 0x5f7ffffc
	s_mul_f32 s8, s7, 0x2f800000
	s_delay_alu instid0(SALU_CYCLE_3) | instskip(NEXT) | instid1(SALU_CYCLE_3)
	s_trunc_f32 s8, s8
	s_fmamk_f32 s7, s8, 0xcf800000, s7
	s_cvt_u32_f32 s11, s8
	s_delay_alu instid0(SALU_CYCLE_2) | instskip(NEXT) | instid1(SALU_CYCLE_3)
	s_cvt_u32_f32 s10, s7
	s_mul_u64 s[44:45], s[20:21], s[10:11]
	s_delay_alu instid0(SALU_CYCLE_1)
	s_mul_hi_u32 s49, s10, s45
	s_mul_i32 s48, s10, s45
	s_mul_hi_u32 s28, s10, s44
	s_mul_i32 s8, s11, s44
	s_add_nc_u64 s[48:49], s[28:29], s[48:49]
	s_mul_hi_u32 s7, s11, s44
	s_mul_hi_u32 s23, s11, s45
	s_add_co_u32 s8, s48, s8
	s_add_co_ci_u32 s28, s49, s7
	s_mul_i32 s44, s11, s45
	s_add_co_ci_u32 s45, s23, 0
	s_delay_alu instid0(SALU_CYCLE_1) | instskip(NEXT) | instid1(SALU_CYCLE_1)
	s_add_nc_u64 s[44:45], s[28:29], s[44:45]
	s_add_co_u32 s10, s10, s44
	s_cselect_b32 s7, -1, 0
	s_delay_alu instid0(SALU_CYCLE_1) | instskip(SKIP_1) | instid1(SALU_CYCLE_1)
	s_cmp_lg_u32 s7, 0
	s_add_co_ci_u32 s11, s11, s45
	s_mul_u64 s[20:21], s[20:21], s[10:11]
	s_delay_alu instid0(SALU_CYCLE_1)
	s_mul_hi_u32 s45, s10, s21
	s_mul_i32 s44, s10, s21
	s_mul_hi_u32 s28, s10, s20
	s_mul_i32 s8, s11, s20
	s_add_nc_u64 s[44:45], s[28:29], s[44:45]
	s_mul_hi_u32 s7, s11, s20
	s_mul_hi_u32 s23, s11, s21
	s_add_co_u32 s8, s44, s8
	s_add_co_ci_u32 s28, s45, s7
	s_mul_i32 s20, s11, s21
	s_add_co_ci_u32 s21, s23, 0
	s_delay_alu instid0(SALU_CYCLE_1) | instskip(NEXT) | instid1(SALU_CYCLE_1)
	s_add_nc_u64 s[20:21], s[28:29], s[20:21]
	s_add_co_u32 s7, s10, s20
	s_cselect_b32 s8, -1, 0
	s_mul_hi_u32 s28, s56, s7
	s_cmp_lg_u32 s8, 0
	s_mul_hi_u32 s8, s57, s7
	s_add_co_ci_u32 s20, s11, s21
	s_mul_i32 s7, s57, s7
	s_mul_hi_u32 s11, s56, s20
	s_mul_i32 s10, s56, s20
	s_mul_hi_u32 s21, s57, s20
	s_add_nc_u64 s[10:11], s[28:29], s[10:11]
	s_mul_i32 s20, s57, s20
	s_add_co_u32 s7, s10, s7
	s_add_co_ci_u32 s28, s11, s8
	s_add_co_ci_u32 s21, s21, 0
	s_delay_alu instid0(SALU_CYCLE_1) | instskip(NEXT) | instid1(SALU_CYCLE_1)
	s_add_nc_u64 s[10:11], s[28:29], s[20:21]
	s_and_b64 s[20:21], s[10:11], 0xffffffff00000000
	s_delay_alu instid0(SALU_CYCLE_1) | instskip(NEXT) | instid1(SALU_CYCLE_1)
	s_or_b32 s20, s20, s10
	s_mul_u64 s[10:11], s[34:35], s[20:21]
	s_delay_alu instid0(SALU_CYCLE_1) | instskip(SKIP_1) | instid1(SALU_CYCLE_1)
	s_sub_co_u32 s7, s56, s10
	s_cselect_b32 s8, -1, 0
	s_cmp_lg_u32 s8, 0
	s_sub_co_ci_u32 s8, s57, s11
	s_sub_co_u32 s10, s7, s34
	s_cselect_b32 s11, -1, 0
	s_delay_alu instid0(SALU_CYCLE_1) | instskip(SKIP_3) | instid1(SALU_CYCLE_1)
	s_cmp_lg_u32 s11, 0
	s_sub_co_ci_u32 s11, s8, 0
	s_sub_co_u32 s20, s10, s34
	s_cselect_b32 s21, -1, 0
	s_cmp_lg_u32 s21, 0
	s_sub_co_ci_u32 s21, s11, 0
	s_cmp_ge_u32 s10, s34
	s_cselect_b32 s23, -1, 0
	s_cmp_eq_u32 s11, 0
	s_cselect_b32 s23, s23, -1
	s_delay_alu instid0(SALU_CYCLE_1)
	s_cmp_lg_u32 s23, 0
	s_cselect_b32 s11, s21, s11
	s_cselect_b32 s10, s20, s10
	s_cmp_ge_u32 s7, s34
	s_cselect_b32 s20, -1, 0
	s_cmp_eq_u32 s8, 0
	s_cselect_b32 s20, s20, -1
	s_delay_alu instid0(SALU_CYCLE_1)
	s_cmp_lg_u32 s20, 0
	s_mov_b32 s20, 0
	s_cselect_b32 s11, s11, s8
	s_cselect_b32 s10, s10, s7
	s_branch .LBB168_238
.LBB168_237:                            ;   in Loop: Header=BB168_6 Depth=1
	s_mov_b32 s20, -1
                                        ; implicit-def: $sgpr10_sgpr11
.LBB168_238:                            ;   in Loop: Header=BB168_6 Depth=1
	s_delay_alu instid0(SALU_CYCLE_1)
	s_and_not1_b32 vcc_lo, exec_lo, s20
	s_cbranch_vccnz .LBB168_240
; %bb.239:                              ;   in Loop: Header=BB168_6 Depth=1
	v_cvt_f32_u32_e32 v6, s34
	s_sub_co_i32 s8, 0, s34
	s_delay_alu instid0(VALU_DEP_1) | instskip(SKIP_1) | instid1(TRANS32_DEP_1)
	v_rcp_iflag_f32_e32 v6, v6
	v_nop
	v_mul_f32_e32 v6, 0x4f7ffffe, v6
	s_delay_alu instid0(VALU_DEP_1) | instskip(NEXT) | instid1(VALU_DEP_1)
	v_cvt_u32_f32_e32 v6, v6
	v_readfirstlane_b32 s7, v6
	s_mul_i32 s8, s8, s7
	s_delay_alu instid0(SALU_CYCLE_1) | instskip(NEXT) | instid1(SALU_CYCLE_1)
	s_mul_hi_u32 s8, s7, s8
	s_add_co_i32 s7, s7, s8
	s_delay_alu instid0(SALU_CYCLE_1) | instskip(NEXT) | instid1(SALU_CYCLE_1)
	s_mul_hi_u32 s7, s56, s7
	s_mul_i32 s7, s7, s34
	s_delay_alu instid0(SALU_CYCLE_1) | instskip(NEXT) | instid1(SALU_CYCLE_1)
	s_sub_co_i32 s7, s56, s7
	s_sub_co_i32 s8, s7, s34
	s_cmp_ge_u32 s7, s34
	s_cselect_b32 s7, s8, s7
	s_delay_alu instid0(SALU_CYCLE_1) | instskip(SKIP_2) | instid1(SALU_CYCLE_1)
	s_sub_co_i32 s8, s7, s34
	s_cmp_ge_u32 s7, s34
	s_cselect_b32 s28, s8, s7
	s_mov_b64 s[10:11], s[28:29]
.LBB168_240:                            ;   in Loop: Header=BB168_6 Depth=1
	s_delay_alu instid0(SALU_CYCLE_1)
	s_sub_nc_u64 s[10:11], s[56:57], s[10:11]
	s_mov_b32 s20, exec_lo
                                        ; implicit-def: $vgpr8
	v_cmpx_gt_u64_e64 s[10:11], v[0:1]
	s_cbranch_execz .LBB168_249
; %bb.241:                              ;   in Loop: Header=BB168_6 Depth=1
	v_mov_b64_e32 v[6:7], v[14:15]
	v_mov_b64_e32 v[8:9], v[0:1]
	s_mov_b32 s21, 0
                                        ; implicit-def: $sgpr23
	s_branch .LBB168_244
.LBB168_242:                            ;   in Loop: Header=BB168_244 Depth=2
	s_or_b32 exec_lo, exec_lo, s28
	s_wait_dscnt 0x0
	s_barrier_signal -1
	s_barrier_wait -1
	ds_load_b32 v32, v3 offset:3072
	s_mov_b32 s28, -1
	s_mov_b32 s48, -1
	s_wait_dscnt 0x0
	s_barrier_signal -1
	s_barrier_wait -1
	v_and_b32_e32 v33, 0xffff, v32
	s_delay_alu instid0(VALU_DEP_1)
	v_cmp_eq_u32_e32 vcc_lo, 0, v33
	s_cbranch_vccnz .LBB168_247
.LBB168_243:                            ;   in Loop: Header=BB168_244 Depth=2
	s_and_b32 s7, exec_lo, s28
	s_delay_alu instid0(SALU_CYCLE_1) | instskip(SKIP_2) | instid1(SALU_CYCLE_1)
	s_or_b32 s21, s7, s21
	s_and_not1_b32 s7, s23, exec_lo
	s_and_b32 s8, s48, exec_lo
	s_or_b32 s23, s7, s8
	s_and_not1_b32 exec_lo, exec_lo, s21
	s_cbranch_execz .LBB168_248
.LBB168_244:                            ;   Parent Loop BB168_6 Depth=1
                                        ; =>  This Inner Loop Header: Depth=2
	s_mov_b32 s28, exec_lo
	s_delay_alu instid0(VALU_DEP_1)
	v_cmpx_gt_u64_e64 s[36:37], v[8:9]
	s_cbranch_execz .LBB168_242
; %bb.245:                              ;   in Loop: Header=BB168_244 Depth=2
	global_load_u16 v32, v[6:7], off
	s_wait_loadcnt 0x0
	v_bfe_i32 v33, v32, 0, 16
	s_delay_alu instid0(VALU_DEP_1) | instskip(NEXT) | instid1(VALU_DEP_1)
	v_add_nc_u32_e32 v33, 0x8000, v33
	v_and_b32_e32 v33, v33, v11
	s_delay_alu instid0(VALU_DEP_1)
	v_cmp_eq_u32_e32 vcc_lo, v33, v10
	s_and_b32 exec_lo, exec_lo, vcc_lo
	s_cbranch_execz .LBB168_242
; %bb.246:                              ;   in Loop: Header=BB168_244 Depth=2
	v_perm_b32 v32, v32, 1, 0x5040100
	ds_store_b32 v3, v32 offset:3072
	s_branch .LBB168_242
.LBB168_247:                            ;   in Loop: Header=BB168_244 Depth=2
	v_add_nc_u64_e32 v[8:9], s[34:35], v[8:9]
	v_add_nc_u64_e32 v[6:7], s[40:41], v[6:7]
	s_mov_b32 s48, 0
	s_delay_alu instid0(VALU_DEP_2)
	v_cmp_le_u64_e32 vcc_lo, s[10:11], v[8:9]
	s_or_not1_b32 s28, vcc_lo, exec_lo
	s_branch .LBB168_243
.LBB168_248:                            ;   in Loop: Header=BB168_6 Depth=1
	s_or_b32 exec_lo, exec_lo, s21
	v_lshrrev_b32_e32 v8, 16, v32
	s_and_not1_b32 s7, s22, exec_lo
	s_and_b32 s8, s23, exec_lo
	s_delay_alu instid0(SALU_CYCLE_1)
	s_or_b32 s22, s7, s8
.LBB168_249:                            ;   in Loop: Header=BB168_6 Depth=1
	s_or_b32 exec_lo, exec_lo, s20
	s_mov_b32 s48, 0
	s_mov_b32 s49, -1
.LBB168_250:                            ;   in Loop: Header=BB168_6 Depth=1
	s_or_not1_b32 s11, s22, exec_lo
.LBB168_251:                            ;   in Loop: Header=BB168_6 Depth=1
	s_or_b32 exec_lo, exec_lo, s85
	s_mov_b32 s20, 0
	s_and_saveexec_b32 s10, s11
	s_cbranch_execz .LBB168_262
; %bb.252:                              ;   in Loop: Header=BB168_6 Depth=1
	v_mov_b64_e32 v[6:7], 1
	v_mov_b32_e32 v2, 1
	s_xor_b32 s7, s84, -1
	s_delay_alu instid0(SALU_CYCLE_1)
	s_and_saveexec_b32 s11, s7
	s_cbranch_execz .LBB168_261
; %bb.253:                              ;   in Loop: Header=BB168_6 Depth=1
	s_mov_b32 s7, exec_lo
	v_cmpx_ge_u64_e64 s[18:19], v[4:5]
	s_xor_b32 s20, exec_lo, s7
	s_cbranch_execz .LBB168_258
; %bb.254:                              ;   in Loop: Header=BB168_6 Depth=1
	ds_load_b64 v[6:7], v3 offset:5120
	v_or_b32_e32 v10, s24, v10
	v_or_b32_e32 v11, s24, v11
	s_wait_dscnt 0x0
	v_cmp_ne_u64_e32 vcc_lo, 0, v[6:7]
	s_cbranch_vccnz .LBB168_258
; %bb.255:                              ;   in Loop: Header=BB168_6 Depth=1
	s_and_saveexec_b32 s21, s5
; %bb.256:                              ;   in Loop: Header=BB168_6 Depth=1
	v_mov_b64_e32 v[6:7], s[18:19]
	ds_store_b64 v3, v[6:7] offset:5128
; %bb.257:                              ;   in Loop: Header=BB168_6 Depth=1
	s_or_b32 exec_lo, exec_lo, s21
	s_wait_dscnt 0x0
	s_barrier_signal -1
	s_barrier_wait -1
.LBB168_258:                            ;   in Loop: Header=BB168_6 Depth=1
	s_and_not1_saveexec_b32 s20, s20
; %bb.259:                              ;   in Loop: Header=BB168_6 Depth=1
	v_sub_nc_u64_e64 v[4:5], v[4:5], s[18:19]
; %bb.260:                              ;   in Loop: Header=BB168_6 Depth=1
	s_or_b32 exec_lo, exec_lo, s20
	s_delay_alu instid0(VALU_DEP_1)
	v_mov_b64_e32 v[6:7], v[4:5]
	v_mov_b32_e32 v2, 8
.LBB168_261:                            ;   in Loop: Header=BB168_6 Depth=1
	s_or_b32 exec_lo, exec_lo, s11
	s_delay_alu instid0(VALU_DEP_2)
	v_mov_b64_e32 v[4:5], v[6:7]
	s_mov_b32 s20, exec_lo
.LBB168_262:                            ;   in Loop: Header=BB168_6 Depth=1
	s_or_b32 exec_lo, exec_lo, s10
	s_delay_alu instid0(SALU_CYCLE_1)
	s_or_not1_b32 s10, s20, exec_lo
.LBB168_263:                            ;   in Loop: Header=BB168_6 Depth=1
	s_or_b32 exec_lo, exec_lo, s83
	s_delay_alu instid0(VALU_DEP_1)
	v_mov_b64_e32 v[6:7], v[4:5]
	s_and_not1_b32 s11, s81, exec_lo
	s_and_b32 s20, s49, exec_lo
	s_and_not1_b32 s21, s80, exec_lo
	s_and_b32 s22, s48, exec_lo
	s_or_b32 s81, s11, s20
	s_or_b32 s80, s21, s22
	s_and_b32 s11, s10, exec_lo
.LBB168_264:                            ;   in Loop: Header=BB168_6 Depth=1
	s_or_b32 exec_lo, exec_lo, s82
	s_delay_alu instid0(SALU_CYCLE_1)
	s_or_not1_b32 s10, s11, exec_lo
.LBB168_265:                            ;   in Loop: Header=BB168_6 Depth=1
	s_or_b32 exec_lo, exec_lo, s79
	v_mov_b64_e32 v[4:5], v[6:7]
	s_and_not1_b32 s11, s77, exec_lo
	s_and_b32 s20, s81, exec_lo
	s_and_not1_b32 s21, s72, exec_lo
	s_and_b32 s22, s80, exec_lo
	s_or_b32 s77, s11, s20
	s_or_b32 s72, s21, s22
	s_and_b32 s11, s10, exec_lo
.LBB168_266:                            ;   in Loop: Header=BB168_6 Depth=1
	s_or_b32 exec_lo, exec_lo, s78
	s_delay_alu instid0(SALU_CYCLE_1)
	s_or_not1_b32 s10, s11, exec_lo
.LBB168_267:                            ;   in Loop: Header=BB168_6 Depth=1
	s_or_b32 exec_lo, exec_lo, s27
	s_mov_b32 s11, 0
	s_mov_b32 s20, 0
	s_and_saveexec_b32 s21, s10
	s_delay_alu instid0(SALU_CYCLE_1)
	s_xor_b32 s21, exec_lo, s21
; %bb.268:                              ;   in Loop: Header=BB168_6 Depth=1
	v_cmp_ne_u32_e32 vcc_lo, 8, v2
	v_cmp_eq_u32_e64 s10, 8, v2
	s_and_b32 s20, vcc_lo, exec_lo
	s_and_b32 s11, s10, exec_lo
; %bb.269:                              ;   in Loop: Header=BB168_6 Depth=1
	s_or_b32 exec_lo, exec_lo, s21
	s_delay_alu instid0(SALU_CYCLE_1)
	s_and_not1_b32 s10, s74, exec_lo
	s_and_b32 s21, s77, exec_lo
	s_and_not1_b32 s22, s73, exec_lo
	s_and_b32 s23, s72, exec_lo
	s_or_b32 s74, s10, s21
	s_or_b32 s73, s22, s23
	s_and_b32 s27, s20, exec_lo
	s_and_b32 s72, s11, exec_lo
.LBB168_270:                            ;   in Loop: Header=BB168_6 Depth=1
	s_or_b32 exec_lo, exec_lo, s76
.LBB168_271:                            ;   in Loop: Header=BB168_6 Depth=1
	s_delay_alu instid0(SALU_CYCLE_1)
	s_and_b32 vcc_lo, exec_lo, s75
	s_cbranch_vccz .LBB168_287
; %bb.272:                              ;   in Loop: Header=BB168_6 Depth=1
	s_cmp_eq_u64 s[18:19], 1
                                        ; implicit-def: $sgpr75
                                        ; implicit-def: $sgpr26
	s_cselect_b32 s10, -1, 0
	s_delay_alu instid0(SALU_CYCLE_1)
	s_and_b32 s9, s10, s9
	s_mov_b32 s10, -1
	s_and_saveexec_b32 s73, s9
	s_cbranch_execz .LBB168_305
; %bb.273:                              ;   in Loop: Header=BB168_6 Depth=1
	ds_load_b64 v[4:5], v3 offset:5120
	s_wait_dscnt 0x0
	s_barrier_signal -1
	s_barrier_wait -1
	v_readfirstlane_b32 s10, v4
	v_readfirstlane_b32 s11, v5
	s_and_saveexec_b32 s20, s6
; %bb.274:                              ;   in Loop: Header=BB168_6 Depth=1
	ds_store_b16 v40, v3
; %bb.275:                              ;   in Loop: Header=BB168_6 Depth=1
	s_or_b32 exec_lo, exec_lo, s20
	v_or_b32_e32 v42, s24, v42
	v_or_b32_e32 v44, s24, v44
	s_mov_b32 s26, -1
	s_mov_b32 s75, 0
	s_cmp_eq_u64 s[10:11], 0
	s_mov_b32 s22, 0
	s_mov_b32 s23, -1
	s_wait_dscnt 0x0
	s_barrier_signal -1
	s_barrier_wait -1
                                        ; implicit-def: $vgpr45
	s_cbranch_scc1 .LBB168_290
; %bb.276:                              ;   in Loop: Header=BB168_6 Depth=1
	s_add_nc_u64 s[20:21], s[10:11], s[54:55]
	s_delay_alu instid0(SALU_CYCLE_1) | instskip(NEXT) | instid1(SALU_CYCLE_1)
	s_and_b64 s[22:23], s[20:21], 0xffffffff00000000
	s_cmp_lg_u64 s[22:23], 0
	s_cbranch_scc0 .LBB168_331
; %bb.277:                              ;   in Loop: Header=BB168_6 Depth=1
	s_cvt_f32_u32 s22, s34
	s_sub_nc_u64 s[48:49], 0, s[34:35]
	s_delay_alu instid0(SALU_CYCLE_2) | instskip(NEXT) | instid1(SALU_CYCLE_3)
	s_fmamk_f32 s22, s94, 0x0, s22
	v_s_rcp_f32 s22, s22
	s_delay_alu instid0(TRANS32_DEP_1) | instskip(NEXT) | instid1(SALU_CYCLE_3)
	s_mul_f32 s22, s22, 0x5f7ffffc
	s_mul_f32 s23, s22, 0x2f800000
	s_delay_alu instid0(SALU_CYCLE_3) | instskip(NEXT) | instid1(SALU_CYCLE_3)
	s_trunc_f32 s23, s23
	s_fmamk_f32 s22, s23, 0xcf800000, s22
	s_cvt_u32_f32 s23, s23
	s_delay_alu instid0(SALU_CYCLE_2) | instskip(NEXT) | instid1(SALU_CYCLE_3)
	s_cvt_u32_f32 s22, s22
	s_mul_u64 s[50:51], s[48:49], s[22:23]
	s_delay_alu instid0(SALU_CYCLE_1)
	s_mul_hi_u32 s53, s22, s51
	s_mul_i32 s52, s22, s51
	s_mul_hi_u32 s28, s22, s50
	s_mul_i32 s45, s23, s50
	s_add_nc_u64 s[52:53], s[28:29], s[52:53]
	s_mul_hi_u32 s44, s23, s50
	s_mul_hi_u32 s74, s23, s51
	s_add_co_u32 s28, s52, s45
	s_add_co_ci_u32 s28, s53, s44
	s_mul_i32 s50, s23, s51
	s_add_co_ci_u32 s51, s74, 0
	s_delay_alu instid0(SALU_CYCLE_1) | instskip(NEXT) | instid1(SALU_CYCLE_1)
	s_add_nc_u64 s[50:51], s[28:29], s[50:51]
	s_add_co_u32 s22, s22, s50
	s_cselect_b32 s28, -1, 0
	s_delay_alu instid0(SALU_CYCLE_1) | instskip(SKIP_1) | instid1(SALU_CYCLE_1)
	s_cmp_lg_u32 s28, 0
	s_add_co_ci_u32 s23, s23, s51
	s_mul_u64 s[48:49], s[48:49], s[22:23]
	s_delay_alu instid0(SALU_CYCLE_1)
	s_mul_hi_u32 s51, s22, s49
	s_mul_i32 s50, s22, s49
	s_mul_hi_u32 s28, s22, s48
	s_mul_i32 s45, s23, s48
	s_add_nc_u64 s[50:51], s[28:29], s[50:51]
	s_mul_hi_u32 s44, s23, s48
	s_mul_hi_u32 s52, s23, s49
	s_add_co_u32 s28, s50, s45
	s_add_co_ci_u32 s28, s51, s44
	s_mul_i32 s48, s23, s49
	s_add_co_ci_u32 s49, s52, 0
	s_delay_alu instid0(SALU_CYCLE_1) | instskip(NEXT) | instid1(SALU_CYCLE_1)
	s_add_nc_u64 s[48:49], s[28:29], s[48:49]
	s_add_co_u32 s22, s22, s48
	s_cselect_b32 s44, -1, 0
	s_mul_hi_u32 s28, s20, s22
	s_cmp_lg_u32 s44, 0
	s_mul_hi_u32 s44, s21, s22
	s_add_co_ci_u32 s45, s23, s49
	s_mul_i32 s49, s21, s22
	s_mul_hi_u32 s23, s20, s45
	s_mul_i32 s22, s20, s45
	s_mul_hi_u32 s50, s21, s45
	s_add_nc_u64 s[22:23], s[28:29], s[22:23]
	s_mul_i32 s48, s21, s45
	s_add_co_u32 s22, s22, s49
	s_add_co_ci_u32 s28, s23, s44
	s_add_co_ci_u32 s49, s50, 0
	s_delay_alu instid0(SALU_CYCLE_1) | instskip(NEXT) | instid1(SALU_CYCLE_1)
	s_add_nc_u64 s[22:23], s[28:29], s[48:49]
	s_and_b64 s[48:49], s[22:23], 0xffffffff00000000
	s_delay_alu instid0(SALU_CYCLE_1) | instskip(NEXT) | instid1(SALU_CYCLE_1)
	s_or_b32 s48, s48, s22
	s_mul_u64 s[22:23], s[34:35], s[48:49]
	s_delay_alu instid0(SALU_CYCLE_1) | instskip(SKIP_1) | instid1(SALU_CYCLE_1)
	s_sub_co_u32 s22, s20, s22
	s_cselect_b32 s28, -1, 0
	s_cmp_lg_u32 s28, 0
	s_sub_co_ci_u32 s23, s21, s23
	s_sub_co_u32 s28, s22, s34
	s_cselect_b32 s44, -1, 0
	s_delay_alu instid0(SALU_CYCLE_1) | instskip(SKIP_3) | instid1(SALU_CYCLE_1)
	s_cmp_lg_u32 s44, 0
	s_sub_co_ci_u32 s44, s23, 0
	s_sub_co_u32 s45, s28, s34
	s_cselect_b32 s48, -1, 0
	s_cmp_lg_u32 s48, 0
	s_sub_co_ci_u32 s48, s44, 0
	s_cmp_ge_u32 s28, s34
	s_cselect_b32 s49, -1, 0
	s_cmp_eq_u32 s44, 0
	s_cselect_b32 s49, s49, -1
	s_delay_alu instid0(SALU_CYCLE_1)
	s_cmp_lg_u32 s49, 0
	s_cselect_b32 s44, s48, s44
	s_cselect_b32 s28, s45, s28
	s_cmp_ge_u32 s22, s34
	s_cselect_b32 s45, -1, 0
	s_cmp_eq_u32 s23, 0
	s_cselect_b32 s45, s45, -1
	s_delay_alu instid0(SALU_CYCLE_1)
	s_cmp_lg_u32 s45, 0
	s_cselect_b32 s23, s44, s23
	s_cselect_b32 s22, s28, s22
	s_cbranch_execnz .LBB168_279
.LBB168_278:                            ;   in Loop: Header=BB168_6 Depth=1
	v_cvt_f32_u32_e32 v2, s34
	s_sub_co_i32 s23, 0, s34
	s_delay_alu instid0(VALU_DEP_1) | instskip(SKIP_1) | instid1(TRANS32_DEP_1)
	v_rcp_iflag_f32_e32 v2, v2
	v_nop
	v_mul_f32_e32 v2, 0x4f7ffffe, v2
	s_delay_alu instid0(VALU_DEP_1) | instskip(NEXT) | instid1(VALU_DEP_1)
	v_cvt_u32_f32_e32 v2, v2
	v_readfirstlane_b32 s22, v2
	s_mul_i32 s23, s23, s22
	s_delay_alu instid0(SALU_CYCLE_1) | instskip(NEXT) | instid1(SALU_CYCLE_1)
	s_mul_hi_u32 s23, s22, s23
	s_add_co_i32 s22, s22, s23
	s_delay_alu instid0(SALU_CYCLE_1) | instskip(NEXT) | instid1(SALU_CYCLE_1)
	s_mul_hi_u32 s22, s20, s22
	s_mul_i32 s22, s22, s34
	s_delay_alu instid0(SALU_CYCLE_1) | instskip(NEXT) | instid1(SALU_CYCLE_1)
	s_sub_co_i32 s22, s20, s22
	s_sub_co_i32 s23, s22, s34
	s_cmp_ge_u32 s22, s34
	s_cselect_b32 s22, s23, s22
	s_delay_alu instid0(SALU_CYCLE_1) | instskip(SKIP_2) | instid1(SALU_CYCLE_1)
	s_sub_co_i32 s23, s22, s34
	s_cmp_ge_u32 s22, s34
	s_cselect_b32 s28, s23, s22
	s_mov_b64 s[22:23], s[28:29]
.LBB168_279:                            ;   in Loop: Header=BB168_6 Depth=1
	s_delay_alu instid0(SALU_CYCLE_1)
	s_sub_nc_u64 s[20:21], s[20:21], s[22:23]
	s_mov_b32 s23, 0
	s_mov_b32 s22, 0
	s_mov_b32 s28, exec_lo
                                        ; implicit-def: $vgpr45
	v_cmpx_gt_u64_e64 s[20:21], v[0:1]
	s_cbranch_execz .LBB168_289
; %bb.280:                              ;   in Loop: Header=BB168_6 Depth=1
	v_mov_b64_e32 v[4:5], v[0:1]
	v_mov_b32_e32 v2, v38
                                        ; implicit-def: $sgpr48
	s_branch .LBB168_283
.LBB168_281:                            ;   in Loop: Header=BB168_283 Depth=2
	s_or_b32 exec_lo, exec_lo, s49
	s_wait_dscnt 0x0
	s_barrier_signal -1
	s_barrier_wait -1
	ds_load_b32 v6, v3 offset:3072
	s_mov_b32 s49, -1
	s_mov_b32 s50, -1
	s_wait_dscnt 0x0
	s_barrier_signal -1
	s_barrier_wait -1
	v_and_b32_e32 v7, 0xffff, v6
	s_delay_alu instid0(VALU_DEP_1)
	v_cmp_ne_u32_e32 vcc_lo, 0, v7
	s_cbranch_vccz .LBB168_286
.LBB168_282:                            ;   in Loop: Header=BB168_283 Depth=2
	s_and_b32 s7, exec_lo, s49
	s_delay_alu instid0(SALU_CYCLE_1) | instskip(SKIP_2) | instid1(SALU_CYCLE_1)
	s_or_b32 s22, s7, s22
	s_and_not1_b32 s7, s48, exec_lo
	s_and_b32 s8, s50, exec_lo
	s_or_b32 s48, s7, s8
	s_and_not1_b32 exec_lo, exec_lo, s22
	s_cbranch_execz .LBB168_288
.LBB168_283:                            ;   Parent Loop BB168_6 Depth=1
                                        ; =>  This Inner Loop Header: Depth=2
	s_mov_b32 s49, exec_lo
	s_delay_alu instid0(VALU_DEP_2)
	v_cmpx_gt_u64_e64 s[10:11], v[4:5]
	s_cbranch_execz .LBB168_281
; %bb.284:                              ;   in Loop: Header=BB168_283 Depth=2
	ds_load_u16 v6, v2
	s_wait_dscnt 0x0
	v_bfe_i32 v7, v6, 0, 16
	s_delay_alu instid0(VALU_DEP_1) | instskip(NEXT) | instid1(VALU_DEP_1)
	v_add_nc_u32_e32 v7, 0x8000, v7
	v_and_b32_e32 v7, v7, v44
	s_delay_alu instid0(VALU_DEP_1)
	v_cmp_eq_u32_e32 vcc_lo, v7, v42
	s_and_b32 exec_lo, exec_lo, vcc_lo
	s_cbranch_execz .LBB168_281
; %bb.285:                              ;   in Loop: Header=BB168_283 Depth=2
	v_perm_b32 v6, v6, 1, 0x5040100
	ds_store_b32 v3, v6 offset:3072
	s_branch .LBB168_281
.LBB168_286:                            ;   in Loop: Header=BB168_283 Depth=2
	v_add_nc_u64_e32 v[4:5], s[34:35], v[4:5]
	v_add_nc_u32_e32 v2, s93, v2
	s_mov_b32 s50, 0
	s_delay_alu instid0(VALU_DEP_2)
	v_cmp_le_u64_e32 vcc_lo, s[20:21], v[4:5]
	s_or_not1_b32 s49, vcc_lo, exec_lo
	s_branch .LBB168_282
.LBB168_287:                            ;   in Loop: Header=BB168_6 Depth=1
	v_dual_mov_b32 v42, v10 :: v_dual_mov_b32 v44, v11
	v_mov_b32_e32 v45, v8
	s_mov_b32 s75, 0
	s_and_saveexec_b32 s9, s72
	s_cbranch_execnz .LBB168_464
	s_branch .LBB168_465
.LBB168_288:                            ;   in Loop: Header=BB168_6 Depth=1
	s_or_b32 exec_lo, exec_lo, s22
	v_lshrrev_b32_e32 v45, 16, v6
	s_and_b32 s22, s48, exec_lo
.LBB168_289:                            ;   in Loop: Header=BB168_6 Depth=1
	s_or_b32 exec_lo, exec_lo, s28
.LBB168_290:                            ;   in Loop: Header=BB168_6 Depth=1
	s_delay_alu instid0(SALU_CYCLE_1)
	s_and_b32 vcc_lo, exec_lo, s23
	s_cbranch_vccz .LBB168_304
; %bb.291:                              ;   in Loop: Header=BB168_6 Depth=1
	s_and_b64 s[10:11], s[56:57], 0xffffffff00000000
	s_delay_alu instid0(SALU_CYCLE_1)
	s_cmp_lg_u64 s[10:11], 0
	s_cbranch_scc0 .LBB168_332
; %bb.292:                              ;   in Loop: Header=BB168_6 Depth=1
	s_cvt_f32_u32 s10, s34
	s_sub_nc_u64 s[20:21], 0, s[34:35]
	s_delay_alu instid0(SALU_CYCLE_2) | instskip(NEXT) | instid1(SALU_CYCLE_3)
	s_fmamk_f32 s10, s94, 0x0, s10
	v_s_rcp_f32 s10, s10
	s_delay_alu instid0(TRANS32_DEP_1) | instskip(NEXT) | instid1(SALU_CYCLE_3)
	s_mul_f32 s10, s10, 0x5f7ffffc
	s_mul_f32 s11, s10, 0x2f800000
	s_delay_alu instid0(SALU_CYCLE_3) | instskip(NEXT) | instid1(SALU_CYCLE_3)
	s_trunc_f32 s11, s11
	s_fmamk_f32 s10, s11, 0xcf800000, s10
	s_cvt_u32_f32 s11, s11
	s_delay_alu instid0(SALU_CYCLE_2) | instskip(NEXT) | instid1(SALU_CYCLE_3)
	s_cvt_u32_f32 s10, s10
	s_mul_u64 s[48:49], s[20:21], s[10:11]
	s_delay_alu instid0(SALU_CYCLE_1)
	s_mul_hi_u32 s51, s10, s49
	s_mul_i32 s50, s10, s49
	s_mul_hi_u32 s28, s10, s48
	s_mul_i32 s26, s11, s48
	s_add_nc_u64 s[50:51], s[28:29], s[50:51]
	s_mul_hi_u32 s23, s11, s48
	s_mul_hi_u32 s44, s11, s49
	s_add_co_u32 s26, s50, s26
	s_add_co_ci_u32 s28, s51, s23
	s_mul_i32 s48, s11, s49
	s_add_co_ci_u32 s49, s44, 0
	s_delay_alu instid0(SALU_CYCLE_1) | instskip(NEXT) | instid1(SALU_CYCLE_1)
	s_add_nc_u64 s[48:49], s[28:29], s[48:49]
	s_add_co_u32 s10, s10, s48
	s_cselect_b32 s23, -1, 0
	s_delay_alu instid0(SALU_CYCLE_1) | instskip(SKIP_1) | instid1(SALU_CYCLE_1)
	s_cmp_lg_u32 s23, 0
	s_add_co_ci_u32 s11, s11, s49
	s_mul_u64 s[20:21], s[20:21], s[10:11]
	s_delay_alu instid0(SALU_CYCLE_1)
	s_mul_hi_u32 s49, s10, s21
	s_mul_i32 s48, s10, s21
	s_mul_hi_u32 s28, s10, s20
	s_mul_i32 s26, s11, s20
	s_add_nc_u64 s[48:49], s[28:29], s[48:49]
	s_mul_hi_u32 s23, s11, s20
	s_mul_hi_u32 s44, s11, s21
	s_mul_i32 s20, s11, s21
	s_add_co_u32 s21, s48, s26
	s_add_co_ci_u32 s28, s49, s23
	s_add_co_ci_u32 s21, s44, 0
	s_delay_alu instid0(SALU_CYCLE_1) | instskip(NEXT) | instid1(SALU_CYCLE_1)
	s_add_nc_u64 s[20:21], s[28:29], s[20:21]
	s_add_co_u32 s10, s10, s20
	s_cselect_b32 s20, -1, 0
	s_mul_hi_u32 s28, s56, s10
	s_cmp_lg_u32 s20, 0
	s_mul_hi_u32 s23, s57, s10
	s_add_co_ci_u32 s20, s11, s21
	s_mul_i32 s21, s57, s10
	s_mul_hi_u32 s11, s56, s20
	s_mul_i32 s10, s56, s20
	s_mul_hi_u32 s26, s57, s20
	s_add_nc_u64 s[10:11], s[28:29], s[10:11]
	s_mul_i32 s20, s57, s20
	s_add_co_u32 s10, s10, s21
	s_add_co_ci_u32 s28, s11, s23
	s_add_co_ci_u32 s21, s26, 0
	s_delay_alu instid0(SALU_CYCLE_1) | instskip(NEXT) | instid1(SALU_CYCLE_1)
	s_add_nc_u64 s[10:11], s[28:29], s[20:21]
	s_and_b64 s[20:21], s[10:11], 0xffffffff00000000
	s_delay_alu instid0(SALU_CYCLE_1) | instskip(NEXT) | instid1(SALU_CYCLE_1)
	s_or_b32 s20, s20, s10
	s_mul_u64 s[10:11], s[34:35], s[20:21]
	s_delay_alu instid0(SALU_CYCLE_1) | instskip(SKIP_1) | instid1(SALU_CYCLE_1)
	s_sub_co_u32 s10, s56, s10
	s_cselect_b32 s20, -1, 0
	s_cmp_lg_u32 s20, 0
	s_sub_co_ci_u32 s11, s57, s11
	s_sub_co_u32 s20, s10, s34
	s_cselect_b32 s21, -1, 0
	s_delay_alu instid0(SALU_CYCLE_1) | instskip(SKIP_3) | instid1(SALU_CYCLE_1)
	s_cmp_lg_u32 s21, 0
	s_sub_co_ci_u32 s21, s11, 0
	s_sub_co_u32 s23, s20, s34
	s_cselect_b32 s26, -1, 0
	s_cmp_lg_u32 s26, 0
	s_sub_co_ci_u32 s26, s21, 0
	s_cmp_ge_u32 s20, s34
	s_cselect_b32 s28, -1, 0
	s_cmp_eq_u32 s21, 0
	s_cselect_b32 s28, s28, -1
	s_delay_alu instid0(SALU_CYCLE_1)
	s_cmp_lg_u32 s28, 0
	s_cselect_b32 s21, s26, s21
	s_cselect_b32 s20, s23, s20
	s_cmp_ge_u32 s10, s34
	s_cselect_b32 s23, -1, 0
	s_cmp_eq_u32 s11, 0
	s_cselect_b32 s23, s23, -1
	s_delay_alu instid0(SALU_CYCLE_1)
	s_cmp_lg_u32 s23, 0
	s_cselect_b32 s11, s21, s11
	s_cselect_b32 s10, s20, s10
	s_cbranch_execnz .LBB168_294
.LBB168_293:                            ;   in Loop: Header=BB168_6 Depth=1
	v_cvt_f32_u32_e32 v2, s34
	s_sub_co_i32 s11, 0, s34
	s_delay_alu instid0(VALU_DEP_1) | instskip(SKIP_1) | instid1(TRANS32_DEP_1)
	v_rcp_iflag_f32_e32 v2, v2
	v_nop
	v_mul_f32_e32 v2, 0x4f7ffffe, v2
	s_delay_alu instid0(VALU_DEP_1) | instskip(NEXT) | instid1(VALU_DEP_1)
	v_cvt_u32_f32_e32 v2, v2
	v_readfirstlane_b32 s10, v2
	s_mul_i32 s11, s11, s10
	s_delay_alu instid0(SALU_CYCLE_1) | instskip(NEXT) | instid1(SALU_CYCLE_1)
	s_mul_hi_u32 s11, s10, s11
	s_add_co_i32 s10, s10, s11
	s_delay_alu instid0(SALU_CYCLE_1) | instskip(NEXT) | instid1(SALU_CYCLE_1)
	s_mul_hi_u32 s10, s56, s10
	s_mul_i32 s10, s10, s34
	s_delay_alu instid0(SALU_CYCLE_1) | instskip(NEXT) | instid1(SALU_CYCLE_1)
	s_sub_co_i32 s10, s56, s10
	s_sub_co_i32 s11, s10, s34
	s_cmp_ge_u32 s10, s34
	s_cselect_b32 s10, s11, s10
	s_delay_alu instid0(SALU_CYCLE_1) | instskip(SKIP_2) | instid1(SALU_CYCLE_1)
	s_sub_co_i32 s11, s10, s34
	s_cmp_ge_u32 s10, s34
	s_cselect_b32 s28, s11, s10
	s_mov_b64 s[10:11], s[28:29]
.LBB168_294:                            ;   in Loop: Header=BB168_6 Depth=1
	s_delay_alu instid0(SALU_CYCLE_1)
	s_sub_nc_u64 s[10:11], s[56:57], s[10:11]
	s_mov_b32 s20, exec_lo
                                        ; implicit-def: $vgpr45
	v_nop
	v_cmpx_gt_u64_e64 s[10:11], v[0:1]
	s_cbranch_execz .LBB168_303
; %bb.295:                              ;   in Loop: Header=BB168_6 Depth=1
	v_mov_b64_e32 v[4:5], v[14:15]
	v_mov_b64_e32 v[6:7], v[0:1]
	s_mov_b32 s21, 0
                                        ; implicit-def: $sgpr23
	s_branch .LBB168_298
.LBB168_296:                            ;   in Loop: Header=BB168_298 Depth=2
	s_or_b32 exec_lo, exec_lo, s26
	s_wait_dscnt 0x0
	s_barrier_signal -1
	s_barrier_wait -1
	ds_load_b32 v2, v3 offset:3072
	s_mov_b32 s26, -1
	s_mov_b32 s28, -1
	s_wait_dscnt 0x0
	s_barrier_signal -1
	s_barrier_wait -1
	v_and_b32_e32 v8, 0xffff, v2
	s_delay_alu instid0(VALU_DEP_1)
	v_cmp_ne_u32_e32 vcc_lo, 0, v8
	s_cbranch_vccz .LBB168_301
.LBB168_297:                            ;   in Loop: Header=BB168_298 Depth=2
	s_and_b32 s7, exec_lo, s26
	s_delay_alu instid0(SALU_CYCLE_1) | instskip(SKIP_2) | instid1(SALU_CYCLE_1)
	s_or_b32 s21, s7, s21
	s_and_not1_b32 s7, s23, exec_lo
	s_and_b32 s8, s28, exec_lo
	s_or_b32 s23, s7, s8
	s_and_not1_b32 exec_lo, exec_lo, s21
	s_cbranch_execz .LBB168_302
.LBB168_298:                            ;   Parent Loop BB168_6 Depth=1
                                        ; =>  This Inner Loop Header: Depth=2
	s_mov_b32 s26, exec_lo
	s_delay_alu instid0(VALU_DEP_1)
	v_cmpx_gt_u64_e64 s[36:37], v[6:7]
	s_cbranch_execz .LBB168_296
; %bb.299:                              ;   in Loop: Header=BB168_298 Depth=2
	global_load_u16 v2, v[4:5], off
	s_wait_loadcnt 0x0
	v_bfe_i32 v8, v2, 0, 16
	s_delay_alu instid0(VALU_DEP_1) | instskip(NEXT) | instid1(VALU_DEP_1)
	v_add_nc_u32_e32 v8, 0x8000, v8
	v_and_b32_e32 v8, v8, v44
	s_delay_alu instid0(VALU_DEP_1)
	v_cmp_eq_u32_e32 vcc_lo, v8, v42
	s_and_b32 exec_lo, exec_lo, vcc_lo
	s_cbranch_execz .LBB168_296
; %bb.300:                              ;   in Loop: Header=BB168_298 Depth=2
	v_perm_b32 v2, v2, 1, 0x5040100
	ds_store_b32 v3, v2 offset:3072
	s_branch .LBB168_296
.LBB168_301:                            ;   in Loop: Header=BB168_298 Depth=2
	v_add_nc_u64_e32 v[6:7], s[34:35], v[6:7]
	v_add_nc_u64_e32 v[4:5], s[40:41], v[4:5]
	s_mov_b32 s28, 0
	s_delay_alu instid0(VALU_DEP_2)
	v_cmp_le_u64_e32 vcc_lo, s[10:11], v[6:7]
	s_or_not1_b32 s26, vcc_lo, exec_lo
	s_branch .LBB168_297
.LBB168_302:                            ;   in Loop: Header=BB168_6 Depth=1
	s_or_b32 exec_lo, exec_lo, s21
	v_lshrrev_b32_e32 v45, 16, v2
	s_and_not1_b32 s7, s22, exec_lo
	s_and_b32 s8, s23, exec_lo
	s_delay_alu instid0(SALU_CYCLE_1)
	s_or_b32 s22, s7, s8
.LBB168_303:                            ;   in Loop: Header=BB168_6 Depth=1
	s_or_b32 exec_lo, exec_lo, s20
	s_mov_b32 s26, 0
	s_mov_b32 s75, -1
.LBB168_304:                            ;   in Loop: Header=BB168_6 Depth=1
	s_or_not1_b32 s10, s22, exec_lo
.LBB168_305:                            ;   in Loop: Header=BB168_6 Depth=1
	s_or_b32 exec_lo, exec_lo, s73
                                        ; implicit-def: $vgpr4_vgpr5
                                        ; implicit-def: $vgpr2
	s_and_saveexec_b32 s22, s10
	s_cbranch_execz .LBB168_463
; %bb.306:                              ;   in Loop: Header=BB168_6 Depth=1
	v_mov_b64_e32 v[4:5], 1
	v_mov_b32_e32 v2, 1
	s_xor_b32 s10, s9, -1
	s_mov_b32 s11, 0
	s_and_saveexec_b32 s9, s10
	s_cbranch_execz .LBB168_315
; %bb.307:                              ;   in Loop: Header=BB168_6 Depth=1
	s_mov_b32 s10, exec_lo
	v_cmpx_ge_u64_e64 s[18:19], v[30:31]
	s_xor_b32 s10, exec_lo, s10
	s_cbranch_execz .LBB168_312
; %bb.308:                              ;   in Loop: Header=BB168_6 Depth=1
	ds_load_b64 v[4:5], v3 offset:5120
	v_or_b32_e32 v42, s24, v42
	v_or_b32_e32 v44, s24, v44
	s_wait_dscnt 0x0
	v_cmp_ne_u64_e32 vcc_lo, 0, v[4:5]
	s_cbranch_vccnz .LBB168_312
; %bb.309:                              ;   in Loop: Header=BB168_6 Depth=1
	s_and_saveexec_b32 s11, s5
; %bb.310:                              ;   in Loop: Header=BB168_6 Depth=1
	v_mov_b64_e32 v[4:5], s[18:19]
	ds_store_b64 v3, v[4:5] offset:5128
; %bb.311:                              ;   in Loop: Header=BB168_6 Depth=1
	s_or_b32 exec_lo, exec_lo, s11
	s_wait_dscnt 0x0
	s_barrier_signal -1
	s_barrier_wait -1
.LBB168_312:                            ;   in Loop: Header=BB168_6 Depth=1
	s_or_saveexec_b32 s10, s10
	v_mov_b32_e32 v2, 5
	s_mov_b32 s11, 0
	s_xor_b32 exec_lo, exec_lo, s10
; %bb.313:                              ;   in Loop: Header=BB168_6 Depth=1
	v_sub_nc_u64_e64 v[30:31], v[30:31], s[18:19]
	v_mov_b32_e32 v2, 0
	s_mov_b32 s11, exec_lo
; %bb.314:                              ;   in Loop: Header=BB168_6 Depth=1
	s_or_b32 exec_lo, exec_lo, s10
	s_delay_alu instid0(VALU_DEP_2)
	v_mov_b64_e32 v[4:5], v[30:31]
	s_and_b32 s11, s11, exec_lo
.LBB168_315:                            ;   in Loop: Header=BB168_6 Depth=1
	s_or_b32 exec_lo, exec_lo, s9
	s_mov_b32 s10, -1
                                        ; implicit-def: $sgpr23
                                        ; implicit-def: $sgpr73
	s_and_saveexec_b32 s9, s11
	s_delay_alu instid0(SALU_CYCLE_1)
	s_xor_b32 s9, exec_lo, s9
	s_cbranch_execz .LBB168_460
; %bb.316:                              ;   in Loop: Header=BB168_6 Depth=1
	v_cmp_eq_u64_e32 vcc_lo, 1, v[4:5]
	s_cmp_eq_u64 s[16:17], 1
                                        ; implicit-def: $sgpr73
                                        ; implicit-def: $sgpr23
	s_cselect_b32 s10, -1, 0
	s_delay_alu instid0(SALU_CYCLE_1)
	s_and_b32 s74, s10, vcc_lo
	s_mov_b32 s10, -1
	s_and_saveexec_b32 s76, s74
	s_cbranch_execz .LBB168_350
; %bb.317:                              ;   in Loop: Header=BB168_6 Depth=1
	ds_load_b64 v[6:7], v3 offset:5120
	s_wait_dscnt 0x0
	s_barrier_signal -1
	s_barrier_wait -1
	v_readfirstlane_b32 s10, v6
	v_readfirstlane_b32 s11, v7
	s_and_saveexec_b32 s18, s6
; %bb.318:                              ;   in Loop: Header=BB168_6 Depth=1
	ds_store_b16 v40, v3
; %bb.319:                              ;   in Loop: Header=BB168_6 Depth=1
	s_or_b32 exec_lo, exec_lo, s18
	s_lshl_b32 s18, 2, s95
	v_or_b32_e32 v44, s24, v44
	v_and_or_b32 v42, v42, s25, s18
	s_mov_b32 s23, -1
	s_mov_b32 s73, 0
	s_cmp_eq_u64 s[10:11], 0
	s_mov_b32 s20, 0
	s_mov_b32 s21, -1
	s_wait_dscnt 0x0
	s_barrier_signal -1
	s_barrier_wait -1
                                        ; implicit-def: $vgpr45
	s_cbranch_scc1 .LBB168_335
; %bb.320:                              ;   in Loop: Header=BB168_6 Depth=1
	s_add_nc_u64 s[18:19], s[10:11], s[54:55]
	s_delay_alu instid0(SALU_CYCLE_1) | instskip(NEXT) | instid1(SALU_CYCLE_1)
	s_and_b64 s[20:21], s[18:19], 0xffffffff00000000
	s_cmp_lg_u64 s[20:21], 0
	s_cbranch_scc0 .LBB168_376
; %bb.321:                              ;   in Loop: Header=BB168_6 Depth=1
	s_cvt_f32_u32 s20, s34
	s_sub_nc_u64 s[48:49], 0, s[34:35]
	s_delay_alu instid0(SALU_CYCLE_2) | instskip(NEXT) | instid1(SALU_CYCLE_3)
	s_fmamk_f32 s20, s94, 0x0, s20
	v_s_rcp_f32 s20, s20
	s_delay_alu instid0(TRANS32_DEP_1) | instskip(NEXT) | instid1(SALU_CYCLE_3)
	s_mul_f32 s20, s20, 0x5f7ffffc
	s_mul_f32 s21, s20, 0x2f800000
	s_delay_alu instid0(SALU_CYCLE_3) | instskip(NEXT) | instid1(SALU_CYCLE_3)
	s_trunc_f32 s21, s21
	s_fmamk_f32 s20, s21, 0xcf800000, s20
	s_cvt_u32_f32 s21, s21
	s_delay_alu instid0(SALU_CYCLE_2) | instskip(NEXT) | instid1(SALU_CYCLE_3)
	s_cvt_u32_f32 s20, s20
	s_mul_u64 s[50:51], s[48:49], s[20:21]
	s_delay_alu instid0(SALU_CYCLE_1)
	s_mul_hi_u32 s53, s20, s51
	s_mul_i32 s52, s20, s51
	s_mul_hi_u32 s28, s20, s50
	s_mul_i32 s45, s21, s50
	s_add_nc_u64 s[52:53], s[28:29], s[52:53]
	s_mul_hi_u32 s44, s21, s50
	s_mul_hi_u32 s77, s21, s51
	s_add_co_u32 s28, s52, s45
	s_add_co_ci_u32 s28, s53, s44
	s_mul_i32 s50, s21, s51
	s_add_co_ci_u32 s51, s77, 0
	s_delay_alu instid0(SALU_CYCLE_1) | instskip(NEXT) | instid1(SALU_CYCLE_1)
	s_add_nc_u64 s[50:51], s[28:29], s[50:51]
	s_add_co_u32 s20, s20, s50
	s_cselect_b32 s28, -1, 0
	s_delay_alu instid0(SALU_CYCLE_1) | instskip(SKIP_1) | instid1(SALU_CYCLE_1)
	s_cmp_lg_u32 s28, 0
	s_add_co_ci_u32 s21, s21, s51
	s_mul_u64 s[48:49], s[48:49], s[20:21]
	s_delay_alu instid0(SALU_CYCLE_1)
	s_mul_hi_u32 s51, s20, s49
	s_mul_i32 s50, s20, s49
	s_mul_hi_u32 s28, s20, s48
	s_mul_i32 s45, s21, s48
	s_add_nc_u64 s[50:51], s[28:29], s[50:51]
	s_mul_hi_u32 s44, s21, s48
	s_mul_hi_u32 s52, s21, s49
	s_add_co_u32 s28, s50, s45
	s_add_co_ci_u32 s28, s51, s44
	s_mul_i32 s48, s21, s49
	s_add_co_ci_u32 s49, s52, 0
	s_delay_alu instid0(SALU_CYCLE_1) | instskip(NEXT) | instid1(SALU_CYCLE_1)
	s_add_nc_u64 s[48:49], s[28:29], s[48:49]
	s_add_co_u32 s20, s20, s48
	s_cselect_b32 s44, -1, 0
	s_mul_hi_u32 s28, s18, s20
	s_cmp_lg_u32 s44, 0
	s_mul_hi_u32 s44, s19, s20
	s_add_co_ci_u32 s45, s21, s49
	s_mul_i32 s49, s19, s20
	s_mul_hi_u32 s21, s18, s45
	s_mul_i32 s20, s18, s45
	s_mul_hi_u32 s50, s19, s45
	s_add_nc_u64 s[20:21], s[28:29], s[20:21]
	s_mul_i32 s48, s19, s45
	s_add_co_u32 s20, s20, s49
	s_add_co_ci_u32 s28, s21, s44
	s_add_co_ci_u32 s49, s50, 0
	s_delay_alu instid0(SALU_CYCLE_1) | instskip(NEXT) | instid1(SALU_CYCLE_1)
	s_add_nc_u64 s[20:21], s[28:29], s[48:49]
	s_and_b64 s[48:49], s[20:21], 0xffffffff00000000
	s_delay_alu instid0(SALU_CYCLE_1) | instskip(NEXT) | instid1(SALU_CYCLE_1)
	s_or_b32 s48, s48, s20
	s_mul_u64 s[20:21], s[34:35], s[48:49]
	s_delay_alu instid0(SALU_CYCLE_1) | instskip(SKIP_1) | instid1(SALU_CYCLE_1)
	s_sub_co_u32 s20, s18, s20
	s_cselect_b32 s28, -1, 0
	s_cmp_lg_u32 s28, 0
	s_sub_co_ci_u32 s21, s19, s21
	s_sub_co_u32 s28, s20, s34
	s_cselect_b32 s44, -1, 0
	s_delay_alu instid0(SALU_CYCLE_1) | instskip(SKIP_3) | instid1(SALU_CYCLE_1)
	s_cmp_lg_u32 s44, 0
	s_sub_co_ci_u32 s44, s21, 0
	s_sub_co_u32 s45, s28, s34
	s_cselect_b32 s48, -1, 0
	s_cmp_lg_u32 s48, 0
	s_sub_co_ci_u32 s48, s44, 0
	s_cmp_ge_u32 s28, s34
	s_cselect_b32 s49, -1, 0
	s_cmp_eq_u32 s44, 0
	s_cselect_b32 s49, s49, -1
	s_delay_alu instid0(SALU_CYCLE_1)
	s_cmp_lg_u32 s49, 0
	s_cselect_b32 s44, s48, s44
	s_cselect_b32 s28, s45, s28
	s_cmp_ge_u32 s20, s34
	s_cselect_b32 s45, -1, 0
	s_cmp_eq_u32 s21, 0
	s_cselect_b32 s45, s45, -1
	s_delay_alu instid0(SALU_CYCLE_1)
	s_cmp_lg_u32 s45, 0
	s_cselect_b32 s21, s44, s21
	s_cselect_b32 s20, s28, s20
	s_cbranch_execnz .LBB168_323
.LBB168_322:                            ;   in Loop: Header=BB168_6 Depth=1
	v_cvt_f32_u32_e32 v6, s34
	s_sub_co_i32 s21, 0, s34
	s_delay_alu instid0(VALU_DEP_1) | instskip(SKIP_1) | instid1(TRANS32_DEP_1)
	v_rcp_iflag_f32_e32 v6, v6
	v_nop
	v_mul_f32_e32 v6, 0x4f7ffffe, v6
	s_delay_alu instid0(VALU_DEP_1) | instskip(NEXT) | instid1(VALU_DEP_1)
	v_cvt_u32_f32_e32 v6, v6
	v_readfirstlane_b32 s20, v6
	s_mul_i32 s21, s21, s20
	s_delay_alu instid0(SALU_CYCLE_1) | instskip(NEXT) | instid1(SALU_CYCLE_1)
	s_mul_hi_u32 s21, s20, s21
	s_add_co_i32 s20, s20, s21
	s_delay_alu instid0(SALU_CYCLE_1) | instskip(NEXT) | instid1(SALU_CYCLE_1)
	s_mul_hi_u32 s20, s18, s20
	s_mul_i32 s20, s20, s34
	s_delay_alu instid0(SALU_CYCLE_1) | instskip(NEXT) | instid1(SALU_CYCLE_1)
	s_sub_co_i32 s20, s18, s20
	s_sub_co_i32 s21, s20, s34
	s_cmp_ge_u32 s20, s34
	s_cselect_b32 s20, s21, s20
	s_delay_alu instid0(SALU_CYCLE_1) | instskip(SKIP_2) | instid1(SALU_CYCLE_1)
	s_sub_co_i32 s21, s20, s34
	s_cmp_ge_u32 s20, s34
	s_cselect_b32 s28, s21, s20
	s_mov_b64 s[20:21], s[28:29]
.LBB168_323:                            ;   in Loop: Header=BB168_6 Depth=1
	s_delay_alu instid0(SALU_CYCLE_1)
	s_sub_nc_u64 s[18:19], s[18:19], s[20:21]
	s_mov_b32 s21, 0
	s_mov_b32 s20, 0
	s_mov_b32 s28, exec_lo
                                        ; implicit-def: $vgpr45
	v_cmpx_gt_u64_e64 s[18:19], v[0:1]
	s_cbranch_execz .LBB168_334
; %bb.324:                              ;   in Loop: Header=BB168_6 Depth=1
	v_mov_b64_e32 v[6:7], v[0:1]
	v_mov_b32_e32 v8, v38
                                        ; implicit-def: $sgpr48
	s_branch .LBB168_327
.LBB168_325:                            ;   in Loop: Header=BB168_327 Depth=2
	s_or_b32 exec_lo, exec_lo, s49
	s_wait_dscnt 0x0
	s_barrier_signal -1
	s_barrier_wait -1
	ds_load_b32 v9, v3 offset:3072
	s_mov_b32 s49, -1
	s_mov_b32 s50, -1
	s_wait_dscnt 0x0
	s_barrier_signal -1
	s_barrier_wait -1
	v_and_b32_e32 v10, 0xffff, v9
	s_delay_alu instid0(VALU_DEP_1)
	v_cmp_ne_u32_e32 vcc_lo, 0, v10
	s_cbranch_vccz .LBB168_330
.LBB168_326:                            ;   in Loop: Header=BB168_327 Depth=2
	s_and_b32 s7, exec_lo, s49
	s_delay_alu instid0(SALU_CYCLE_1) | instskip(SKIP_2) | instid1(SALU_CYCLE_1)
	s_or_b32 s20, s7, s20
	s_and_not1_b32 s7, s48, exec_lo
	s_and_b32 s8, s50, exec_lo
	s_or_b32 s48, s7, s8
	s_and_not1_b32 exec_lo, exec_lo, s20
	s_cbranch_execz .LBB168_333
.LBB168_327:                            ;   Parent Loop BB168_6 Depth=1
                                        ; =>  This Inner Loop Header: Depth=2
	s_mov_b32 s49, exec_lo
	s_delay_alu instid0(VALU_DEP_2)
	v_cmpx_gt_u64_e64 s[10:11], v[6:7]
	s_cbranch_execz .LBB168_325
; %bb.328:                              ;   in Loop: Header=BB168_327 Depth=2
	ds_load_u16 v9, v8
	s_wait_dscnt 0x0
	v_bfe_i32 v10, v9, 0, 16
	s_delay_alu instid0(VALU_DEP_1) | instskip(NEXT) | instid1(VALU_DEP_1)
	v_add_nc_u32_e32 v10, 0x8000, v10
	v_and_b32_e32 v10, v10, v44
	s_delay_alu instid0(VALU_DEP_1)
	v_cmp_eq_u32_e32 vcc_lo, v10, v42
	s_and_b32 exec_lo, exec_lo, vcc_lo
	s_cbranch_execz .LBB168_325
; %bb.329:                              ;   in Loop: Header=BB168_327 Depth=2
	v_perm_b32 v9, v9, 1, 0x5040100
	ds_store_b32 v3, v9 offset:3072
	s_branch .LBB168_325
.LBB168_330:                            ;   in Loop: Header=BB168_327 Depth=2
	v_add_nc_u64_e32 v[6:7], s[34:35], v[6:7]
	v_add_nc_u32_e32 v8, s93, v8
	s_mov_b32 s50, 0
	s_delay_alu instid0(VALU_DEP_2)
	v_cmp_le_u64_e32 vcc_lo, s[18:19], v[6:7]
	s_or_not1_b32 s49, vcc_lo, exec_lo
	s_branch .LBB168_326
.LBB168_331:                            ;   in Loop: Header=BB168_6 Depth=1
                                        ; implicit-def: $sgpr22_sgpr23
	s_branch .LBB168_278
.LBB168_332:                            ;   in Loop: Header=BB168_6 Depth=1
                                        ; implicit-def: $sgpr10_sgpr11
	s_branch .LBB168_293
.LBB168_333:                            ;   in Loop: Header=BB168_6 Depth=1
	s_or_b32 exec_lo, exec_lo, s20
	v_lshrrev_b32_e32 v45, 16, v9
	s_and_b32 s20, s48, exec_lo
.LBB168_334:                            ;   in Loop: Header=BB168_6 Depth=1
	s_or_b32 exec_lo, exec_lo, s28
.LBB168_335:                            ;   in Loop: Header=BB168_6 Depth=1
	s_delay_alu instid0(SALU_CYCLE_1)
	s_and_b32 vcc_lo, exec_lo, s21
	s_cbranch_vccz .LBB168_349
; %bb.336:                              ;   in Loop: Header=BB168_6 Depth=1
	s_and_b64 s[10:11], s[56:57], 0xffffffff00000000
	s_delay_alu instid0(SALU_CYCLE_1)
	s_cmp_lg_u64 s[10:11], 0
	s_cbranch_scc0 .LBB168_377
; %bb.337:                              ;   in Loop: Header=BB168_6 Depth=1
	s_cvt_f32_u32 s10, s34
	s_sub_nc_u64 s[18:19], 0, s[34:35]
	s_delay_alu instid0(SALU_CYCLE_2) | instskip(NEXT) | instid1(SALU_CYCLE_3)
	s_fmamk_f32 s10, s94, 0x0, s10
	v_s_rcp_f32 s10, s10
	s_delay_alu instid0(TRANS32_DEP_1) | instskip(NEXT) | instid1(SALU_CYCLE_3)
	s_mul_f32 s10, s10, 0x5f7ffffc
	s_mul_f32 s11, s10, 0x2f800000
	s_delay_alu instid0(SALU_CYCLE_3) | instskip(NEXT) | instid1(SALU_CYCLE_3)
	s_trunc_f32 s11, s11
	s_fmamk_f32 s10, s11, 0xcf800000, s10
	s_cvt_u32_f32 s11, s11
	s_delay_alu instid0(SALU_CYCLE_2) | instskip(NEXT) | instid1(SALU_CYCLE_3)
	s_cvt_u32_f32 s10, s10
	s_mul_u64 s[48:49], s[18:19], s[10:11]
	s_delay_alu instid0(SALU_CYCLE_1)
	s_mul_hi_u32 s51, s10, s49
	s_mul_i32 s50, s10, s49
	s_mul_hi_u32 s28, s10, s48
	s_mul_i32 s23, s11, s48
	s_add_nc_u64 s[50:51], s[28:29], s[50:51]
	s_mul_hi_u32 s21, s11, s48
	s_mul_hi_u32 s44, s11, s49
	s_add_co_u32 s23, s50, s23
	s_add_co_ci_u32 s28, s51, s21
	s_mul_i32 s48, s11, s49
	s_add_co_ci_u32 s49, s44, 0
	s_delay_alu instid0(SALU_CYCLE_1) | instskip(NEXT) | instid1(SALU_CYCLE_1)
	s_add_nc_u64 s[48:49], s[28:29], s[48:49]
	s_add_co_u32 s10, s10, s48
	s_cselect_b32 s21, -1, 0
	s_delay_alu instid0(SALU_CYCLE_1) | instskip(SKIP_1) | instid1(SALU_CYCLE_1)
	s_cmp_lg_u32 s21, 0
	s_add_co_ci_u32 s11, s11, s49
	s_mul_u64 s[18:19], s[18:19], s[10:11]
	s_delay_alu instid0(SALU_CYCLE_1)
	s_mul_hi_u32 s49, s10, s19
	s_mul_i32 s48, s10, s19
	s_mul_hi_u32 s28, s10, s18
	s_mul_i32 s23, s11, s18
	s_add_nc_u64 s[48:49], s[28:29], s[48:49]
	s_mul_hi_u32 s21, s11, s18
	s_mul_hi_u32 s44, s11, s19
	s_mul_i32 s18, s11, s19
	s_add_co_u32 s19, s48, s23
	s_add_co_ci_u32 s28, s49, s21
	s_add_co_ci_u32 s19, s44, 0
	s_delay_alu instid0(SALU_CYCLE_1) | instskip(NEXT) | instid1(SALU_CYCLE_1)
	s_add_nc_u64 s[18:19], s[28:29], s[18:19]
	s_add_co_u32 s10, s10, s18
	s_cselect_b32 s18, -1, 0
	s_mul_hi_u32 s28, s56, s10
	s_cmp_lg_u32 s18, 0
	s_mul_hi_u32 s21, s57, s10
	s_add_co_ci_u32 s18, s11, s19
	s_mul_i32 s19, s57, s10
	s_mul_hi_u32 s11, s56, s18
	s_mul_i32 s10, s56, s18
	s_mul_hi_u32 s23, s57, s18
	s_add_nc_u64 s[10:11], s[28:29], s[10:11]
	s_mul_i32 s18, s57, s18
	s_add_co_u32 s10, s10, s19
	s_add_co_ci_u32 s28, s11, s21
	s_add_co_ci_u32 s19, s23, 0
	s_delay_alu instid0(SALU_CYCLE_1) | instskip(NEXT) | instid1(SALU_CYCLE_1)
	s_add_nc_u64 s[10:11], s[28:29], s[18:19]
	s_and_b64 s[18:19], s[10:11], 0xffffffff00000000
	s_delay_alu instid0(SALU_CYCLE_1) | instskip(NEXT) | instid1(SALU_CYCLE_1)
	s_or_b32 s18, s18, s10
	s_mul_u64 s[10:11], s[34:35], s[18:19]
	s_delay_alu instid0(SALU_CYCLE_1) | instskip(SKIP_1) | instid1(SALU_CYCLE_1)
	s_sub_co_u32 s10, s56, s10
	s_cselect_b32 s18, -1, 0
	s_cmp_lg_u32 s18, 0
	s_sub_co_ci_u32 s11, s57, s11
	s_sub_co_u32 s18, s10, s34
	s_cselect_b32 s19, -1, 0
	s_delay_alu instid0(SALU_CYCLE_1) | instskip(SKIP_3) | instid1(SALU_CYCLE_1)
	s_cmp_lg_u32 s19, 0
	s_sub_co_ci_u32 s19, s11, 0
	s_sub_co_u32 s21, s18, s34
	s_cselect_b32 s23, -1, 0
	s_cmp_lg_u32 s23, 0
	s_sub_co_ci_u32 s23, s19, 0
	s_cmp_ge_u32 s18, s34
	s_cselect_b32 s28, -1, 0
	s_cmp_eq_u32 s19, 0
	s_cselect_b32 s28, s28, -1
	s_delay_alu instid0(SALU_CYCLE_1)
	s_cmp_lg_u32 s28, 0
	s_cselect_b32 s19, s23, s19
	s_cselect_b32 s18, s21, s18
	s_cmp_ge_u32 s10, s34
	s_cselect_b32 s21, -1, 0
	s_cmp_eq_u32 s11, 0
	s_cselect_b32 s21, s21, -1
	s_delay_alu instid0(SALU_CYCLE_1)
	s_cmp_lg_u32 s21, 0
	s_cselect_b32 s11, s19, s11
	s_cselect_b32 s10, s18, s10
	s_cbranch_execnz .LBB168_339
.LBB168_338:                            ;   in Loop: Header=BB168_6 Depth=1
	v_cvt_f32_u32_e32 v6, s34
	s_sub_co_i32 s11, 0, s34
	s_delay_alu instid0(VALU_DEP_1) | instskip(SKIP_1) | instid1(TRANS32_DEP_1)
	v_rcp_iflag_f32_e32 v6, v6
	v_nop
	v_mul_f32_e32 v6, 0x4f7ffffe, v6
	s_delay_alu instid0(VALU_DEP_1) | instskip(NEXT) | instid1(VALU_DEP_1)
	v_cvt_u32_f32_e32 v6, v6
	v_readfirstlane_b32 s10, v6
	s_mul_i32 s11, s11, s10
	s_delay_alu instid0(SALU_CYCLE_1) | instskip(NEXT) | instid1(SALU_CYCLE_1)
	s_mul_hi_u32 s11, s10, s11
	s_add_co_i32 s10, s10, s11
	s_delay_alu instid0(SALU_CYCLE_1) | instskip(NEXT) | instid1(SALU_CYCLE_1)
	s_mul_hi_u32 s10, s56, s10
	s_mul_i32 s10, s10, s34
	s_delay_alu instid0(SALU_CYCLE_1) | instskip(NEXT) | instid1(SALU_CYCLE_1)
	s_sub_co_i32 s10, s56, s10
	s_sub_co_i32 s11, s10, s34
	s_cmp_ge_u32 s10, s34
	s_cselect_b32 s10, s11, s10
	s_delay_alu instid0(SALU_CYCLE_1) | instskip(SKIP_2) | instid1(SALU_CYCLE_1)
	s_sub_co_i32 s11, s10, s34
	s_cmp_ge_u32 s10, s34
	s_cselect_b32 s28, s11, s10
	s_mov_b64 s[10:11], s[28:29]
.LBB168_339:                            ;   in Loop: Header=BB168_6 Depth=1
	s_delay_alu instid0(SALU_CYCLE_1)
	s_sub_nc_u64 s[10:11], s[56:57], s[10:11]
	s_mov_b32 s18, exec_lo
                                        ; implicit-def: $vgpr45
	v_nop
	v_cmpx_gt_u64_e64 s[10:11], v[0:1]
	s_cbranch_execz .LBB168_348
; %bb.340:                              ;   in Loop: Header=BB168_6 Depth=1
	v_mov_b64_e32 v[6:7], v[14:15]
	v_mov_b64_e32 v[8:9], v[0:1]
	s_mov_b32 s19, 0
                                        ; implicit-def: $sgpr21
	s_branch .LBB168_343
.LBB168_341:                            ;   in Loop: Header=BB168_343 Depth=2
	s_or_b32 exec_lo, exec_lo, s23
	s_wait_dscnt 0x0
	s_barrier_signal -1
	s_barrier_wait -1
	ds_load_b32 v10, v3 offset:3072
	s_mov_b32 s23, -1
	s_mov_b32 s28, -1
	s_wait_dscnt 0x0
	s_barrier_signal -1
	s_barrier_wait -1
	v_and_b32_e32 v11, 0xffff, v10
	s_delay_alu instid0(VALU_DEP_1)
	v_cmp_eq_u32_e32 vcc_lo, 0, v11
	s_cbranch_vccnz .LBB168_346
.LBB168_342:                            ;   in Loop: Header=BB168_343 Depth=2
	s_and_b32 s7, exec_lo, s23
	s_delay_alu instid0(SALU_CYCLE_1) | instskip(SKIP_2) | instid1(SALU_CYCLE_1)
	s_or_b32 s19, s7, s19
	s_and_not1_b32 s7, s21, exec_lo
	s_and_b32 s8, s28, exec_lo
	s_or_b32 s21, s7, s8
	s_and_not1_b32 exec_lo, exec_lo, s19
	s_cbranch_execz .LBB168_347
.LBB168_343:                            ;   Parent Loop BB168_6 Depth=1
                                        ; =>  This Inner Loop Header: Depth=2
	s_mov_b32 s23, exec_lo
	s_delay_alu instid0(VALU_DEP_1)
	v_cmpx_gt_u64_e64 s[36:37], v[8:9]
	s_cbranch_execz .LBB168_341
; %bb.344:                              ;   in Loop: Header=BB168_343 Depth=2
	global_load_u16 v10, v[6:7], off
	s_wait_loadcnt 0x0
	v_bfe_i32 v11, v10, 0, 16
	s_delay_alu instid0(VALU_DEP_1) | instskip(NEXT) | instid1(VALU_DEP_1)
	v_add_nc_u32_e32 v11, 0x8000, v11
	v_and_b32_e32 v11, v11, v44
	s_delay_alu instid0(VALU_DEP_1)
	v_cmp_eq_u32_e32 vcc_lo, v11, v42
	s_and_b32 exec_lo, exec_lo, vcc_lo
	s_cbranch_execz .LBB168_341
; %bb.345:                              ;   in Loop: Header=BB168_343 Depth=2
	v_perm_b32 v10, v10, 1, 0x5040100
	ds_store_b32 v3, v10 offset:3072
	s_branch .LBB168_341
.LBB168_346:                            ;   in Loop: Header=BB168_343 Depth=2
	v_add_nc_u64_e32 v[8:9], s[34:35], v[8:9]
	v_add_nc_u64_e32 v[6:7], s[40:41], v[6:7]
	s_mov_b32 s28, 0
	s_delay_alu instid0(VALU_DEP_2)
	v_cmp_le_u64_e32 vcc_lo, s[10:11], v[8:9]
	s_or_not1_b32 s23, vcc_lo, exec_lo
	s_branch .LBB168_342
.LBB168_347:                            ;   in Loop: Header=BB168_6 Depth=1
	s_or_b32 exec_lo, exec_lo, s19
	v_lshrrev_b32_e32 v45, 16, v10
	s_and_not1_b32 s7, s20, exec_lo
	s_and_b32 s8, s21, exec_lo
	s_delay_alu instid0(SALU_CYCLE_1)
	s_or_b32 s20, s7, s8
.LBB168_348:                            ;   in Loop: Header=BB168_6 Depth=1
	s_or_b32 exec_lo, exec_lo, s18
	s_mov_b32 s23, 0
	s_mov_b32 s73, -1
.LBB168_349:                            ;   in Loop: Header=BB168_6 Depth=1
	s_or_not1_b32 s10, s20, exec_lo
.LBB168_350:                            ;   in Loop: Header=BB168_6 Depth=1
	s_or_b32 exec_lo, exec_lo, s76
	s_mov_b32 s11, 0
	s_and_saveexec_b32 s20, s10
	s_cbranch_execz .LBB168_459
; %bb.351:                              ;   in Loop: Header=BB168_6 Depth=1
	v_mov_b64_e32 v[6:7], 1
	v_mov_b32_e32 v2, 1
	s_xor_b32 s18, s74, -1
	s_delay_alu instid0(SALU_CYCLE_1)
	s_and_saveexec_b32 s10, s18
	s_cbranch_execz .LBB168_360
; %bb.352:                              ;   in Loop: Header=BB168_6 Depth=1
	s_mov_b32 s11, exec_lo
	v_cmpx_ge_u64_e64 s[16:17], v[4:5]
	s_xor_b32 s11, exec_lo, s11
	s_cbranch_execz .LBB168_357
; %bb.353:                              ;   in Loop: Header=BB168_6 Depth=1
	ds_load_b64 v[6:7], v3 offset:5120
	s_lshl_b32 s18, 2, s95
	v_or_b32_e32 v44, s24, v44
	v_and_or_b32 v42, v42, s25, s18
	s_wait_dscnt 0x0
	v_cmp_ne_u64_e32 vcc_lo, 0, v[6:7]
	s_cbranch_vccnz .LBB168_357
; %bb.354:                              ;   in Loop: Header=BB168_6 Depth=1
	s_and_saveexec_b32 s18, s5
; %bb.355:                              ;   in Loop: Header=BB168_6 Depth=1
	v_mov_b64_e32 v[6:7], s[16:17]
	ds_store_b64 v3, v[6:7] offset:5128
; %bb.356:                              ;   in Loop: Header=BB168_6 Depth=1
	s_or_b32 exec_lo, exec_lo, s18
	s_wait_dscnt 0x0
	s_barrier_signal -1
	s_barrier_wait -1
.LBB168_357:                            ;   in Loop: Header=BB168_6 Depth=1
	s_or_saveexec_b32 s11, s11
	v_mov_b32_e32 v2, 5
	s_mov_b32 s18, 0
	s_xor_b32 exec_lo, exec_lo, s11
; %bb.358:                              ;   in Loop: Header=BB168_6 Depth=1
	v_sub_nc_u64_e64 v[4:5], v[4:5], s[16:17]
	v_mov_b32_e32 v2, 0
	s_mov_b32 s18, exec_lo
; %bb.359:                              ;   in Loop: Header=BB168_6 Depth=1
	s_or_b32 exec_lo, exec_lo, s11
	s_delay_alu instid0(VALU_DEP_2)
	v_mov_b64_e32 v[6:7], v[4:5]
	s_and_b32 s11, s18, exec_lo
.LBB168_360:                            ;   in Loop: Header=BB168_6 Depth=1
	s_or_b32 exec_lo, exec_lo, s10
	s_mov_b32 s10, -1
                                        ; implicit-def: $sgpr74
                                        ; implicit-def: $sgpr76
	s_and_saveexec_b32 s21, s11
	s_cbranch_execz .LBB168_458
; %bb.361:                              ;   in Loop: Header=BB168_6 Depth=1
	s_delay_alu instid0(VALU_DEP_1) | instskip(SKIP_2) | instid1(SALU_CYCLE_1)
	v_cmp_eq_u64_e32 vcc_lo, 1, v[6:7]
	s_cmp_eq_u64 s[14:15], 1
                                        ; implicit-def: $sgpr76
                                        ; implicit-def: $sgpr74
	s_cselect_b32 s10, -1, 0
	s_and_b32 s77, s10, vcc_lo
	s_mov_b32 s10, -1
	s_and_saveexec_b32 s78, s77
	s_cbranch_execz .LBB168_395
; %bb.362:                              ;   in Loop: Header=BB168_6 Depth=1
	ds_load_b64 v[4:5], v3 offset:5120
	s_wait_dscnt 0x0
	s_barrier_signal -1
	s_barrier_wait -1
	v_readfirstlane_b32 s10, v4
	v_readfirstlane_b32 s11, v5
	s_and_saveexec_b32 s16, s6
; %bb.363:                              ;   in Loop: Header=BB168_6 Depth=1
	ds_store_b16 v40, v3
; %bb.364:                              ;   in Loop: Header=BB168_6 Depth=1
	s_or_b32 exec_lo, exec_lo, s16
	s_lshl_b32 s16, 1, s95
	v_or_b32_e32 v44, s24, v44
	v_and_or_b32 v42, v42, s25, s16
	s_mov_b32 s74, -1
	s_mov_b32 s76, 0
	s_cmp_eq_u64 s[10:11], 0
	s_mov_b32 s18, 0
	s_mov_b32 s19, -1
	s_wait_dscnt 0x0
	s_barrier_signal -1
	s_barrier_wait -1
                                        ; implicit-def: $vgpr45
	s_cbranch_scc1 .LBB168_380
; %bb.365:                              ;   in Loop: Header=BB168_6 Depth=1
	s_add_nc_u64 s[16:17], s[10:11], s[54:55]
	s_delay_alu instid0(SALU_CYCLE_1) | instskip(NEXT) | instid1(SALU_CYCLE_1)
	s_and_b64 s[18:19], s[16:17], 0xffffffff00000000
	s_cmp_lg_u64 s[18:19], 0
	s_cbranch_scc0 .LBB168_412
; %bb.366:                              ;   in Loop: Header=BB168_6 Depth=1
	s_cvt_f32_u32 s18, s34
	s_sub_nc_u64 s[48:49], 0, s[34:35]
	s_delay_alu instid0(SALU_CYCLE_2) | instskip(NEXT) | instid1(SALU_CYCLE_3)
	s_fmamk_f32 s18, s94, 0x0, s18
	v_s_rcp_f32 s18, s18
	s_delay_alu instid0(TRANS32_DEP_1) | instskip(NEXT) | instid1(SALU_CYCLE_3)
	s_mul_f32 s18, s18, 0x5f7ffffc
	s_mul_f32 s19, s18, 0x2f800000
	s_delay_alu instid0(SALU_CYCLE_3) | instskip(NEXT) | instid1(SALU_CYCLE_3)
	s_trunc_f32 s19, s19
	s_fmamk_f32 s18, s19, 0xcf800000, s18
	s_cvt_u32_f32 s19, s19
	s_delay_alu instid0(SALU_CYCLE_2) | instskip(NEXT) | instid1(SALU_CYCLE_3)
	s_cvt_u32_f32 s18, s18
	s_mul_u64 s[50:51], s[48:49], s[18:19]
	s_delay_alu instid0(SALU_CYCLE_1)
	s_mul_hi_u32 s53, s18, s51
	s_mul_i32 s52, s18, s51
	s_mul_hi_u32 s28, s18, s50
	s_mul_i32 s45, s19, s50
	s_add_nc_u64 s[52:53], s[28:29], s[52:53]
	s_mul_hi_u32 s44, s19, s50
	s_mul_hi_u32 s79, s19, s51
	s_add_co_u32 s28, s52, s45
	s_add_co_ci_u32 s28, s53, s44
	s_mul_i32 s50, s19, s51
	s_add_co_ci_u32 s51, s79, 0
	s_delay_alu instid0(SALU_CYCLE_1) | instskip(NEXT) | instid1(SALU_CYCLE_1)
	s_add_nc_u64 s[50:51], s[28:29], s[50:51]
	s_add_co_u32 s18, s18, s50
	s_cselect_b32 s28, -1, 0
	s_delay_alu instid0(SALU_CYCLE_1) | instskip(SKIP_1) | instid1(SALU_CYCLE_1)
	s_cmp_lg_u32 s28, 0
	s_add_co_ci_u32 s19, s19, s51
	s_mul_u64 s[48:49], s[48:49], s[18:19]
	s_delay_alu instid0(SALU_CYCLE_1)
	s_mul_hi_u32 s51, s18, s49
	s_mul_i32 s50, s18, s49
	s_mul_hi_u32 s28, s18, s48
	s_mul_i32 s45, s19, s48
	s_add_nc_u64 s[50:51], s[28:29], s[50:51]
	s_mul_hi_u32 s44, s19, s48
	s_mul_hi_u32 s52, s19, s49
	s_add_co_u32 s28, s50, s45
	s_add_co_ci_u32 s28, s51, s44
	s_mul_i32 s48, s19, s49
	s_add_co_ci_u32 s49, s52, 0
	s_delay_alu instid0(SALU_CYCLE_1) | instskip(NEXT) | instid1(SALU_CYCLE_1)
	s_add_nc_u64 s[48:49], s[28:29], s[48:49]
	s_add_co_u32 s18, s18, s48
	s_cselect_b32 s44, -1, 0
	s_mul_hi_u32 s28, s16, s18
	s_cmp_lg_u32 s44, 0
	s_mul_hi_u32 s44, s17, s18
	s_add_co_ci_u32 s45, s19, s49
	s_mul_i32 s49, s17, s18
	s_mul_hi_u32 s19, s16, s45
	s_mul_i32 s18, s16, s45
	s_mul_hi_u32 s50, s17, s45
	s_add_nc_u64 s[18:19], s[28:29], s[18:19]
	s_mul_i32 s48, s17, s45
	s_add_co_u32 s18, s18, s49
	s_add_co_ci_u32 s28, s19, s44
	s_add_co_ci_u32 s49, s50, 0
	s_delay_alu instid0(SALU_CYCLE_1) | instskip(NEXT) | instid1(SALU_CYCLE_1)
	s_add_nc_u64 s[18:19], s[28:29], s[48:49]
	s_and_b64 s[48:49], s[18:19], 0xffffffff00000000
	s_delay_alu instid0(SALU_CYCLE_1) | instskip(NEXT) | instid1(SALU_CYCLE_1)
	s_or_b32 s48, s48, s18
	s_mul_u64 s[18:19], s[34:35], s[48:49]
	s_delay_alu instid0(SALU_CYCLE_1) | instskip(SKIP_1) | instid1(SALU_CYCLE_1)
	s_sub_co_u32 s18, s16, s18
	s_cselect_b32 s28, -1, 0
	s_cmp_lg_u32 s28, 0
	s_sub_co_ci_u32 s19, s17, s19
	s_sub_co_u32 s28, s18, s34
	s_cselect_b32 s44, -1, 0
	s_delay_alu instid0(SALU_CYCLE_1) | instskip(SKIP_3) | instid1(SALU_CYCLE_1)
	s_cmp_lg_u32 s44, 0
	s_sub_co_ci_u32 s44, s19, 0
	s_sub_co_u32 s45, s28, s34
	s_cselect_b32 s48, -1, 0
	s_cmp_lg_u32 s48, 0
	s_sub_co_ci_u32 s48, s44, 0
	s_cmp_ge_u32 s28, s34
	s_cselect_b32 s49, -1, 0
	s_cmp_eq_u32 s44, 0
	s_cselect_b32 s49, s49, -1
	s_delay_alu instid0(SALU_CYCLE_1)
	s_cmp_lg_u32 s49, 0
	s_cselect_b32 s44, s48, s44
	s_cselect_b32 s28, s45, s28
	s_cmp_ge_u32 s18, s34
	s_cselect_b32 s45, -1, 0
	s_cmp_eq_u32 s19, 0
	s_cselect_b32 s45, s45, -1
	s_delay_alu instid0(SALU_CYCLE_1)
	s_cmp_lg_u32 s45, 0
	s_cselect_b32 s19, s44, s19
	s_cselect_b32 s18, s28, s18
	s_cbranch_execnz .LBB168_368
.LBB168_367:                            ;   in Loop: Header=BB168_6 Depth=1
	v_cvt_f32_u32_e32 v4, s34
	s_sub_co_i32 s19, 0, s34
	s_delay_alu instid0(VALU_DEP_1) | instskip(SKIP_1) | instid1(TRANS32_DEP_1)
	v_rcp_iflag_f32_e32 v4, v4
	v_nop
	v_mul_f32_e32 v4, 0x4f7ffffe, v4
	s_delay_alu instid0(VALU_DEP_1) | instskip(NEXT) | instid1(VALU_DEP_1)
	v_cvt_u32_f32_e32 v4, v4
	v_readfirstlane_b32 s18, v4
	s_mul_i32 s19, s19, s18
	s_delay_alu instid0(SALU_CYCLE_1) | instskip(NEXT) | instid1(SALU_CYCLE_1)
	s_mul_hi_u32 s19, s18, s19
	s_add_co_i32 s18, s18, s19
	s_delay_alu instid0(SALU_CYCLE_1) | instskip(NEXT) | instid1(SALU_CYCLE_1)
	s_mul_hi_u32 s18, s16, s18
	s_mul_i32 s18, s18, s34
	s_delay_alu instid0(SALU_CYCLE_1) | instskip(NEXT) | instid1(SALU_CYCLE_1)
	s_sub_co_i32 s18, s16, s18
	s_sub_co_i32 s19, s18, s34
	s_cmp_ge_u32 s18, s34
	s_cselect_b32 s18, s19, s18
	s_delay_alu instid0(SALU_CYCLE_1) | instskip(SKIP_2) | instid1(SALU_CYCLE_1)
	s_sub_co_i32 s19, s18, s34
	s_cmp_ge_u32 s18, s34
	s_cselect_b32 s28, s19, s18
	s_mov_b64 s[18:19], s[28:29]
.LBB168_368:                            ;   in Loop: Header=BB168_6 Depth=1
	s_delay_alu instid0(SALU_CYCLE_1)
	s_sub_nc_u64 s[16:17], s[16:17], s[18:19]
	s_mov_b32 s19, 0
	s_mov_b32 s18, 0
	s_mov_b32 s28, exec_lo
                                        ; implicit-def: $vgpr45
	v_cmpx_gt_u64_e64 s[16:17], v[0:1]
	s_cbranch_execz .LBB168_379
; %bb.369:                              ;   in Loop: Header=BB168_6 Depth=1
	v_mov_b64_e32 v[4:5], v[0:1]
	v_mov_b32_e32 v8, v38
                                        ; implicit-def: $sgpr48
	s_branch .LBB168_372
.LBB168_370:                            ;   in Loop: Header=BB168_372 Depth=2
	s_or_b32 exec_lo, exec_lo, s49
	s_wait_dscnt 0x0
	s_barrier_signal -1
	s_barrier_wait -1
	ds_load_b32 v9, v3 offset:3072
	s_mov_b32 s49, -1
	s_mov_b32 s50, -1
	s_wait_dscnt 0x0
	s_barrier_signal -1
	s_barrier_wait -1
	v_and_b32_e32 v10, 0xffff, v9
	s_delay_alu instid0(VALU_DEP_1)
	v_cmp_ne_u32_e32 vcc_lo, 0, v10
	s_cbranch_vccz .LBB168_375
.LBB168_371:                            ;   in Loop: Header=BB168_372 Depth=2
	s_and_b32 s7, exec_lo, s49
	s_delay_alu instid0(SALU_CYCLE_1) | instskip(SKIP_2) | instid1(SALU_CYCLE_1)
	s_or_b32 s18, s7, s18
	s_and_not1_b32 s7, s48, exec_lo
	s_and_b32 s8, s50, exec_lo
	s_or_b32 s48, s7, s8
	s_and_not1_b32 exec_lo, exec_lo, s18
	s_cbranch_execz .LBB168_378
.LBB168_372:                            ;   Parent Loop BB168_6 Depth=1
                                        ; =>  This Inner Loop Header: Depth=2
	s_mov_b32 s49, exec_lo
	s_delay_alu instid0(VALU_DEP_2)
	v_cmpx_gt_u64_e64 s[10:11], v[4:5]
	s_cbranch_execz .LBB168_370
; %bb.373:                              ;   in Loop: Header=BB168_372 Depth=2
	ds_load_u16 v9, v8
	s_wait_dscnt 0x0
	v_bfe_i32 v10, v9, 0, 16
	s_delay_alu instid0(VALU_DEP_1) | instskip(NEXT) | instid1(VALU_DEP_1)
	v_add_nc_u32_e32 v10, 0x8000, v10
	v_and_b32_e32 v10, v10, v44
	s_delay_alu instid0(VALU_DEP_1)
	v_cmp_eq_u32_e32 vcc_lo, v10, v42
	s_and_b32 exec_lo, exec_lo, vcc_lo
	s_cbranch_execz .LBB168_370
; %bb.374:                              ;   in Loop: Header=BB168_372 Depth=2
	v_perm_b32 v9, v9, 1, 0x5040100
	ds_store_b32 v3, v9 offset:3072
	s_branch .LBB168_370
.LBB168_375:                            ;   in Loop: Header=BB168_372 Depth=2
	v_add_nc_u64_e32 v[4:5], s[34:35], v[4:5]
	v_add_nc_u32_e32 v8, s93, v8
	s_mov_b32 s50, 0
	s_delay_alu instid0(VALU_DEP_2)
	v_cmp_le_u64_e32 vcc_lo, s[16:17], v[4:5]
	s_or_not1_b32 s49, vcc_lo, exec_lo
	s_branch .LBB168_371
.LBB168_376:                            ;   in Loop: Header=BB168_6 Depth=1
                                        ; implicit-def: $sgpr20_sgpr21
	s_branch .LBB168_322
.LBB168_377:                            ;   in Loop: Header=BB168_6 Depth=1
                                        ; implicit-def: $sgpr10_sgpr11
	s_branch .LBB168_338
.LBB168_378:                            ;   in Loop: Header=BB168_6 Depth=1
	s_or_b32 exec_lo, exec_lo, s18
	v_lshrrev_b32_e32 v45, 16, v9
	s_and_b32 s18, s48, exec_lo
.LBB168_379:                            ;   in Loop: Header=BB168_6 Depth=1
	s_or_b32 exec_lo, exec_lo, s28
.LBB168_380:                            ;   in Loop: Header=BB168_6 Depth=1
	s_delay_alu instid0(SALU_CYCLE_1)
	s_and_b32 vcc_lo, exec_lo, s19
	s_cbranch_vccz .LBB168_394
; %bb.381:                              ;   in Loop: Header=BB168_6 Depth=1
	s_and_b64 s[10:11], s[56:57], 0xffffffff00000000
	s_delay_alu instid0(SALU_CYCLE_1)
	s_cmp_lg_u64 s[10:11], 0
	s_cbranch_scc0 .LBB168_413
; %bb.382:                              ;   in Loop: Header=BB168_6 Depth=1
	s_cvt_f32_u32 s10, s34
	s_sub_nc_u64 s[16:17], 0, s[34:35]
	s_delay_alu instid0(SALU_CYCLE_2) | instskip(NEXT) | instid1(SALU_CYCLE_3)
	s_fmamk_f32 s10, s94, 0x0, s10
	v_s_rcp_f32 s10, s10
	s_delay_alu instid0(TRANS32_DEP_1) | instskip(NEXT) | instid1(SALU_CYCLE_3)
	s_mul_f32 s10, s10, 0x5f7ffffc
	s_mul_f32 s11, s10, 0x2f800000
	s_delay_alu instid0(SALU_CYCLE_3) | instskip(NEXT) | instid1(SALU_CYCLE_3)
	s_trunc_f32 s11, s11
	s_fmamk_f32 s10, s11, 0xcf800000, s10
	s_cvt_u32_f32 s11, s11
	s_delay_alu instid0(SALU_CYCLE_2) | instskip(NEXT) | instid1(SALU_CYCLE_3)
	s_cvt_u32_f32 s10, s10
	s_mul_u64 s[48:49], s[16:17], s[10:11]
	s_delay_alu instid0(SALU_CYCLE_1)
	s_mul_hi_u32 s51, s10, s49
	s_mul_i32 s50, s10, s49
	s_mul_hi_u32 s28, s10, s48
	s_mul_i32 s44, s11, s48
	s_add_nc_u64 s[50:51], s[28:29], s[50:51]
	s_mul_hi_u32 s19, s11, s48
	s_mul_hi_u32 s45, s11, s49
	s_add_co_u32 s28, s50, s44
	s_add_co_ci_u32 s28, s51, s19
	s_mul_i32 s48, s11, s49
	s_add_co_ci_u32 s49, s45, 0
	s_delay_alu instid0(SALU_CYCLE_1) | instskip(NEXT) | instid1(SALU_CYCLE_1)
	s_add_nc_u64 s[48:49], s[28:29], s[48:49]
	s_add_co_u32 s10, s10, s48
	s_cselect_b32 s19, -1, 0
	s_delay_alu instid0(SALU_CYCLE_1) | instskip(SKIP_1) | instid1(SALU_CYCLE_1)
	s_cmp_lg_u32 s19, 0
	s_add_co_ci_u32 s11, s11, s49
	s_mul_u64 s[16:17], s[16:17], s[10:11]
	s_delay_alu instid0(SALU_CYCLE_1)
	s_mul_hi_u32 s49, s10, s17
	s_mul_i32 s48, s10, s17
	s_mul_hi_u32 s28, s10, s16
	s_mul_i32 s44, s11, s16
	s_add_nc_u64 s[48:49], s[28:29], s[48:49]
	s_mul_hi_u32 s19, s11, s16
	s_mul_hi_u32 s45, s11, s17
	s_mul_i32 s16, s11, s17
	s_add_co_u32 s17, s48, s44
	s_add_co_ci_u32 s28, s49, s19
	s_add_co_ci_u32 s17, s45, 0
	s_delay_alu instid0(SALU_CYCLE_1) | instskip(NEXT) | instid1(SALU_CYCLE_1)
	s_add_nc_u64 s[16:17], s[28:29], s[16:17]
	s_add_co_u32 s10, s10, s16
	s_cselect_b32 s16, -1, 0
	s_mul_hi_u32 s28, s56, s10
	s_cmp_lg_u32 s16, 0
	s_mul_hi_u32 s19, s57, s10
	s_add_co_ci_u32 s16, s11, s17
	s_mul_i32 s17, s57, s10
	s_mul_hi_u32 s11, s56, s16
	s_mul_i32 s10, s56, s16
	s_mul_hi_u32 s44, s57, s16
	s_add_nc_u64 s[10:11], s[28:29], s[10:11]
	s_mul_i32 s16, s57, s16
	s_add_co_u32 s10, s10, s17
	s_add_co_ci_u32 s28, s11, s19
	s_add_co_ci_u32 s17, s44, 0
	s_delay_alu instid0(SALU_CYCLE_1) | instskip(NEXT) | instid1(SALU_CYCLE_1)
	s_add_nc_u64 s[10:11], s[28:29], s[16:17]
	s_and_b64 s[16:17], s[10:11], 0xffffffff00000000
	s_delay_alu instid0(SALU_CYCLE_1) | instskip(NEXT) | instid1(SALU_CYCLE_1)
	s_or_b32 s16, s16, s10
	s_mul_u64 s[10:11], s[34:35], s[16:17]
	s_delay_alu instid0(SALU_CYCLE_1) | instskip(SKIP_1) | instid1(SALU_CYCLE_1)
	s_sub_co_u32 s10, s56, s10
	s_cselect_b32 s16, -1, 0
	s_cmp_lg_u32 s16, 0
	s_sub_co_ci_u32 s11, s57, s11
	s_sub_co_u32 s16, s10, s34
	s_cselect_b32 s17, -1, 0
	s_delay_alu instid0(SALU_CYCLE_1) | instskip(SKIP_3) | instid1(SALU_CYCLE_1)
	s_cmp_lg_u32 s17, 0
	s_sub_co_ci_u32 s17, s11, 0
	s_sub_co_u32 s19, s16, s34
	s_cselect_b32 s28, -1, 0
	s_cmp_lg_u32 s28, 0
	s_sub_co_ci_u32 s28, s17, 0
	s_cmp_ge_u32 s16, s34
	s_cselect_b32 s44, -1, 0
	s_cmp_eq_u32 s17, 0
	s_cselect_b32 s44, s44, -1
	s_delay_alu instid0(SALU_CYCLE_1)
	s_cmp_lg_u32 s44, 0
	s_cselect_b32 s17, s28, s17
	s_cselect_b32 s16, s19, s16
	s_cmp_ge_u32 s10, s34
	s_cselect_b32 s19, -1, 0
	s_cmp_eq_u32 s11, 0
	s_cselect_b32 s19, s19, -1
	s_delay_alu instid0(SALU_CYCLE_1)
	s_cmp_lg_u32 s19, 0
	s_cselect_b32 s11, s17, s11
	s_cselect_b32 s10, s16, s10
	s_cbranch_execnz .LBB168_384
.LBB168_383:                            ;   in Loop: Header=BB168_6 Depth=1
	v_cvt_f32_u32_e32 v4, s34
	s_sub_co_i32 s11, 0, s34
	s_delay_alu instid0(VALU_DEP_1) | instskip(SKIP_1) | instid1(TRANS32_DEP_1)
	v_rcp_iflag_f32_e32 v4, v4
	v_nop
	v_mul_f32_e32 v4, 0x4f7ffffe, v4
	s_delay_alu instid0(VALU_DEP_1) | instskip(NEXT) | instid1(VALU_DEP_1)
	v_cvt_u32_f32_e32 v4, v4
	v_readfirstlane_b32 s10, v4
	s_mul_i32 s11, s11, s10
	s_delay_alu instid0(SALU_CYCLE_1) | instskip(NEXT) | instid1(SALU_CYCLE_1)
	s_mul_hi_u32 s11, s10, s11
	s_add_co_i32 s10, s10, s11
	s_delay_alu instid0(SALU_CYCLE_1) | instskip(NEXT) | instid1(SALU_CYCLE_1)
	s_mul_hi_u32 s10, s56, s10
	s_mul_i32 s10, s10, s34
	s_delay_alu instid0(SALU_CYCLE_1) | instskip(NEXT) | instid1(SALU_CYCLE_1)
	s_sub_co_i32 s10, s56, s10
	s_sub_co_i32 s11, s10, s34
	s_cmp_ge_u32 s10, s34
	s_cselect_b32 s10, s11, s10
	s_delay_alu instid0(SALU_CYCLE_1) | instskip(SKIP_2) | instid1(SALU_CYCLE_1)
	s_sub_co_i32 s11, s10, s34
	s_cmp_ge_u32 s10, s34
	s_cselect_b32 s28, s11, s10
	s_mov_b64 s[10:11], s[28:29]
.LBB168_384:                            ;   in Loop: Header=BB168_6 Depth=1
	s_delay_alu instid0(SALU_CYCLE_1)
	s_sub_nc_u64 s[10:11], s[56:57], s[10:11]
	s_mov_b32 s16, exec_lo
                                        ; implicit-def: $vgpr45
	v_nop
	v_cmpx_gt_u64_e64 s[10:11], v[0:1]
	s_cbranch_execz .LBB168_393
; %bb.385:                              ;   in Loop: Header=BB168_6 Depth=1
	v_mov_b64_e32 v[4:5], v[14:15]
	v_mov_b64_e32 v[8:9], v[0:1]
	s_mov_b32 s17, 0
                                        ; implicit-def: $sgpr19
	s_branch .LBB168_388
.LBB168_386:                            ;   in Loop: Header=BB168_388 Depth=2
	s_or_b32 exec_lo, exec_lo, s28
	s_wait_dscnt 0x0
	s_barrier_signal -1
	s_barrier_wait -1
	ds_load_b32 v10, v3 offset:3072
	s_mov_b32 s28, -1
	s_mov_b32 s48, -1
	s_wait_dscnt 0x0
	s_barrier_signal -1
	s_barrier_wait -1
	v_and_b32_e32 v11, 0xffff, v10
	s_delay_alu instid0(VALU_DEP_1)
	v_cmp_eq_u32_e32 vcc_lo, 0, v11
	s_cbranch_vccnz .LBB168_391
.LBB168_387:                            ;   in Loop: Header=BB168_388 Depth=2
	s_and_b32 s7, exec_lo, s28
	s_delay_alu instid0(SALU_CYCLE_1) | instskip(SKIP_2) | instid1(SALU_CYCLE_1)
	s_or_b32 s17, s7, s17
	s_and_not1_b32 s7, s19, exec_lo
	s_and_b32 s8, s48, exec_lo
	s_or_b32 s19, s7, s8
	s_and_not1_b32 exec_lo, exec_lo, s17
	s_cbranch_execz .LBB168_392
.LBB168_388:                            ;   Parent Loop BB168_6 Depth=1
                                        ; =>  This Inner Loop Header: Depth=2
	s_mov_b32 s28, exec_lo
	s_delay_alu instid0(VALU_DEP_1)
	v_cmpx_gt_u64_e64 s[36:37], v[8:9]
	s_cbranch_execz .LBB168_386
; %bb.389:                              ;   in Loop: Header=BB168_388 Depth=2
	global_load_u16 v10, v[4:5], off
	s_wait_loadcnt 0x0
	v_bfe_i32 v11, v10, 0, 16
	s_delay_alu instid0(VALU_DEP_1) | instskip(NEXT) | instid1(VALU_DEP_1)
	v_add_nc_u32_e32 v11, 0x8000, v11
	v_and_b32_e32 v11, v11, v44
	s_delay_alu instid0(VALU_DEP_1)
	v_cmp_eq_u32_e32 vcc_lo, v11, v42
	s_and_b32 exec_lo, exec_lo, vcc_lo
	s_cbranch_execz .LBB168_386
; %bb.390:                              ;   in Loop: Header=BB168_388 Depth=2
	v_perm_b32 v10, v10, 1, 0x5040100
	ds_store_b32 v3, v10 offset:3072
	s_branch .LBB168_386
.LBB168_391:                            ;   in Loop: Header=BB168_388 Depth=2
	v_add_nc_u64_e32 v[8:9], s[34:35], v[8:9]
	v_add_nc_u64_e32 v[4:5], s[40:41], v[4:5]
	s_mov_b32 s48, 0
	s_delay_alu instid0(VALU_DEP_2)
	v_cmp_le_u64_e32 vcc_lo, s[10:11], v[8:9]
	s_or_not1_b32 s28, vcc_lo, exec_lo
	s_branch .LBB168_387
.LBB168_392:                            ;   in Loop: Header=BB168_6 Depth=1
	s_or_b32 exec_lo, exec_lo, s17
	v_lshrrev_b32_e32 v45, 16, v10
	s_and_not1_b32 s7, s18, exec_lo
	s_and_b32 s8, s19, exec_lo
	s_delay_alu instid0(SALU_CYCLE_1)
	s_or_b32 s18, s7, s8
.LBB168_393:                            ;   in Loop: Header=BB168_6 Depth=1
	s_or_b32 exec_lo, exec_lo, s16
	s_mov_b32 s74, 0
	s_mov_b32 s76, -1
.LBB168_394:                            ;   in Loop: Header=BB168_6 Depth=1
	s_or_not1_b32 s10, s18, exec_lo
.LBB168_395:                            ;   in Loop: Header=BB168_6 Depth=1
	s_or_b32 exec_lo, exec_lo, s78
	s_mov_b32 s11, 0
	s_and_saveexec_b32 s18, s10
	s_cbranch_execz .LBB168_457
; %bb.396:                              ;   in Loop: Header=BB168_6 Depth=1
	v_mov_b64_e32 v[4:5], 1
	v_mov_b32_e32 v2, 1
	s_xor_b32 s16, s77, -1
	s_delay_alu instid0(SALU_CYCLE_1)
	s_and_saveexec_b32 s10, s16
	s_cbranch_execz .LBB168_405
; %bb.397:                              ;   in Loop: Header=BB168_6 Depth=1
	s_mov_b32 s11, exec_lo
	v_cmpx_ge_u64_e64 s[14:15], v[6:7]
	s_xor_b32 s11, exec_lo, s11
	s_cbranch_execz .LBB168_402
; %bb.398:                              ;   in Loop: Header=BB168_6 Depth=1
	ds_load_b64 v[4:5], v3 offset:5120
	s_lshl_b32 s16, 1, s95
	v_or_b32_e32 v44, s24, v44
	v_and_or_b32 v42, v42, s25, s16
	s_wait_dscnt 0x0
	v_cmp_ne_u64_e32 vcc_lo, 0, v[4:5]
	s_cbranch_vccnz .LBB168_402
; %bb.399:                              ;   in Loop: Header=BB168_6 Depth=1
	s_and_saveexec_b32 s16, s5
; %bb.400:                              ;   in Loop: Header=BB168_6 Depth=1
	v_mov_b64_e32 v[4:5], s[14:15]
	ds_store_b64 v3, v[4:5] offset:5128
; %bb.401:                              ;   in Loop: Header=BB168_6 Depth=1
	s_or_b32 exec_lo, exec_lo, s16
	s_wait_dscnt 0x0
	s_barrier_signal -1
	s_barrier_wait -1
.LBB168_402:                            ;   in Loop: Header=BB168_6 Depth=1
	s_or_saveexec_b32 s11, s11
	v_mov_b32_e32 v2, 5
	s_mov_b32 s16, 0
	s_xor_b32 exec_lo, exec_lo, s11
; %bb.403:                              ;   in Loop: Header=BB168_6 Depth=1
	v_sub_nc_u64_e64 v[6:7], v[6:7], s[14:15]
	v_mov_b32_e32 v2, 0
	s_mov_b32 s16, exec_lo
; %bb.404:                              ;   in Loop: Header=BB168_6 Depth=1
	s_or_b32 exec_lo, exec_lo, s11
	s_delay_alu instid0(VALU_DEP_2)
	v_mov_b64_e32 v[4:5], v[6:7]
	s_and_b32 s11, s16, exec_lo
.LBB168_405:                            ;   in Loop: Header=BB168_6 Depth=1
	s_or_b32 exec_lo, exec_lo, s10
	s_mov_b32 s10, -1
                                        ; implicit-def: $sgpr48
                                        ; implicit-def: $sgpr79
	s_and_saveexec_b32 s19, s11
	s_cbranch_execz .LBB168_456
; %bb.406:                              ;   in Loop: Header=BB168_6 Depth=1
	s_delay_alu instid0(VALU_DEP_1) | instskip(SKIP_3) | instid1(SALU_CYCLE_1)
	v_cmp_eq_u64_e32 vcc_lo, 1, v[4:5]
	s_cmp_eq_u64 s[12:13], 1
	s_mov_b32 s11, -1
	s_cselect_b32 s10, -1, 0
                                        ; implicit-def: $sgpr48
                                        ; implicit-def: $sgpr79
	s_and_b32 s77, s10, vcc_lo
	s_delay_alu instid0(SALU_CYCLE_1)
	s_and_saveexec_b32 s78, s77
	s_cbranch_execz .LBB168_444
; %bb.407:                              ;   in Loop: Header=BB168_6 Depth=1
	ds_load_b64 v[6:7], v3 offset:5120
	s_wait_dscnt 0x0
	s_barrier_signal -1
	s_barrier_wait -1
	v_readfirstlane_b32 s10, v6
	v_readfirstlane_b32 s11, v7
	s_and_saveexec_b32 s14, s6
; %bb.408:                              ;   in Loop: Header=BB168_6 Depth=1
	ds_store_b16 v40, v3
; %bb.409:                              ;   in Loop: Header=BB168_6 Depth=1
	s_or_b32 exec_lo, exec_lo, s14
	v_and_b32_e32 v42, s25, v42
	v_or_b32_e32 v44, s24, v44
	s_mov_b32 s79, -1
	s_mov_b32 s48, 0
	s_cmp_eq_u64 s[10:11], 0
	s_mov_b32 s16, 0
	s_mov_b32 s17, -1
	s_wait_dscnt 0x0
	s_barrier_signal -1
	s_barrier_wait -1
                                        ; implicit-def: $vgpr45
	s_cbranch_scc1 .LBB168_427
; %bb.410:                              ;   in Loop: Header=BB168_6 Depth=1
	s_add_nc_u64 s[14:15], s[10:11], s[54:55]
	s_delay_alu instid0(SALU_CYCLE_1) | instskip(NEXT) | instid1(SALU_CYCLE_1)
	s_and_b64 s[16:17], s[14:15], 0xffffffff00000000
	s_cmp_lg_u64 s[16:17], 0
	s_cbranch_scc0 .LBB168_414
; %bb.411:                              ;   in Loop: Header=BB168_6 Depth=1
	s_cvt_f32_u32 s16, s34
	s_sub_nc_u64 s[50:51], 0, s[34:35]
	s_delay_alu instid0(SALU_CYCLE_2) | instskip(NEXT) | instid1(SALU_CYCLE_3)
	s_fmamk_f32 s16, s94, 0x0, s16
	v_s_rcp_f32 s16, s16
	s_delay_alu instid0(TRANS32_DEP_1) | instskip(NEXT) | instid1(SALU_CYCLE_3)
	s_mul_f32 s16, s16, 0x5f7ffffc
	s_mul_f32 s17, s16, 0x2f800000
	s_delay_alu instid0(SALU_CYCLE_3) | instskip(NEXT) | instid1(SALU_CYCLE_3)
	s_trunc_f32 s17, s17
	s_fmamk_f32 s16, s17, 0xcf800000, s16
	s_cvt_u32_f32 s17, s17
	s_delay_alu instid0(SALU_CYCLE_2) | instskip(NEXT) | instid1(SALU_CYCLE_3)
	s_cvt_u32_f32 s16, s16
	s_mul_u64 s[52:53], s[50:51], s[16:17]
	s_delay_alu instid0(SALU_CYCLE_1)
	s_mul_hi_u32 s81, s16, s53
	s_mul_i32 s80, s16, s53
	s_mul_hi_u32 s28, s16, s52
	s_mul_i32 s45, s17, s52
	s_add_nc_u64 s[80:81], s[28:29], s[80:81]
	s_mul_hi_u32 s44, s17, s52
	s_mul_hi_u32 s49, s17, s53
	s_add_co_u32 s28, s80, s45
	s_add_co_ci_u32 s28, s81, s44
	s_mul_i32 s52, s17, s53
	s_add_co_ci_u32 s53, s49, 0
	s_delay_alu instid0(SALU_CYCLE_1) | instskip(NEXT) | instid1(SALU_CYCLE_1)
	s_add_nc_u64 s[52:53], s[28:29], s[52:53]
	s_add_co_u32 s16, s16, s52
	s_cselect_b32 s28, -1, 0
	s_delay_alu instid0(SALU_CYCLE_1) | instskip(SKIP_1) | instid1(SALU_CYCLE_1)
	s_cmp_lg_u32 s28, 0
	s_add_co_ci_u32 s17, s17, s53
	s_mul_u64 s[50:51], s[50:51], s[16:17]
	s_delay_alu instid0(SALU_CYCLE_1)
	s_mul_hi_u32 s53, s16, s51
	s_mul_i32 s52, s16, s51
	s_mul_hi_u32 s28, s16, s50
	s_mul_i32 s45, s17, s50
	s_add_nc_u64 s[52:53], s[28:29], s[52:53]
	s_mul_hi_u32 s44, s17, s50
	s_mul_hi_u32 s49, s17, s51
	s_add_co_u32 s28, s52, s45
	s_add_co_ci_u32 s28, s53, s44
	s_mul_i32 s50, s17, s51
	s_add_co_ci_u32 s51, s49, 0
	s_delay_alu instid0(SALU_CYCLE_1) | instskip(NEXT) | instid1(SALU_CYCLE_1)
	s_add_nc_u64 s[50:51], s[28:29], s[50:51]
	s_add_co_u32 s16, s16, s50
	s_cselect_b32 s44, -1, 0
	s_mul_hi_u32 s28, s14, s16
	s_cmp_lg_u32 s44, 0
	s_mul_hi_u32 s44, s15, s16
	s_add_co_ci_u32 s45, s17, s51
	s_mul_i32 s49, s15, s16
	s_mul_hi_u32 s17, s14, s45
	s_mul_i32 s16, s14, s45
	s_mul_hi_u32 s51, s15, s45
	s_add_nc_u64 s[16:17], s[28:29], s[16:17]
	s_mul_i32 s50, s15, s45
	s_add_co_u32 s16, s16, s49
	s_add_co_ci_u32 s28, s17, s44
	s_add_co_ci_u32 s51, s51, 0
	s_delay_alu instid0(SALU_CYCLE_1) | instskip(NEXT) | instid1(SALU_CYCLE_1)
	s_add_nc_u64 s[16:17], s[28:29], s[50:51]
	s_and_b64 s[50:51], s[16:17], 0xffffffff00000000
	s_delay_alu instid0(SALU_CYCLE_1) | instskip(NEXT) | instid1(SALU_CYCLE_1)
	s_or_b32 s50, s50, s16
	s_mul_u64 s[16:17], s[34:35], s[50:51]
	s_delay_alu instid0(SALU_CYCLE_1) | instskip(SKIP_1) | instid1(SALU_CYCLE_1)
	s_sub_co_u32 s16, s14, s16
	s_cselect_b32 s28, -1, 0
	s_cmp_lg_u32 s28, 0
	s_sub_co_ci_u32 s17, s15, s17
	s_sub_co_u32 s28, s16, s34
	s_cselect_b32 s44, -1, 0
	s_delay_alu instid0(SALU_CYCLE_1) | instskip(SKIP_3) | instid1(SALU_CYCLE_1)
	s_cmp_lg_u32 s44, 0
	s_sub_co_ci_u32 s44, s17, 0
	s_sub_co_u32 s45, s28, s34
	s_cselect_b32 s49, -1, 0
	s_cmp_lg_u32 s49, 0
	s_sub_co_ci_u32 s49, s44, 0
	s_cmp_ge_u32 s28, s34
	s_cselect_b32 s50, -1, 0
	s_cmp_eq_u32 s44, 0
	s_cselect_b32 s50, s50, -1
	s_delay_alu instid0(SALU_CYCLE_1)
	s_cmp_lg_u32 s50, 0
	s_cselect_b32 s44, s49, s44
	s_cselect_b32 s28, s45, s28
	s_cmp_ge_u32 s16, s34
	s_cselect_b32 s45, -1, 0
	s_cmp_eq_u32 s17, 0
	s_cselect_b32 s45, s45, -1
	s_delay_alu instid0(SALU_CYCLE_1)
	s_cmp_lg_u32 s45, 0
	s_cselect_b32 s17, s44, s17
	s_cselect_b32 s16, s28, s16
	s_mov_b32 s28, 0
	s_branch .LBB168_415
.LBB168_412:                            ;   in Loop: Header=BB168_6 Depth=1
                                        ; implicit-def: $sgpr18_sgpr19
	s_branch .LBB168_367
.LBB168_413:                            ;   in Loop: Header=BB168_6 Depth=1
                                        ; implicit-def: $sgpr10_sgpr11
	s_branch .LBB168_383
.LBB168_414:                            ;   in Loop: Header=BB168_6 Depth=1
	s_mov_b32 s28, -1
                                        ; implicit-def: $sgpr16_sgpr17
.LBB168_415:                            ;   in Loop: Header=BB168_6 Depth=1
	s_delay_alu instid0(SALU_CYCLE_1)
	s_and_not1_b32 vcc_lo, exec_lo, s28
	s_cbranch_vccnz .LBB168_417
; %bb.416:                              ;   in Loop: Header=BB168_6 Depth=1
	v_cvt_f32_u32_e32 v6, s34
	s_sub_co_i32 s17, 0, s34
	s_delay_alu instid0(VALU_DEP_1) | instskip(SKIP_1) | instid1(TRANS32_DEP_1)
	v_rcp_iflag_f32_e32 v6, v6
	v_nop
	v_mul_f32_e32 v6, 0x4f7ffffe, v6
	s_delay_alu instid0(VALU_DEP_1) | instskip(NEXT) | instid1(VALU_DEP_1)
	v_cvt_u32_f32_e32 v6, v6
	v_readfirstlane_b32 s16, v6
	s_mul_i32 s17, s17, s16
	s_delay_alu instid0(SALU_CYCLE_1) | instskip(NEXT) | instid1(SALU_CYCLE_1)
	s_mul_hi_u32 s17, s16, s17
	s_add_co_i32 s16, s16, s17
	s_delay_alu instid0(SALU_CYCLE_1) | instskip(NEXT) | instid1(SALU_CYCLE_1)
	s_mul_hi_u32 s16, s14, s16
	s_mul_i32 s16, s16, s34
	s_delay_alu instid0(SALU_CYCLE_1) | instskip(NEXT) | instid1(SALU_CYCLE_1)
	s_sub_co_i32 s16, s14, s16
	s_sub_co_i32 s17, s16, s34
	s_cmp_ge_u32 s16, s34
	s_cselect_b32 s16, s17, s16
	s_delay_alu instid0(SALU_CYCLE_1) | instskip(SKIP_2) | instid1(SALU_CYCLE_1)
	s_sub_co_i32 s17, s16, s34
	s_cmp_ge_u32 s16, s34
	s_cselect_b32 s28, s17, s16
	s_mov_b64 s[16:17], s[28:29]
.LBB168_417:                            ;   in Loop: Header=BB168_6 Depth=1
	s_delay_alu instid0(SALU_CYCLE_1)
	s_sub_nc_u64 s[14:15], s[14:15], s[16:17]
	s_mov_b32 s17, 0
	s_mov_b32 s16, 0
	s_mov_b32 s28, exec_lo
                                        ; implicit-def: $vgpr45
	v_cmpx_gt_u64_e64 s[14:15], v[0:1]
	s_cbranch_execz .LBB168_426
; %bb.418:                              ;   in Loop: Header=BB168_6 Depth=1
	v_mov_b64_e32 v[6:7], v[0:1]
	v_mov_b32_e32 v8, v38
                                        ; implicit-def: $sgpr49
	s_branch .LBB168_421
.LBB168_419:                            ;   in Loop: Header=BB168_421 Depth=2
	s_or_b32 exec_lo, exec_lo, s50
	s_wait_dscnt 0x0
	s_barrier_signal -1
	s_barrier_wait -1
	ds_load_b32 v9, v3 offset:3072
	s_mov_b32 s50, -1
	s_mov_b32 s51, -1
	s_wait_dscnt 0x0
	s_barrier_signal -1
	s_barrier_wait -1
	v_and_b32_e32 v10, 0xffff, v9
	s_delay_alu instid0(VALU_DEP_1)
	v_cmp_ne_u32_e32 vcc_lo, 0, v10
	s_cbranch_vccz .LBB168_424
.LBB168_420:                            ;   in Loop: Header=BB168_421 Depth=2
	s_and_b32 s7, exec_lo, s50
	s_delay_alu instid0(SALU_CYCLE_1) | instskip(SKIP_2) | instid1(SALU_CYCLE_1)
	s_or_b32 s16, s7, s16
	s_and_not1_b32 s7, s49, exec_lo
	s_and_b32 s8, s51, exec_lo
	s_or_b32 s49, s7, s8
	s_and_not1_b32 exec_lo, exec_lo, s16
	s_cbranch_execz .LBB168_425
.LBB168_421:                            ;   Parent Loop BB168_6 Depth=1
                                        ; =>  This Inner Loop Header: Depth=2
	s_mov_b32 s50, exec_lo
	s_delay_alu instid0(VALU_DEP_2)
	v_cmpx_gt_u64_e64 s[10:11], v[6:7]
	s_cbranch_execz .LBB168_419
; %bb.422:                              ;   in Loop: Header=BB168_421 Depth=2
	ds_load_u16 v9, v8
	s_wait_dscnt 0x0
	v_bfe_i32 v10, v9, 0, 16
	s_delay_alu instid0(VALU_DEP_1) | instskip(NEXT) | instid1(VALU_DEP_1)
	v_add_nc_u32_e32 v10, 0x8000, v10
	v_and_b32_e32 v10, v10, v44
	s_delay_alu instid0(VALU_DEP_1)
	v_cmp_eq_u32_e32 vcc_lo, v10, v42
	s_and_b32 exec_lo, exec_lo, vcc_lo
	s_cbranch_execz .LBB168_419
; %bb.423:                              ;   in Loop: Header=BB168_421 Depth=2
	v_perm_b32 v9, v9, 1, 0x5040100
	ds_store_b32 v3, v9 offset:3072
	s_branch .LBB168_419
.LBB168_424:                            ;   in Loop: Header=BB168_421 Depth=2
	v_add_nc_u64_e32 v[6:7], s[34:35], v[6:7]
	v_add_nc_u32_e32 v8, s93, v8
	s_mov_b32 s51, 0
	s_delay_alu instid0(VALU_DEP_2)
	v_cmp_le_u64_e32 vcc_lo, s[14:15], v[6:7]
	s_or_not1_b32 s50, vcc_lo, exec_lo
	s_branch .LBB168_420
.LBB168_425:                            ;   in Loop: Header=BB168_6 Depth=1
	s_or_b32 exec_lo, exec_lo, s16
	v_lshrrev_b32_e32 v45, 16, v9
	s_and_b32 s16, s49, exec_lo
.LBB168_426:                            ;   in Loop: Header=BB168_6 Depth=1
	s_or_b32 exec_lo, exec_lo, s28
.LBB168_427:                            ;   in Loop: Header=BB168_6 Depth=1
	s_delay_alu instid0(SALU_CYCLE_1)
	s_and_b32 vcc_lo, exec_lo, s17
	s_cbranch_vccz .LBB168_443
; %bb.428:                              ;   in Loop: Header=BB168_6 Depth=1
	s_and_b64 s[10:11], s[56:57], 0xffffffff00000000
	s_delay_alu instid0(SALU_CYCLE_1)
	s_cmp_lg_u64 s[10:11], 0
	s_cbranch_scc0 .LBB168_430
; %bb.429:                              ;   in Loop: Header=BB168_6 Depth=1
	s_cvt_f32_u32 s10, s34
	s_sub_nc_u64 s[14:15], 0, s[34:35]
	s_delay_alu instid0(SALU_CYCLE_2) | instskip(NEXT) | instid1(SALU_CYCLE_3)
	s_fmamk_f32 s10, s94, 0x0, s10
	v_s_rcp_f32 s10, s10
	s_delay_alu instid0(TRANS32_DEP_1) | instskip(NEXT) | instid1(SALU_CYCLE_3)
	s_mul_f32 s10, s10, 0x5f7ffffc
	s_mul_f32 s11, s10, 0x2f800000
	s_delay_alu instid0(SALU_CYCLE_3) | instskip(NEXT) | instid1(SALU_CYCLE_3)
	s_trunc_f32 s11, s11
	s_fmamk_f32 s10, s11, 0xcf800000, s10
	s_cvt_u32_f32 s11, s11
	s_delay_alu instid0(SALU_CYCLE_2) | instskip(NEXT) | instid1(SALU_CYCLE_3)
	s_cvt_u32_f32 s10, s10
	s_mul_u64 s[48:49], s[14:15], s[10:11]
	s_delay_alu instid0(SALU_CYCLE_1)
	s_mul_hi_u32 s51, s10, s49
	s_mul_i32 s50, s10, s49
	s_mul_hi_u32 s28, s10, s48
	s_mul_i32 s44, s11, s48
	s_add_nc_u64 s[50:51], s[28:29], s[50:51]
	s_mul_hi_u32 s17, s11, s48
	s_mul_hi_u32 s45, s11, s49
	s_add_co_u32 s28, s50, s44
	s_add_co_ci_u32 s28, s51, s17
	s_mul_i32 s48, s11, s49
	s_add_co_ci_u32 s49, s45, 0
	s_delay_alu instid0(SALU_CYCLE_1) | instskip(NEXT) | instid1(SALU_CYCLE_1)
	s_add_nc_u64 s[48:49], s[28:29], s[48:49]
	s_add_co_u32 s10, s10, s48
	s_cselect_b32 s17, -1, 0
	s_delay_alu instid0(SALU_CYCLE_1) | instskip(SKIP_1) | instid1(SALU_CYCLE_1)
	s_cmp_lg_u32 s17, 0
	s_add_co_ci_u32 s11, s11, s49
	s_mul_u64 s[14:15], s[14:15], s[10:11]
	s_delay_alu instid0(SALU_CYCLE_1)
	s_mul_hi_u32 s49, s10, s15
	s_mul_i32 s48, s10, s15
	s_mul_hi_u32 s28, s10, s14
	s_mul_i32 s44, s11, s14
	s_add_nc_u64 s[48:49], s[28:29], s[48:49]
	s_mul_hi_u32 s17, s11, s14
	s_mul_hi_u32 s45, s11, s15
	s_mul_i32 s14, s11, s15
	s_add_co_u32 s15, s48, s44
	s_add_co_ci_u32 s28, s49, s17
	s_add_co_ci_u32 s15, s45, 0
	s_delay_alu instid0(SALU_CYCLE_1) | instskip(NEXT) | instid1(SALU_CYCLE_1)
	s_add_nc_u64 s[14:15], s[28:29], s[14:15]
	s_add_co_u32 s10, s10, s14
	s_cselect_b32 s14, -1, 0
	s_mul_hi_u32 s28, s56, s10
	s_cmp_lg_u32 s14, 0
	s_mul_hi_u32 s17, s57, s10
	s_add_co_ci_u32 s14, s11, s15
	s_mul_i32 s15, s57, s10
	s_mul_hi_u32 s11, s56, s14
	s_mul_i32 s10, s56, s14
	s_mul_hi_u32 s44, s57, s14
	s_add_nc_u64 s[10:11], s[28:29], s[10:11]
	s_mul_i32 s14, s57, s14
	s_add_co_u32 s10, s10, s15
	s_add_co_ci_u32 s28, s11, s17
	s_add_co_ci_u32 s15, s44, 0
	s_delay_alu instid0(SALU_CYCLE_1) | instskip(NEXT) | instid1(SALU_CYCLE_1)
	s_add_nc_u64 s[10:11], s[28:29], s[14:15]
	s_and_b64 s[14:15], s[10:11], 0xffffffff00000000
	s_delay_alu instid0(SALU_CYCLE_1) | instskip(NEXT) | instid1(SALU_CYCLE_1)
	s_or_b32 s14, s14, s10
	s_mul_u64 s[10:11], s[34:35], s[14:15]
	s_delay_alu instid0(SALU_CYCLE_1) | instskip(SKIP_1) | instid1(SALU_CYCLE_1)
	s_sub_co_u32 s10, s56, s10
	s_cselect_b32 s14, -1, 0
	s_cmp_lg_u32 s14, 0
	s_sub_co_ci_u32 s11, s57, s11
	s_sub_co_u32 s14, s10, s34
	s_cselect_b32 s15, -1, 0
	s_delay_alu instid0(SALU_CYCLE_1) | instskip(SKIP_3) | instid1(SALU_CYCLE_1)
	s_cmp_lg_u32 s15, 0
	s_sub_co_ci_u32 s15, s11, 0
	s_sub_co_u32 s17, s14, s34
	s_cselect_b32 s28, -1, 0
	s_cmp_lg_u32 s28, 0
	s_sub_co_ci_u32 s28, s15, 0
	s_cmp_ge_u32 s14, s34
	s_cselect_b32 s44, -1, 0
	s_cmp_eq_u32 s15, 0
	s_cselect_b32 s44, s44, -1
	s_delay_alu instid0(SALU_CYCLE_1)
	s_cmp_lg_u32 s44, 0
	s_cselect_b32 s15, s28, s15
	s_cselect_b32 s14, s17, s14
	s_cmp_ge_u32 s10, s34
	s_cselect_b32 s17, -1, 0
	s_cmp_eq_u32 s11, 0
	s_cselect_b32 s17, s17, -1
	s_delay_alu instid0(SALU_CYCLE_1)
	s_cmp_lg_u32 s17, 0
	s_cselect_b32 s11, s15, s11
	s_cselect_b32 s10, s14, s10
	s_mov_b32 s14, 0
	s_branch .LBB168_431
.LBB168_430:                            ;   in Loop: Header=BB168_6 Depth=1
	s_mov_b32 s14, -1
                                        ; implicit-def: $sgpr10_sgpr11
.LBB168_431:                            ;   in Loop: Header=BB168_6 Depth=1
	s_delay_alu instid0(SALU_CYCLE_1)
	s_and_not1_b32 vcc_lo, exec_lo, s14
	s_cbranch_vccnz .LBB168_433
; %bb.432:                              ;   in Loop: Header=BB168_6 Depth=1
	v_cvt_f32_u32_e32 v6, s34
	s_sub_co_i32 s11, 0, s34
	s_delay_alu instid0(VALU_DEP_1) | instskip(SKIP_1) | instid1(TRANS32_DEP_1)
	v_rcp_iflag_f32_e32 v6, v6
	v_nop
	v_mul_f32_e32 v6, 0x4f7ffffe, v6
	s_delay_alu instid0(VALU_DEP_1) | instskip(NEXT) | instid1(VALU_DEP_1)
	v_cvt_u32_f32_e32 v6, v6
	v_readfirstlane_b32 s10, v6
	s_mul_i32 s11, s11, s10
	s_delay_alu instid0(SALU_CYCLE_1) | instskip(NEXT) | instid1(SALU_CYCLE_1)
	s_mul_hi_u32 s11, s10, s11
	s_add_co_i32 s10, s10, s11
	s_delay_alu instid0(SALU_CYCLE_1) | instskip(NEXT) | instid1(SALU_CYCLE_1)
	s_mul_hi_u32 s10, s56, s10
	s_mul_i32 s10, s10, s34
	s_delay_alu instid0(SALU_CYCLE_1) | instskip(NEXT) | instid1(SALU_CYCLE_1)
	s_sub_co_i32 s10, s56, s10
	s_sub_co_i32 s11, s10, s34
	s_cmp_ge_u32 s10, s34
	s_cselect_b32 s10, s11, s10
	s_delay_alu instid0(SALU_CYCLE_1) | instskip(SKIP_2) | instid1(SALU_CYCLE_1)
	s_sub_co_i32 s11, s10, s34
	s_cmp_ge_u32 s10, s34
	s_cselect_b32 s28, s11, s10
	s_mov_b64 s[10:11], s[28:29]
.LBB168_433:                            ;   in Loop: Header=BB168_6 Depth=1
	s_delay_alu instid0(SALU_CYCLE_1)
	s_sub_nc_u64 s[10:11], s[56:57], s[10:11]
	s_mov_b32 s14, exec_lo
                                        ; implicit-def: $vgpr45
	v_nop
	v_cmpx_gt_u64_e64 s[10:11], v[0:1]
	s_cbranch_execz .LBB168_442
; %bb.434:                              ;   in Loop: Header=BB168_6 Depth=1
	v_mov_b64_e32 v[6:7], v[14:15]
	v_mov_b64_e32 v[8:9], v[0:1]
	s_mov_b32 s15, 0
                                        ; implicit-def: $sgpr17
	s_branch .LBB168_437
.LBB168_435:                            ;   in Loop: Header=BB168_437 Depth=2
	s_or_b32 exec_lo, exec_lo, s28
	s_wait_dscnt 0x0
	s_barrier_signal -1
	s_barrier_wait -1
	ds_load_b32 v10, v3 offset:3072
	s_mov_b32 s28, -1
	s_mov_b32 s48, -1
	s_wait_dscnt 0x0
	s_barrier_signal -1
	s_barrier_wait -1
	v_and_b32_e32 v11, 0xffff, v10
	s_delay_alu instid0(VALU_DEP_1)
	v_cmp_eq_u32_e32 vcc_lo, 0, v11
	s_cbranch_vccnz .LBB168_440
.LBB168_436:                            ;   in Loop: Header=BB168_437 Depth=2
	s_and_b32 s7, exec_lo, s28
	s_delay_alu instid0(SALU_CYCLE_1) | instskip(SKIP_2) | instid1(SALU_CYCLE_1)
	s_or_b32 s15, s7, s15
	s_and_not1_b32 s7, s17, exec_lo
	s_and_b32 s8, s48, exec_lo
	s_or_b32 s17, s7, s8
	s_and_not1_b32 exec_lo, exec_lo, s15
	s_cbranch_execz .LBB168_441
.LBB168_437:                            ;   Parent Loop BB168_6 Depth=1
                                        ; =>  This Inner Loop Header: Depth=2
	s_mov_b32 s28, exec_lo
	s_delay_alu instid0(VALU_DEP_1)
	v_cmpx_gt_u64_e64 s[36:37], v[8:9]
	s_cbranch_execz .LBB168_435
; %bb.438:                              ;   in Loop: Header=BB168_437 Depth=2
	global_load_u16 v10, v[6:7], off
	s_wait_loadcnt 0x0
	v_bfe_i32 v11, v10, 0, 16
	s_delay_alu instid0(VALU_DEP_1) | instskip(NEXT) | instid1(VALU_DEP_1)
	v_add_nc_u32_e32 v11, 0x8000, v11
	v_and_b32_e32 v11, v11, v44
	s_delay_alu instid0(VALU_DEP_1)
	v_cmp_eq_u32_e32 vcc_lo, v11, v42
	s_and_b32 exec_lo, exec_lo, vcc_lo
	s_cbranch_execz .LBB168_435
; %bb.439:                              ;   in Loop: Header=BB168_437 Depth=2
	v_perm_b32 v10, v10, 1, 0x5040100
	ds_store_b32 v3, v10 offset:3072
	s_branch .LBB168_435
.LBB168_440:                            ;   in Loop: Header=BB168_437 Depth=2
	v_add_nc_u64_e32 v[8:9], s[34:35], v[8:9]
	v_add_nc_u64_e32 v[6:7], s[40:41], v[6:7]
	s_mov_b32 s48, 0
	s_delay_alu instid0(VALU_DEP_2)
	v_cmp_le_u64_e32 vcc_lo, s[10:11], v[8:9]
	s_or_not1_b32 s28, vcc_lo, exec_lo
	s_branch .LBB168_436
.LBB168_441:                            ;   in Loop: Header=BB168_6 Depth=1
	s_or_b32 exec_lo, exec_lo, s15
	v_lshrrev_b32_e32 v45, 16, v10
	s_and_not1_b32 s7, s16, exec_lo
	s_and_b32 s8, s17, exec_lo
	s_delay_alu instid0(SALU_CYCLE_1)
	s_or_b32 s16, s7, s8
.LBB168_442:                            ;   in Loop: Header=BB168_6 Depth=1
	s_or_b32 exec_lo, exec_lo, s14
	s_mov_b32 s79, 0
	s_mov_b32 s48, -1
.LBB168_443:                            ;   in Loop: Header=BB168_6 Depth=1
	s_or_not1_b32 s11, s16, exec_lo
.LBB168_444:                            ;   in Loop: Header=BB168_6 Depth=1
	s_or_b32 exec_lo, exec_lo, s78
	s_mov_b32 s14, 0
	s_and_saveexec_b32 s10, s11
	s_cbranch_execz .LBB168_455
; %bb.445:                              ;   in Loop: Header=BB168_6 Depth=1
	v_mov_b64_e32 v[6:7], 1
	v_mov_b32_e32 v2, 1
	s_xor_b32 s14, s77, -1
	s_delay_alu instid0(SALU_CYCLE_1)
	s_and_saveexec_b32 s11, s14
	s_cbranch_execz .LBB168_454
; %bb.446:                              ;   in Loop: Header=BB168_6 Depth=1
	s_mov_b32 s14, exec_lo
	v_cmpx_ge_u64_e64 s[12:13], v[4:5]
	s_xor_b32 s14, exec_lo, s14
	s_cbranch_execz .LBB168_451
; %bb.447:                              ;   in Loop: Header=BB168_6 Depth=1
	ds_load_b64 v[6:7], v3 offset:5120
	v_and_b32_e32 v42, s25, v42
	v_or_b32_e32 v44, s24, v44
	s_wait_dscnt 0x0
	v_cmp_ne_u64_e32 vcc_lo, 0, v[6:7]
	s_cbranch_vccnz .LBB168_451
; %bb.448:                              ;   in Loop: Header=BB168_6 Depth=1
	s_and_saveexec_b32 s15, s5
; %bb.449:                              ;   in Loop: Header=BB168_6 Depth=1
	v_mov_b64_e32 v[6:7], s[12:13]
	ds_store_b64 v3, v[6:7] offset:5128
; %bb.450:                              ;   in Loop: Header=BB168_6 Depth=1
	s_or_b32 exec_lo, exec_lo, s15
	s_wait_dscnt 0x0
	s_barrier_signal -1
	s_barrier_wait -1
.LBB168_451:                            ;   in Loop: Header=BB168_6 Depth=1
	s_and_not1_saveexec_b32 s14, s14
; %bb.452:                              ;   in Loop: Header=BB168_6 Depth=1
	v_sub_nc_u64_e64 v[4:5], v[4:5], s[12:13]
; %bb.453:                              ;   in Loop: Header=BB168_6 Depth=1
	s_or_b32 exec_lo, exec_lo, s14
	s_delay_alu instid0(VALU_DEP_1)
	v_mov_b64_e32 v[6:7], v[4:5]
	v_mov_b32_e32 v2, 5
.LBB168_454:                            ;   in Loop: Header=BB168_6 Depth=1
	s_or_b32 exec_lo, exec_lo, s11
	s_delay_alu instid0(VALU_DEP_2)
	v_mov_b64_e32 v[4:5], v[6:7]
	s_mov_b32 s14, exec_lo
.LBB168_455:                            ;   in Loop: Header=BB168_6 Depth=1
	s_or_b32 exec_lo, exec_lo, s10
	s_delay_alu instid0(SALU_CYCLE_1)
	s_or_not1_b32 s10, s14, exec_lo
.LBB168_456:                            ;   in Loop: Header=BB168_6 Depth=1
	s_or_b32 exec_lo, exec_lo, s19
	s_delay_alu instid0(VALU_DEP_1)
	v_mov_b64_e32 v[6:7], v[4:5]
	s_and_not1_b32 s11, s76, exec_lo
	s_and_b32 s12, s48, exec_lo
	s_and_not1_b32 s13, s74, exec_lo
	s_and_b32 s14, s79, exec_lo
	s_or_b32 s76, s11, s12
	s_or_b32 s74, s13, s14
	s_and_b32 s11, s10, exec_lo
.LBB168_457:                            ;   in Loop: Header=BB168_6 Depth=1
	s_or_b32 exec_lo, exec_lo, s18
	s_delay_alu instid0(SALU_CYCLE_1)
	s_or_not1_b32 s10, s11, exec_lo
.LBB168_458:                            ;   in Loop: Header=BB168_6 Depth=1
	s_or_b32 exec_lo, exec_lo, s21
	v_mov_b64_e32 v[4:5], v[6:7]
	s_and_not1_b32 s11, s73, exec_lo
	s_and_b32 s12, s76, exec_lo
	s_and_not1_b32 s13, s23, exec_lo
	s_and_b32 s14, s74, exec_lo
	s_or_b32 s73, s11, s12
	s_or_b32 s23, s13, s14
	s_and_b32 s11, s10, exec_lo
.LBB168_459:                            ;   in Loop: Header=BB168_6 Depth=1
	s_or_b32 exec_lo, exec_lo, s20
	s_delay_alu instid0(SALU_CYCLE_1)
	s_or_not1_b32 s10, s11, exec_lo
.LBB168_460:                            ;   in Loop: Header=BB168_6 Depth=1
	s_or_b32 exec_lo, exec_lo, s9
	s_mov_b32 s9, s72
	s_mov_b32 s11, s27
	s_and_saveexec_b32 s12, s10
; %bb.461:                              ;   in Loop: Header=BB168_6 Depth=1
	v_cmp_ne_u32_e32 vcc_lo, 5, v2
	v_cmp_eq_u32_e64 s9, 5, v2
	s_and_not1_b32 s10, s27, exec_lo
	s_and_not1_b32 s13, s72, exec_lo
	s_and_b32 s11, vcc_lo, exec_lo
	s_and_b32 s9, s9, exec_lo
	s_or_b32 s11, s10, s11
	s_or_b32 s9, s13, s9
; %bb.462:                              ;   in Loop: Header=BB168_6 Depth=1
	s_or_b32 exec_lo, exec_lo, s12
	s_delay_alu instid0(SALU_CYCLE_1)
	s_and_not1_b32 s7, s75, exec_lo
	s_and_b32 s8, s73, exec_lo
	s_and_not1_b32 s10, s26, exec_lo
	s_and_b32 s12, s23, exec_lo
	s_or_b32 s75, s7, s8
	s_or_b32 s26, s10, s12
	s_and_not1_b32 s7, s27, exec_lo
	s_and_b32 s8, s11, exec_lo
	s_and_not1_b32 s10, s72, exec_lo
	s_and_b32 s9, s9, exec_lo
	s_or_b32 s27, s7, s8
	s_or_b32 s72, s10, s9
.LBB168_463:                            ;   in Loop: Header=BB168_6 Depth=1
	s_or_b32 exec_lo, exec_lo, s22
	s_mov_b32 s73, 0
	s_mov_b32 s74, 0
	s_and_saveexec_b32 s9, s72
.LBB168_464:                            ;   in Loop: Header=BB168_6 Depth=1
	v_mov_b32_e32 v2, 0
	s_or_b32 s27, s27, exec_lo
.LBB168_465:                            ;   in Loop: Header=BB168_6 Depth=1
	s_or_b32 exec_lo, exec_lo, s9
	v_mov_b64_e32 v[30:31], v[4:5]
	s_and_not1_b32 s7, vcc_hi, exec_lo
	s_and_b32 s8, s75, exec_lo
	s_and_not1_b32 s9, s103, exec_lo
	s_and_b32 s11, s26, exec_lo
	s_or_b32 vcc_hi, s7, s8
	s_or_b32 s103, s9, s11
	s_and_not1_b32 s7, s47, exec_lo
	s_and_b32 s8, s74, exec_lo
	s_and_not1_b32 s9, s46, exec_lo
	s_and_b32 s11, s73, exec_lo
	s_mov_b32 s10, -1
	s_and_not1_b32 s104, s104, exec_lo
	s_or_b32 s47, s7, s8
	s_or_b32 s46, s9, s11
	s_and_saveexec_b32 s7, s27
	s_delay_alu instid0(SALU_CYCLE_1)
	s_xor_b32 s9, exec_lo, s7
	s_cbranch_execz .LBB168_5
; %bb.466:                              ;   in Loop: Header=BB168_6 Depth=1
	s_mov_b32 s11, -1
	s_mov_b32 s12, exec_lo
	v_cmpx_eq_u32_e32 0, v2
	s_cbranch_execz .LBB168_4
; %bb.467:                              ;   in Loop: Header=BB168_6 Depth=1
	s_xor_b32 s98, s98, 1
	s_add_co_i32 s13, s95, -2
	s_cmp_eq_u32 s95, 0
	s_mov_b32 s95, s13
	s_cselect_b32 s10, -1, 0
	s_xor_b32 s11, exec_lo, -1
	s_or_not1_b32 s10, s10, exec_lo
	s_branch .LBB168_4
.LBB168_468:
	s_or_b32 exec_lo, exec_lo, s96
	s_xor_b32 s7, s102, -1
	s_xor_b32 s9, s100, -1
	s_xor_b32 s10, s101, -1
	s_xor_b32 s11, s97, -1
	s_xor_b32 s6, s99, -1
	s_mov_b32 s8, 0
	s_and_saveexec_b32 s12, s11
	s_delay_alu instid0(SALU_CYCLE_1)
	s_xor_b32 s16, exec_lo, s12
	s_cbranch_execnz .LBB168_473
; %bb.469:
	s_and_not1_saveexec_b32 s0, s16
	s_cbranch_execnz .LBB168_492
.LBB168_470:
	s_or_b32 exec_lo, exec_lo, s0
	s_and_saveexec_b32 s0, s8
.LBB168_471:
	; divergent unreachable
.LBB168_472:
	s_endpgm
.LBB168_473:
	s_and_saveexec_b32 s11, s10
	s_delay_alu instid0(SALU_CYCLE_1)
	s_xor_b32 s17, exec_lo, s11
	s_cbranch_execz .LBB168_490
; %bb.474:
	s_and_saveexec_b32 s10, s9
	s_delay_alu instid0(SALU_CYCLE_1)
	s_xor_b32 s18, exec_lo, s10
	s_cbranch_execz .LBB168_488
; %bb.475:
	s_and_saveexec_b32 s9, s7
	s_delay_alu instid0(SALU_CYCLE_1)
	s_xor_b32 s19, exec_lo, s9
	s_cbranch_execz .LBB168_486
; %bb.476:
	s_and_saveexec_b32 s7, s6
	s_delay_alu instid0(SALU_CYCLE_1)
	s_xor_b32 s6, exec_lo, s7
; %bb.477:
	v_xor_b32_e32 v45, 0xffff8000, v42
; %bb.478:
	s_or_b32 exec_lo, exec_lo, s6
	s_and_saveexec_b32 s6, s5
	v_readlane_b32 s12, v54, 2
	v_readlane_b32 s13, v54, 3
; %bb.479:
	v_mov_b64_e32 v[2:3], 0
	v_mov_b32_e32 v4, 0
	ds_store_b64 v4, v[2:3] offset:5136
; %bb.480:
	s_or_b32 exec_lo, exec_lo, s6
	v_mov_b32_e32 v13, 0
	s_wait_dscnt 0x0
	s_barrier_signal -1
	s_barrier_wait -1
	s_and_saveexec_b32 s5, s3
	s_cbranch_execz .LBB168_482
; %bb.481:
	global_load_u16 v13, v[14:15], off
.LBB168_482:
	s_wait_xcnt 0x0
	s_or_b32 exec_lo, exec_lo, s5
	s_clause 0x1
	s_load_b64 s[6:7], s[0:1], 0x368
	s_load_b64 s[8:9], s[0:1], 0x510
	s_wait_xcnt 0x0
	s_add_nc_u64 s[0:1], s[36:37], 31
	s_mov_b64 s[10:11], 0xffffffffffffffe0
	v_readlane_b32 s14, v54, 0
	s_and_b64 s[10:11], s[0:1], s[10:11]
	v_readlane_b32 s0, v54, 6
	v_readlane_b32 s1, v54, 7
	v_readlane_b32 s15, v54, 1
	v_cmp_gt_u64_e32 vcc_lo, s[10:11], v[0:1]
	s_mov_b32 s5, 0
	s_mul_u64 s[0:1], s[0:1], s[12:13]
	s_mul_u64 s[12:13], s[14:15], s[12:13]
	s_lshl_b64 s[0:1], s[0:1], 1
	s_lshl_b64 s[14:15], s[12:13], 3
	v_readlane_b32 s12, v54, 8
	v_readlane_b32 s13, v54, 9
	s_add_nc_u64 s[12:13], s[12:13], s[0:1]
	v_readlane_b32 s0, v54, 4
	v_readlane_b32 s1, v54, 5
	s_add_nc_u64 s[14:15], s[0:1], s[14:15]
	s_mov_b32 s0, -1
	s_mov_b32 s1, 0
	s_and_saveexec_b32 s20, vcc_lo
	s_cbranch_execnz .LBB168_493
; %bb.483:
	s_or_b32 exec_lo, exec_lo, s20
	s_and_saveexec_b32 s4, s0
	s_cbranch_execnz .LBB168_508
.LBB168_484:
	s_or_b32 exec_lo, exec_lo, s4
	s_and_saveexec_b32 s0, s1
	s_delay_alu instid0(SALU_CYCLE_1)
	s_xor_b32 s0, exec_lo, s0
	s_cbranch_execnz .LBB168_531
.LBB168_485:
	s_or_b32 exec_lo, exec_lo, s0
	s_wait_kmcnt 0x0
	s_and_b32 s8, s5, exec_lo
.LBB168_486:
	s_and_not1_saveexec_b32 s0, s19
	s_cbranch_execnz .LBB168_533
.LBB168_487:
	s_or_b32 exec_lo, exec_lo, s0
	s_delay_alu instid0(SALU_CYCLE_1)
	s_and_b32 s8, s8, exec_lo
.LBB168_488:
	s_and_not1_saveexec_b32 s0, s18
	s_cbranch_execnz .LBB168_532
.LBB168_489:
	s_or_b32 exec_lo, exec_lo, s0
	s_delay_alu instid0(SALU_CYCLE_1)
	s_and_b32 s8, s8, exec_lo
.LBB168_490:
	s_and_not1_saveexec_b32 s0, s17
	s_cbranch_execnz .LBB168_527
.LBB168_491:
	s_or_b32 exec_lo, exec_lo, s0
	s_delay_alu instid0(SALU_CYCLE_1)
	s_and_b32 s8, s8, exec_lo
	s_and_not1_saveexec_b32 s0, s16
	s_cbranch_execz .LBB168_470
.LBB168_492:
	s_or_b32 s8, s8, exec_lo
	s_trap 2
	s_or_b32 exec_lo, exec_lo, s0
	s_and_saveexec_b32 s0, s8
	s_cbranch_execnz .LBB168_471
	s_branch .LBB168_472
.LBB168_493:
	v_add_nc_u64_e32 v[2:3], s[34:35], v[0:1]
	v_mov_b64_e32 v[10:11], v[0:1]
	s_mov_b32 s21, 0
                                        ; implicit-def: $sgpr22
                                        ; implicit-def: $vgpr8_vgpr9
	s_delay_alu instid0(VALU_DEP_2) | instskip(SKIP_1) | instid1(VALU_DEP_1)
	v_mul_u64_e32 v[4:5], s[30:31], v[2:3]
	v_bfe_i32 v2, v45, 0, 16
	v_dual_mov_b32 v3, 0 :: v_dual_add_nc_u32 v18, 0x8000, v2
	s_delay_alu instid0(VALU_DEP_3)
	v_lshl_add_u64 v[4:5], v[4:5], 1, s[42:43]
	s_branch .LBB168_495
.LBB168_494:                            ;   in Loop: Header=BB168_495 Depth=1
	s_or_b32 exec_lo, exec_lo, s24
	s_xor_b32 s0, s23, -1
	s_and_b32 s1, exec_lo, s1
	v_mov_b64_e32 v[10:11], v[6:7]
	v_mov_b32_e32 v13, v19
	s_or_b32 s21, s1, s21
	s_and_not1_b32 s1, s22, exec_lo
	s_and_b32 s0, s0, exec_lo
	s_delay_alu instid0(SALU_CYCLE_1)
	s_or_b32 s22, s1, s0
	s_and_not1_b32 exec_lo, exec_lo, s21
	s_cbranch_execz .LBB168_507
.LBB168_495:                            ; =>This Inner Loop Header: Depth=1
	v_add_nc_u64_e32 v[6:7], s[34:35], v[10:11]
	v_mov_b32_e32 v19, 0
	s_mov_b32 s1, exec_lo
	s_delay_alu instid0(VALU_DEP_2)
	v_cmpx_gt_u64_e64 s[36:37], v[6:7]
	s_cbranch_execz .LBB168_497
; %bb.496:                              ;   in Loop: Header=BB168_495 Depth=1
	global_load_u16 v19, v[4:5], off
.LBB168_497:                            ;   in Loop: Header=BB168_495 Depth=1
	s_wait_xcnt 0x0
	s_or_b32 exec_lo, exec_lo, s1
	s_wait_loadcnt 0x0
	v_bfe_i32 v2, v13, 0, 16
	s_delay_alu instid0(VALU_DEP_1) | instskip(NEXT) | instid1(VALU_DEP_1)
	v_add_nc_u32_e32 v2, 0x8000, v2
	v_cmp_gt_u32_e64 s0, v2, v18
	s_delay_alu instid0(VALU_DEP_1) | instskip(SKIP_1) | instid1(VALU_DEP_1)
	v_cndmask_b32_e64 v16, 0, 1, s0
	v_cmp_lt_u32_e64 s0, v2, v18
	v_cndmask_b32_e64 v2, 0, 1, s0
	v_cmp_gt_u64_e64 s0, s[36:37], v[10:11]
	s_delay_alu instid0(VALU_DEP_2) | instskip(NEXT) | instid1(VALU_DEP_1)
	v_cndmask_b32_e64 v2, v2, v16, s4
	v_and_b32_e32 v2, 1, v2
	s_delay_alu instid0(VALU_DEP_1) | instskip(SKIP_1) | instid1(SALU_CYCLE_1)
	v_cmp_eq_u32_e64 s1, 1, v2
	s_and_b32 s23, s0, s1
	v_cndmask_b32_e64 v2, 0, 1, s23
	s_delay_alu instid0(VALU_DEP_1) | instskip(SKIP_2) | instid1(SALU_CYCLE_1)
	v_cmp_ne_u32_e64 s0, 0, v2
	s_cmp_lg_u32 s0, 0
	s_cselect_b32 s1, -1, 0
	s_and_b32 s1, s2, s1
	s_delay_alu instid0(SALU_CYCLE_1)
	s_and_saveexec_b32 s24, s1
	s_cbranch_execz .LBB168_501
; %bb.498:                              ;   in Loop: Header=BB168_495 Depth=1
	s_mov_b32 s27, exec_lo
	s_bcnt1_i32_b32 s25, s0
	v_mbcnt_lo_u32_b32 v16, s27, 0
	s_mov_b32 s26, exec_lo
                                        ; implicit-def: $vgpr8_vgpr9
	s_delay_alu instid0(VALU_DEP_1)
	v_cmpx_eq_u32_e32 0, v16
	s_cbranch_execz .LBB168_500
; %bb.499:                              ;   in Loop: Header=BB168_495 Depth=1
	s_bcnt1_i32_b32 s1, s27
	s_delay_alu instid0(SALU_CYCLE_1) | instskip(NEXT) | instid1(SALU_CYCLE_1)
	s_mul_i32 s1, s25, s1
	v_mov_b32_e32 v2, s1
	s_wait_dscnt 0x0
	ds_add_rtn_u64 v[8:9], v3, v[2:3] offset:5136
.LBB168_500:                            ;   in Loop: Header=BB168_495 Depth=1
	s_or_b32 exec_lo, exec_lo, s26
	s_wait_dscnt 0x0
	v_readfirstlane_b32 s27, v9
	v_readfirstlane_b32 s26, v8
	s_delay_alu instid0(VALU_DEP_1)
	v_mad_nc_u64_u32 v[8:9], s25, v16, s[26:27]
.LBB168_501:                            ;   in Loop: Header=BB168_495 Depth=1
	s_or_b32 exec_lo, exec_lo, s24
	s_wait_dscnt 0x1
	ds_bpermute_b32 v8, v3, v8
	s_wait_dscnt 0x1
	ds_bpermute_b32 v9, v3, v9
	s_mov_b32 s1, -1
	s_mov_b32 s25, -1
	s_and_saveexec_b32 s24, s23
	s_cbranch_execz .LBB168_505
; %bb.502:                              ;   in Loop: Header=BB168_495 Depth=1
	v_and_b32_e32 v2, s0, v12
	s_mov_b32 s23, 0
	s_mov_b32 s25, exec_lo
	s_delay_alu instid0(VALU_DEP_1) | instskip(SKIP_1) | instid1(VALU_DEP_1)
	v_bcnt_u32_b32 v2, v2, 0
	s_wait_dscnt 0x0
	v_add_nc_u64_e32 v[16:17], v[8:9], v[2:3]
	s_delay_alu instid0(VALU_DEP_1)
	v_cmpx_gt_u64_e64 s[38:39], v[16:17]
	s_cbranch_execz .LBB168_504
; %bb.503:                              ;   in Loop: Header=BB168_495 Depth=1
	s_wait_kmcnt 0x0
	v_mul_u64_e32 v[20:21], s[6:7], v[16:17]
	v_mul_u64_e32 v[16:17], s[8:9], v[16:17]
	s_mov_b32 s23, exec_lo
	s_delay_alu instid0(VALU_DEP_2) | instskip(NEXT) | instid1(VALU_DEP_2)
	v_lshl_add_u64 v[20:21], v[20:21], 1, s[12:13]
	v_lshl_add_u64 v[16:17], v[16:17], 3, s[14:15]
	global_store_b16 v[20:21], v13, off
	global_store_b64 v[16:17], v[10:11], off
.LBB168_504:                            ;   in Loop: Header=BB168_495 Depth=1
	s_wait_xcnt 0x0
	s_or_b32 exec_lo, exec_lo, s25
	s_delay_alu instid0(SALU_CYCLE_1)
	s_or_not1_b32 s25, s23, exec_lo
.LBB168_505:                            ;   in Loop: Header=BB168_495 Depth=1
	s_or_b32 exec_lo, exec_lo, s24
	s_mov_b32 s23, -1
	s_and_saveexec_b32 s24, s25
	s_cbranch_execz .LBB168_494
; %bb.506:                              ;   in Loop: Header=BB168_495 Depth=1
	v_cmp_le_u64_e64 s0, s[10:11], v[6:7]
	v_add_nc_u64_e32 v[4:5], s[40:41], v[4:5]
	s_xor_b32 s23, exec_lo, -1
	s_or_not1_b32 s1, s0, exec_lo
	s_branch .LBB168_494
.LBB168_507:
	s_or_b32 exec_lo, exec_lo, s21
	s_delay_alu instid0(SALU_CYCLE_1)
	s_mov_b32 s1, exec_lo
	s_or_not1_b32 s0, s22, exec_lo
	s_or_b32 exec_lo, exec_lo, s20
	s_and_saveexec_b32 s4, s0
	s_cbranch_execz .LBB168_484
.LBB168_508:
	v_mov_b32_e32 v4, 0
	s_wait_storecnt 0x0
	s_wait_loadcnt_dscnt 0x0
	s_barrier_signal -1
	s_barrier_wait -1
	s_and_saveexec_b32 s0, s3
	s_cbranch_execz .LBB168_510
; %bb.509:
	global_load_u16 v4, v[14:15], off
.LBB168_510:
	s_wait_xcnt 0x0
	s_or_b32 exec_lo, exec_lo, s0
	s_mov_b32 s0, 0
	s_and_saveexec_b32 s3, vcc_lo
	s_cbranch_execz .LBB168_530
; %bb.511:
	v_add_nc_u64_e32 v[2:3], s[34:35], v[0:1]
	v_mov_b32_e32 v5, 0
	s_mov_b32 s5, 0
                                        ; implicit-def: $sgpr20
                                        ; implicit-def: $vgpr8_vgpr9
	s_delay_alu instid0(VALU_DEP_2) | instskip(NEXT) | instid1(VALU_DEP_1)
	v_mul_u64_e32 v[2:3], s[30:31], v[2:3]
	v_lshl_add_u64 v[2:3], v[2:3], 1, s[42:43]
	s_branch .LBB168_514
.LBB168_512:                            ;   in Loop: Header=BB168_514 Depth=1
	s_or_b32 exec_lo, exec_lo, s23
	s_delay_alu instid0(SALU_CYCLE_1)
	s_or_not1_b32 s23, s21, exec_lo
	s_or_not1_b32 s22, s22, exec_lo
.LBB168_513:                            ;   in Loop: Header=BB168_514 Depth=1
	s_or_b32 exec_lo, exec_lo, s0
	s_xor_b32 s0, s23, -1
	s_and_b32 s21, exec_lo, s22
	v_mov_b64_e32 v[0:1], v[6:7]
	s_or_b32 s5, s21, s5
	v_mov_b32_e32 v4, v13
	s_and_not1_b32 s20, s20, exec_lo
	s_and_b32 s0, s0, exec_lo
	s_delay_alu instid0(SALU_CYCLE_1)
	s_or_b32 s20, s20, s0
	s_and_not1_b32 exec_lo, exec_lo, s5
	s_cbranch_execz .LBB168_528
.LBB168_514:                            ; =>This Inner Loop Header: Depth=1
	v_add_nc_u64_e32 v[6:7], s[34:35], v[0:1]
	v_mov_b32_e32 v13, 0
	s_mov_b32 s0, exec_lo
	s_delay_alu instid0(VALU_DEP_2)
	v_cmpx_gt_u64_e64 s[36:37], v[6:7]
	s_cbranch_execz .LBB168_516
; %bb.515:                              ;   in Loop: Header=BB168_514 Depth=1
	global_load_u16 v13, v[2:3], off
.LBB168_516:                            ;   in Loop: Header=BB168_514 Depth=1
	s_wait_xcnt 0x0
	s_or_b32 exec_lo, exec_lo, s0
	v_cmp_gt_u64_e32 vcc_lo, s[36:37], v[0:1]
	s_wait_loadcnt 0x0
	v_cmp_eq_u16_e64 s0, v4, v45
	s_and_b32 s21, vcc_lo, s0
	s_delay_alu instid0(SALU_CYCLE_1) | instskip(NEXT) | instid1(VALU_DEP_1)
	v_cndmask_b32_e64 v4, 0, 1, s21
	v_cmp_ne_u32_e32 vcc_lo, 0, v4
	s_cmp_lg_u32 vcc_lo, 0
	s_cselect_b32 s0, -1, 0
	s_delay_alu instid0(SALU_CYCLE_1) | instskip(NEXT) | instid1(SALU_CYCLE_1)
	s_and_b32 s0, s2, s0
	s_and_saveexec_b32 s22, s0
	s_cbranch_execz .LBB168_520
; %bb.517:                              ;   in Loop: Header=BB168_514 Depth=1
	s_mov_b32 s25, exec_lo
	s_bcnt1_i32_b32 s23, vcc_lo
	v_mbcnt_lo_u32_b32 v10, s25, 0
	s_mov_b32 s24, exec_lo
                                        ; implicit-def: $vgpr8_vgpr9
	s_delay_alu instid0(VALU_DEP_1)
	v_cmpx_eq_u32_e32 0, v10
; %bb.518:                              ;   in Loop: Header=BB168_514 Depth=1
	s_bcnt1_i32_b32 s0, s25
	s_delay_alu instid0(SALU_CYCLE_1) | instskip(NEXT) | instid1(SALU_CYCLE_1)
	s_mul_i32 s0, s23, s0
	v_mov_b32_e32 v4, s0
	ds_add_rtn_u64 v[8:9], v5, v[4:5] offset:5136
; %bb.519:                              ;   in Loop: Header=BB168_514 Depth=1
	s_or_b32 exec_lo, exec_lo, s24
	s_wait_dscnt 0x0
	v_readfirstlane_b32 s25, v9
	v_readfirstlane_b32 s24, v8
	s_delay_alu instid0(VALU_DEP_1)
	v_mad_nc_u64_u32 v[8:9], s23, v10, s[24:25]
.LBB168_520:                            ;   in Loop: Header=BB168_514 Depth=1
	s_or_b32 exec_lo, exec_lo, s22
	ds_bpermute_b32 v8, v5, v8
	ds_bpermute_b32 v9, v5, v9
	s_cmp_eq_u32 vcc_lo, 0
	s_mov_b32 s22, -1
	s_cselect_b32 s23, -1, 0
	s_wait_dscnt 0x0
	v_cmp_gt_u64_e64 s0, s[38:39], v[8:9]
	s_or_b32 s24, s23, s0
	s_mov_b32 s23, -1
	s_and_saveexec_b32 s0, s24
	s_cbranch_execz .LBB168_513
; %bb.521:                              ;   in Loop: Header=BB168_514 Depth=1
	v_and_b32_e32 v4, vcc_lo, v12
	v_sub_nc_u64_e32 v[10:11], s[38:39], v[8:9]
	s_mov_b32 s24, -1
	s_delay_alu instid0(VALU_DEP_2) | instskip(NEXT) | instid1(VALU_DEP_1)
	v_bcnt_u32_b32 v4, v4, 0
	v_bcnt_u32_b32 v4, 0, v4
	s_delay_alu instid0(VALU_DEP_1)
	v_cmp_gt_u64_e32 vcc_lo, v[10:11], v[4:5]
	s_and_b32 s25, s21, vcc_lo
	s_mov_b32 s21, -1
	s_and_saveexec_b32 s23, s25
	s_cbranch_execz .LBB168_525
; %bb.522:                              ;   in Loop: Header=BB168_514 Depth=1
	v_add_nc_u64_e32 v[10:11], v[8:9], v[4:5]
	s_mov_b32 s24, 0
	s_mov_b32 s21, exec_lo
	s_delay_alu instid0(VALU_DEP_1)
	v_cmpx_gt_u64_e64 s[38:39], v[10:11]
	s_cbranch_execz .LBB168_524
; %bb.523:                              ;   in Loop: Header=BB168_514 Depth=1
	s_wait_kmcnt 0x0
	v_mul_u64_e32 v[14:15], s[6:7], v[10:11]
	v_mul_u64_e32 v[10:11], s[8:9], v[10:11]
	s_mov_b32 s24, exec_lo
	s_delay_alu instid0(VALU_DEP_2) | instskip(NEXT) | instid1(VALU_DEP_2)
	v_lshl_add_u64 v[14:15], v[14:15], 1, s[12:13]
	v_lshl_add_u64 v[10:11], v[10:11], 3, s[14:15]
	global_store_b16 v[14:15], v45, off
	global_store_b64 v[10:11], v[0:1], off
.LBB168_524:                            ;   in Loop: Header=BB168_514 Depth=1
	s_wait_xcnt 0x0
	s_or_b32 exec_lo, exec_lo, s21
	s_delay_alu instid0(SALU_CYCLE_1)
	s_xor_b32 s21, exec_lo, -1
	s_or_not1_b32 s24, s24, exec_lo
.LBB168_525:                            ;   in Loop: Header=BB168_514 Depth=1
	s_or_b32 exec_lo, exec_lo, s23
	s_and_saveexec_b32 s23, s24
	s_cbranch_execz .LBB168_512
; %bb.526:                              ;   in Loop: Header=BB168_514 Depth=1
	v_cmp_le_u64_e32 vcc_lo, s[10:11], v[6:7]
	v_add_nc_u64_e32 v[2:3], s[40:41], v[2:3]
	s_or_b32 s21, s21, exec_lo
	s_or_not1_b32 s22, vcc_lo, exec_lo
	s_branch .LBB168_512
.LBB168_527:
	s_or_b32 s8, s8, exec_lo
	s_trap 2
	s_branch .LBB168_491
.LBB168_528:
	s_or_b32 exec_lo, exec_lo, s5
	s_mov_b32 s0, 0
	s_and_saveexec_b32 s2, s20
	s_delay_alu instid0(SALU_CYCLE_1)
	s_xor_b32 s2, exec_lo, s2
	s_cbranch_execnz .LBB168_534
.LBB168_529:
	s_or_b32 exec_lo, exec_lo, s2
	s_delay_alu instid0(SALU_CYCLE_1)
	s_and_b32 s0, s0, exec_lo
.LBB168_530:
	s_or_b32 exec_lo, exec_lo, s3
	s_delay_alu instid0(SALU_CYCLE_1) | instskip(SKIP_3) | instid1(SALU_CYCLE_1)
	s_and_b32 s5, s0, exec_lo
	s_and_not1_b32 s1, s1, exec_lo
	s_or_b32 exec_lo, exec_lo, s4
	s_and_saveexec_b32 s0, s1
	s_xor_b32 s0, exec_lo, s0
	s_cbranch_execz .LBB168_485
.LBB168_531:
	s_or_b32 s5, s5, exec_lo
	s_trap 2
	s_branch .LBB168_485
.LBB168_532:
	s_or_b32 s8, s8, exec_lo
	s_trap 2
	s_branch .LBB168_489
.LBB168_533:
	s_or_b32 s8, s8, exec_lo
	s_trap 2
	s_branch .LBB168_487
.LBB168_534:
	s_mov_b32 s0, exec_lo
	s_trap 2
	s_branch .LBB168_529
	.section	.rodata,"a",@progbits
	.p2align	6, 0x0
	.amdhsa_kernel _ZN2at6native6sbtopk10gatherTopKIsmLi1ELb0EEEvNS_4cuda6detail10TensorInfoIKT_T0_EES8_S8_bS8_S8_NS5_IS6_S8_EES8_NS5_IlS8_EES8_PS6_
		.amdhsa_group_segment_fixed_size 5152
		.amdhsa_private_segment_fixed_size 0
		.amdhsa_kernarg_size 1568
		.amdhsa_user_sgpr_count 2
		.amdhsa_user_sgpr_dispatch_ptr 0
		.amdhsa_user_sgpr_queue_ptr 0
		.amdhsa_user_sgpr_kernarg_segment_ptr 1
		.amdhsa_user_sgpr_dispatch_id 0
		.amdhsa_user_sgpr_kernarg_preload_length 0
		.amdhsa_user_sgpr_kernarg_preload_offset 0
		.amdhsa_user_sgpr_private_segment_size 0
		.amdhsa_wavefront_size32 1
		.amdhsa_uses_dynamic_stack 0
		.amdhsa_enable_private_segment 0
		.amdhsa_system_sgpr_workgroup_id_x 1
		.amdhsa_system_sgpr_workgroup_id_y 1
		.amdhsa_system_sgpr_workgroup_id_z 1
		.amdhsa_system_sgpr_workgroup_info 0
		.amdhsa_system_vgpr_workitem_id 0
		.amdhsa_next_free_vgpr 55
		.amdhsa_next_free_sgpr 105
		.amdhsa_named_barrier_count 0
		.amdhsa_reserve_vcc 1
		.amdhsa_float_round_mode_32 0
		.amdhsa_float_round_mode_16_64 0
		.amdhsa_float_denorm_mode_32 3
		.amdhsa_float_denorm_mode_16_64 3
		.amdhsa_fp16_overflow 0
		.amdhsa_memory_ordered 1
		.amdhsa_forward_progress 1
		.amdhsa_inst_pref_size 195
		.amdhsa_round_robin_scheduling 0
		.amdhsa_exception_fp_ieee_invalid_op 0
		.amdhsa_exception_fp_denorm_src 0
		.amdhsa_exception_fp_ieee_div_zero 0
		.amdhsa_exception_fp_ieee_overflow 0
		.amdhsa_exception_fp_ieee_underflow 0
		.amdhsa_exception_fp_ieee_inexact 0
		.amdhsa_exception_int_div_zero 0
	.end_amdhsa_kernel
	.section	.text._ZN2at6native6sbtopk10gatherTopKIsmLi1ELb0EEEvNS_4cuda6detail10TensorInfoIKT_T0_EES8_S8_bS8_S8_NS5_IS6_S8_EES8_NS5_IlS8_EES8_PS6_,"axG",@progbits,_ZN2at6native6sbtopk10gatherTopKIsmLi1ELb0EEEvNS_4cuda6detail10TensorInfoIKT_T0_EES8_S8_bS8_S8_NS5_IS6_S8_EES8_NS5_IlS8_EES8_PS6_,comdat
.Lfunc_end168:
	.size	_ZN2at6native6sbtopk10gatherTopKIsmLi1ELb0EEEvNS_4cuda6detail10TensorInfoIKT_T0_EES8_S8_bS8_S8_NS5_IS6_S8_EES8_NS5_IlS8_EES8_PS6_, .Lfunc_end168-_ZN2at6native6sbtopk10gatherTopKIsmLi1ELb0EEEvNS_4cuda6detail10TensorInfoIKT_T0_EES8_S8_bS8_S8_NS5_IS6_S8_EES8_NS5_IlS8_EES8_PS6_
                                        ; -- End function
	.set _ZN2at6native6sbtopk10gatherTopKIsmLi1ELb0EEEvNS_4cuda6detail10TensorInfoIKT_T0_EES8_S8_bS8_S8_NS5_IS6_S8_EES8_NS5_IlS8_EES8_PS6_.num_vgpr, 55
	.set _ZN2at6native6sbtopk10gatherTopKIsmLi1ELb0EEEvNS_4cuda6detail10TensorInfoIKT_T0_EES8_S8_bS8_S8_NS5_IS6_S8_EES8_NS5_IlS8_EES8_PS6_.num_agpr, 0
	.set _ZN2at6native6sbtopk10gatherTopKIsmLi1ELb0EEEvNS_4cuda6detail10TensorInfoIKT_T0_EES8_S8_bS8_S8_NS5_IS6_S8_EES8_NS5_IlS8_EES8_PS6_.numbered_sgpr, 105
	.set _ZN2at6native6sbtopk10gatherTopKIsmLi1ELb0EEEvNS_4cuda6detail10TensorInfoIKT_T0_EES8_S8_bS8_S8_NS5_IS6_S8_EES8_NS5_IlS8_EES8_PS6_.num_named_barrier, 0
	.set _ZN2at6native6sbtopk10gatherTopKIsmLi1ELb0EEEvNS_4cuda6detail10TensorInfoIKT_T0_EES8_S8_bS8_S8_NS5_IS6_S8_EES8_NS5_IlS8_EES8_PS6_.private_seg_size, 0
	.set _ZN2at6native6sbtopk10gatherTopKIsmLi1ELb0EEEvNS_4cuda6detail10TensorInfoIKT_T0_EES8_S8_bS8_S8_NS5_IS6_S8_EES8_NS5_IlS8_EES8_PS6_.uses_vcc, 1
	.set _ZN2at6native6sbtopk10gatherTopKIsmLi1ELb0EEEvNS_4cuda6detail10TensorInfoIKT_T0_EES8_S8_bS8_S8_NS5_IS6_S8_EES8_NS5_IlS8_EES8_PS6_.uses_flat_scratch, 0
	.set _ZN2at6native6sbtopk10gatherTopKIsmLi1ELb0EEEvNS_4cuda6detail10TensorInfoIKT_T0_EES8_S8_bS8_S8_NS5_IS6_S8_EES8_NS5_IlS8_EES8_PS6_.has_dyn_sized_stack, 0
	.set _ZN2at6native6sbtopk10gatherTopKIsmLi1ELb0EEEvNS_4cuda6detail10TensorInfoIKT_T0_EES8_S8_bS8_S8_NS5_IS6_S8_EES8_NS5_IlS8_EES8_PS6_.has_recursion, 0
	.set _ZN2at6native6sbtopk10gatherTopKIsmLi1ELb0EEEvNS_4cuda6detail10TensorInfoIKT_T0_EES8_S8_bS8_S8_NS5_IS6_S8_EES8_NS5_IlS8_EES8_PS6_.has_indirect_call, 0
	.section	.AMDGPU.csdata,"",@progbits
; Kernel info:
; codeLenInByte = 24852
; TotalNumSgprs: 107
; NumVgprs: 55
; ScratchSize: 0
; MemoryBound: 0
; FloatMode: 240
; IeeeMode: 1
; LDSByteSize: 5152 bytes/workgroup (compile time only)
; SGPRBlocks: 0
; VGPRBlocks: 3
; NumSGPRsForWavesPerEU: 107
; NumVGPRsForWavesPerEU: 55
; NamedBarCnt: 0
; Occupancy: 16
; WaveLimiterHint : 1
; COMPUTE_PGM_RSRC2:SCRATCH_EN: 0
; COMPUTE_PGM_RSRC2:USER_SGPR: 2
; COMPUTE_PGM_RSRC2:TRAP_HANDLER: 0
; COMPUTE_PGM_RSRC2:TGID_X_EN: 1
; COMPUTE_PGM_RSRC2:TGID_Y_EN: 1
; COMPUTE_PGM_RSRC2:TGID_Z_EN: 1
; COMPUTE_PGM_RSRC2:TIDIG_COMP_CNT: 0
	.section	.text._ZN2at6native6mbtopk23computeBlockDigitCountsIsmjLi2EEEvNS_4cuda6detail10TensorInfoIKT_T0_EEjPjjS8_iijT1_PSB_Ps,"axG",@progbits,_ZN2at6native6mbtopk23computeBlockDigitCountsIsmjLi2EEEvNS_4cuda6detail10TensorInfoIKT_T0_EEjPjjS8_iijT1_PSB_Ps,comdat
	.protected	_ZN2at6native6mbtopk23computeBlockDigitCountsIsmjLi2EEEvNS_4cuda6detail10TensorInfoIKT_T0_EEjPjjS8_iijT1_PSB_Ps ; -- Begin function _ZN2at6native6mbtopk23computeBlockDigitCountsIsmjLi2EEEvNS_4cuda6detail10TensorInfoIKT_T0_EEjPjjS8_iijT1_PSB_Ps
	.globl	_ZN2at6native6mbtopk23computeBlockDigitCountsIsmjLi2EEEvNS_4cuda6detail10TensorInfoIKT_T0_EEjPjjS8_iijT1_PSB_Ps
	.p2align	8
	.type	_ZN2at6native6mbtopk23computeBlockDigitCountsIsmjLi2EEEvNS_4cuda6detail10TensorInfoIKT_T0_EEjPjjS8_iijT1_PSB_Ps,@function
_ZN2at6native6mbtopk23computeBlockDigitCountsIsmjLi2EEEvNS_4cuda6detail10TensorInfoIKT_T0_EEjPjjS8_iijT1_PSB_Ps: ; @_ZN2at6native6mbtopk23computeBlockDigitCountsIsmjLi2EEEvNS_4cuda6detail10TensorInfoIKT_T0_EEjPjjS8_iijT1_PSB_Ps
; %bb.0:
	s_load_b128 s[4:7], s[0:1], 0x1c0
	s_bfe_u32 s2, ttmp6, 0x40010
	s_and_b32 s8, ttmp7, 0xffff
	s_add_co_i32 s9, s2, 1
	s_bfe_u32 s10, ttmp6, 0x40004
	s_mul_i32 s9, s8, s9
	s_load_b64 s[2:3], s[0:1], 0x1e0
	s_add_co_i32 s10, s10, s9
	s_bfe_u32 s11, ttmp6, 0x4000c
	s_bfe_u32 s13, ttmp6, 0x40014
	s_add_co_i32 s11, s11, 1
	s_and_b32 s12, ttmp6, 15
	s_mul_i32 s11, ttmp9, s11
	s_add_co_i32 s13, s13, 1
	s_add_co_i32 s12, s12, s11
	s_getreg_b32 s14, hwreg(HW_REG_IB_STS2, 6, 4)
	s_wait_kmcnt 0x0
	s_cvt_f32_u32 s9, s6
	s_delay_alu instid0(SALU_CYCLE_3) | instskip(SKIP_1) | instid1(SALU_CYCLE_1)
	v_rcp_iflag_f32_e32 v1, s9
	s_lshr_b32 s9, ttmp7, 16
	s_mul_i32 s11, s9, s13
	s_bfe_u32 s13, ttmp6, 0x40008
	s_delay_alu instid0(SALU_CYCLE_1) | instskip(SKIP_1) | instid1(TRANS32_DEP_1)
	s_add_co_i32 s13, s13, s11
	v_nop
	v_readfirstlane_b32 s15, v1
	s_cmp_eq_u32 s14, 0
	s_cselect_b32 s9, s9, s13
	s_load_b32 s13, s[0:1], 0x1b0
	s_mul_f32 s11, s15, 0x4f7ffffe
	s_mul_i32 s3, s3, s9
	s_cselect_b32 s9, ttmp9, s12
	s_cselect_b32 s8, s8, s10
	s_cvt_u32_f32 s11, s11
	s_sub_co_i32 s10, 0, s6
	s_add_co_i32 s3, s3, s8
	s_delay_alu instid0(SALU_CYCLE_1) | instskip(SKIP_3) | instid1(SALU_CYCLE_1)
	s_mul_i32 s20, s3, s2
	s_mul_i32 s10, s10, s11
	s_add_co_i32 s20, s20, s9
	s_mul_hi_u32 s2, s11, s10
	s_add_co_i32 s11, s11, s2
	s_delay_alu instid0(SALU_CYCLE_1) | instskip(NEXT) | instid1(SALU_CYCLE_1)
	s_mul_hi_u32 s2, s20, s11
	s_mul_i32 s3, s2, s6
	s_add_co_i32 s8, s2, 1
	s_sub_co_i32 s3, s20, s3
	s_delay_alu instid0(SALU_CYCLE_1)
	s_sub_co_i32 s9, s3, s6
	s_cmp_ge_u32 s3, s6
	s_cselect_b32 s2, s8, s2
	s_cselect_b32 s3, s9, s3
	s_add_co_i32 s8, s2, 1
	s_cmp_ge_u32 s3, s6
	s_cselect_b32 s12, s8, s2
	s_wait_kmcnt 0x0
	s_cmp_ge_u32 s12, s13
	s_mov_b32 s13, 0
	s_cbranch_scc1 .LBB169_23
; %bb.1:
	s_load_b64 s[14:15], s[0:1], 0x10
	s_mov_b64 s[16:17], 0
	s_wait_kmcnt 0x0
	v_cmp_lt_u64_e64 s2, s[12:13], s[14:15]
	s_and_b32 vcc_lo, exec_lo, s2
	s_cbranch_vccnz .LBB169_3
; %bb.2:
	v_cvt_f32_u32_e32 v1, s14
	s_sub_co_i32 s3, 0, s14
	s_mov_b32 s17, 0
	s_delay_alu instid0(VALU_DEP_1) | instskip(SKIP_1) | instid1(TRANS32_DEP_1)
	v_rcp_iflag_f32_e32 v1, v1
	v_nop
	v_mul_f32_e32 v1, 0x4f7ffffe, v1
	s_delay_alu instid0(VALU_DEP_1) | instskip(NEXT) | instid1(VALU_DEP_1)
	v_cvt_u32_f32_e32 v1, v1
	v_readfirstlane_b32 s2, v1
	s_mul_i32 s3, s3, s2
	s_delay_alu instid0(SALU_CYCLE_1) | instskip(NEXT) | instid1(SALU_CYCLE_1)
	s_mul_hi_u32 s3, s2, s3
	s_add_co_i32 s2, s2, s3
	s_delay_alu instid0(SALU_CYCLE_1) | instskip(NEXT) | instid1(SALU_CYCLE_1)
	s_mul_hi_u32 s2, s12, s2
	s_mul_i32 s3, s2, s14
	s_add_co_i32 s8, s2, 1
	s_sub_co_i32 s3, s12, s3
	s_delay_alu instid0(SALU_CYCLE_1)
	s_sub_co_i32 s9, s3, s14
	s_cmp_ge_u32 s3, s14
	s_cselect_b32 s2, s8, s2
	s_cselect_b32 s3, s9, s3
	s_add_co_i32 s8, s2, 1
	s_cmp_ge_u32 s3, s14
	s_cselect_b32 s16, s8, s2
.LBB169_3:
	v_cmp_gt_u32_e32 vcc_lo, 0x100, v0
	v_lshlrev_b32_e32 v1, 2, v0
	s_and_saveexec_b32 s2, vcc_lo
; %bb.4:
	v_mov_b32_e32 v2, 0
	ds_store_b32 v1, v2
; %bb.5:
	s_or_b32 exec_lo, exec_lo, s2
	s_clause 0x1
	s_load_b32 s21, s[0:1], 0x1a0
	s_load_b128 s[8:11], s[0:1], 0x1d0
	s_mul_i32 s2, s12, s6
	s_mov_b32 s19, 0
	s_sub_co_i32 s23, s20, s2
	s_wait_dscnt 0x0
	s_mul_i32 s2, s5, s23
	s_add_co_i32 s23, s23, 1
	s_lshl_b32 s22, s2, 8
	s_barrier_signal -1
	s_barrier_wait -1
	s_wait_kmcnt 0x0
	s_sub_co_i32 s18, s21, s22
	s_delay_alu instid0(SALU_CYCLE_1) | instskip(NEXT) | instid1(SALU_CYCLE_1)
	s_add_nc_u64 s[2:3], s[18:19], 0xff
	s_lshr_b64 s[2:3], s[2:3], 8
	s_cmp_lt_u32 s23, s6
	s_cselect_b32 s18, s5, s2
	s_delay_alu instid0(SALU_CYCLE_1)
	s_cmp_lt_i32 s18, 1
	s_cbranch_scc1 .LBB169_21
; %bb.6:
	s_clause 0x1
	s_load_b128 s[24:27], s[0:1], 0xd0
	s_load_b64 s[28:29], s[0:1], 0x0
	s_load_b32 s6, s[8:9], s12 offset:0x0 scale_offset
	s_load_b64 s[2:3], s[0:1], 0x1b8
	s_wait_xcnt 0x0
	s_mul_u64 s[0:1], s[16:17], s[14:15]
	v_add_nc_u32_e32 v6, s22, v0
	s_sub_nc_u64 s[0:1], s[12:13], s[0:1]
	s_wait_kmcnt 0x0
	s_mul_u64 s[8:9], s[16:17], s[24:25]
	s_mul_u64 s[0:1], s[0:1], s[26:27]
	s_lshl_b64 s[8:9], s[8:9], 1
	s_lshl_b64 s[12:13], s[0:1], 1
	s_add_nc_u64 s[8:9], s[28:29], s[8:9]
	s_and_b32 s1, s4, 0xff
	s_cmp_eq_u32 s18, 1
	s_add_nc_u64 s[4:5], s[8:9], s[12:13]
	s_cbranch_scc1 .LBB169_16
; %bb.7:
	v_dual_mov_b32 v3, 0 :: v_dual_mov_b32 v7, 1
	v_mov_b32_e32 v2, v6
	s_and_b32 s8, s18, 0x7ffffffe
	s_mov_b32 s9, 0
	s_branch .LBB169_9
.LBB169_8:                              ;   in Loop: Header=BB169_9 Depth=1
	s_or_b32 exec_lo, exec_lo, s12
	v_add_nc_u32_e32 v2, 0x200, v2
	s_add_co_i32 s9, s9, 2
	s_delay_alu instid0(SALU_CYCLE_1)
	s_cmp_eq_u32 s8, s9
	s_cbranch_scc1 .LBB169_15
.LBB169_9:                              ; =>This Inner Loop Header: Depth=1
	s_mov_b32 s12, exec_lo
	v_cmpx_gt_u32_e64 s21, v2
	s_cbranch_execz .LBB169_12
; %bb.10:                               ;   in Loop: Header=BB169_9 Depth=1
	v_mul_u64_e32 v[4:5], s[2:3], v[2:3]
	s_delay_alu instid0(VALU_DEP_1) | instskip(SKIP_4) | instid1(VALU_DEP_1)
	v_lshl_add_u64 v[4:5], v[4:5], 1, s[4:5]
	global_load_i16 v4, v[4:5], off
	s_wait_loadcnt 0x0
	s_wait_xcnt 0x0
	v_add_nc_u32_e32 v4, 0x8000, v4
	v_bitop3_b32 v5, v4, s7, s6 bitop3:0x48
	s_delay_alu instid0(VALU_DEP_1)
	v_cmp_eq_u32_e64 s0, 0, v5
	s_and_b32 exec_lo, exec_lo, s0
; %bb.11:                               ;   in Loop: Header=BB169_9 Depth=1
	v_bfe_u32 v4, v4, s1, 8
	s_delay_alu instid0(VALU_DEP_1)
	v_lshlrev_b32_e32 v4, 2, v4
	ds_add_u32 v4, v7
.LBB169_12:                             ;   in Loop: Header=BB169_9 Depth=1
	s_or_b32 exec_lo, exec_lo, s12
	v_add_nc_u32_e32 v4, 0x100, v2
	s_mov_b32 s12, exec_lo
	s_delay_alu instid0(VALU_DEP_1)
	v_cmpx_gt_u32_e64 s21, v4
	s_cbranch_execz .LBB169_8
; %bb.13:                               ;   in Loop: Header=BB169_9 Depth=1
	v_mov_b32_e32 v5, v3
	s_delay_alu instid0(VALU_DEP_1) | instskip(NEXT) | instid1(VALU_DEP_1)
	v_mul_u64_e32 v[4:5], s[2:3], v[4:5]
	v_lshl_add_u64 v[4:5], v[4:5], 1, s[4:5]
	global_load_i16 v4, v[4:5], off
	s_wait_loadcnt 0x0
	v_add_nc_u32_e32 v4, 0x8000, v4
	s_delay_alu instid0(VALU_DEP_1) | instskip(NEXT) | instid1(VALU_DEP_1)
	v_bitop3_b32 v5, v4, s7, s6 bitop3:0x48
	v_cmp_eq_u32_e64 s0, 0, v5
	s_and_b32 exec_lo, exec_lo, s0
	s_cbranch_execz .LBB169_8
; %bb.14:                               ;   in Loop: Header=BB169_9 Depth=1
	v_bfe_u32 v4, v4, s1, 8
	s_delay_alu instid0(VALU_DEP_1)
	v_lshlrev_b32_e32 v4, 2, v4
	ds_add_u32 v4, v7
	s_branch .LBB169_8
.LBB169_15:
	s_lshl_b32 s19, s8, 8
.LBB169_16:
	s_bitcmp0_b32 s18, 0
	s_cbranch_scc1 .LBB169_21
; %bb.17:
	v_add_nc_u32_e32 v2, s19, v6
	s_mov_b32 s8, exec_lo
	s_delay_alu instid0(VALU_DEP_1)
	v_cmpx_gt_u32_e64 s21, v2
	s_cbranch_execz .LBB169_20
; %bb.18:
	v_mov_b32_e32 v3, 0
	s_delay_alu instid0(VALU_DEP_1) | instskip(NEXT) | instid1(VALU_DEP_1)
	v_mul_u64_e32 v[2:3], s[2:3], v[2:3]
	v_lshl_add_u64 v[2:3], v[2:3], 1, s[4:5]
	global_load_i16 v2, v[2:3], off
	s_wait_loadcnt 0x0
	v_add_nc_u32_e32 v2, 0x8000, v2
	s_delay_alu instid0(VALU_DEP_1) | instskip(NEXT) | instid1(VALU_DEP_1)
	v_bitop3_b32 v3, v2, s7, s6 bitop3:0x48
	v_cmp_eq_u32_e64 s0, 0, v3
	s_and_b32 exec_lo, exec_lo, s0
; %bb.19:
	v_bfe_u32 v2, v2, s1, 8
	s_delay_alu instid0(VALU_DEP_1)
	v_dual_mov_b32 v3, 1 :: v_dual_lshlrev_b32 v2, 2, v2
	ds_add_u32 v2, v3
.LBB169_20:
	s_or_b32 exec_lo, exec_lo, s8
.LBB169_21:
	s_wait_dscnt 0x0
	s_barrier_signal -1
	s_barrier_wait -1
	s_and_saveexec_b32 s0, vcc_lo
	s_cbranch_execz .LBB169_23
; %bb.22:
	ds_load_b32 v1, v1
	v_lshl_or_b32 v0, s20, 8, v0
	s_wait_dscnt 0x0
	global_store_b16 v0, v1, s[10:11] scale_offset
.LBB169_23:
	s_endpgm
	.section	.rodata,"a",@progbits
	.p2align	6, 0x0
	.amdhsa_kernel _ZN2at6native6mbtopk23computeBlockDigitCountsIsmjLi2EEEvNS_4cuda6detail10TensorInfoIKT_T0_EEjPjjS8_iijT1_PSB_Ps
		.amdhsa_group_segment_fixed_size 1024
		.amdhsa_private_segment_fixed_size 0
		.amdhsa_kernarg_size 736
		.amdhsa_user_sgpr_count 2
		.amdhsa_user_sgpr_dispatch_ptr 0
		.amdhsa_user_sgpr_queue_ptr 0
		.amdhsa_user_sgpr_kernarg_segment_ptr 1
		.amdhsa_user_sgpr_dispatch_id 0
		.amdhsa_user_sgpr_kernarg_preload_length 0
		.amdhsa_user_sgpr_kernarg_preload_offset 0
		.amdhsa_user_sgpr_private_segment_size 0
		.amdhsa_wavefront_size32 1
		.amdhsa_uses_dynamic_stack 0
		.amdhsa_enable_private_segment 0
		.amdhsa_system_sgpr_workgroup_id_x 1
		.amdhsa_system_sgpr_workgroup_id_y 1
		.amdhsa_system_sgpr_workgroup_id_z 1
		.amdhsa_system_sgpr_workgroup_info 0
		.amdhsa_system_vgpr_workitem_id 0
		.amdhsa_next_free_vgpr 8
		.amdhsa_next_free_sgpr 30
		.amdhsa_named_barrier_count 0
		.amdhsa_reserve_vcc 1
		.amdhsa_float_round_mode_32 0
		.amdhsa_float_round_mode_16_64 0
		.amdhsa_float_denorm_mode_32 3
		.amdhsa_float_denorm_mode_16_64 3
		.amdhsa_fp16_overflow 0
		.amdhsa_memory_ordered 1
		.amdhsa_forward_progress 1
		.amdhsa_inst_pref_size 9
		.amdhsa_round_robin_scheduling 0
		.amdhsa_exception_fp_ieee_invalid_op 0
		.amdhsa_exception_fp_denorm_src 0
		.amdhsa_exception_fp_ieee_div_zero 0
		.amdhsa_exception_fp_ieee_overflow 0
		.amdhsa_exception_fp_ieee_underflow 0
		.amdhsa_exception_fp_ieee_inexact 0
		.amdhsa_exception_int_div_zero 0
	.end_amdhsa_kernel
	.section	.text._ZN2at6native6mbtopk23computeBlockDigitCountsIsmjLi2EEEvNS_4cuda6detail10TensorInfoIKT_T0_EEjPjjS8_iijT1_PSB_Ps,"axG",@progbits,_ZN2at6native6mbtopk23computeBlockDigitCountsIsmjLi2EEEvNS_4cuda6detail10TensorInfoIKT_T0_EEjPjjS8_iijT1_PSB_Ps,comdat
.Lfunc_end169:
	.size	_ZN2at6native6mbtopk23computeBlockDigitCountsIsmjLi2EEEvNS_4cuda6detail10TensorInfoIKT_T0_EEjPjjS8_iijT1_PSB_Ps, .Lfunc_end169-_ZN2at6native6mbtopk23computeBlockDigitCountsIsmjLi2EEEvNS_4cuda6detail10TensorInfoIKT_T0_EEjPjjS8_iijT1_PSB_Ps
                                        ; -- End function
	.set _ZN2at6native6mbtopk23computeBlockDigitCountsIsmjLi2EEEvNS_4cuda6detail10TensorInfoIKT_T0_EEjPjjS8_iijT1_PSB_Ps.num_vgpr, 8
	.set _ZN2at6native6mbtopk23computeBlockDigitCountsIsmjLi2EEEvNS_4cuda6detail10TensorInfoIKT_T0_EEjPjjS8_iijT1_PSB_Ps.num_agpr, 0
	.set _ZN2at6native6mbtopk23computeBlockDigitCountsIsmjLi2EEEvNS_4cuda6detail10TensorInfoIKT_T0_EEjPjjS8_iijT1_PSB_Ps.numbered_sgpr, 30
	.set _ZN2at6native6mbtopk23computeBlockDigitCountsIsmjLi2EEEvNS_4cuda6detail10TensorInfoIKT_T0_EEjPjjS8_iijT1_PSB_Ps.num_named_barrier, 0
	.set _ZN2at6native6mbtopk23computeBlockDigitCountsIsmjLi2EEEvNS_4cuda6detail10TensorInfoIKT_T0_EEjPjjS8_iijT1_PSB_Ps.private_seg_size, 0
	.set _ZN2at6native6mbtopk23computeBlockDigitCountsIsmjLi2EEEvNS_4cuda6detail10TensorInfoIKT_T0_EEjPjjS8_iijT1_PSB_Ps.uses_vcc, 1
	.set _ZN2at6native6mbtopk23computeBlockDigitCountsIsmjLi2EEEvNS_4cuda6detail10TensorInfoIKT_T0_EEjPjjS8_iijT1_PSB_Ps.uses_flat_scratch, 0
	.set _ZN2at6native6mbtopk23computeBlockDigitCountsIsmjLi2EEEvNS_4cuda6detail10TensorInfoIKT_T0_EEjPjjS8_iijT1_PSB_Ps.has_dyn_sized_stack, 0
	.set _ZN2at6native6mbtopk23computeBlockDigitCountsIsmjLi2EEEvNS_4cuda6detail10TensorInfoIKT_T0_EEjPjjS8_iijT1_PSB_Ps.has_recursion, 0
	.set _ZN2at6native6mbtopk23computeBlockDigitCountsIsmjLi2EEEvNS_4cuda6detail10TensorInfoIKT_T0_EEjPjjS8_iijT1_PSB_Ps.has_indirect_call, 0
	.section	.AMDGPU.csdata,"",@progbits
; Kernel info:
; codeLenInByte = 1144
; TotalNumSgprs: 32
; NumVgprs: 8
; ScratchSize: 0
; MemoryBound: 0
; FloatMode: 240
; IeeeMode: 1
; LDSByteSize: 1024 bytes/workgroup (compile time only)
; SGPRBlocks: 0
; VGPRBlocks: 0
; NumSGPRsForWavesPerEU: 32
; NumVGPRsForWavesPerEU: 8
; NamedBarCnt: 0
; Occupancy: 16
; WaveLimiterHint : 1
; COMPUTE_PGM_RSRC2:SCRATCH_EN: 0
; COMPUTE_PGM_RSRC2:USER_SGPR: 2
; COMPUTE_PGM_RSRC2:TRAP_HANDLER: 0
; COMPUTE_PGM_RSRC2:TGID_X_EN: 1
; COMPUTE_PGM_RSRC2:TGID_Y_EN: 1
; COMPUTE_PGM_RSRC2:TGID_Z_EN: 1
; COMPUTE_PGM_RSRC2:TIDIG_COMP_CNT: 0
	.section	.text._ZN2at6native6mbtopk10gatherTopKIsmLi2EEEvNS_4cuda6detail10TensorInfoIKT_T0_EES8_S8_bjS8_NS5_IS6_S8_EES8_NS5_IlS8_EES8_jjPS6_PjSD_j,"axG",@progbits,_ZN2at6native6mbtopk10gatherTopKIsmLi2EEEvNS_4cuda6detail10TensorInfoIKT_T0_EES8_S8_bjS8_NS5_IS6_S8_EES8_NS5_IlS8_EES8_jjPS6_PjSD_j,comdat
	.protected	_ZN2at6native6mbtopk10gatherTopKIsmLi2EEEvNS_4cuda6detail10TensorInfoIKT_T0_EES8_S8_bjS8_NS5_IS6_S8_EES8_NS5_IlS8_EES8_jjPS6_PjSD_j ; -- Begin function _ZN2at6native6mbtopk10gatherTopKIsmLi2EEEvNS_4cuda6detail10TensorInfoIKT_T0_EES8_S8_bjS8_NS5_IS6_S8_EES8_NS5_IlS8_EES8_jjPS6_PjSD_j
	.globl	_ZN2at6native6mbtopk10gatherTopKIsmLi2EEEvNS_4cuda6detail10TensorInfoIKT_T0_EES8_S8_bjS8_NS5_IS6_S8_EES8_NS5_IlS8_EES8_jjPS6_PjSD_j
	.p2align	8
	.type	_ZN2at6native6mbtopk10gatherTopKIsmLi2EEEvNS_4cuda6detail10TensorInfoIKT_T0_EES8_S8_bjS8_NS5_IS6_S8_EES8_NS5_IlS8_EES8_jjPS6_PjSD_j,@function
_ZN2at6native6mbtopk10gatherTopKIsmLi2EEEvNS_4cuda6detail10TensorInfoIKT_T0_EES8_S8_bjS8_NS5_IS6_S8_EES8_NS5_IlS8_EES8_jjPS6_PjSD_j: ; @_ZN2at6native6mbtopk10gatherTopKIsmLi2EEEvNS_4cuda6detail10TensorInfoIKT_T0_EES8_S8_bjS8_NS5_IS6_S8_EES8_NS5_IlS8_EES8_jjPS6_PjSD_j
; %bb.0:
	s_bfe_u32 s2, ttmp6, 0x40010
	s_and_b32 s4, ttmp7, 0xffff
	s_add_co_i32 s5, s2, 1
	s_clause 0x1
	s_load_b32 s6, s[0:1], 0x530
	s_load_b64 s[2:3], s[0:1], 0x538
	s_bfe_u32 s8, ttmp6, 0x4000c
	s_mul_i32 s5, s4, s5
	s_bfe_u32 s7, ttmp6, 0x40004
	s_add_co_i32 s8, s8, 1
	s_bfe_u32 s9, ttmp6, 0x40014
	s_add_co_i32 s7, s7, s5
	s_and_b32 s5, ttmp6, 15
	s_mul_i32 s8, ttmp9, s8
	s_lshr_b32 s10, ttmp7, 16
	s_add_co_i32 s9, s9, 1
	s_add_co_i32 s5, s5, s8
	s_mul_i32 s8, s10, s9
	s_bfe_u32 s9, ttmp6, 0x40008
	s_getreg_b32 s11, hwreg(HW_REG_IB_STS2, 6, 4)
	s_add_co_i32 s9, s9, s8
	s_cmp_eq_u32 s11, 0
	s_cselect_b32 s8, s10, s9
	s_cselect_b32 s4, s4, s7
	s_wait_kmcnt 0x0
	s_mul_i32 s3, s3, s8
	s_cselect_b32 s5, ttmp9, s5
	s_add_co_i32 s3, s3, s4
	s_delay_alu instid0(SALU_CYCLE_1) | instskip(NEXT) | instid1(SALU_CYCLE_1)
	s_mul_i32 s2, s3, s2
	s_add_co_i32 s2, s2, s5
	s_delay_alu instid0(SALU_CYCLE_1)
	s_cmp_ge_u32 s2, s6
	s_cbranch_scc1 .LBB170_48
; %bb.1:
	s_load_b64 s[28:29], s[0:1], 0x510
	s_wait_kmcnt 0x0
	s_cvt_f32_u32 s3, s29
	s_sub_co_i32 s4, 0, s29
	s_lshl_b32 s33, s28, 8
	s_delay_alu instid0(SALU_CYCLE_1) | instskip(SKIP_1) | instid1(TRANS32_DEP_1)
	v_rcp_iflag_f32_e32 v1, s3
	v_nop
	v_readfirstlane_b32 s3, v1
	s_mul_f32 s3, s3, 0x4f7ffffe
	s_delay_alu instid0(SALU_CYCLE_3) | instskip(NEXT) | instid1(SALU_CYCLE_3)
	s_cvt_u32_f32 s3, s3
	s_mul_i32 s4, s4, s3
	s_delay_alu instid0(SALU_CYCLE_1) | instskip(NEXT) | instid1(SALU_CYCLE_1)
	s_mul_hi_u32 s4, s3, s4
	s_add_co_i32 s3, s3, s4
	s_clause 0x1
	s_load_b128 s[4:7], s[0:1], 0x1a0
	s_load_b64 s[34:35], s[0:1], 0x10
	s_mul_hi_u32 s3, s2, s3
	s_delay_alu instid0(SALU_CYCLE_1) | instskip(SKIP_2) | instid1(SALU_CYCLE_1)
	s_mul_i32 s8, s3, s29
	s_add_co_i32 s9, s3, 1
	s_sub_co_i32 s8, s2, s8
	s_sub_co_i32 s10, s8, s29
	s_cmp_ge_u32 s8, s29
	s_cselect_b32 s3, s9, s3
	s_cselect_b32 s8, s10, s8
	s_add_co_i32 s9, s3, 1
	s_cmp_ge_u32 s8, s29
	s_cselect_b32 s30, s9, s3
	s_delay_alu instid0(SALU_CYCLE_1) | instskip(NEXT) | instid1(SALU_CYCLE_1)
	s_mul_i32 s16, s30, s29
	s_sub_co_i32 s48, s2, s16
	s_delay_alu instid0(SALU_CYCLE_1) | instskip(NEXT) | instid1(SALU_CYCLE_1)
	s_add_co_i32 s2, s48, 1
	s_cmp_lt_u32 s2, s29
	s_cbranch_scc1 .LBB170_3
; %bb.2:
	s_mul_i32 s2, s48, s33
	s_mov_b32 s3, 0
	s_wait_kmcnt 0x0
	s_sub_nc_u64 s[8:9], s[4:5], s[2:3]
	s_delay_alu instid0(SALU_CYCLE_1) | instskip(NEXT) | instid1(SALU_CYCLE_1)
	s_add_nc_u64 s[8:9], s[8:9], 0xff
	s_ashr_i32 s2, s9, 31
	s_delay_alu instid0(SALU_CYCLE_1) | instskip(NEXT) | instid1(SALU_CYCLE_1)
	s_lshr_b32 s2, s2, 24
	s_add_nc_u64 s[2:3], s[8:9], s[2:3]
	s_delay_alu instid0(SALU_CYCLE_1) | instskip(NEXT) | instid1(SALU_CYCLE_1)
	s_lshr_b64 s[2:3], s[2:3], 8
	s_mov_b32 s28, s2
.LBB170_3:
	s_load_b64 s[38:39], s[0:1], 0x1d0
	s_mov_b32 s31, 0
	s_mov_b64 s[40:41], 0
	s_wait_kmcnt 0x0
	v_cmp_lt_u64_e64 s2, s[30:31], s[34:35]
	s_mov_b64 s[36:37], 0
	s_and_b32 vcc_lo, exec_lo, s2
	s_cbranch_vccz .LBB170_20
; %bb.4:
	s_load_b64 s[42:43], s[0:1], 0x378
	v_cmp_lt_u64_e64 s2, s[30:31], s[38:39]
	s_and_b32 vcc_lo, exec_lo, s2
	s_cbranch_vccz .LBB170_21
.LBB170_5:
	s_wait_kmcnt 0x0
	v_cmp_lt_u64_e64 s2, s[30:31], s[42:43]
	s_mov_b64 s[44:45], 0
	s_and_b32 vcc_lo, exec_lo, s2
	s_cbranch_vccnz .LBB170_7
.LBB170_6:
	v_cvt_f32_u32_e32 v1, s42
	s_sub_co_i32 s3, 0, s42
	s_mov_b32 s45, 0
	s_delay_alu instid0(VALU_DEP_1) | instskip(SKIP_1) | instid1(TRANS32_DEP_1)
	v_rcp_iflag_f32_e32 v1, v1
	v_nop
	v_mul_f32_e32 v1, 0x4f7ffffe, v1
	s_delay_alu instid0(VALU_DEP_1) | instskip(NEXT) | instid1(VALU_DEP_1)
	v_cvt_u32_f32_e32 v1, v1
	v_readfirstlane_b32 s2, v1
	s_mul_i32 s3, s3, s2
	s_delay_alu instid0(SALU_CYCLE_1) | instskip(NEXT) | instid1(SALU_CYCLE_1)
	s_mul_hi_u32 s3, s2, s3
	s_add_co_i32 s2, s2, s3
	s_delay_alu instid0(SALU_CYCLE_1) | instskip(NEXT) | instid1(SALU_CYCLE_1)
	s_mul_hi_u32 s2, s30, s2
	s_mul_i32 s3, s2, s42
	s_add_co_i32 s8, s2, 1
	s_sub_co_i32 s3, s30, s3
	s_delay_alu instid0(SALU_CYCLE_1)
	s_sub_co_i32 s9, s3, s42
	s_cmp_ge_u32 s3, s42
	s_cselect_b32 s2, s8, s2
	s_cselect_b32 s3, s9, s3
	s_add_co_i32 s8, s2, 1
	s_cmp_ge_u32 s3, s42
	s_cselect_b32 s44, s8, s2
.LBB170_7:
	s_load_b128 s[8:11], s[0:1], 0x518
	v_mov_b32_e32 v1, 0
	s_lshl_b64 s[2:3], s[30:31], 1
	s_mov_b32 s17, 0
	s_wait_kmcnt 0x0
	s_add_nc_u64 s[2:3], s[8:9], s[2:3]
	global_load_u16 v5, v1, s[2:3]
	s_wait_xcnt 0x0
	v_cmp_ne_u32_e64 s2, 0, v0
	v_cmp_eq_u32_e64 s3, 0, v0
	s_and_saveexec_b32 s24, s3
	s_cbranch_execz .LBB170_25
; %bb.8:
	s_load_b64 s[18:19], s[0:1], 0x528
	s_lshl_b64 s[20:21], s[16:17], 2
	s_cmp_lt_u32 s29, 4
	s_cbranch_scc1 .LBB170_22
; %bb.9:
	s_mov_b64 s[8:9], 0
	s_mov_b32 s16, 0
.LBB170_10:                             ; =>This Inner Loop Header: Depth=1
	s_add_nc_u64 s[22:23], s[10:11], s[20:21]
	s_cmp_ge_u32 s16, s48
	s_load_b128 s[12:15], s[22:23], 0x0
	s_wait_kmcnt 0x0
	s_add_nc_u64 s[22:23], s[18:19], s[20:21]
	s_cbranch_scc0 .LBB170_17
; %bb.11:                               ;   in Loop: Header=BB170_10 Depth=1
	s_add_co_i32 s25, s16, 1
	s_delay_alu instid0(SALU_CYCLE_1)
	s_cmp_ge_u32 s25, s48
	s_cbranch_scc0 .LBB170_18
.LBB170_12:                             ;   in Loop: Header=BB170_10 Depth=1
	s_add_co_i32 s25, s25, 1
	s_delay_alu instid0(SALU_CYCLE_1)
	s_cmp_ge_u32 s25, s48
	s_cbranch_scc0 .LBB170_19
.LBB170_13:                             ;   in Loop: Header=BB170_10 Depth=1
	s_add_co_i32 s25, s25, 1
	s_delay_alu instid0(SALU_CYCLE_1)
	s_cmp_ge_u32 s25, s48
	s_cbranch_scc1 .LBB170_15
.LBB170_14:                             ;   in Loop: Header=BB170_10 Depth=1
	s_load_b32 s22, s[22:23], 0xc
	s_add_co_i32 s9, s15, s9
	s_wait_kmcnt 0x0
	s_add_co_i32 s8, s22, s8
.LBB170_15:                             ;   in Loop: Header=BB170_10 Depth=1
	s_add_co_i32 s12, s12, s17
	s_add_nc_u64 s[10:11], s[10:11], 16
	s_add_co_i32 s12, s12, s13
	s_add_co_i32 s13, s25, 4
	;; [unrolled: 1-line block ×3, first 2 shown]
	s_add_nc_u64 s[18:19], s[18:19], 16
	s_add_co_i32 s17, s12, s15
	s_add_co_i32 s12, s25, 1
	s_cmp_ge_u32 s13, s29
	s_cbranch_scc1 .LBB170_23
; %bb.16:                               ;   in Loop: Header=BB170_10 Depth=1
	s_mov_b32 s16, s12
	s_branch .LBB170_10
.LBB170_17:                             ;   in Loop: Header=BB170_10 Depth=1
	s_load_b32 s25, s[22:23], 0x0
	s_add_co_i32 s9, s12, s9
	s_wait_kmcnt 0x0
	s_add_co_i32 s8, s25, s8
	s_add_co_i32 s25, s16, 1
	s_delay_alu instid0(SALU_CYCLE_1)
	s_cmp_ge_u32 s25, s48
	s_cbranch_scc1 .LBB170_12
.LBB170_18:                             ;   in Loop: Header=BB170_10 Depth=1
	s_load_b32 s26, s[22:23], 0x4
	s_add_co_i32 s9, s13, s9
	s_wait_kmcnt 0x0
	s_add_co_i32 s8, s26, s8
	s_add_co_i32 s25, s25, 1
	s_delay_alu instid0(SALU_CYCLE_1)
	s_cmp_ge_u32 s25, s48
	s_cbranch_scc1 .LBB170_13
.LBB170_19:                             ;   in Loop: Header=BB170_10 Depth=1
	s_load_b32 s26, s[22:23], 0x8
	s_add_co_i32 s9, s14, s9
	s_wait_kmcnt 0x0
	s_add_co_i32 s8, s26, s8
	s_add_co_i32 s25, s25, 1
	s_delay_alu instid0(SALU_CYCLE_1)
	s_cmp_ge_u32 s25, s48
	s_cbranch_scc0 .LBB170_14
	s_branch .LBB170_15
.LBB170_20:
	v_cvt_f32_u32_e32 v1, s34
	s_sub_co_i32 s3, 0, s34
	s_mov_b32 s37, s31
	s_delay_alu instid0(VALU_DEP_1) | instskip(SKIP_1) | instid1(TRANS32_DEP_1)
	v_rcp_iflag_f32_e32 v1, v1
	v_nop
	v_mul_f32_e32 v1, 0x4f7ffffe, v1
	s_delay_alu instid0(VALU_DEP_1) | instskip(NEXT) | instid1(VALU_DEP_1)
	v_cvt_u32_f32_e32 v1, v1
	v_readfirstlane_b32 s2, v1
	s_mul_i32 s3, s3, s2
	s_delay_alu instid0(SALU_CYCLE_1) | instskip(NEXT) | instid1(SALU_CYCLE_1)
	s_mul_hi_u32 s3, s2, s3
	s_add_co_i32 s2, s2, s3
	s_delay_alu instid0(SALU_CYCLE_1) | instskip(NEXT) | instid1(SALU_CYCLE_1)
	s_mul_hi_u32 s2, s30, s2
	s_mul_i32 s3, s2, s34
	s_add_co_i32 s8, s2, 1
	s_sub_co_i32 s3, s30, s3
	s_delay_alu instid0(SALU_CYCLE_1)
	s_sub_co_i32 s9, s3, s34
	s_cmp_ge_u32 s3, s34
	s_cselect_b32 s2, s8, s2
	s_cselect_b32 s3, s9, s3
	s_add_co_i32 s8, s2, 1
	s_cmp_ge_u32 s3, s34
	s_cselect_b32 s36, s8, s2
	s_load_b64 s[42:43], s[0:1], 0x378
	v_cmp_lt_u64_e64 s2, s[30:31], s[38:39]
	s_and_b32 vcc_lo, exec_lo, s2
	s_cbranch_vccnz .LBB170_5
.LBB170_21:
	v_cvt_f32_u32_e32 v1, s38
	s_sub_co_i32 s3, 0, s38
	s_mov_b32 s41, 0
	s_delay_alu instid0(VALU_DEP_1) | instskip(SKIP_1) | instid1(TRANS32_DEP_1)
	v_rcp_iflag_f32_e32 v1, v1
	v_nop
	v_mul_f32_e32 v1, 0x4f7ffffe, v1
	s_delay_alu instid0(VALU_DEP_1) | instskip(NEXT) | instid1(VALU_DEP_1)
	v_cvt_u32_f32_e32 v1, v1
	v_readfirstlane_b32 s2, v1
	s_mul_i32 s3, s3, s2
	s_delay_alu instid0(SALU_CYCLE_1) | instskip(NEXT) | instid1(SALU_CYCLE_1)
	s_mul_hi_u32 s3, s2, s3
	s_add_co_i32 s2, s2, s3
	s_delay_alu instid0(SALU_CYCLE_1) | instskip(NEXT) | instid1(SALU_CYCLE_1)
	s_mul_hi_u32 s2, s30, s2
	s_mul_i32 s3, s2, s38
	s_add_co_i32 s8, s2, 1
	s_sub_co_i32 s3, s30, s3
	s_delay_alu instid0(SALU_CYCLE_1)
	s_sub_co_i32 s9, s3, s38
	s_cmp_ge_u32 s3, s38
	s_cselect_b32 s2, s8, s2
	s_cselect_b32 s3, s9, s3
	s_add_co_i32 s8, s2, 1
	s_cmp_ge_u32 s3, s38
	s_cselect_b32 s40, s8, s2
	s_wait_kmcnt 0x0
	v_cmp_lt_u64_e64 s2, s[30:31], s[42:43]
	s_mov_b64 s[44:45], 0
	s_and_b32 vcc_lo, exec_lo, s2
	s_cbranch_vccz .LBB170_6
	s_branch .LBB170_7
.LBB170_22:
	s_mov_b64 s[8:9], 0
	s_add_nc_u64 s[10:11], s[10:11], s[20:21]
	s_wait_kmcnt 0x0
	s_add_nc_u64 s[12:13], s[18:19], s[20:21]
	s_mov_b32 s14, 0
	s_delay_alu instid0(SALU_CYCLE_1)
	s_cmp_ge_u32 s14, s29
	s_cbranch_scc0 .LBB170_46
	s_branch .LBB170_24
.LBB170_23:
	s_add_co_i32 s14, s16, 4
	s_add_nc_u64 s[12:13], s[18:19], s[20:21]
	s_add_nc_u64 s[10:11], s[10:11], s[20:21]
	s_cmp_ge_u32 s14, s29
	s_cbranch_scc0 .LBB170_46
.LBB170_24:
	v_dual_mov_b32 v2, s8 :: v_dual_mov_b32 v3, s17
	v_dual_mov_b32 v4, s9 :: v_dual_mov_b32 v1, 0
	ds_store_b96 v1, v[2:4] offset:1056
.LBB170_25:
	s_or_b32 exec_lo, exec_lo, s24
	s_clause 0x5
	s_load_b64 s[46:47], s[0:1], 0x0
	s_load_b128 s[16:19], s[0:1], 0xd0
	s_load_b128 s[8:11], s[0:1], 0x1b8
	;; [unrolled: 1-line block ×5, first 2 shown]
	s_cmp_eq_u32 s28, 0
	s_wait_loadcnt_dscnt 0x0
	s_barrier_signal -1
	s_barrier_wait -1
	s_cbranch_scc1 .LBB170_48
; %bb.26:
	v_dual_mov_b32 v7, 0 :: v_dual_lshrrev_b32 v1, 3, v0
	s_mul_u64 s[34:35], s[36:37], s[34:35]
	s_mul_u64 s[38:39], s[40:41], s[38:39]
	s_sub_nc_u64 s[34:35], s[30:31], s[34:35]
	ds_load_b96 v[2:4], v7 offset:1056
	s_wait_kmcnt 0x0
	s_mul_u64 s[24:25], s[40:41], s[24:25]
	s_mul_u64 s[16:17], s[36:37], s[16:17]
	s_sub_nc_u64 s[38:39], s[30:31], s[38:39]
	s_mul_u64 s[18:19], s[34:35], s[18:19]
	s_lshl_b64 s[16:17], s[16:17], 1
	s_lshl_b64 s[24:25], s[24:25], 1
	s_mul_u64 s[26:27], s[38:39], s[26:27]
	s_mul_u64 s[20:21], s[44:45], s[20:21]
	s_add_nc_u64 s[16:17], s[46:47], s[16:17]
	s_lshl_b64 s[18:19], s[18:19], 1
	s_add_nc_u64 s[10:11], s[10:11], s[24:25]
	s_load_b32 s24, s[0:1], 0x1b0
	s_add_nc_u64 s[16:17], s[16:17], s[18:19]
	s_lshl_b64 s[18:19], s[26:27], 1
	s_lshl_b64 s[20:21], s[20:21], 3
	s_add_nc_u64 s[10:11], s[10:11], s[18:19]
	s_add_nc_u64 s[18:19], s[14:15], s[20:21]
	v_dual_add_nc_u32 v11, -1, v0 :: v_dual_bitop2_b32 v1, 28, v1 bitop3:0x40
	s_load_b64 s[14:15], s[0:1], 0x508
	v_bfe_i32 v6, v5, 0, 16
	s_mul_u64 s[34:35], s[44:45], s[42:43]
	s_delay_alu instid0(VALU_DEP_2) | instskip(SKIP_1) | instid1(VALU_DEP_3)
	v_dual_lshrrev_b32 v10, 3, v11 :: v_dual_lshlrev_b32 v12, 5, v0
	v_lshl_add_u32 v9, v0, 2, v1
	v_add_nc_u32_e32 v8, 0x8000, v6
	v_mad_u32 v6, s48, s33, v0
	v_and_b32_e32 v1, 0xfc, v0
	s_wait_dscnt 0x0
	v_add_nc_u32_e32 v2, v2, v3
	v_and_b32_e32 v3, 0x1ffffffc, v10
	v_mbcnt_lo_u32_b32 v10, -1, 0
	s_sub_nc_u64 s[30:31], s[30:31], s[34:35]
	s_wait_xcnt 0x0
	v_cmp_gt_u32_e64 s0, 32, v0
	s_mul_u64 s[22:23], s[30:31], s[22:23]
	v_lshl_add_u32 v11, v11, 2, v3
	s_lshl_b64 s[20:21], s[22:23], 3
	v_dual_add_nc_u32 v12, v1, v12 :: v_dual_bitop2_b32 v13, 15, v10 bitop3:0x40
	v_add_nc_u32_e32 v15, -1, v10
	v_bfe_i32 v14, v10, 4, 1
	s_wait_kmcnt 0x0
	s_bitcmp1_b32 s24, 0
	s_add_nc_u64 s[18:19], s[18:19], s[20:21]
	s_cselect_b32 s1, -1, 0
                                        ; implicit-def: $vgpr16
	s_branch .LBB170_29
.LBB170_27:                             ;   in Loop: Header=BB170_29 Depth=1
	s_wait_xcnt 0x0
	s_or_b32 exec_lo, exec_lo, s20
	v_add_nc_u32_e32 v2, v3, v2
.LBB170_28:                             ;   in Loop: Header=BB170_29 Depth=1
	v_add_nc_u32_e32 v4, v17, v4
	v_add_nc_u32_e32 v6, 0x100, v6
	s_add_co_i32 s28, s28, -1
	s_delay_alu instid0(SALU_CYCLE_1)
	s_cmp_lg_u32 s28, 0
	s_cbranch_scc0 .LBB170_48
.LBB170_29:                             ; =>This Inner Loop Header: Depth=1
	v_dual_mov_b32 v1, v7 :: v_dual_mov_b32 v0, v7
	s_mov_b32 s20, exec_lo
	v_cmpx_gt_u64_e64 s[4:5], v[6:7]
	s_cbranch_execz .LBB170_31
; %bb.30:                               ;   in Loop: Header=BB170_29 Depth=1
	v_mul_u64_e32 v[0:1], s[8:9], v[6:7]
	s_delay_alu instid0(VALU_DEP_1) | instskip(SKIP_4) | instid1(VALU_DEP_1)
	v_lshl_add_u64 v[0:1], v[0:1], 1, s[16:17]
	global_load_u16 v16, v[0:1], off
	s_wait_loadcnt 0x0
	s_wait_xcnt 0x0
	v_bfe_i32 v0, v16, 0, 16
	v_add_nc_u32_e32 v0, 0x8000, v0
	s_delay_alu instid0(VALU_DEP_1) | instskip(SKIP_4) | instid1(VALU_DEP_2)
	v_cmp_gt_u32_e32 vcc_lo, v0, v8
	v_cndmask_b32_e64 v1, 0, 1, vcc_lo
	v_cmp_lt_u32_e32 vcc_lo, v0, v8
	v_cndmask_b32_e64 v0, 0, 1, vcc_lo
	v_cmp_eq_u16_e32 vcc_lo, v16, v5
	v_cndmask_b32_e64 v0, v0, v1, s1
	s_delay_alu instid0(VALU_DEP_1)
	v_and_b32_e32 v1, 1, v0
	v_cndmask_b32_e64 v0, 0, 1, vcc_lo
.LBB170_31:                             ;   in Loop: Header=BB170_29 Depth=1
	s_or_b32 exec_lo, exec_lo, s20
	ds_store_b32 v9, v1
	s_wait_dscnt 0x0
	s_barrier_signal -1
	s_barrier_wait -1
	s_and_saveexec_b32 s20, s0
	s_cbranch_execz .LBB170_33
; %bb.32:                               ;   in Loop: Header=BB170_29 Depth=1
	ds_load_2addr_b32 v[18:19], v12 offset1:1
	ds_load_2addr_b32 v[20:21], v12 offset0:2 offset1:3
	ds_load_2addr_b32 v[22:23], v12 offset0:4 offset1:5
	;; [unrolled: 1-line block ×3, first 2 shown]
	v_cmp_ne_u32_e32 vcc_lo, 0, v13
	; wave barrier
	s_wait_dscnt 0x3
	v_add_nc_u32_e32 v3, v19, v18
	s_wait_dscnt 0x2
	s_delay_alu instid0(VALU_DEP_1) | instskip(SKIP_1) | instid1(VALU_DEP_1)
	v_add3_u32 v3, v3, v20, v21
	s_wait_dscnt 0x1
	v_add3_u32 v3, v3, v22, v23
	s_wait_dscnt 0x0
	s_delay_alu instid0(VALU_DEP_1) | instskip(NEXT) | instid1(VALU_DEP_1)
	v_add3_u32 v3, v3, v24, v25
	v_mov_b32_dpp v17, v3 row_shr:1 row_mask:0xf bank_mask:0xf
	s_delay_alu instid0(VALU_DEP_1) | instskip(SKIP_1) | instid1(VALU_DEP_2)
	v_cndmask_b32_e32 v17, 0, v17, vcc_lo
	v_cmp_lt_u32_e32 vcc_lo, 1, v13
	v_add_nc_u32_e32 v3, v17, v3
	s_delay_alu instid0(VALU_DEP_1) | instskip(NEXT) | instid1(VALU_DEP_1)
	v_mov_b32_dpp v17, v3 row_shr:2 row_mask:0xf bank_mask:0xf
	v_cndmask_b32_e32 v17, 0, v17, vcc_lo
	v_cmp_lt_u32_e32 vcc_lo, 3, v13
	s_delay_alu instid0(VALU_DEP_2) | instskip(NEXT) | instid1(VALU_DEP_1)
	v_add_nc_u32_e32 v3, v3, v17
	v_mov_b32_dpp v17, v3 row_shr:4 row_mask:0xf bank_mask:0xf
	s_delay_alu instid0(VALU_DEP_1) | instskip(SKIP_1) | instid1(VALU_DEP_2)
	v_cndmask_b32_e32 v17, 0, v17, vcc_lo
	v_cmp_lt_u32_e32 vcc_lo, 7, v13
	v_add_nc_u32_e32 v3, v3, v17
	s_delay_alu instid0(VALU_DEP_1) | instskip(NEXT) | instid1(VALU_DEP_1)
	v_mov_b32_dpp v17, v3 row_shr:8 row_mask:0xf bank_mask:0xf
	v_cndmask_b32_e32 v17, 0, v17, vcc_lo
	v_cmp_gt_i32_e32 vcc_lo, 0, v15
	s_delay_alu instid0(VALU_DEP_2) | instskip(SKIP_4) | instid1(VALU_DEP_1)
	v_add_nc_u32_e32 v3, v3, v17
	v_cndmask_b32_e32 v19, v15, v10, vcc_lo
	ds_swizzle_b32 v17, v3 offset:swizzle(BROADCAST,32,15)
	s_wait_dscnt 0x0
	v_dual_lshlrev_b32 v19, 2, v19 :: v_dual_bitop2_b32 v17, v14, v17 bitop3:0x40
	v_add_nc_u32_e32 v3, v3, v17
	ds_bpermute_b32 v3, v19, v3
	s_wait_dscnt 0x0
	v_add_nc_u32_e32 v3, v3, v18
	s_delay_alu instid0(VALU_DEP_1)
	v_cndmask_b32_e64 v3, v3, v1, s3
	ds_store_b32 v12, v3
	; wave barrier
	ds_load_2addr_b32 v[18:19], v12 offset0:1 offset1:2
	ds_load_2addr_b32 v[20:21], v12 offset0:3 offset1:4
	;; [unrolled: 1-line block ×3, first 2 shown]
	ds_load_b32 v17, v12 offset:28
	s_wait_dscnt 0x3
	v_add_nc_u32_e32 v3, v18, v3
	s_delay_alu instid0(VALU_DEP_1) | instskip(SKIP_1) | instid1(VALU_DEP_1)
	v_add_nc_u32_e32 v18, v19, v3
	s_wait_dscnt 0x2
	v_add_nc_u32_e32 v19, v20, v18
	s_delay_alu instid0(VALU_DEP_1) | instskip(SKIP_1) | instid1(VALU_DEP_1)
	v_add_nc_u32_e32 v20, v21, v19
	;; [unrolled: 4-line block ×3, first 2 shown]
	s_wait_dscnt 0x0
	v_add_nc_u32_e32 v17, v17, v22
	ds_store_2addr_b32 v12, v3, v18 offset0:1 offset1:2
	ds_store_2addr_b32 v12, v19, v20 offset0:3 offset1:4
	;; [unrolled: 1-line block ×3, first 2 shown]
	ds_store_b32 v12, v17 offset:28
.LBB170_33:                             ;   in Loop: Header=BB170_29 Depth=1
	s_or_b32 exec_lo, exec_lo, s20
	v_mov_b32_e32 v3, 0
	s_wait_dscnt 0x0
	s_barrier_signal -1
	s_barrier_wait -1
	s_and_saveexec_b32 s20, s2
; %bb.34:                               ;   in Loop: Header=BB170_29 Depth=1
	ds_load_b32 v3, v11
; %bb.35:                               ;   in Loop: Header=BB170_29 Depth=1
	s_or_b32 exec_lo, exec_lo, s20
	ds_load_b32 v17, v7 offset:1048
	s_mov_b32 s20, exec_lo
	s_wait_dscnt 0x0
	s_barrier_signal -1
	s_barrier_wait -1
	v_cmpx_ne_u32_e32 0, v1
	s_cbranch_execz .LBB170_37
; %bb.36:                               ;   in Loop: Header=BB170_29 Depth=1
	v_add_nc_u32_e32 v18, v3, v4
	v_mov_b32_e32 v19, v7
	s_delay_alu instid0(VALU_DEP_1) | instskip(SKIP_1) | instid1(VALU_DEP_2)
	v_mul_u64_e32 v[20:21], s[12:13], v[18:19]
	v_mul_u64_e32 v[18:19], s[14:15], v[18:19]
	v_lshl_add_u64 v[20:21], v[20:21], 1, s[10:11]
	s_delay_alu instid0(VALU_DEP_2)
	v_lshl_add_u64 v[18:19], v[18:19], 3, s[18:19]
	global_store_b16 v[20:21], v16, off
	global_store_b64 v[18:19], v[6:7], off
.LBB170_37:                             ;   in Loop: Header=BB170_29 Depth=1
	s_wait_xcnt 0x0
	s_or_b32 exec_lo, exec_lo, s20
	v_mov_b32_e32 v3, v7
	s_delay_alu instid0(VALU_DEP_1)
	v_cmp_le_u64_e32 vcc_lo, s[6:7], v[2:3]
	s_cbranch_vccnz .LBB170_28
; %bb.38:                               ;   in Loop: Header=BB170_29 Depth=1
	ds_store_b32 v9, v0
	s_wait_storecnt_dscnt 0x0
	s_barrier_signal -1
	s_barrier_wait -1
	s_and_saveexec_b32 s20, s0
	s_cbranch_execz .LBB170_40
; %bb.39:                               ;   in Loop: Header=BB170_29 Depth=1
	ds_load_2addr_b32 v[18:19], v12 offset1:1
	ds_load_2addr_b32 v[20:21], v12 offset0:2 offset1:3
	ds_load_2addr_b32 v[22:23], v12 offset0:4 offset1:5
	;; [unrolled: 1-line block ×3, first 2 shown]
	v_cmp_ne_u32_e32 vcc_lo, 0, v13
	; wave barrier
	s_wait_dscnt 0x3
	v_add_nc_u32_e32 v1, v19, v18
	s_wait_dscnt 0x2
	s_delay_alu instid0(VALU_DEP_1) | instskip(SKIP_1) | instid1(VALU_DEP_1)
	v_add3_u32 v1, v1, v20, v21
	s_wait_dscnt 0x1
	v_add3_u32 v1, v1, v22, v23
	s_wait_dscnt 0x0
	s_delay_alu instid0(VALU_DEP_1) | instskip(NEXT) | instid1(VALU_DEP_1)
	v_add3_u32 v1, v1, v24, v25
	v_mov_b32_dpp v3, v1 row_shr:1 row_mask:0xf bank_mask:0xf
	s_delay_alu instid0(VALU_DEP_1) | instskip(SKIP_1) | instid1(VALU_DEP_2)
	v_cndmask_b32_e32 v3, 0, v3, vcc_lo
	v_cmp_lt_u32_e32 vcc_lo, 1, v13
	v_add_nc_u32_e32 v1, v3, v1
	s_delay_alu instid0(VALU_DEP_1) | instskip(NEXT) | instid1(VALU_DEP_1)
	v_mov_b32_dpp v3, v1 row_shr:2 row_mask:0xf bank_mask:0xf
	v_cndmask_b32_e32 v3, 0, v3, vcc_lo
	v_cmp_lt_u32_e32 vcc_lo, 3, v13
	s_delay_alu instid0(VALU_DEP_2) | instskip(NEXT) | instid1(VALU_DEP_1)
	v_add_nc_u32_e32 v1, v1, v3
	v_mov_b32_dpp v3, v1 row_shr:4 row_mask:0xf bank_mask:0xf
	s_delay_alu instid0(VALU_DEP_1) | instskip(SKIP_1) | instid1(VALU_DEP_2)
	v_cndmask_b32_e32 v3, 0, v3, vcc_lo
	v_cmp_lt_u32_e32 vcc_lo, 7, v13
	v_add_nc_u32_e32 v1, v1, v3
	s_delay_alu instid0(VALU_DEP_1) | instskip(NEXT) | instid1(VALU_DEP_1)
	v_mov_b32_dpp v3, v1 row_shr:8 row_mask:0xf bank_mask:0xf
	v_cndmask_b32_e32 v3, 0, v3, vcc_lo
	v_cmp_gt_i32_e32 vcc_lo, 0, v15
	s_delay_alu instid0(VALU_DEP_2) | instskip(SKIP_4) | instid1(VALU_DEP_1)
	v_dual_add_nc_u32 v1, v1, v3 :: v_dual_cndmask_b32 v19, v15, v10, vcc_lo
	ds_swizzle_b32 v3, v1 offset:swizzle(BROADCAST,32,15)
	v_lshlrev_b32_e32 v19, 2, v19
	s_wait_dscnt 0x0
	v_and_b32_e32 v3, v14, v3
	v_add_nc_u32_e32 v1, v1, v3
	ds_bpermute_b32 v1, v19, v1
	s_wait_dscnt 0x0
	v_add_nc_u32_e32 v1, v1, v18
	s_delay_alu instid0(VALU_DEP_1)
	v_cndmask_b32_e64 v1, v1, v0, s3
	ds_store_b32 v12, v1
	; wave barrier
	ds_load_2addr_b32 v[18:19], v12 offset0:1 offset1:2
	ds_load_2addr_b32 v[20:21], v12 offset0:3 offset1:4
	;; [unrolled: 1-line block ×3, first 2 shown]
	ds_load_b32 v3, v12 offset:28
	s_wait_dscnt 0x3
	v_add_nc_u32_e32 v1, v18, v1
	s_delay_alu instid0(VALU_DEP_1) | instskip(SKIP_1) | instid1(VALU_DEP_1)
	v_add_nc_u32_e32 v18, v19, v1
	s_wait_dscnt 0x2
	v_add_nc_u32_e32 v19, v20, v18
	s_delay_alu instid0(VALU_DEP_1) | instskip(SKIP_1) | instid1(VALU_DEP_1)
	v_add_nc_u32_e32 v20, v21, v19
	;; [unrolled: 4-line block ×3, first 2 shown]
	s_wait_dscnt 0x0
	v_add_nc_u32_e32 v3, v3, v22
	ds_store_2addr_b32 v12, v1, v18 offset0:1 offset1:2
	ds_store_2addr_b32 v12, v19, v20 offset0:3 offset1:4
	;; [unrolled: 1-line block ×3, first 2 shown]
	ds_store_b32 v12, v3 offset:28
.LBB170_40:                             ;   in Loop: Header=BB170_29 Depth=1
	s_or_b32 exec_lo, exec_lo, s20
	v_mov_b32_e32 v1, 0
	s_wait_dscnt 0x0
	s_barrier_signal -1
	s_barrier_wait -1
	s_and_saveexec_b32 s20, s2
; %bb.41:                               ;   in Loop: Header=BB170_29 Depth=1
	ds_load_b32 v1, v11
; %bb.42:                               ;   in Loop: Header=BB170_29 Depth=1
	s_or_b32 exec_lo, exec_lo, s20
	ds_load_b32 v3, v7 offset:1048
	s_mov_b32 s20, exec_lo
	s_wait_dscnt 0x0
	s_barrier_signal -1
	s_barrier_wait -1
	v_cmpx_ne_u32_e32 0, v0
	s_cbranch_execz .LBB170_27
; %bb.43:                               ;   in Loop: Header=BB170_29 Depth=1
	v_dual_mov_b32 v1, v7 :: v_dual_add_nc_u32 v0, v1, v2
	s_delay_alu instid0(VALU_DEP_1)
	v_cmp_gt_u64_e32 vcc_lo, s[6:7], v[0:1]
	s_and_b32 exec_lo, exec_lo, vcc_lo
	s_cbranch_execz .LBB170_27
; %bb.44:                               ;   in Loop: Header=BB170_29 Depth=1
	v_mul_u64_e32 v[18:19], s[12:13], v[0:1]
	v_mul_u64_e32 v[0:1], s[14:15], v[0:1]
	s_delay_alu instid0(VALU_DEP_2) | instskip(NEXT) | instid1(VALU_DEP_2)
	v_lshl_add_u64 v[18:19], v[18:19], 1, s[10:11]
	v_lshl_add_u64 v[0:1], v[0:1], 3, s[18:19]
	global_store_b16 v[18:19], v16, off
	global_store_b64 v[0:1], v[6:7], off
	s_branch .LBB170_27
.LBB170_45:                             ;   in Loop: Header=BB170_46 Depth=1
	s_add_co_i32 s14, s14, 1
	s_wait_kmcnt 0x0
	s_add_co_i32 s17, s15, s17
	s_add_nc_u64 s[10:11], s[10:11], 4
	s_cmp_lt_u32 s14, s29
	s_add_nc_u64 s[12:13], s[12:13], 4
	s_cbranch_scc0 .LBB170_24
.LBB170_46:                             ; =>This Inner Loop Header: Depth=1
	s_load_b32 s15, s[10:11], 0x0
	s_cmp_ge_u32 s14, s48
	s_cbranch_scc1 .LBB170_45
; %bb.47:                               ;   in Loop: Header=BB170_46 Depth=1
	s_load_b32 s16, s[12:13], 0x0
	s_wait_kmcnt 0x0
	s_add_co_i32 s9, s15, s9
	s_add_co_i32 s8, s16, s8
	s_branch .LBB170_45
.LBB170_48:
	s_endpgm
	.section	.rodata,"a",@progbits
	.p2align	6, 0x0
	.amdhsa_kernel _ZN2at6native6mbtopk10gatherTopKIsmLi2EEEvNS_4cuda6detail10TensorInfoIKT_T0_EES8_S8_bjS8_NS5_IS6_S8_EES8_NS5_IlS8_EES8_jjPS6_PjSD_j
		.amdhsa_group_segment_fixed_size 1068
		.amdhsa_private_segment_fixed_size 0
		.amdhsa_kernarg_size 1592
		.amdhsa_user_sgpr_count 2
		.amdhsa_user_sgpr_dispatch_ptr 0
		.amdhsa_user_sgpr_queue_ptr 0
		.amdhsa_user_sgpr_kernarg_segment_ptr 1
		.amdhsa_user_sgpr_dispatch_id 0
		.amdhsa_user_sgpr_kernarg_preload_length 0
		.amdhsa_user_sgpr_kernarg_preload_offset 0
		.amdhsa_user_sgpr_private_segment_size 0
		.amdhsa_wavefront_size32 1
		.amdhsa_uses_dynamic_stack 0
		.amdhsa_enable_private_segment 0
		.amdhsa_system_sgpr_workgroup_id_x 1
		.amdhsa_system_sgpr_workgroup_id_y 1
		.amdhsa_system_sgpr_workgroup_id_z 1
		.amdhsa_system_sgpr_workgroup_info 0
		.amdhsa_system_vgpr_workitem_id 0
		.amdhsa_next_free_vgpr 26
		.amdhsa_next_free_sgpr 49
		.amdhsa_named_barrier_count 0
		.amdhsa_reserve_vcc 1
		.amdhsa_float_round_mode_32 0
		.amdhsa_float_round_mode_16_64 0
		.amdhsa_float_denorm_mode_32 3
		.amdhsa_float_denorm_mode_16_64 3
		.amdhsa_fp16_overflow 0
		.amdhsa_memory_ordered 1
		.amdhsa_forward_progress 1
		.amdhsa_inst_pref_size 24
		.amdhsa_round_robin_scheduling 0
		.amdhsa_exception_fp_ieee_invalid_op 0
		.amdhsa_exception_fp_denorm_src 0
		.amdhsa_exception_fp_ieee_div_zero 0
		.amdhsa_exception_fp_ieee_overflow 0
		.amdhsa_exception_fp_ieee_underflow 0
		.amdhsa_exception_fp_ieee_inexact 0
		.amdhsa_exception_int_div_zero 0
	.end_amdhsa_kernel
	.section	.text._ZN2at6native6mbtopk10gatherTopKIsmLi2EEEvNS_4cuda6detail10TensorInfoIKT_T0_EES8_S8_bjS8_NS5_IS6_S8_EES8_NS5_IlS8_EES8_jjPS6_PjSD_j,"axG",@progbits,_ZN2at6native6mbtopk10gatherTopKIsmLi2EEEvNS_4cuda6detail10TensorInfoIKT_T0_EES8_S8_bjS8_NS5_IS6_S8_EES8_NS5_IlS8_EES8_jjPS6_PjSD_j,comdat
.Lfunc_end170:
	.size	_ZN2at6native6mbtopk10gatherTopKIsmLi2EEEvNS_4cuda6detail10TensorInfoIKT_T0_EES8_S8_bjS8_NS5_IS6_S8_EES8_NS5_IlS8_EES8_jjPS6_PjSD_j, .Lfunc_end170-_ZN2at6native6mbtopk10gatherTopKIsmLi2EEEvNS_4cuda6detail10TensorInfoIKT_T0_EES8_S8_bjS8_NS5_IS6_S8_EES8_NS5_IlS8_EES8_jjPS6_PjSD_j
                                        ; -- End function
	.set _ZN2at6native6mbtopk10gatherTopKIsmLi2EEEvNS_4cuda6detail10TensorInfoIKT_T0_EES8_S8_bjS8_NS5_IS6_S8_EES8_NS5_IlS8_EES8_jjPS6_PjSD_j.num_vgpr, 26
	.set _ZN2at6native6mbtopk10gatherTopKIsmLi2EEEvNS_4cuda6detail10TensorInfoIKT_T0_EES8_S8_bjS8_NS5_IS6_S8_EES8_NS5_IlS8_EES8_jjPS6_PjSD_j.num_agpr, 0
	.set _ZN2at6native6mbtopk10gatherTopKIsmLi2EEEvNS_4cuda6detail10TensorInfoIKT_T0_EES8_S8_bjS8_NS5_IS6_S8_EES8_NS5_IlS8_EES8_jjPS6_PjSD_j.numbered_sgpr, 49
	.set _ZN2at6native6mbtopk10gatherTopKIsmLi2EEEvNS_4cuda6detail10TensorInfoIKT_T0_EES8_S8_bjS8_NS5_IS6_S8_EES8_NS5_IlS8_EES8_jjPS6_PjSD_j.num_named_barrier, 0
	.set _ZN2at6native6mbtopk10gatherTopKIsmLi2EEEvNS_4cuda6detail10TensorInfoIKT_T0_EES8_S8_bjS8_NS5_IS6_S8_EES8_NS5_IlS8_EES8_jjPS6_PjSD_j.private_seg_size, 0
	.set _ZN2at6native6mbtopk10gatherTopKIsmLi2EEEvNS_4cuda6detail10TensorInfoIKT_T0_EES8_S8_bjS8_NS5_IS6_S8_EES8_NS5_IlS8_EES8_jjPS6_PjSD_j.uses_vcc, 1
	.set _ZN2at6native6mbtopk10gatherTopKIsmLi2EEEvNS_4cuda6detail10TensorInfoIKT_T0_EES8_S8_bjS8_NS5_IS6_S8_EES8_NS5_IlS8_EES8_jjPS6_PjSD_j.uses_flat_scratch, 0
	.set _ZN2at6native6mbtopk10gatherTopKIsmLi2EEEvNS_4cuda6detail10TensorInfoIKT_T0_EES8_S8_bjS8_NS5_IS6_S8_EES8_NS5_IlS8_EES8_jjPS6_PjSD_j.has_dyn_sized_stack, 0
	.set _ZN2at6native6mbtopk10gatherTopKIsmLi2EEEvNS_4cuda6detail10TensorInfoIKT_T0_EES8_S8_bjS8_NS5_IS6_S8_EES8_NS5_IlS8_EES8_jjPS6_PjSD_j.has_recursion, 0
	.set _ZN2at6native6mbtopk10gatherTopKIsmLi2EEEvNS_4cuda6detail10TensorInfoIKT_T0_EES8_S8_bjS8_NS5_IS6_S8_EES8_NS5_IlS8_EES8_jjPS6_PjSD_j.has_indirect_call, 0
	.section	.AMDGPU.csdata,"",@progbits
; Kernel info:
; codeLenInByte = 3032
; TotalNumSgprs: 51
; NumVgprs: 26
; ScratchSize: 0
; MemoryBound: 0
; FloatMode: 240
; IeeeMode: 1
; LDSByteSize: 1068 bytes/workgroup (compile time only)
; SGPRBlocks: 0
; VGPRBlocks: 1
; NumSGPRsForWavesPerEU: 51
; NumVGPRsForWavesPerEU: 26
; NamedBarCnt: 0
; Occupancy: 16
; WaveLimiterHint : 1
; COMPUTE_PGM_RSRC2:SCRATCH_EN: 0
; COMPUTE_PGM_RSRC2:USER_SGPR: 2
; COMPUTE_PGM_RSRC2:TRAP_HANDLER: 0
; COMPUTE_PGM_RSRC2:TGID_X_EN: 1
; COMPUTE_PGM_RSRC2:TGID_Y_EN: 1
; COMPUTE_PGM_RSRC2:TGID_Z_EN: 1
; COMPUTE_PGM_RSRC2:TIDIG_COMP_CNT: 0
	.section	.text._ZN2at6native6sbtopk10gatherTopKIsmLi2ELb0EEEvNS_4cuda6detail10TensorInfoIKT_T0_EES8_S8_bS8_S8_NS5_IS6_S8_EES8_NS5_IlS8_EES8_PS6_,"axG",@progbits,_ZN2at6native6sbtopk10gatherTopKIsmLi2ELb0EEEvNS_4cuda6detail10TensorInfoIKT_T0_EES8_S8_bS8_S8_NS5_IS6_S8_EES8_NS5_IlS8_EES8_PS6_,comdat
	.protected	_ZN2at6native6sbtopk10gatherTopKIsmLi2ELb0EEEvNS_4cuda6detail10TensorInfoIKT_T0_EES8_S8_bS8_S8_NS5_IS6_S8_EES8_NS5_IlS8_EES8_PS6_ ; -- Begin function _ZN2at6native6sbtopk10gatherTopKIsmLi2ELb0EEEvNS_4cuda6detail10TensorInfoIKT_T0_EES8_S8_bS8_S8_NS5_IS6_S8_EES8_NS5_IlS8_EES8_PS6_
	.globl	_ZN2at6native6sbtopk10gatherTopKIsmLi2ELb0EEEvNS_4cuda6detail10TensorInfoIKT_T0_EES8_S8_bS8_S8_NS5_IS6_S8_EES8_NS5_IlS8_EES8_PS6_
	.p2align	8
	.type	_ZN2at6native6sbtopk10gatherTopKIsmLi2ELb0EEEvNS_4cuda6detail10TensorInfoIKT_T0_EES8_S8_bS8_S8_NS5_IS6_S8_EES8_NS5_IlS8_EES8_PS6_,@function
_ZN2at6native6sbtopk10gatherTopKIsmLi2ELb0EEEvNS_4cuda6detail10TensorInfoIKT_T0_EES8_S8_bS8_S8_NS5_IS6_S8_EES8_NS5_IlS8_EES8_PS6_: ; @_ZN2at6native6sbtopk10gatherTopKIsmLi2ELb0EEEvNS_4cuda6detail10TensorInfoIKT_T0_EES8_S8_bS8_S8_NS5_IS6_S8_EES8_NS5_IlS8_EES8_PS6_
; %bb.0:
	s_clause 0x1
	s_load_b128 s[28:31], s[0:1], 0x1b8
	s_load_b64 s[12:13], s[0:1], 0x520
	s_bfe_u32 s2, ttmp6, 0x40010
	s_and_b32 s3, ttmp7, 0xffff
	s_add_co_i32 s2, s2, 1
	s_bfe_u32 s5, ttmp6, 0x4000c
	s_mul_i32 s2, s3, s2
	s_bfe_u32 s4, ttmp6, 0x40004
	s_add_co_i32 s5, s5, 1
	s_bfe_u32 s6, ttmp6, 0x40014
	s_add_co_i32 s4, s4, s2
	s_and_b32 s2, ttmp6, 15
	s_mul_i32 s5, ttmp9, s5
	s_lshr_b32 s7, ttmp7, 16
	s_add_co_i32 s6, s6, 1
	s_add_co_i32 s2, s2, s5
	s_mul_i32 s5, s7, s6
	s_bfe_u32 s6, ttmp6, 0x40008
	s_getreg_b32 s8, hwreg(HW_REG_IB_STS2, 6, 4)
	s_add_co_i32 s6, s6, s5
	s_cmp_eq_u32 s8, 0
	s_mov_b32 s51, 0
	s_cselect_b32 s5, s7, s6
	s_cselect_b32 s3, s3, s4
	s_wait_kmcnt 0x0
	s_mul_i32 s5, s13, s5
	s_cselect_b32 s13, ttmp9, s2
	s_add_co_i32 s2, s5, s3
	s_delay_alu instid0(SALU_CYCLE_1) | instskip(NEXT) | instid1(SALU_CYCLE_1)
	s_mul_i32 s2, s2, s12
	s_add_co_i32 s50, s2, s13
	s_delay_alu instid0(SALU_CYCLE_1)
	v_cmp_le_u64_e64 s2, s[28:29], s[50:51]
	s_and_b32 vcc_lo, exec_lo, s2
	s_cbranch_vccnz .LBB171_478
; %bb.1:
	s_clause 0x1
	s_load_b64 s[2:3], s[0:1], 0x10
	s_load_b64 s[10:11], s[0:1], 0x1d8
	s_mov_b64 s[8:9], 0
	s_mov_b64 s[6:7], 0
	s_wait_kmcnt 0x0
	v_cmp_lt_u64_e64 s4, s[50:51], s[2:3]
	s_and_b32 vcc_lo, exec_lo, s4
	s_cbranch_vccnz .LBB171_3
; %bb.2:
	v_cvt_f32_u32_e32 v1, s2
	s_sub_co_i32 s5, 0, s2
	s_delay_alu instid0(VALU_DEP_1) | instskip(SKIP_1) | instid1(TRANS32_DEP_1)
	v_rcp_iflag_f32_e32 v1, v1
	v_nop
	v_mul_f32_e32 v1, 0x4f7ffffe, v1
	s_delay_alu instid0(VALU_DEP_1) | instskip(NEXT) | instid1(VALU_DEP_1)
	v_cvt_u32_f32_e32 v1, v1
	v_readfirstlane_b32 s4, v1
	s_mul_i32 s5, s5, s4
	s_delay_alu instid0(SALU_CYCLE_1) | instskip(NEXT) | instid1(SALU_CYCLE_1)
	s_mul_hi_u32 s5, s4, s5
	s_add_co_i32 s4, s4, s5
	s_delay_alu instid0(SALU_CYCLE_1) | instskip(NEXT) | instid1(SALU_CYCLE_1)
	s_mul_hi_u32 s4, s50, s4
	s_mul_i32 s5, s4, s2
	s_add_co_i32 s6, s4, 1
	s_sub_co_i32 s5, s50, s5
	s_delay_alu instid0(SALU_CYCLE_1)
	s_sub_co_i32 s7, s5, s2
	s_cmp_ge_u32 s5, s2
	s_cselect_b32 s4, s6, s4
	s_cselect_b32 s5, s7, s5
	s_add_co_i32 s6, s4, 1
	s_cmp_ge_u32 s5, s2
	s_mov_b32 s7, 0
	s_cselect_b32 s6, s6, s4
.LBB171_3:
	s_load_b64 s[56:57], s[0:1], 0x380
	v_cmp_lt_u64_e64 s4, s[50:51], s[10:11]
	s_and_b32 vcc_lo, exec_lo, s4
	s_cbranch_vccnz .LBB171_5
; %bb.4:
	v_cvt_f32_u32_e32 v1, s10
	s_sub_co_i32 s5, 0, s10
	s_delay_alu instid0(VALU_DEP_1) | instskip(SKIP_1) | instid1(TRANS32_DEP_1)
	v_rcp_iflag_f32_e32 v1, v1
	v_nop
	v_mul_f32_e32 v1, 0x4f7ffffe, v1
	s_delay_alu instid0(VALU_DEP_1) | instskip(NEXT) | instid1(VALU_DEP_1)
	v_cvt_u32_f32_e32 v1, v1
	v_readfirstlane_b32 s4, v1
	s_mul_i32 s5, s5, s4
	s_delay_alu instid0(SALU_CYCLE_1) | instskip(NEXT) | instid1(SALU_CYCLE_1)
	s_mul_hi_u32 s5, s4, s5
	s_add_co_i32 s4, s4, s5
	s_delay_alu instid0(SALU_CYCLE_1) | instskip(NEXT) | instid1(SALU_CYCLE_1)
	s_mul_hi_u32 s4, s50, s4
	s_mul_i32 s5, s4, s10
	s_add_co_i32 s8, s4, 1
	s_sub_co_i32 s5, s50, s5
	s_delay_alu instid0(SALU_CYCLE_1)
	s_sub_co_i32 s9, s5, s10
	s_cmp_ge_u32 s5, s10
	s_cselect_b32 s4, s8, s4
	s_cselect_b32 s5, s9, s5
	s_add_co_i32 s8, s4, 1
	s_cmp_ge_u32 s5, s10
	s_mov_b32 s9, 0
	s_cselect_b32 s8, s8, s4
.LBB171_5:
	s_wait_kmcnt 0x0
	v_cmp_lt_u64_e64 s4, s[50:51], s[56:57]
                                        ; implicit-def: $vgpr46 : SGPR spill to VGPR lane
	s_mov_b64 s[58:59], 0
	v_writelane_b32 v46, s8, 0
	v_writelane_b32 v46, s9, 1
	s_and_b32 vcc_lo, exec_lo, s4
	s_cbranch_vccnz .LBB171_7
; %bb.6:
	v_cvt_f32_u32_e32 v1, s56
	s_sub_co_i32 s5, 0, s56
	s_mov_b32 s59, 0
	s_delay_alu instid0(VALU_DEP_1) | instskip(SKIP_1) | instid1(TRANS32_DEP_1)
	v_rcp_iflag_f32_e32 v1, v1
	v_nop
	v_mul_f32_e32 v1, 0x4f7ffffe, v1
	s_delay_alu instid0(VALU_DEP_1) | instskip(NEXT) | instid1(VALU_DEP_1)
	v_cvt_u32_f32_e32 v1, v1
	v_readfirstlane_b32 s4, v1
	s_mul_i32 s5, s5, s4
	s_delay_alu instid0(SALU_CYCLE_1) | instskip(NEXT) | instid1(SALU_CYCLE_1)
	s_mul_hi_u32 s5, s4, s5
	s_add_co_i32 s4, s4, s5
	s_delay_alu instid0(SALU_CYCLE_1) | instskip(NEXT) | instid1(SALU_CYCLE_1)
	s_mul_hi_u32 s4, s50, s4
	s_mul_i32 s5, s4, s56
	s_add_co_i32 s8, s4, 1
	s_sub_co_i32 s5, s50, s5
	s_delay_alu instid0(SALU_CYCLE_1)
	s_sub_co_i32 s9, s5, s56
	s_cmp_ge_u32 s5, s56
	s_cselect_b32 s4, s8, s4
	s_cselect_b32 s5, s9, s5
	s_add_co_i32 s8, s4, 1
	s_cmp_ge_u32 s5, s56
	s_cselect_b32 s58, s8, s4
.LBB171_7:
	s_clause 0x2
	s_load_b128 s[8:11], s[0:1], 0xd0
	s_load_b64 s[16:17], s[0:1], 0x0
	s_load_b128 s[36:39], s[0:1], 0x1a0
	v_cmp_eq_u32_e64 s5, 0, v0
	s_add_nc_u64 s[14:15], s[0:1], 0x520
	s_mov_b32 s29, 0
	s_and_saveexec_b32 s4, s5
	s_cbranch_execz .LBB171_9
; %bb.8:
	s_wait_kmcnt 0x0
	v_dual_mov_b32 v2, 0 :: v_dual_mov_b32 v4, s36
	s_delay_alu instid0(VALU_DEP_1)
	v_dual_mov_b32 v5, s37 :: v_dual_mov_b32 v3, v2
	ds_store_b32 v2, v2 offset:5144
	ds_store_b128 v2, v[2:5] offset:5120
.LBB171_9:
	s_or_b32 exec_lo, exec_lo, s4
	s_clause 0x1
	s_load_b128 s[20:23], s[0:1], 0x440
	s_load_b64 s[18:19], s[0:1], 0x370
	v_dual_mov_b32 v3, 0 :: v_dual_add_nc_u32 v2, 2, v0
	s_mul_u64 s[2:3], s[6:7], s[2:3]
	v_lshlrev_b32_e32 v16, 2, v0
	s_wait_kmcnt 0x0
	s_mul_u64 s[8:9], s[6:7], s[8:9]
	v_mov_b32_e32 v1, v3
	v_max_u64 v[6:7], s[36:37], v[2:3]
	s_clause 0x1
	s_load_b64 s[6:7], s[0:1], 0x1c8
	s_load_b32 s4, s[0:1], 0x1b0
	s_wait_dscnt 0x0
	v_mul_u64_e32 v[4:5], s[30:31], v[0:1]
	s_barrier_signal -1
	s_barrier_wait -1
	s_sub_nc_u64 s[2:3], s[50:51], s[2:3]
	v_mbcnt_lo_u32_b32 v13, -1, 0
	s_lshl_b64 s[8:9], s[8:9], 1
	s_mul_u64 s[10:11], s[2:3], s[10:11]
	v_writelane_b32 v46, s20, 2
	v_dual_mov_b32 v9, -1 :: v_dual_lshlrev_b32 v28, 1, v0
	v_not_b32_e32 v8, v0
	s_add_nc_u64 s[8:9], s[16:17], s[8:9]
	v_writelane_b32 v46, s21, 3
	s_lshl_b64 s[10:11], s[10:11], 1
	v_cmp_gt_u32_e32 vcc_lo, 32, v0
	s_add_nc_u64 s[34:35], s[8:9], s[10:11]
	v_lshlrev_b64_e64 v[10:11], v13, -1
	v_writelane_b32 v46, s22, 4
	s_wait_kmcnt 0x0
	s_bitcmp1_b32 s4, 0
	v_cmp_lt_u64_e64 s33, 0x600, s[36:37]
	s_cselect_b32 s4, -1, 0
	v_cmp_gt_u64_e64 s3, s[36:37], v[0:1]
	v_writelane_b32 v46, s23, 5
	s_load_b128 s[20:23], s[0:1], 0x298
	s_xor_b32 s93, s4, -1
	v_mov_b64_e32 v[22:23], s[38:39]
	s_mov_b32 s49, s29
	v_writelane_b32 v46, s18, 6
	v_cmp_eq_u32_e64 s2, 0, v13
	v_dual_mov_b32 v34, 0 :: v_dual_add_nc_u32 v29, 0xc00, v28
	v_lshl_add_u64 v[14:15], v[4:5], 1, s[34:35]
	v_writelane_b32 v46, s19, 7
	s_load_b32 s18, s[14:15], 0xc
	v_add_nc_u64_e32 v[4:5], v[6:7], v[8:9]
	v_dual_mov_b32 v17, v3 :: v_dual_lshlrev_b32 v32, 3, v0
	v_not_b32_e32 v12, v10
	v_lshl_or_b32 v33, v13, 3, 0xc00
	v_dual_mov_b32 v35, 0 :: v_dual_mov_b32 v31, 0
	v_dual_mov_b32 v19, v5 :: v_dual_bitop2_b32 v18, -4, v4 bitop3:0x40
	s_wait_kmcnt 0x0
	v_writelane_b32 v46, s20, 8
	v_cmp_lt_u64_e64 s55, 3, v[4:5]
	s_mov_b32 s68, s30
	s_mov_b32 s69, s31
	v_add_nc_u64_e32 v[20:21], v[18:19], v[0:1]
	v_writelane_b32 v46, s21, 9
	s_mov_b32 s70, s30
	s_mov_b32 s71, s31
	;; [unrolled: 1-line block ×4, first 2 shown]
	v_writelane_b32 v46, s22, 10
	s_and_b32 s48, s18, 0xffff
	s_bfe_u32 s8, s18, 0xb0005
	s_add_nc_u64 s[64:65], s[48:49], -1
	s_mov_b32 s101, 14
	v_writelane_b32 v46, s23, 11
	s_add_nc_u64 s[66:67], s[64:65], s[36:37]
	s_mov_b32 s100, 0x4f800000
	s_mov_b32 s102, 0
	;; [unrolled: 1-line block ×3, first 2 shown]
	v_writelane_b32 v46, s6, 12
                                        ; implicit-def: $sgpr103
                                        ; implicit-def: $sgpr61
                                        ; implicit-def: $sgpr60
                                        ; implicit-def: $sgpr62
                                        ; implicit-def: $vcc_hi
                                        ; implicit-def: $sgpr42
                                        ; implicit-def: $sgpr43
                                        ; implicit-def: $sgpr63
                                        ; implicit-def: $sgpr41
                                        ; implicit-def: $sgpr40
	v_writelane_b32 v46, s7, 13
	v_cmp_gt_i32_e64 s7, 4, v13
	v_cmp_gt_u32_e64 s6, 2, v0
	s_and_b32 s92, vcc_lo, s7
	s_cmp_gt_u32 s48, 31
	s_movk_i32 s7, 0x3e0
	s_cselect_b32 s94, -1, 0
	s_cmp_lt_u32 s13, s12
	v_and_or_b32 v30, v0, s7, 0xc00
	s_cselect_b32 s28, 12, 18
	s_add_co_i32 s9, s8, -1
	s_bfe_u32 s95, s48, 0x30005
	s_and_b32 s9, s9, 0xffff
	v_cmp_ne_u64_e64 s7, v[4:5], v[18:19]
	s_cmp_gt_u32 s9, 6
	s_add_nc_u64 s[76:77], s[14:15], s[28:29]
	s_cselect_b32 s96, -1, 0
	s_and_b32 s97, s8, 0x7f8
	s_cmp_lg_u32 s95, 0
	s_cselect_b32 s98, -1, 0
	s_lshl_b32 s99, s48, 1
	s_and_b64 s[74:75], s[36:37], 0xffffffff00000000
	v_writelane_b32 v46, s7, 14
	s_branch .LBB171_12
.LBB171_10:                             ;   in Loop: Header=BB171_12 Depth=1
	s_or_b32 exec_lo, exec_lo, s8
	v_mov_b64_e32 v[22:23], v[4:5]
	s_and_not1_b32 s7, s40, exec_lo
	s_and_b32 s8, s11, exec_lo
	s_and_not1_b32 s41, s41, exec_lo
	s_or_b32 s40, s7, s8
	s_and_not1_b32 s63, s63, exec_lo
	s_and_not1_b32 s43, s43, exec_lo
	;; [unrolled: 1-line block ×3, first 2 shown]
	s_or_not1_b32 s10, s10, exec_lo
.LBB171_11:                             ;   in Loop: Header=BB171_12 Depth=1
	s_or_b32 exec_lo, exec_lo, s9
	s_delay_alu instid0(SALU_CYCLE_1) | instskip(NEXT) | instid1(SALU_CYCLE_1)
	s_and_b32 s8, exec_lo, s10
	s_or_b32 s102, s8, s102
	s_and_not1_b32 s8, vcc_hi, exec_lo
	s_and_b32 s9, s40, exec_lo
	s_and_not1_b32 s10, s62, exec_lo
	s_or_b32 vcc_hi, s8, s9
	s_and_b32 s8, s41, exec_lo
	s_and_not1_b32 s9, s60, exec_lo
	s_and_b32 s11, s63, exec_lo
	s_or_b32 s62, s10, s8
	s_or_b32 s60, s9, s11
	s_and_not1_b32 s8, s61, exec_lo
	s_and_b32 s9, s43, exec_lo
	s_and_not1_b32 s10, s103, exec_lo
	s_and_b32 s11, s42, exec_lo
	s_or_b32 s61, s8, s9
	s_or_b32 s103, s10, s11
	s_and_not1_b32 exec_lo, exec_lo, s102
	s_cbranch_execz .LBB171_474
.LBB171_12:                             ; =>This Loop Header: Depth=1
                                        ;     Child Loop BB171_17 Depth 2
                                        ;     Child Loop BB171_31 Depth 2
	;; [unrolled: 1-line block ×25, first 2 shown]
	ds_load_b128 v[4:7], v3 offset:5120
	s_wait_dscnt 0x0
	v_readfirstlane_b32 s79, v5
	v_readfirstlane_b32 s78, v4
	s_cmp_lg_u64 s[78:79], 0
	s_cbranch_scc1 .LBB171_44
; %bb.13:                               ;   in Loop: Header=BB171_12 Depth=1
	s_and_b32 vcc_lo, exec_lo, s33
	s_cbranch_vccz .LBB171_25
; %bb.14:                               ;   in Loop: Header=BB171_12 Depth=1
	v_cmp_gt_u64_e32 vcc_lo, 0x601, v[6:7]
	s_mov_b32 s11, 0
	s_mov_b32 s9, 0
	s_cbranch_vccz .LBB171_26
; %bb.15:                               ;   in Loop: Header=BB171_12 Depth=1
	global_load_u16 v2, v3, s[76:77]
	global_load_u16 v6, v[14:15], off
	v_mov_b64_e32 v[4:5], v[0:1]
	s_mov_b32 s12, 0
	s_wait_loadcnt 0x1
	v_and_b32_e32 v2, 0xffff, v2
	s_branch .LBB171_17
.LBB171_16:                             ;   in Loop: Header=BB171_17 Depth=2
	s_or_b32 exec_lo, exec_lo, s8
	v_mov_b32_e32 v6, v7
	s_and_not1_b32 exec_lo, exec_lo, s12
	s_cbranch_execz .LBB171_98
.LBB171_17:                             ;   Parent Loop BB171_12 Depth=1
                                        ; =>  This Inner Loop Header: Depth=2
	s_delay_alu instid0(VALU_DEP_1) | instskip(SKIP_3) | instid1(VALU_DEP_2)
	v_add_nc_u64_e32 v[4:5], v[4:5], v[2:3]
	s_wait_dscnt 0x0
	v_dual_mov_b32 v8, 0 :: v_dual_mov_b32 v7, 0
	s_mov_b32 s8, exec_lo
	v_cmp_le_u64_e32 vcc_lo, s[36:37], v[4:5]
	s_wait_xcnt 0x0
	v_cmpx_gt_u64_e64 s[36:37], v[4:5]
	s_cbranch_execz .LBB171_19
; %bb.18:                               ;   in Loop: Header=BB171_17 Depth=2
	v_mul_u64_e32 v[10:11], s[30:31], v[4:5]
	s_delay_alu instid0(VALU_DEP_1)
	v_lshl_add_u64 v[10:11], v[10:11], 1, s[34:35]
	global_load_u16 v7, v[10:11], off
.LBB171_19:                             ;   in Loop: Header=BB171_17 Depth=2
	s_wait_xcnt 0x0
	s_or_b32 exec_lo, exec_lo, s8
	s_wait_loadcnt 0x0
	v_bfe_i32 v9, v6, 0, 16
	s_delay_alu instid0(VALU_DEP_1) | instskip(NEXT) | instid1(VALU_DEP_1)
	v_add_nc_u32_e32 v9, 0x8000, v9
	v_and_b32_e32 v9, v9, v34
	s_delay_alu instid0(VALU_DEP_1) | instskip(SKIP_2) | instid1(SALU_CYCLE_1)
	v_cmp_eq_u32_e64 s9, v9, v31
	s_cmp_lg_u32 s9, 0
	s_cselect_b32 s8, -1, 0
	s_and_b32 s8, s2, s8
	s_delay_alu instid0(SALU_CYCLE_1)
	s_and_saveexec_b32 s13, s8
	s_cbranch_execz .LBB171_23
; %bb.20:                               ;   in Loop: Header=BB171_17 Depth=2
	s_mov_b32 s15, exec_lo
	s_bcnt1_i32_b32 s8, s9
	v_mbcnt_lo_u32_b32 v8, s15, 0
	s_mov_b32 s14, exec_lo
                                        ; implicit-def: $vgpr9
	s_delay_alu instid0(VALU_DEP_1)
	v_cmpx_eq_u32_e32 0, v8
; %bb.21:                               ;   in Loop: Header=BB171_17 Depth=2
	s_bcnt1_i32_b32 s10, s15
	s_delay_alu instid0(SALU_CYCLE_1) | instskip(NEXT) | instid1(SALU_CYCLE_1)
	s_mul_i32 s10, s8, s10
	v_mov_b32_e32 v9, s10
	ds_add_rtn_u32 v9, v3, v9 offset:5144
; %bb.22:                               ;   in Loop: Header=BB171_17 Depth=2
	s_or_b32 exec_lo, exec_lo, s14
	s_wait_dscnt 0x0
	v_readfirstlane_b32 s10, v9
	s_delay_alu instid0(VALU_DEP_1)
	v_mad_u32_u24 v8, s8, v8, s10
.LBB171_23:                             ;   in Loop: Header=BB171_17 Depth=2
	s_or_b32 exec_lo, exec_lo, s13
	ds_bpermute_b32 v8, v3, v8
	s_and_b32 s8, exec_lo, vcc_lo
	s_delay_alu instid0(SALU_CYCLE_1)
	s_or_b32 s12, s8, s12
	s_and_saveexec_b32 s8, s9
	s_cbranch_execz .LBB171_16
; %bb.24:                               ;   in Loop: Header=BB171_17 Depth=2
	v_and_b32_e32 v9, s9, v12
	s_delay_alu instid0(VALU_DEP_1) | instskip(NEXT) | instid1(VALU_DEP_1)
	v_bcnt_u32_b32 v9, v9, 0
	v_lshlrev_b32_e32 v9, 1, v9
	s_wait_dscnt 0x0
	s_delay_alu instid0(VALU_DEP_1)
	v_lshl_add_u32 v8, v8, 1, v9
	ds_store_b16 v8, v6
	s_branch .LBB171_16
.LBB171_25:                             ;   in Loop: Header=BB171_12 Depth=1
	s_mov_b32 s11, -1
	s_mov_b32 s9, 0
.LBB171_26:                             ;   in Loop: Header=BB171_12 Depth=1
	s_and_b32 vcc_lo, exec_lo, s11
	s_cbranch_vccz .LBB171_42
.LBB171_27:                             ;   in Loop: Header=BB171_12 Depth=1
	s_and_saveexec_b32 s9, s3
	s_cbranch_execz .LBB171_39
; %bb.28:                               ;   in Loop: Header=BB171_12 Depth=1
	global_load_u16 v4, v3, s[76:77]
	global_load_u16 v26, v[14:15], off
	s_mov_b32 s12, exec_lo
	v_mov_b32_e32 v6, v0
	s_wait_loadcnt 0x1
	v_and_b32_e32 v2, 0xffff, v4
	v_readfirstlane_b32 s8, v4
	s_delay_alu instid0(VALU_DEP_2) | instskip(SKIP_1) | instid1(VALU_DEP_1)
	v_add_nc_u32_e32 v2, v2, v0
	s_wait_xcnt 0x0
	v_cmpx_gt_u64_e64 s[36:37], v[2:3]
	s_cbranch_execz .LBB171_38
; %bb.29:                               ;   in Loop: Header=BB171_12 Depth=1
	s_and_b32 s28, s8, 0xffff
	v_mov_b64_e32 v[8:9], v[0:1]
	v_mov_b64_e32 v[4:5], v[2:3]
	s_cmp_eq_u32 s28, 1
	s_mov_b32 s11, -1
	s_cselect_b32 s8, -1, 0
                                        ; implicit-def: $vgpr6_vgpr7
	s_delay_alu instid0(SALU_CYCLE_1) | instskip(NEXT) | instid1(SALU_CYCLE_1)
	s_and_b32 s8, s55, s8
	s_and_saveexec_b32 s10, s8
	s_cbranch_execz .LBB171_33
; %bb.30:                               ;   in Loop: Header=BB171_12 Depth=1
	v_add_nc_u64_e32 v[8:9], 3, v[2:3]
	v_add_nc_u64_e32 v[6:7], 2, v[2:3]
	;; [unrolled: 1-line block ×3, first 2 shown]
	v_mov_b64_e32 v[24:25], v[18:19]
	s_wait_loadcnt 0x0
	v_dual_mov_b32 v27, v28 :: v_dual_lshlrev_b32 v36, 16, v26
	s_mov_b32 s11, 0
	v_mov_b64_e32 v[10:11], v[8:9]
	v_mov_b64_e32 v[8:9], v[6:7]
	;; [unrolled: 1-line block ×4, first 2 shown]
.LBB171_31:                             ;   Parent Loop BB171_12 Depth=1
                                        ; =>  This Inner Loop Header: Depth=2
	s_delay_alu instid0(VALU_DEP_2) | instskip(NEXT) | instid1(VALU_DEP_4)
	v_mul_u64_e32 v[38:39], s[30:31], v[6:7]
	v_mul_u64_e32 v[40:41], s[70:71], v[8:9]
	s_delay_alu instid0(VALU_DEP_3)
	v_mul_u64_e32 v[42:43], s[68:69], v[4:5]
	v_mul_u64_e32 v[44:45], s[72:73], v[10:11]
	v_add_nc_u64_e32 v[24:25], -4, v[24:25]
	v_add_nc_u64_e32 v[10:11], 4, v[10:11]
	v_add_nc_u64_e32 v[8:9], 4, v[8:9]
	;; [unrolled: 1-line block ×4, first 2 shown]
	v_cmp_eq_u64_e32 vcc_lo, 0, v[24:25]
	s_or_b32 s11, vcc_lo, s11
	v_lshl_add_u64 v[38:39], v[38:39], 1, s[34:35]
	v_lshl_add_u64 v[40:41], v[40:41], 1, s[34:35]
	;; [unrolled: 1-line block ×4, first 2 shown]
	s_clause 0x3
	global_load_u16 v37, v[38:39], off
	global_load_u16 v38, v[40:41], off
	;; [unrolled: 1-line block ×4, first 2 shown]
	s_wait_loadcnt 0x2
	v_perm_b32 v37, v38, v37, 0x5040100
	s_wait_loadcnt 0x1
	v_alignbit_b32 v36, v39, v36, 16
	s_wait_loadcnt 0x0
	v_perm_b32 v38, v26, v38, 0x5040100
	ds_store_b64 v27, v[36:37]
	v_dual_mov_b32 v36, v38 :: v_dual_add_nc_u32 v27, 8, v27
	s_wait_xcnt 0x0
	s_and_not1_b32 exec_lo, exec_lo, s11
	s_cbranch_execnz .LBB171_31
; %bb.32:                               ;   in Loop: Header=BB171_12 Depth=1
	s_or_b32 exec_lo, exec_lo, s11
	v_add_nc_u64_e32 v[4:5], v[2:3], v[18:19]
	v_mov_b64_e32 v[8:9], v[20:21]
	v_readlane_b32 s7, v46, 14
	s_or_not1_b32 s11, s7, exec_lo
	v_add_nc_u64_e32 v[6:7], -1, v[4:5]
.LBB171_33:                             ;   in Loop: Header=BB171_12 Depth=1
	s_or_b32 exec_lo, exec_lo, s10
	s_and_saveexec_b32 s13, s11
	s_cbranch_execz .LBB171_37
; %bb.34:                               ;   in Loop: Header=BB171_12 Depth=1
	s_sub_nc_u64 s[10:11], 0, s[28:29]
	s_mov_b32 s14, 0
.LBB171_35:                             ;   Parent Loop BB171_12 Depth=1
                                        ; =>  This Inner Loop Header: Depth=2
	v_mov_b64_e32 v[6:7], v[4:5]
	s_delay_alu instid0(VALU_DEP_1) | instskip(NEXT) | instid1(VALU_DEP_1)
	v_mul_u64_e32 v[4:5], s[30:31], v[6:7]
	v_lshl_add_u64 v[4:5], v[4:5], 1, s[34:35]
	global_load_u16 v2, v[4:5], off
	s_wait_xcnt 0x0
	v_add_nc_u64_e32 v[4:5], s[28:29], v[6:7]
	v_lshlrev_b32_e32 v8, 1, v8
	s_wait_loadcnt 0x1
	ds_store_b16 v8, v26
	v_cmp_le_u64_e32 vcc_lo, s[36:37], v[4:5]
	v_mov_b64_e32 v[8:9], v[6:7]
	s_or_b32 s14, vcc_lo, s14
	s_wait_loadcnt 0x0
	v_mov_b32_e32 v26, v2
	s_and_not1_b32 exec_lo, exec_lo, s14
	s_cbranch_execnz .LBB171_35
; %bb.36:                               ;   in Loop: Header=BB171_12 Depth=1
	s_or_b32 exec_lo, exec_lo, s14
	v_add_nc_u64_e32 v[6:7], s[10:11], v[4:5]
	v_mov_b32_e32 v26, v2
.LBB171_37:                             ;   in Loop: Header=BB171_12 Depth=1
	s_or_b32 exec_lo, exec_lo, s13
.LBB171_38:                             ;   in Loop: Header=BB171_12 Depth=1
	s_delay_alu instid0(SALU_CYCLE_1) | instskip(NEXT) | instid1(VALU_DEP_1)
	s_or_b32 exec_lo, exec_lo, s12
	v_lshlrev_b32_e32 v2, 1, v6
	s_wait_loadcnt 0x0
	ds_store_b16 v2, v26
.LBB171_39:                             ;   in Loop: Header=BB171_12 Depth=1
	s_or_b32 exec_lo, exec_lo, s9
	s_wait_dscnt 0x0
	s_barrier_signal -1
	s_barrier_wait -1
	s_and_saveexec_b32 s8, s5
; %bb.40:                               ;   in Loop: Header=BB171_12 Depth=1
	v_mov_b64_e32 v[4:5], s[36:37]
	ds_store_b64 v3, v[4:5] offset:5120
; %bb.41:                               ;   in Loop: Header=BB171_12 Depth=1
	s_or_b32 exec_lo, exec_lo, s8
	s_mov_b32 s9, -1
	s_wait_dscnt 0x0
	s_barrier_signal -1
	s_barrier_wait -1
.LBB171_42:                             ;   in Loop: Header=BB171_12 Depth=1
	s_and_b32 vcc_lo, exec_lo, s9
	s_mov_b64 s[78:79], 0
	s_cbranch_vccz .LBB171_44
; %bb.43:                               ;   in Loop: Header=BB171_12 Depth=1
	ds_load_b64 v[4:5], v3 offset:5120
	s_wait_dscnt 0x0
	v_readfirstlane_b32 s78, v4
	v_readfirstlane_b32 s79, v5
.LBB171_44:                             ;   in Loop: Header=BB171_12 Depth=1
	s_delay_alu instid0(VALU_DEP_2)
	s_cmp_lt_i32 s78, 1
	s_mov_b32 s9, -1
                                        ; implicit-def: $vgpr4_vgpr5
                                        ; implicit-def: $vgpr8_vgpr9
	s_cbranch_scc1 .LBB171_54
; %bb.45:                               ;   in Loop: Header=BB171_12 Depth=1
	s_and_b32 vcc_lo, exec_lo, s9
	s_cbranch_vccnz .LBB171_68
.LBB171_46:                             ;   in Loop: Header=BB171_12 Depth=1
	s_lshl_b32 s9, s104, 7
	s_and_saveexec_b32 s8, s2
	s_cbranch_execz .LBB171_48
.LBB171_47:                             ;   in Loop: Header=BB171_12 Depth=1
	v_lshl_add_u32 v2, s9, 3, v30
	ds_store_b128 v2, v[4:7]
	ds_store_b128 v2, v[8:11] offset:16
.LBB171_48:                             ;   in Loop: Header=BB171_12 Depth=1
	s_or_b32 exec_lo, exec_lo, s8
	s_wait_dscnt 0x0
	s_barrier_signal -1
	s_barrier_wait -1
	s_and_saveexec_b32 s10, s92
	s_cbranch_execz .LBB171_82
; %bb.49:                               ;   in Loop: Header=BB171_12 Depth=1
	v_mov_b64_e32 v[4:5], 0
	s_and_not1_b32 vcc_lo, exec_lo, s94
	s_cbranch_vccnz .LBB171_81
; %bb.50:                               ;   in Loop: Header=BB171_12 Depth=1
	v_mov_b64_e32 v[4:5], 0
	s_and_not1_b32 vcc_lo, exec_lo, s96
	s_cbranch_vccnz .LBB171_78
; %bb.51:                               ;   in Loop: Header=BB171_12 Depth=1
	v_lshl_add_u32 v2, s104, 10, v33
	s_mov_b32 s11, 0
.LBB171_52:                             ;   Parent Loop BB171_12 Depth=1
                                        ; =>  This Inner Loop Header: Depth=2
	ds_load_2addr_b64 v[6:9], v2 offset1:4
	ds_load_2addr_b64 v[24:27], v2 offset0:8 offset1:12
	s_add_co_i32 s11, s11, 8
	s_delay_alu instid0(SALU_CYCLE_1) | instskip(SKIP_2) | instid1(VALU_DEP_1)
	s_cmp_eq_u32 s97, s11
	s_wait_dscnt 0x1
	v_add_nc_u64_e32 v[4:5], v[6:7], v[4:5]
	v_add_nc_u64_e32 v[8:9], v[8:9], v[4:5]
	ds_load_2addr_b64 v[4:7], v2 offset0:16 offset1:20
	s_wait_dscnt 0x1
	v_add_nc_u64_e32 v[8:9], v[24:25], v[8:9]
	s_delay_alu instid0(VALU_DEP_1) | instskip(SKIP_4) | instid1(VALU_DEP_1)
	v_add_nc_u64_e32 v[24:25], v[26:27], v[8:9]
	ds_load_2addr_b64 v[8:11], v2 offset0:24 offset1:28
	v_add_nc_u32_e32 v2, 0x100, v2
	s_wait_dscnt 0x1
	v_add_nc_u64_e32 v[4:5], v[4:5], v[24:25]
	v_add_nc_u64_e32 v[4:5], v[6:7], v[4:5]
	s_wait_dscnt 0x0
	s_delay_alu instid0(VALU_DEP_1) | instskip(NEXT) | instid1(VALU_DEP_1)
	v_add_nc_u64_e32 v[4:5], v[8:9], v[4:5]
	v_add_nc_u64_e32 v[4:5], v[10:11], v[4:5]
	s_cbranch_scc0 .LBB171_52
; %bb.53:                               ;   in Loop: Header=BB171_12 Depth=1
	s_mov_b32 s11, s97
	s_and_not1_b32 vcc_lo, exec_lo, s98
	s_cbranch_vccz .LBB171_79
	s_branch .LBB171_81
.LBB171_54:                             ;   in Loop: Header=BB171_12 Depth=1
	global_load_u16 v2, v3, s[76:77]
	s_mov_b32 s19, s29
	s_wait_loadcnt 0x0
	v_readfirstlane_b32 s8, v2
	s_and_b32 s8, 0xffff, s8
	s_delay_alu instid0(SALU_CYCLE_1)
	s_lshl_b32 s18, s8, 2
	s_cmp_lg_u64 s[74:75], 0
	s_cbranch_scc0 .LBB171_77
; %bb.55:                               ;   in Loop: Header=BB171_12 Depth=1
	s_cvt_f32_u32 s8, s18
	s_sub_nc_u64 s[10:11], 0, s[18:19]
	s_delay_alu instid0(SALU_CYCLE_2) | instskip(NEXT) | instid1(SALU_CYCLE_3)
	s_fmamk_f32 s8, s100, 0x0, s8
	v_s_rcp_f32 s8, s8
	s_delay_alu instid0(TRANS32_DEP_1) | instskip(NEXT) | instid1(SALU_CYCLE_3)
	s_mul_f32 s8, s8, 0x5f7ffffc
	s_mul_f32 s9, s8, 0x2f800000
	s_delay_alu instid0(SALU_CYCLE_3) | instskip(NEXT) | instid1(SALU_CYCLE_3)
	s_trunc_f32 s9, s9
	s_fmamk_f32 s8, s9, 0xcf800000, s8
	s_cvt_u32_f32 s9, s9
	s_delay_alu instid0(SALU_CYCLE_2) | instskip(NEXT) | instid1(SALU_CYCLE_3)
	s_cvt_u32_f32 s8, s8
	s_mul_u64 s[12:13], s[10:11], s[8:9]
	s_delay_alu instid0(SALU_CYCLE_1)
	s_mul_hi_u32 s15, s8, s13
	s_mul_i32 s14, s8, s13
	s_mul_hi_u32 s28, s8, s12
	s_mul_i32 s17, s9, s12
	s_add_nc_u64 s[14:15], s[28:29], s[14:15]
	s_mul_hi_u32 s16, s9, s12
	s_mul_hi_u32 s20, s9, s13
	s_mul_i32 s12, s9, s13
	s_add_co_u32 s13, s14, s17
	s_add_co_ci_u32 s28, s15, s16
	s_add_co_ci_u32 s13, s20, 0
	s_delay_alu instid0(SALU_CYCLE_1) | instskip(NEXT) | instid1(SALU_CYCLE_1)
	s_add_nc_u64 s[12:13], s[28:29], s[12:13]
	s_add_co_u32 s8, s8, s12
	s_cselect_b32 s12, -1, 0
	s_delay_alu instid0(SALU_CYCLE_1) | instskip(SKIP_1) | instid1(SALU_CYCLE_1)
	s_cmp_lg_u32 s12, 0
	s_add_co_ci_u32 s9, s9, s13
	s_mul_u64 s[10:11], s[10:11], s[8:9]
	s_delay_alu instid0(SALU_CYCLE_1)
	s_mul_hi_u32 s13, s8, s11
	s_mul_i32 s12, s8, s11
	s_mul_hi_u32 s28, s8, s10
	s_mul_i32 s15, s9, s10
	s_add_nc_u64 s[12:13], s[28:29], s[12:13]
	s_mul_hi_u32 s14, s9, s10
	s_mul_hi_u32 s16, s9, s11
	s_mul_i32 s10, s9, s11
	s_add_co_u32 s11, s12, s15
	s_add_co_ci_u32 s28, s13, s14
	s_add_co_ci_u32 s11, s16, 0
	s_delay_alu instid0(SALU_CYCLE_1) | instskip(NEXT) | instid1(SALU_CYCLE_1)
	s_add_nc_u64 s[10:11], s[28:29], s[10:11]
	s_add_co_u32 s8, s8, s10
	s_cselect_b32 s10, -1, 0
	s_mul_hi_u32 s28, s36, s8
	s_cmp_lg_u32 s10, 0
	s_mul_hi_u32 s12, s37, s8
	s_add_co_ci_u32 s10, s9, s11
	s_mul_i32 s11, s37, s8
	s_mul_hi_u32 s9, s36, s10
	s_mul_i32 s8, s36, s10
	s_mul_hi_u32 s13, s37, s10
	s_add_nc_u64 s[8:9], s[28:29], s[8:9]
	s_mul_i32 s10, s37, s10
	s_add_co_u32 s8, s8, s11
	s_add_co_ci_u32 s28, s9, s12
	s_add_co_ci_u32 s11, s13, 0
	s_delay_alu instid0(SALU_CYCLE_1) | instskip(NEXT) | instid1(SALU_CYCLE_1)
	s_add_nc_u64 s[8:9], s[28:29], s[10:11]
	s_and_b64 s[10:11], s[8:9], 0xffffffff00000000
	s_delay_alu instid0(SALU_CYCLE_1) | instskip(NEXT) | instid1(SALU_CYCLE_1)
	s_or_b32 s10, s10, s8
	s_mul_u64 s[8:9], s[18:19], s[10:11]
	s_delay_alu instid0(SALU_CYCLE_1) | instskip(SKIP_1) | instid1(SALU_CYCLE_1)
	s_sub_co_u32 s8, s36, s8
	s_cselect_b32 s10, -1, 0
	s_cmp_lg_u32 s10, 0
	s_sub_co_ci_u32 s9, s37, s9
	s_sub_co_u32 s10, s8, s18
	s_cselect_b32 s11, -1, 0
	s_delay_alu instid0(SALU_CYCLE_1) | instskip(SKIP_3) | instid1(SALU_CYCLE_1)
	s_cmp_lg_u32 s11, 0
	s_sub_co_ci_u32 s11, s9, 0
	s_sub_co_u32 s12, s10, s18
	s_cselect_b32 s13, -1, 0
	s_cmp_lg_u32 s13, 0
	s_sub_co_ci_u32 s13, s11, 0
	s_cmp_ge_u32 s10, s18
	s_cselect_b32 s14, -1, 0
	s_cmp_eq_u32 s11, 0
	s_cselect_b32 s14, s14, -1
	s_delay_alu instid0(SALU_CYCLE_1)
	s_cmp_lg_u32 s14, 0
	s_cselect_b32 s11, s13, s11
	s_cselect_b32 s10, s12, s10
	s_cmp_ge_u32 s8, s18
	s_cselect_b32 s12, -1, 0
	s_cmp_eq_u32 s9, 0
	s_cselect_b32 s12, s12, -1
	s_delay_alu instid0(SALU_CYCLE_1)
	s_cmp_lg_u32 s12, 0
	s_cselect_b32 s11, s11, s9
	s_cselect_b32 s10, s10, s8
	s_cbranch_execnz .LBB171_57
.LBB171_56:                             ;   in Loop: Header=BB171_12 Depth=1
	v_cvt_f32_u32_e32 v4, s18
	s_sub_co_i32 s9, 0, s18
	s_delay_alu instid0(VALU_DEP_1) | instskip(SKIP_1) | instid1(TRANS32_DEP_1)
	v_rcp_iflag_f32_e32 v4, v4
	v_nop
	v_mul_f32_e32 v4, 0x4f7ffffe, v4
	s_delay_alu instid0(VALU_DEP_1) | instskip(NEXT) | instid1(VALU_DEP_1)
	v_cvt_u32_f32_e32 v4, v4
	v_readfirstlane_b32 s8, v4
	s_mul_i32 s9, s9, s8
	s_delay_alu instid0(SALU_CYCLE_1) | instskip(NEXT) | instid1(SALU_CYCLE_1)
	s_mul_hi_u32 s9, s8, s9
	s_add_co_i32 s8, s8, s9
	s_delay_alu instid0(SALU_CYCLE_1) | instskip(NEXT) | instid1(SALU_CYCLE_1)
	s_mul_hi_u32 s8, s36, s8
	s_mul_i32 s8, s8, s18
	s_delay_alu instid0(SALU_CYCLE_1) | instskip(NEXT) | instid1(SALU_CYCLE_1)
	s_sub_co_i32 s8, s36, s8
	s_sub_co_i32 s9, s8, s18
	s_cmp_ge_u32 s8, s18
	s_cselect_b32 s8, s9, s8
	s_delay_alu instid0(SALU_CYCLE_1) | instskip(SKIP_2) | instid1(SALU_CYCLE_1)
	s_sub_co_i32 s9, s8, s18
	s_cmp_ge_u32 s8, s18
	s_cselect_b32 s28, s9, s8
	s_mov_b64 s[10:11], s[28:29]
.LBB171_57:                             ;   in Loop: Header=BB171_12 Depth=1
	v_mov_b64_e32 v[4:5], 0
	v_mov_b64_e32 v[6:7], 0
	;; [unrolled: 1-line block ×4, first 2 shown]
	s_sub_nc_u64 s[20:21], s[36:37], s[10:11]
	s_mov_b32 s44, exec_lo
	s_wait_xcnt 0x0
	v_cmpx_gt_u64_e64 s[20:21], v[16:17]
	s_cbranch_execz .LBB171_61
; %bb.58:                               ;   in Loop: Header=BB171_12 Depth=1
	v_mov_b64_e32 v[24:25], v[16:17]
	s_mov_b64 s[22:23], 0
	s_mov_b32 s45, 0
	s_mov_b64 s[24:25], 0
	s_mov_b64 s[26:27], 0
	s_mov_b64 s[80:81], 0
.LBB171_59:                             ;   Parent Loop BB171_12 Depth=1
                                        ; =>  This Inner Loop Header: Depth=2
	s_delay_alu instid0(VALU_DEP_1) | instskip(SKIP_2) | instid1(VALU_DEP_1)
	v_mul_u64_e32 v[4:5], s[30:31], v[24:25]
	s_lshl_b64 s[8:9], s[30:31], 1
	v_add_nc_u64_e32 v[24:25], s[18:19], v[24:25]
	v_cmp_le_u64_e32 vcc_lo, s[20:21], v[24:25]
	s_delay_alu instid0(VALU_DEP_3)
	v_lshl_add_u64 v[4:5], v[4:5], 1, s[34:35]
	global_load_i16 v6, v[4:5], off
	s_wait_xcnt 0x0
	v_add_nc_u64_e32 v[4:5], s[8:9], v[4:5]
	global_load_i16 v7, v[4:5], off
	s_wait_xcnt 0x0
	v_add_nc_u64_e32 v[4:5], s[8:9], v[4:5]
	;; [unrolled: 3-line block ×3, first 2 shown]
	global_load_i16 v4, v[4:5], off
	s_wait_loadcnt 0x3
	s_wait_xcnt 0x0
	v_add_nc_u32_e32 v5, 0x8000, v6
	s_delay_alu instid0(VALU_DEP_1) | instskip(SKIP_3) | instid1(VALU_DEP_3)
	v_and_b32_e32 v6, v5, v34
	v_bfe_u32 v5, v5, s101, 2
	s_wait_loadcnt 0x2
	v_add_nc_u32_e32 v7, 0x8000, v7
	v_cmp_eq_u32_e64 s9, v6, v31
	s_delay_alu instid0(VALU_DEP_3)
	v_cmp_eq_u32_e64 s10, 0, v5
	v_cmp_eq_u32_e64 s11, 1, v5
	;; [unrolled: 1-line block ×4, first 2 shown]
	v_and_b32_e32 v5, v7, v34
	v_bfe_u32 v6, v7, s101, 2
	s_wait_loadcnt 0x1
	v_add_nc_u32_e32 v7, 0x8000, v8
	s_and_b32 s8, s9, s10
	s_and_b32 s10, s9, s11
	;; [unrolled: 1-line block ×4, first 2 shown]
	v_cndmask_b32_e64 v9, 0, 1, s10
	v_cndmask_b32_e64 v10, 0, 1, s11
	;; [unrolled: 1-line block ×3, first 2 shown]
	v_cmp_eq_u32_e64 s9, v5, v31
	v_cmp_eq_u32_e64 s10, 0, v6
	;; [unrolled: 1-line block ×5, first 2 shown]
	v_cndmask_b32_e64 v8, 0, 1, s8
	v_and_b32_e32 v5, v7, v34
	v_bfe_u32 v6, v7, s101, 2
	s_wait_loadcnt 0x0
	v_add_nc_u32_e32 v4, 0x8000, v4
	s_and_b32 s8, s9, s10
	s_and_b32 s10, s9, s11
	s_and_b32 s11, s9, s12
	s_and_b32 s9, s9, s13
	v_cmp_ne_u32_e64 s14, 0, v8
	v_cmp_ne_u32_e64 s15, 0, v9
	;; [unrolled: 1-line block ×3, first 2 shown]
	v_cndmask_b32_e64 v7, 0, 1, s8
	v_cndmask_b32_e64 v8, 0, 1, s10
	;; [unrolled: 1-line block ×4, first 2 shown]
	v_cmp_eq_u32_e64 s9, v5, v31
	v_cmp_eq_u32_e64 s10, 0, v6
	;; [unrolled: 1-line block ×5, first 2 shown]
	v_and_b32_e32 v5, v4, v34
	v_bfe_u32 v4, v4, s101, 2
	s_bcnt1_i32_b32 s8, s14
	v_cmp_ne_u32_e64 s14, 0, v7
	s_and_b32 s10, s9, s10
	s_and_b32 s11, s9, s11
	;; [unrolled: 1-line block ×4, first 2 shown]
	s_bcnt1_i32_b32 s28, s15
	s_bcnt1_i32_b32 s46, s16
	v_cmp_ne_u32_e64 s15, 0, v8
	v_cmp_ne_u32_e64 s16, 0, v9
	v_cndmask_b32_e64 v6, 0, 1, s10
	v_cndmask_b32_e64 v9, 0, 1, s9
	v_cmp_eq_u32_e64 s9, v5, v31
	v_cmp_eq_u32_e64 s10, 0, v4
	v_cndmask_b32_e64 v7, 0, 1, s11
	v_cmp_eq_u32_e64 s11, 1, v4
	v_cndmask_b32_e64 v8, 0, 1, s12
	v_cmp_eq_u32_e64 s12, 2, v4
	v_cmp_eq_u32_e64 s13, 3, v4
	s_bcnt1_i32_b32 s14, s14
	v_cmp_ne_u32_e64 s17, 0, v11
	s_bcnt1_i32_b32 s15, s15
	s_add_co_i32 s8, s14, s8
	v_cmp_ne_u32_e64 s14, 0, v6
	s_and_b32 s10, s9, s10
	s_bcnt1_i32_b32 s16, s16
	s_add_co_i32 s28, s15, s28
	v_cmp_ne_u32_e64 s15, 0, v7
	s_and_b32 s11, s9, s11
	v_cndmask_b32_e64 v4, 0, 1, s10
	s_and_b32 s12, s9, s12
	s_and_b32 s9, s9, s13
	s_bcnt1_i32_b32 s47, s17
	v_cmp_ne_u32_e64 s17, 0, v10
	s_add_co_i32 s46, s16, s46
	v_cmp_ne_u32_e64 s16, 0, v8
	v_cndmask_b32_e64 v5, 0, 1, s11
	v_cndmask_b32_e64 v7, 0, 1, s9
	s_bcnt1_i32_b32 s9, s14
	v_cndmask_b32_e64 v6, 0, 1, s12
	s_bcnt1_i32_b32 s10, s15
	s_add_co_i32 s8, s8, s9
	v_cmp_ne_u32_e64 s9, 0, v4
	s_bcnt1_i32_b32 s17, s17
	s_bcnt1_i32_b32 s11, s16
	s_add_co_i32 s14, s28, s10
	v_cmp_ne_u32_e64 s10, 0, v5
	s_add_co_i32 s47, s17, s47
	v_cmp_ne_u32_e64 s17, 0, v9
	;; [unrolled: 2-line block ×3, first 2 shown]
	s_bcnt1_i32_b32 s9, s9
	v_cmp_ne_u32_e64 s12, 0, v7
	s_bcnt1_i32_b32 s10, s10
	s_add_co_i32 s28, s8, s9
	s_bcnt1_i32_b32 s13, s17
	s_bcnt1_i32_b32 s11, s11
	s_add_nc_u64 s[80:81], s[80:81], s[28:29]
	s_add_co_i32 s28, s14, s10
	s_add_co_i32 s13, s47, s13
	s_bcnt1_i32_b32 s12, s12
	s_add_nc_u64 s[26:27], s[26:27], s[28:29]
	s_add_co_i32 s28, s15, s11
	v_mov_b64_e32 v[4:5], s[80:81]
	s_add_nc_u64 s[24:25], s[24:25], s[28:29]
	s_add_co_i32 s28, s13, s12
	v_mov_b64_e32 v[6:7], s[26:27]
	s_add_nc_u64 s[22:23], s[22:23], s[28:29]
	v_mov_b64_e32 v[8:9], s[24:25]
	v_mov_b64_e32 v[10:11], s[22:23]
	s_or_b32 s45, vcc_lo, s45
	s_delay_alu instid0(SALU_CYCLE_1)
	s_and_not1_b32 exec_lo, exec_lo, s45
	s_cbranch_execnz .LBB171_59
; %bb.60:                               ;   in Loop: Header=BB171_12 Depth=1
	s_or_b32 exec_lo, exec_lo, s45
.LBB171_61:                             ;   in Loop: Header=BB171_12 Depth=1
	s_delay_alu instid0(SALU_CYCLE_1) | instskip(SKIP_3) | instid1(VALU_DEP_2)
	s_or_b32 exec_lo, exec_lo, s44
	v_add_nc_u64_e32 v[24:25], s[20:21], v[0:1]
	v_and_b32_e32 v2, 0xffff, v2
	s_mov_b32 s12, exec_lo
	v_cmpx_gt_u64_e64 s[36:37], v[24:25]
	s_cbranch_execz .LBB171_67
; %bb.62:                               ;   in Loop: Header=BB171_12 Depth=1
	v_mul_u64_e32 v[26:27], s[30:31], v[24:25]
	s_mov_b32 s13, 0
	s_delay_alu instid0(VALU_DEP_1)
	v_lshl_add_u64 v[26:27], v[26:27], 1, s[34:35]
	global_load_u16 v27, v[26:27], off
	s_branch .LBB171_64
.LBB171_63:                             ;   in Loop: Header=BB171_64 Depth=2
	s_wait_xcnt 0x0
	s_or_b32 exec_lo, exec_lo, s8
	s_wait_loadcnt 0x0
	v_bfe_i32 v27, v27, 0, 16
	s_and_b32 s8, exec_lo, vcc_lo
	s_delay_alu instid0(SALU_CYCLE_1) | instskip(NEXT) | instid1(VALU_DEP_1)
	s_or_b32 s13, s8, s13
	v_add_nc_u32_e32 v27, 0x8000, v27
	s_delay_alu instid0(VALU_DEP_1) | instskip(SKIP_1) | instid1(VALU_DEP_2)
	v_and_b32_e32 v36, v27, v34
	v_bfe_u32 v27, v27, s101, 2
	v_cmp_eq_u32_e64 s9, v36, v31
	s_delay_alu instid0(VALU_DEP_2)
	v_cmp_eq_u32_e64 s10, 0, v27
	v_cmp_eq_u32_e32 vcc_lo, 1, v27
	s_and_b32 s8, s9, s10
	v_cmp_eq_u32_e64 s10, 2, v27
	v_cndmask_b32_e64 v36, 0, 1, s8
	s_and_b32 s8, s9, vcc_lo
	v_cmp_eq_u32_e32 vcc_lo, 3, v27
	v_cndmask_b32_e64 v37, 0, 1, s8
	s_and_b32 s8, s9, s10
	v_cmp_ne_u32_e64 s11, 0, v36
	v_cndmask_b32_e64 v27, 0, 1, s8
	s_and_b32 s8, s9, vcc_lo
	v_cmp_ne_u32_e64 s10, 0, v37
	v_cndmask_b32_e64 v36, 0, 1, s8
	s_bcnt1_i32_b32 s28, s11
	v_cmp_ne_u32_e32 vcc_lo, 0, v27
	v_add_nc_u64_e32 v[4:5], s[28:29], v[4:5]
	s_bcnt1_i32_b32 s28, s10
	v_cmp_ne_u32_e64 s9, 0, v36
	v_add_nc_u64_e32 v[6:7], s[28:29], v[6:7]
	s_bcnt1_i32_b32 s28, vcc_lo
	v_mov_b32_e32 v27, v26
	v_add_nc_u64_e32 v[8:9], s[28:29], v[8:9]
	s_bcnt1_i32_b32 s28, s9
	s_delay_alu instid0(SALU_CYCLE_1)
	v_add_nc_u64_e32 v[10:11], s[28:29], v[10:11]
	s_and_not1_b32 exec_lo, exec_lo, s13
	s_cbranch_execz .LBB171_66
.LBB171_64:                             ;   Parent Loop BB171_12 Depth=1
                                        ; =>  This Inner Loop Header: Depth=2
	v_add_nc_u64_e32 v[24:25], v[24:25], v[2:3]
	s_wait_xcnt 0x0
	v_mov_b32_e32 v26, 0
	s_mov_b32 s8, exec_lo
	s_delay_alu instid0(VALU_DEP_2)
	v_cmp_le_u64_e32 vcc_lo, s[36:37], v[24:25]
	v_cmpx_gt_u64_e64 s[36:37], v[24:25]
	s_cbranch_execz .LBB171_63
; %bb.65:                               ;   in Loop: Header=BB171_64 Depth=2
	v_mul_u64_e32 v[36:37], s[30:31], v[24:25]
	s_delay_alu instid0(VALU_DEP_1)
	v_lshl_add_u64 v[36:37], v[36:37], 1, s[34:35]
	global_load_u16 v26, v[36:37], off
	s_branch .LBB171_63
.LBB171_66:                             ;   in Loop: Header=BB171_12 Depth=1
	s_or_b32 exec_lo, exec_lo, s13
.LBB171_67:                             ;   in Loop: Header=BB171_12 Depth=1
	s_delay_alu instid0(SALU_CYCLE_1)
	s_or_b32 exec_lo, exec_lo, s12
	s_branch .LBB171_46
.LBB171_68:                             ;   in Loop: Header=BB171_12 Depth=1
	global_load_u16 v2, v3, s[76:77]
	s_mov_b32 s81, s29
	v_mov_b64_e32 v[6:7], 0
	v_mov_b64_e32 v[8:9], 0
	;; [unrolled: 1-line block ×3, first 2 shown]
	s_mov_b32 s45, exec_lo
	s_wait_loadcnt 0x0
	v_readfirstlane_b32 s8, v2
	v_and_b32_e32 v2, 0xffff, v2
	s_and_b32 s44, 0xffff, s8
	s_delay_alu instid0(SALU_CYCLE_1) | instskip(NEXT) | instid1(SALU_CYCLE_1)
	s_lshl_b32 s82, s44, 2
	s_cvt_f32_u32 s8, s82
	s_sub_co_i32 s9, 0, s82
	s_delay_alu instid0(SALU_CYCLE_2) | instskip(SKIP_1) | instid1(TRANS32_DEP_1)
	v_rcp_iflag_f32_e32 v4, s8
	v_nop
	v_readfirstlane_b32 s8, v4
	s_mul_f32 s8, s8, 0x4f7ffffe
	s_delay_alu instid0(SALU_CYCLE_3) | instskip(NEXT) | instid1(SALU_CYCLE_3)
	s_cvt_u32_f32 s8, s8
	s_mul_i32 s9, s9, s8
	s_delay_alu instid0(SALU_CYCLE_1) | instskip(NEXT) | instid1(SALU_CYCLE_1)
	s_mul_hi_u32 s9, s8, s9
	s_add_co_i32 s8, s8, s9
	s_delay_alu instid0(SALU_CYCLE_1) | instskip(NEXT) | instid1(SALU_CYCLE_1)
	s_mul_hi_u32 s8, s78, s8
	s_mul_i32 s9, s8, s82
	s_add_co_i32 s10, s8, 1
	s_sub_co_i32 s9, s78, s9
	s_delay_alu instid0(SALU_CYCLE_1)
	s_sub_co_i32 s11, s9, s82
	s_cmp_ge_u32 s9, s82
	s_cselect_b32 s8, s10, s8
	s_cselect_b32 s9, s11, s9
	s_add_co_i32 s10, s8, 1
	s_cmp_ge_u32 s9, s82
	s_cselect_b32 s80, s10, s8
	s_delay_alu instid0(SALU_CYCLE_1) | instskip(NEXT) | instid1(VALU_DEP_1)
	v_mul_u64_e32 v[4:5], s[80:81], v[2:3]
	v_lshlrev_b64_e32 v[24:25], 2, v[4:5]
	v_mov_b64_e32 v[4:5], 0
	s_wait_xcnt 0x0
	s_delay_alu instid0(VALU_DEP_2)
	v_cmpx_gt_u64_e64 v[24:25], v[16:17]
	s_cbranch_execz .LBB171_72
; %bb.69:                               ;   in Loop: Header=BB171_12 Depth=1
	v_mov_b64_e32 v[26:27], v[16:17]
	v_mov_b32_e32 v36, v32
	s_mov_b32 s83, s29
	s_lshl_b32 s46, s44, 3
	s_mov_b64 s[84:85], 0
	s_mov_b32 s47, 0
	s_mov_b64 s[86:87], 0
	s_mov_b64 s[88:89], 0
	;; [unrolled: 1-line block ×3, first 2 shown]
.LBB171_70:                             ;   Parent Loop BB171_12 Depth=1
                                        ; =>  This Inner Loop Header: Depth=2
	ds_load_b64 v[4:5], v36
	v_add_nc_u32_e32 v36, s46, v36
	v_add_nc_u64_e32 v[26:27], s[82:83], v[26:27]
	s_delay_alu instid0(VALU_DEP_1) | instskip(SKIP_4) | instid1(VALU_DEP_3)
	v_cmp_ge_u64_e32 vcc_lo, v[26:27], v[24:25]
	s_wait_dscnt 0x0
	v_bfe_i32 v6, v4, 0, 16
	v_bfe_i32 v7, v5, 0, 16
	v_ashrrev_i32_e32 v5, 16, v5
	v_add_nc_u32_e32 v6, 0x8000, v6
	v_ashrrev_i32_e32 v4, 16, v4
	s_delay_alu instid0(VALU_DEP_4) | instskip(NEXT) | instid1(VALU_DEP_4)
	v_add_nc_u32_e32 v7, 0x8000, v7
	v_add_nc_u32_e32 v5, 0x8000, v5
	s_delay_alu instid0(VALU_DEP_4) | instskip(NEXT) | instid1(VALU_DEP_4)
	v_and_b32_e32 v8, v6, v34
	v_add_nc_u32_e32 v4, 0x8000, v4
	v_bfe_u32 v6, v6, s101, 2
	v_and_b32_e32 v10, v7, v34
	v_and_b32_e32 v11, v5, v34
	v_bfe_u32 v7, v7, s101, 2
	v_and_b32_e32 v9, v4, v34
	v_bfe_u32 v4, v4, s101, 2
	v_bfe_u32 v5, v5, s101, 2
	v_cmp_eq_u32_e64 s9, v8, v31
	v_cmp_eq_u32_e64 s13, 0, v6
	;; [unrolled: 1-line block ×16, first 2 shown]
	s_and_b32 s8, s9, s13
	s_and_b32 s13, s10, s14
	v_cmp_eq_u32_e64 s23, 2, v7
	v_cmp_eq_u32_e64 s24, 2, v5
	;; [unrolled: 1-line block ×4, first 2 shown]
	s_and_b32 s14, s11, s15
	s_and_b32 s15, s12, s16
	;; [unrolled: 1-line block ×4, first 2 shown]
	v_cndmask_b32_e64 v4, 0, 1, s8
	v_cndmask_b32_e64 v5, 0, 1, s13
	s_and_b32 s18, s11, s19
	s_and_b32 s19, s12, s20
	;; [unrolled: 1-line block ×4, first 2 shown]
	v_cndmask_b32_e64 v6, 0, 1, s14
	v_cndmask_b32_e64 v7, 0, 1, s15
	;; [unrolled: 1-line block ×4, first 2 shown]
	s_and_b32 s9, s9, s25
	s_and_b32 s10, s10, s26
	s_and_b32 s22, s11, s23
	s_and_b32 s23, s12, s24
	v_cndmask_b32_e64 v10, 0, 1, s18
	v_cndmask_b32_e64 v11, 0, 1, s19
	;; [unrolled: 1-line block ×4, first 2 shown]
	s_and_b32 s11, s11, s27
	s_and_b32 s12, s12, s28
	v_cndmask_b32_e64 v41, 0, 1, s9
	v_cndmask_b32_e64 v42, 0, 1, s10
	v_cmp_ne_u32_e64 s9, 0, v4
	v_cmp_ne_u32_e64 s10, 0, v5
	v_cndmask_b32_e64 v39, 0, 1, s22
	v_cndmask_b32_e64 v40, 0, 1, s23
	;; [unrolled: 1-line block ×4, first 2 shown]
	v_cmp_ne_u32_e64 s11, 0, v6
	v_cmp_ne_u32_e64 s12, 0, v7
	;; [unrolled: 1-line block ×8, first 2 shown]
	s_bcnt1_i32_b32 s8, s9
	s_bcnt1_i32_b32 s9, s10
	v_cmp_ne_u32_e64 s19, 0, v39
	v_cmp_ne_u32_e64 s20, 0, v40
	;; [unrolled: 1-line block ×4, first 2 shown]
	s_bcnt1_i32_b32 s10, s11
	s_bcnt1_i32_b32 s11, s12
	;; [unrolled: 1-line block ×4, first 2 shown]
	s_add_co_i32 s8, s9, s8
	v_cmp_ne_u32_e64 s23, 0, v43
	s_bcnt1_i32_b32 s14, s15
	s_bcnt1_i32_b32 s15, s16
	;; [unrolled: 1-line block ×4, first 2 shown]
	s_add_co_i32 s9, s13, s12
	s_add_co_i32 s8, s8, s10
	v_cmp_ne_u32_e64 s24, 0, v44
	s_bcnt1_i32_b32 s18, s19
	s_bcnt1_i32_b32 s19, s20
	;; [unrolled: 1-line block ×4, first 2 shown]
	s_add_co_i32 s12, s17, s16
	s_add_co_i32 s9, s9, s14
	;; [unrolled: 1-line block ×3, first 2 shown]
	s_bcnt1_i32_b32 s22, s23
	s_add_co_i32 s13, s21, s20
	s_add_co_i32 s10, s12, s18
	s_add_nc_u64 s[90:91], s[90:91], s[28:29]
	s_add_co_i32 s28, s9, s15
	s_bcnt1_i32_b32 s23, s24
	s_add_co_i32 s12, s13, s22
	s_add_nc_u64 s[88:89], s[88:89], s[28:29]
	s_add_co_i32 s28, s10, s19
	v_mov_b64_e32 v[4:5], s[90:91]
	s_add_nc_u64 s[86:87], s[86:87], s[28:29]
	s_add_co_i32 s28, s12, s23
	v_mov_b64_e32 v[6:7], s[88:89]
	s_add_nc_u64 s[84:85], s[84:85], s[28:29]
	v_mov_b64_e32 v[8:9], s[86:87]
	v_mov_b64_e32 v[10:11], s[84:85]
	s_or_b32 s47, vcc_lo, s47
	s_delay_alu instid0(SALU_CYCLE_1)
	s_and_not1_b32 exec_lo, exec_lo, s47
	s_cbranch_execnz .LBB171_70
; %bb.71:                               ;   in Loop: Header=BB171_12 Depth=1
	s_or_b32 exec_lo, exec_lo, s47
.LBB171_72:                             ;   in Loop: Header=BB171_12 Depth=1
	s_delay_alu instid0(SALU_CYCLE_1) | instskip(SKIP_3) | instid1(VALU_DEP_1)
	s_or_b32 exec_lo, exec_lo, s45
	v_add_nc_u64_e32 v[24:25], v[24:25], v[0:1]
	s_and_b64 s[14:15], s[78:79], 0x7fffffff
	s_mov_b32 s16, exec_lo
	v_cmpx_gt_u64_e64 s[14:15], v[24:25]
	s_cbranch_execz .LBB171_76
; %bb.73:                               ;   in Loop: Header=BB171_12 Depth=1
	s_mul_i32 s8, s80, s44
	s_lshl_b32 s18, s44, 1
	v_lshl_add_u32 v26, s8, 3, v28
	s_mov_b32 s17, 0
.LBB171_74:                             ;   Parent Loop BB171_12 Depth=1
                                        ; =>  This Inner Loop Header: Depth=2
	ds_load_i16 v27, v26
	v_add_nc_u64_e32 v[24:25], v[24:25], v[2:3]
	v_add_nc_u32_e32 v26, s18, v26
	s_delay_alu instid0(VALU_DEP_2) | instskip(SKIP_2) | instid1(VALU_DEP_1)
	v_cmp_le_u64_e32 vcc_lo, s[14:15], v[24:25]
	s_wait_dscnt 0x0
	v_add_nc_u32_e32 v27, 0x8000, v27
	v_and_b32_e32 v36, v27, v34
	v_bfe_u32 v27, v27, s101, 2
	s_delay_alu instid0(VALU_DEP_2) | instskip(NEXT) | instid1(VALU_DEP_2)
	v_cmp_eq_u32_e64 s9, v36, v31
	v_cmp_eq_u32_e64 s10, 0, v27
	;; [unrolled: 1-line block ×5, first 2 shown]
	s_and_b32 s8, s9, s10
	s_delay_alu instid0(SALU_CYCLE_1) | instskip(SKIP_1) | instid1(SALU_CYCLE_1)
	v_cndmask_b32_e64 v27, 0, 1, s8
	s_and_b32 s8, s9, s11
	v_cndmask_b32_e64 v36, 0, 1, s8
	s_and_b32 s8, s9, s12
	s_delay_alu instid0(SALU_CYCLE_1)
	v_cndmask_b32_e64 v37, 0, 1, s8
	s_and_b32 s8, s9, s13
	v_cmp_ne_u32_e64 s9, 0, v27
	v_cndmask_b32_e64 v38, 0, 1, s8
	v_cmp_ne_u32_e64 s10, 0, v36
	v_cmp_ne_u32_e64 s11, 0, v37
	s_bcnt1_i32_b32 s28, s9
	v_cmp_ne_u32_e64 s12, 0, v38
	v_add_nc_u64_e32 v[4:5], s[28:29], v[4:5]
	s_bcnt1_i32_b32 s28, s10
	s_delay_alu instid0(SALU_CYCLE_1) | instskip(SKIP_1) | instid1(SALU_CYCLE_1)
	v_add_nc_u64_e32 v[6:7], s[28:29], v[6:7]
	s_bcnt1_i32_b32 s28, s11
	v_add_nc_u64_e32 v[8:9], s[28:29], v[8:9]
	s_bcnt1_i32_b32 s28, s12
	s_or_b32 s17, vcc_lo, s17
	v_add_nc_u64_e32 v[10:11], s[28:29], v[10:11]
	s_and_not1_b32 exec_lo, exec_lo, s17
	s_cbranch_execnz .LBB171_74
; %bb.75:                               ;   in Loop: Header=BB171_12 Depth=1
	s_or_b32 exec_lo, exec_lo, s17
.LBB171_76:                             ;   in Loop: Header=BB171_12 Depth=1
	s_delay_alu instid0(SALU_CYCLE_1)
	s_or_b32 exec_lo, exec_lo, s16
	s_lshl_b32 s9, s104, 7
	s_and_saveexec_b32 s8, s2
	s_cbranch_execnz .LBB171_47
	s_branch .LBB171_48
.LBB171_77:                             ;   in Loop: Header=BB171_12 Depth=1
                                        ; implicit-def: $sgpr10_sgpr11
	s_branch .LBB171_56
.LBB171_78:                             ;   in Loop: Header=BB171_12 Depth=1
	s_mov_b32 s11, 0
	s_and_not1_b32 vcc_lo, exec_lo, s98
	s_cbranch_vccnz .LBB171_81
.LBB171_79:                             ;   in Loop: Header=BB171_12 Depth=1
	s_lshl_b32 s8, s104, 10
	s_lshl_b32 s11, s11, 5
	s_delay_alu instid0(SALU_CYCLE_1)
	v_add3_u32 v2, s8, s11, v33
	s_mov_b32 s8, s95
.LBB171_80:                             ;   Parent Loop BB171_12 Depth=1
                                        ; =>  This Inner Loop Header: Depth=2
	ds_load_b64 v[6:7], v2
	v_add_nc_u32_e32 v2, 32, v2
	s_add_co_i32 s8, s8, -1
	s_delay_alu instid0(SALU_CYCLE_1)
	s_cmp_lg_u32 s8, 0
	s_wait_dscnt 0x0
	v_add_nc_u64_e32 v[4:5], v[6:7], v[4:5]
	s_cbranch_scc1 .LBB171_80
.LBB171_81:                             ;   in Loop: Header=BB171_12 Depth=1
	v_add_lshl_u32 v2, s9, v13, 3
	ds_store_b64 v2, v[4:5] offset:3072
.LBB171_82:                             ;   in Loop: Header=BB171_12 Depth=1
	s_or_b32 exec_lo, exec_lo, s10
	s_lshl_b32 s8, s9, 3
	s_wait_dscnt 0x0
	v_mov_b32_e32 v2, s8
	s_barrier_signal -1
	s_barrier_wait -1
	v_cmp_eq_u64_e64 s9, 1, v[22:23]
	ds_load_b128 v[4:7], v2 offset:3072
	ds_load_b128 v[8:11], v2 offset:3088
	s_lshl_b32 s24, 3, s101
	s_mov_b32 s81, -1
	s_not_b32 s26, s24
	s_mov_b32 s25, 0
	s_and_not1_b32 vcc_lo, exec_lo, s93
	s_mov_b32 s78, 0
	s_mov_b32 s27, 0
                                        ; implicit-def: $sgpr79
                                        ; implicit-def: $sgpr80
                                        ; implicit-def: $vgpr2
	s_wait_dscnt 0x1
	v_readfirstlane_b32 s13, v5
	v_readfirstlane_b32 s12, v4
	;; [unrolled: 1-line block ×4, first 2 shown]
	s_wait_dscnt 0x0
	v_readfirstlane_b32 s17, v9
	v_readfirstlane_b32 s16, v8
	;; [unrolled: 1-line block ×4, first 2 shown]
                                        ; implicit-def: $vgpr4_vgpr5
                                        ; implicit-def: $vgpr8
                                        ; implicit-def: $vgpr9
                                        ; implicit-def: $vgpr10
	s_cbranch_vccnz .LBB171_277
; %bb.83:                               ;   in Loop: Header=BB171_12 Depth=1
	s_cmp_eq_u64 s[12:13], 1
	v_dual_mov_b32 v8, v31 :: v_dual_mov_b32 v9, v34
	v_mov_b32_e32 v10, v35
	s_cselect_b32 s8, -1, 0
	s_mov_b32 s10, -1
	s_and_b32 s83, s8, s9
                                        ; implicit-def: $sgpr80
                                        ; implicit-def: $sgpr79
	s_delay_alu instid0(SALU_CYCLE_1)
	s_and_saveexec_b32 s27, s83
	s_cbranch_execz .LBB171_118
; %bb.84:                               ;   in Loop: Header=BB171_12 Depth=1
	ds_load_b64 v[4:5], v3 offset:5120
	s_wait_dscnt 0x0
	s_barrier_signal -1
	s_barrier_wait -1
	v_readfirstlane_b32 s10, v4
	v_readfirstlane_b32 s11, v5
	s_and_saveexec_b32 s8, s6
; %bb.85:                               ;   in Loop: Header=BB171_12 Depth=1
	ds_store_b16 v29, v3
; %bb.86:                               ;   in Loop: Header=BB171_12 Depth=1
	s_or_b32 exec_lo, exec_lo, s8
	v_and_b32_e32 v8, s26, v31
	v_or_b32_e32 v9, s24, v34
	s_mov_b32 s79, -1
	s_mov_b32 s80, 0
	s_cmp_eq_u64 s[10:11], 0
	s_mov_b32 s22, 0
	s_mov_b32 s23, -1
	s_wait_dscnt 0x0
	s_barrier_signal -1
	s_barrier_wait -1
                                        ; implicit-def: $vgpr10
	s_cbranch_scc1 .LBB171_103
; %bb.87:                               ;   in Loop: Header=BB171_12 Depth=1
	s_add_nc_u64 s[20:21], s[10:11], s[64:65]
	s_delay_alu instid0(SALU_CYCLE_1) | instskip(NEXT) | instid1(SALU_CYCLE_1)
	s_and_b64 s[22:23], s[20:21], 0xffffffff00000000
	s_cmp_lg_u64 s[22:23], 0
	s_cbranch_scc0 .LBB171_144
; %bb.88:                               ;   in Loop: Header=BB171_12 Depth=1
	s_cvt_f32_u32 s7, s48
	s_sub_nc_u64 s[44:45], 0, s[48:49]
	s_delay_alu instid0(SALU_CYCLE_2) | instskip(NEXT) | instid1(SALU_CYCLE_3)
	s_fmamk_f32 s7, s100, 0x0, s7
	v_s_rcp_f32 s7, s7
	s_delay_alu instid0(TRANS32_DEP_1) | instskip(NEXT) | instid1(SALU_CYCLE_3)
	s_mul_f32 s7, s7, 0x5f7ffffc
	s_mul_f32 s8, s7, 0x2f800000
	s_delay_alu instid0(SALU_CYCLE_3) | instskip(NEXT) | instid1(SALU_CYCLE_3)
	s_trunc_f32 s8, s8
	s_fmamk_f32 s7, s8, 0xcf800000, s7
	s_cvt_u32_f32 s23, s8
	s_delay_alu instid0(SALU_CYCLE_2) | instskip(NEXT) | instid1(SALU_CYCLE_3)
	s_cvt_u32_f32 s22, s7
	s_mul_u64 s[46:47], s[44:45], s[22:23]
	s_delay_alu instid0(SALU_CYCLE_1)
	s_mul_hi_u32 s53, s22, s47
	s_mul_i32 s52, s22, s47
	s_mul_hi_u32 s28, s22, s46
	s_mul_i32 s8, s23, s46
	s_add_nc_u64 s[52:53], s[28:29], s[52:53]
	s_mul_hi_u32 s7, s23, s46
	s_mul_hi_u32 s54, s23, s47
	s_add_co_u32 s8, s52, s8
	s_add_co_ci_u32 s28, s53, s7
	s_mul_i32 s46, s23, s47
	s_add_co_ci_u32 s47, s54, 0
	s_delay_alu instid0(SALU_CYCLE_1) | instskip(NEXT) | instid1(SALU_CYCLE_1)
	s_add_nc_u64 s[46:47], s[28:29], s[46:47]
	s_add_co_u32 s22, s22, s46
	s_cselect_b32 s7, -1, 0
	s_delay_alu instid0(SALU_CYCLE_1) | instskip(SKIP_1) | instid1(SALU_CYCLE_1)
	s_cmp_lg_u32 s7, 0
	s_add_co_ci_u32 s23, s23, s47
	s_mul_u64 s[44:45], s[44:45], s[22:23]
	s_delay_alu instid0(SALU_CYCLE_1)
	s_mul_hi_u32 s47, s22, s45
	s_mul_i32 s46, s22, s45
	s_mul_hi_u32 s28, s22, s44
	s_mul_i32 s8, s23, s44
	s_add_nc_u64 s[46:47], s[28:29], s[46:47]
	s_mul_hi_u32 s7, s23, s44
	s_mul_hi_u32 s52, s23, s45
	s_add_co_u32 s8, s46, s8
	s_add_co_ci_u32 s28, s47, s7
	s_mul_i32 s44, s23, s45
	s_add_co_ci_u32 s45, s52, 0
	s_delay_alu instid0(SALU_CYCLE_1) | instskip(NEXT) | instid1(SALU_CYCLE_1)
	s_add_nc_u64 s[44:45], s[28:29], s[44:45]
	s_add_co_u32 s7, s22, s44
	s_cselect_b32 s8, -1, 0
	s_mul_hi_u32 s28, s20, s7
	s_cmp_lg_u32 s8, 0
	s_mul_hi_u32 s8, s21, s7
	s_add_co_ci_u32 s44, s23, s45
	s_mul_i32 s7, s21, s7
	s_mul_hi_u32 s23, s20, s44
	s_mul_i32 s22, s20, s44
	s_mul_hi_u32 s45, s21, s44
	s_add_nc_u64 s[22:23], s[28:29], s[22:23]
	s_mul_i32 s44, s21, s44
	s_add_co_u32 s7, s22, s7
	s_add_co_ci_u32 s28, s23, s8
	s_add_co_ci_u32 s45, s45, 0
	s_delay_alu instid0(SALU_CYCLE_1) | instskip(NEXT) | instid1(SALU_CYCLE_1)
	s_add_nc_u64 s[22:23], s[28:29], s[44:45]
	s_and_b64 s[44:45], s[22:23], 0xffffffff00000000
	s_delay_alu instid0(SALU_CYCLE_1) | instskip(NEXT) | instid1(SALU_CYCLE_1)
	s_or_b32 s44, s44, s22
	s_mul_u64 s[22:23], s[48:49], s[44:45]
	s_delay_alu instid0(SALU_CYCLE_1) | instskip(SKIP_1) | instid1(SALU_CYCLE_1)
	s_sub_co_u32 s7, s20, s22
	s_cselect_b32 s8, -1, 0
	s_cmp_lg_u32 s8, 0
	s_sub_co_ci_u32 s8, s21, s23
	s_sub_co_u32 s22, s7, s48
	s_cselect_b32 s23, -1, 0
	s_delay_alu instid0(SALU_CYCLE_1) | instskip(SKIP_3) | instid1(SALU_CYCLE_1)
	s_cmp_lg_u32 s23, 0
	s_sub_co_ci_u32 s23, s8, 0
	s_sub_co_u32 s28, s22, s48
	s_cselect_b32 s44, -1, 0
	s_cmp_lg_u32 s44, 0
	s_sub_co_ci_u32 s44, s23, 0
	s_cmp_ge_u32 s22, s48
	s_cselect_b32 s45, -1, 0
	s_cmp_eq_u32 s23, 0
	s_cselect_b32 s45, s45, -1
	s_delay_alu instid0(SALU_CYCLE_1)
	s_cmp_lg_u32 s45, 0
	s_cselect_b32 s23, s44, s23
	s_cselect_b32 s22, s28, s22
	s_cmp_ge_u32 s7, s48
	s_cselect_b32 s28, -1, 0
	s_cmp_eq_u32 s8, 0
	s_cselect_b32 s28, s28, -1
	s_delay_alu instid0(SALU_CYCLE_1)
	s_cmp_lg_u32 s28, 0
	s_cselect_b32 s23, s23, s8
	s_cselect_b32 s22, s22, s7
	s_cbranch_execnz .LBB171_90
.LBB171_89:                             ;   in Loop: Header=BB171_12 Depth=1
	v_cvt_f32_u32_e32 v2, s48
	s_sub_co_i32 s8, 0, s48
	s_delay_alu instid0(VALU_DEP_1) | instskip(SKIP_1) | instid1(TRANS32_DEP_1)
	v_rcp_iflag_f32_e32 v2, v2
	v_nop
	v_mul_f32_e32 v2, 0x4f7ffffe, v2
	s_delay_alu instid0(VALU_DEP_1) | instskip(NEXT) | instid1(VALU_DEP_1)
	v_cvt_u32_f32_e32 v2, v2
	v_readfirstlane_b32 s7, v2
	s_mul_i32 s8, s8, s7
	s_delay_alu instid0(SALU_CYCLE_1) | instskip(NEXT) | instid1(SALU_CYCLE_1)
	s_mul_hi_u32 s8, s7, s8
	s_add_co_i32 s7, s7, s8
	s_delay_alu instid0(SALU_CYCLE_1) | instskip(NEXT) | instid1(SALU_CYCLE_1)
	s_mul_hi_u32 s7, s20, s7
	s_mul_i32 s7, s7, s48
	s_delay_alu instid0(SALU_CYCLE_1) | instskip(NEXT) | instid1(SALU_CYCLE_1)
	s_sub_co_i32 s7, s20, s7
	s_sub_co_i32 s8, s7, s48
	s_cmp_ge_u32 s7, s48
	s_cselect_b32 s7, s8, s7
	s_delay_alu instid0(SALU_CYCLE_1) | instskip(SKIP_2) | instid1(SALU_CYCLE_1)
	s_sub_co_i32 s8, s7, s48
	s_cmp_ge_u32 s7, s48
	s_cselect_b32 s28, s8, s7
	s_mov_b64 s[22:23], s[28:29]
.LBB171_90:                             ;   in Loop: Header=BB171_12 Depth=1
	s_delay_alu instid0(SALU_CYCLE_1)
	s_sub_nc_u64 s[20:21], s[20:21], s[22:23]
	s_mov_b32 s23, 0
	s_mov_b32 s22, 0
	s_mov_b32 s28, exec_lo
                                        ; implicit-def: $vgpr10
	v_cmpx_gt_u64_e64 s[20:21], v[0:1]
	s_cbranch_execz .LBB171_102
; %bb.91:                               ;   in Loop: Header=BB171_12 Depth=1
	v_mov_b64_e32 v[4:5], v[0:1]
	v_mov_b32_e32 v2, v28
                                        ; implicit-def: $sgpr44
	s_branch .LBB171_94
.LBB171_92:                             ;   in Loop: Header=BB171_94 Depth=2
	s_or_b32 exec_lo, exec_lo, s45
	s_wait_dscnt 0x0
	s_barrier_signal -1
	s_barrier_wait -1
	ds_load_b32 v6, v3 offset:3072
	s_mov_b32 s45, -1
	s_mov_b32 s46, -1
	s_wait_dscnt 0x0
	s_barrier_signal -1
	s_barrier_wait -1
	v_and_b32_e32 v7, 0xffff, v6
	s_delay_alu instid0(VALU_DEP_1)
	v_cmp_ne_u32_e32 vcc_lo, 0, v7
	s_cbranch_vccz .LBB171_97
.LBB171_93:                             ;   in Loop: Header=BB171_94 Depth=2
	s_and_b32 s7, exec_lo, s45
	s_delay_alu instid0(SALU_CYCLE_1) | instskip(SKIP_2) | instid1(SALU_CYCLE_1)
	s_or_b32 s22, s7, s22
	s_and_not1_b32 s7, s44, exec_lo
	s_and_b32 s8, s46, exec_lo
	s_or_b32 s44, s7, s8
	s_and_not1_b32 exec_lo, exec_lo, s22
	s_cbranch_execz .LBB171_101
.LBB171_94:                             ;   Parent Loop BB171_12 Depth=1
                                        ; =>  This Inner Loop Header: Depth=2
	s_mov_b32 s45, exec_lo
	s_delay_alu instid0(VALU_DEP_2)
	v_cmpx_gt_u64_e64 s[10:11], v[4:5]
	s_cbranch_execz .LBB171_92
; %bb.95:                               ;   in Loop: Header=BB171_94 Depth=2
	ds_load_u16 v6, v2
	s_wait_dscnt 0x0
	v_bfe_i32 v7, v6, 0, 16
	s_delay_alu instid0(VALU_DEP_1) | instskip(NEXT) | instid1(VALU_DEP_1)
	v_add_nc_u32_e32 v7, 0x8000, v7
	v_and_b32_e32 v7, v7, v9
	s_delay_alu instid0(VALU_DEP_1)
	v_cmp_eq_u32_e32 vcc_lo, v7, v8
	s_and_b32 exec_lo, exec_lo, vcc_lo
	s_cbranch_execz .LBB171_92
; %bb.96:                               ;   in Loop: Header=BB171_94 Depth=2
	v_perm_b32 v6, v6, 1, 0x5040100
	ds_store_b32 v3, v6 offset:3072
	s_branch .LBB171_92
.LBB171_97:                             ;   in Loop: Header=BB171_94 Depth=2
	v_add_nc_u64_e32 v[4:5], s[48:49], v[4:5]
	v_add_nc_u32_e32 v2, s99, v2
	s_mov_b32 s46, 0
	s_delay_alu instid0(VALU_DEP_2)
	v_cmp_le_u64_e32 vcc_lo, s[20:21], v[4:5]
	s_or_not1_b32 s45, vcc_lo, exec_lo
	s_branch .LBB171_93
.LBB171_98:                             ;   in Loop: Header=BB171_12 Depth=1
	s_or_b32 exec_lo, exec_lo, s12
	s_wait_dscnt 0x0
	s_barrier_signal -1
	s_barrier_wait -1
	s_and_saveexec_b32 s8, s5
	s_cbranch_execz .LBB171_100
; %bb.99:                               ;   in Loop: Header=BB171_12 Depth=1
	ds_load_b32 v4, v3 offset:5144
	s_wait_dscnt 0x0
	v_ashrrev_i32_e32 v5, 31, v4
	ds_store_b64 v3, v[4:5] offset:5120
.LBB171_100:                            ;   in Loop: Header=BB171_12 Depth=1
	s_or_b32 exec_lo, exec_lo, s8
	s_wait_dscnt 0x0
	s_barrier_signal -1
	s_mov_b32 s9, -1
	s_barrier_wait -1
	s_and_b32 vcc_lo, exec_lo, s11
	s_cbranch_vccnz .LBB171_27
	s_branch .LBB171_42
.LBB171_101:                            ;   in Loop: Header=BB171_12 Depth=1
	s_or_b32 exec_lo, exec_lo, s22
	v_lshrrev_b32_e32 v10, 16, v6
	s_and_b32 s22, s44, exec_lo
.LBB171_102:                            ;   in Loop: Header=BB171_12 Depth=1
	s_or_b32 exec_lo, exec_lo, s28
.LBB171_103:                            ;   in Loop: Header=BB171_12 Depth=1
	s_delay_alu instid0(SALU_CYCLE_1)
	s_and_b32 vcc_lo, exec_lo, s23
	s_cbranch_vccz .LBB171_117
; %bb.104:                              ;   in Loop: Header=BB171_12 Depth=1
	s_and_b64 s[10:11], s[66:67], 0xffffffff00000000
	s_delay_alu instid0(SALU_CYCLE_1)
	s_cmp_lg_u64 s[10:11], 0
	s_cbranch_scc0 .LBB171_145
; %bb.105:                              ;   in Loop: Header=BB171_12 Depth=1
	s_cvt_f32_u32 s7, s48
	s_sub_nc_u64 s[20:21], 0, s[48:49]
	s_delay_alu instid0(SALU_CYCLE_2) | instskip(NEXT) | instid1(SALU_CYCLE_3)
	s_fmamk_f32 s7, s100, 0x0, s7
	v_s_rcp_f32 s7, s7
	s_delay_alu instid0(TRANS32_DEP_1) | instskip(NEXT) | instid1(SALU_CYCLE_3)
	s_mul_f32 s7, s7, 0x5f7ffffc
	s_mul_f32 s8, s7, 0x2f800000
	s_delay_alu instid0(SALU_CYCLE_3) | instskip(NEXT) | instid1(SALU_CYCLE_3)
	s_trunc_f32 s8, s8
	s_fmamk_f32 s7, s8, 0xcf800000, s7
	s_cvt_u32_f32 s11, s8
	s_delay_alu instid0(SALU_CYCLE_2) | instskip(NEXT) | instid1(SALU_CYCLE_3)
	s_cvt_u32_f32 s10, s7
	s_mul_u64 s[44:45], s[20:21], s[10:11]
	s_delay_alu instid0(SALU_CYCLE_1)
	s_mul_hi_u32 s47, s10, s45
	s_mul_i32 s46, s10, s45
	s_mul_hi_u32 s28, s10, s44
	s_mul_i32 s8, s11, s44
	s_add_nc_u64 s[46:47], s[28:29], s[46:47]
	s_mul_hi_u32 s7, s11, s44
	s_mul_hi_u32 s23, s11, s45
	s_add_co_u32 s8, s46, s8
	s_add_co_ci_u32 s28, s47, s7
	s_mul_i32 s44, s11, s45
	s_add_co_ci_u32 s45, s23, 0
	s_delay_alu instid0(SALU_CYCLE_1) | instskip(NEXT) | instid1(SALU_CYCLE_1)
	s_add_nc_u64 s[44:45], s[28:29], s[44:45]
	s_add_co_u32 s10, s10, s44
	s_cselect_b32 s7, -1, 0
	s_delay_alu instid0(SALU_CYCLE_1) | instskip(SKIP_1) | instid1(SALU_CYCLE_1)
	s_cmp_lg_u32 s7, 0
	s_add_co_ci_u32 s11, s11, s45
	s_mul_u64 s[20:21], s[20:21], s[10:11]
	s_delay_alu instid0(SALU_CYCLE_1)
	s_mul_hi_u32 s45, s10, s21
	s_mul_i32 s44, s10, s21
	s_mul_hi_u32 s28, s10, s20
	s_mul_i32 s8, s11, s20
	s_add_nc_u64 s[44:45], s[28:29], s[44:45]
	s_mul_hi_u32 s7, s11, s20
	s_mul_hi_u32 s23, s11, s21
	s_add_co_u32 s8, s44, s8
	s_add_co_ci_u32 s28, s45, s7
	s_mul_i32 s20, s11, s21
	s_add_co_ci_u32 s21, s23, 0
	s_delay_alu instid0(SALU_CYCLE_1) | instskip(NEXT) | instid1(SALU_CYCLE_1)
	s_add_nc_u64 s[20:21], s[28:29], s[20:21]
	s_add_co_u32 s7, s10, s20
	s_cselect_b32 s8, -1, 0
	s_mul_hi_u32 s28, s66, s7
	s_cmp_lg_u32 s8, 0
	s_mul_hi_u32 s8, s67, s7
	s_add_co_ci_u32 s20, s11, s21
	s_mul_i32 s7, s67, s7
	s_mul_hi_u32 s11, s66, s20
	s_mul_i32 s10, s66, s20
	s_mul_hi_u32 s21, s67, s20
	s_add_nc_u64 s[10:11], s[28:29], s[10:11]
	s_mul_i32 s20, s67, s20
	s_add_co_u32 s7, s10, s7
	s_add_co_ci_u32 s28, s11, s8
	s_add_co_ci_u32 s21, s21, 0
	s_delay_alu instid0(SALU_CYCLE_1) | instskip(NEXT) | instid1(SALU_CYCLE_1)
	s_add_nc_u64 s[10:11], s[28:29], s[20:21]
	s_and_b64 s[20:21], s[10:11], 0xffffffff00000000
	s_delay_alu instid0(SALU_CYCLE_1) | instskip(NEXT) | instid1(SALU_CYCLE_1)
	s_or_b32 s20, s20, s10
	s_mul_u64 s[10:11], s[48:49], s[20:21]
	s_delay_alu instid0(SALU_CYCLE_1) | instskip(SKIP_1) | instid1(SALU_CYCLE_1)
	s_sub_co_u32 s7, s66, s10
	s_cselect_b32 s8, -1, 0
	s_cmp_lg_u32 s8, 0
	s_sub_co_ci_u32 s8, s67, s11
	s_sub_co_u32 s10, s7, s48
	s_cselect_b32 s11, -1, 0
	s_delay_alu instid0(SALU_CYCLE_1) | instskip(SKIP_3) | instid1(SALU_CYCLE_1)
	s_cmp_lg_u32 s11, 0
	s_sub_co_ci_u32 s11, s8, 0
	s_sub_co_u32 s20, s10, s48
	s_cselect_b32 s21, -1, 0
	s_cmp_lg_u32 s21, 0
	s_sub_co_ci_u32 s21, s11, 0
	s_cmp_ge_u32 s10, s48
	s_cselect_b32 s23, -1, 0
	s_cmp_eq_u32 s11, 0
	s_cselect_b32 s23, s23, -1
	s_delay_alu instid0(SALU_CYCLE_1)
	s_cmp_lg_u32 s23, 0
	s_cselect_b32 s11, s21, s11
	s_cselect_b32 s10, s20, s10
	s_cmp_ge_u32 s7, s48
	s_cselect_b32 s20, -1, 0
	s_cmp_eq_u32 s8, 0
	s_cselect_b32 s20, s20, -1
	s_delay_alu instid0(SALU_CYCLE_1)
	s_cmp_lg_u32 s20, 0
	s_cselect_b32 s11, s11, s8
	s_cselect_b32 s10, s10, s7
	s_cbranch_execnz .LBB171_107
.LBB171_106:                            ;   in Loop: Header=BB171_12 Depth=1
	v_cvt_f32_u32_e32 v2, s48
	s_sub_co_i32 s8, 0, s48
	s_delay_alu instid0(VALU_DEP_1) | instskip(SKIP_1) | instid1(TRANS32_DEP_1)
	v_rcp_iflag_f32_e32 v2, v2
	v_nop
	v_mul_f32_e32 v2, 0x4f7ffffe, v2
	s_delay_alu instid0(VALU_DEP_1) | instskip(NEXT) | instid1(VALU_DEP_1)
	v_cvt_u32_f32_e32 v2, v2
	v_readfirstlane_b32 s7, v2
	s_mul_i32 s8, s8, s7
	s_delay_alu instid0(SALU_CYCLE_1) | instskip(NEXT) | instid1(SALU_CYCLE_1)
	s_mul_hi_u32 s8, s7, s8
	s_add_co_i32 s7, s7, s8
	s_delay_alu instid0(SALU_CYCLE_1) | instskip(NEXT) | instid1(SALU_CYCLE_1)
	s_mul_hi_u32 s7, s66, s7
	s_mul_i32 s7, s7, s48
	s_delay_alu instid0(SALU_CYCLE_1) | instskip(NEXT) | instid1(SALU_CYCLE_1)
	s_sub_co_i32 s7, s66, s7
	s_sub_co_i32 s8, s7, s48
	s_cmp_ge_u32 s7, s48
	s_cselect_b32 s7, s8, s7
	s_delay_alu instid0(SALU_CYCLE_1) | instskip(SKIP_2) | instid1(SALU_CYCLE_1)
	s_sub_co_i32 s8, s7, s48
	s_cmp_ge_u32 s7, s48
	s_cselect_b32 s28, s8, s7
	s_mov_b64 s[10:11], s[28:29]
.LBB171_107:                            ;   in Loop: Header=BB171_12 Depth=1
	s_delay_alu instid0(SALU_CYCLE_1)
	s_sub_nc_u64 s[10:11], s[66:67], s[10:11]
	s_mov_b32 s20, exec_lo
                                        ; implicit-def: $vgpr10
	v_cmpx_gt_u64_e64 s[10:11], v[0:1]
	s_cbranch_execz .LBB171_116
; %bb.108:                              ;   in Loop: Header=BB171_12 Depth=1
	v_mov_b64_e32 v[4:5], v[0:1]
	s_mov_b32 s21, 0
                                        ; implicit-def: $sgpr23
	s_branch .LBB171_111
.LBB171_109:                            ;   in Loop: Header=BB171_111 Depth=2
	s_or_b32 exec_lo, exec_lo, s28
	s_wait_dscnt 0x0
	s_barrier_signal -1
	s_barrier_wait -1
	ds_load_b32 v2, v3 offset:3072
	s_mov_b32 s28, -1
	s_mov_b32 s8, -1
	s_wait_dscnt 0x0
	s_barrier_signal -1
	s_barrier_wait -1
	v_and_b32_e32 v6, 0xffff, v2
	s_delay_alu instid0(VALU_DEP_1)
	v_cmp_ne_u32_e32 vcc_lo, 0, v6
	s_cbranch_vccz .LBB171_114
.LBB171_110:                            ;   in Loop: Header=BB171_111 Depth=2
	s_and_b32 s7, exec_lo, s28
	s_delay_alu instid0(SALU_CYCLE_1) | instskip(SKIP_2) | instid1(SALU_CYCLE_1)
	s_or_b32 s21, s7, s21
	s_and_not1_b32 s7, s23, exec_lo
	s_and_b32 s8, s8, exec_lo
	s_or_b32 s23, s7, s8
	s_and_not1_b32 exec_lo, exec_lo, s21
	s_cbranch_execz .LBB171_115
.LBB171_111:                            ;   Parent Loop BB171_12 Depth=1
                                        ; =>  This Inner Loop Header: Depth=2
	s_mov_b32 s28, exec_lo
	s_delay_alu instid0(VALU_DEP_1)
	v_cmpx_gt_u64_e64 s[36:37], v[4:5]
	s_cbranch_execz .LBB171_109
; %bb.112:                              ;   in Loop: Header=BB171_111 Depth=2
	v_mul_u64_e32 v[6:7], s[30:31], v[4:5]
	s_delay_alu instid0(VALU_DEP_1) | instskip(SKIP_4) | instid1(VALU_DEP_1)
	v_lshl_add_u64 v[6:7], v[6:7], 1, s[34:35]
	global_load_u16 v2, v[6:7], off
	s_wait_loadcnt 0x0
	s_wait_xcnt 0x0
	v_bfe_i32 v6, v2, 0, 16
	v_add_nc_u32_e32 v6, 0x8000, v6
	s_delay_alu instid0(VALU_DEP_1) | instskip(NEXT) | instid1(VALU_DEP_1)
	v_and_b32_e32 v6, v6, v9
	v_cmp_eq_u32_e32 vcc_lo, v6, v8
	s_and_b32 exec_lo, exec_lo, vcc_lo
	s_cbranch_execz .LBB171_109
; %bb.113:                              ;   in Loop: Header=BB171_111 Depth=2
	v_perm_b32 v2, v2, 1, 0x5040100
	ds_store_b32 v3, v2 offset:3072
	s_branch .LBB171_109
.LBB171_114:                            ;   in Loop: Header=BB171_111 Depth=2
	v_add_nc_u64_e32 v[4:5], s[48:49], v[4:5]
	s_mov_b32 s8, 0
	s_delay_alu instid0(VALU_DEP_1)
	v_cmp_le_u64_e32 vcc_lo, s[10:11], v[4:5]
	s_or_not1_b32 s28, vcc_lo, exec_lo
	s_branch .LBB171_110
.LBB171_115:                            ;   in Loop: Header=BB171_12 Depth=1
	s_or_b32 exec_lo, exec_lo, s21
	v_lshrrev_b32_e32 v10, 16, v2
	s_and_not1_b32 s7, s22, exec_lo
	s_and_b32 s8, s23, exec_lo
	s_delay_alu instid0(SALU_CYCLE_1)
	s_or_b32 s22, s7, s8
.LBB171_116:                            ;   in Loop: Header=BB171_12 Depth=1
	s_or_b32 exec_lo, exec_lo, s20
	s_mov_b32 s79, 0
	s_mov_b32 s80, -1
.LBB171_117:                            ;   in Loop: Header=BB171_12 Depth=1
	s_or_not1_b32 s10, s22, exec_lo
.LBB171_118:                            ;   in Loop: Header=BB171_12 Depth=1
	s_or_b32 exec_lo, exec_lo, s27
	s_mov_b32 s81, 0
	s_mov_b32 s78, 0
	s_mov_b32 s27, 0
                                        ; implicit-def: $vgpr4_vgpr5
                                        ; implicit-def: $vgpr2
	s_and_saveexec_b32 s82, s10
	s_cbranch_execz .LBB171_276
; %bb.119:                              ;   in Loop: Header=BB171_12 Depth=1
	v_mov_b64_e32 v[4:5], 1
	v_mov_b32_e32 v2, 1
	s_xor_b32 s7, s83, -1
	s_mov_b32 s11, 0
	s_and_saveexec_b32 s10, s7
	s_cbranch_execz .LBB171_128
; %bb.120:                              ;   in Loop: Header=BB171_12 Depth=1
	s_mov_b32 s7, exec_lo
	v_cmpx_ge_u64_e64 s[12:13], v[22:23]
	s_xor_b32 s11, exec_lo, s7
	s_cbranch_execz .LBB171_125
; %bb.121:                              ;   in Loop: Header=BB171_12 Depth=1
	ds_load_b64 v[4:5], v3 offset:5120
	v_and_b32_e32 v8, s26, v8
	v_or_b32_e32 v9, s24, v9
	s_wait_dscnt 0x0
	v_cmp_ne_u64_e32 vcc_lo, 0, v[4:5]
	s_cbranch_vccnz .LBB171_125
; %bb.122:                              ;   in Loop: Header=BB171_12 Depth=1
	s_and_saveexec_b32 s8, s5
; %bb.123:                              ;   in Loop: Header=BB171_12 Depth=1
	v_mov_b64_e32 v[4:5], s[12:13]
	ds_store_b64 v3, v[4:5] offset:5128
; %bb.124:                              ;   in Loop: Header=BB171_12 Depth=1
	s_or_b32 exec_lo, exec_lo, s8
	s_wait_dscnt 0x0
	s_barrier_signal -1
	s_barrier_wait -1
.LBB171_125:                            ;   in Loop: Header=BB171_12 Depth=1
	s_or_saveexec_b32 s11, s11
	v_mov_b64_e32 v[4:5], v[22:23]
	v_mov_b32_e32 v2, 8
	s_mov_b32 s20, 0
	s_xor_b32 exec_lo, exec_lo, s11
; %bb.126:                              ;   in Loop: Header=BB171_12 Depth=1
	v_sub_nc_u64_e64 v[4:5], v[22:23], s[12:13]
	v_mov_b32_e32 v2, 0
	s_mov_b32 s20, exec_lo
; %bb.127:                              ;   in Loop: Header=BB171_12 Depth=1
	s_or_b32 exec_lo, exec_lo, s11
	s_delay_alu instid0(SALU_CYCLE_1)
	s_and_b32 s11, s20, exec_lo
.LBB171_128:                            ;   in Loop: Header=BB171_12 Depth=1
	s_or_b32 exec_lo, exec_lo, s10
	s_mov_b32 s10, -1
                                        ; implicit-def: $sgpr78
                                        ; implicit-def: $sgpr83
	s_and_saveexec_b32 s7, s11
	s_delay_alu instid0(SALU_CYCLE_1)
	s_xor_b32 s27, exec_lo, s7
	s_cbranch_execz .LBB171_273
; %bb.129:                              ;   in Loop: Header=BB171_12 Depth=1
	v_cmp_eq_u64_e32 vcc_lo, 1, v[4:5]
	s_cmp_eq_u64 s[14:15], 1
                                        ; implicit-def: $sgpr83
                                        ; implicit-def: $sgpr78
	s_cselect_b32 s8, -1, 0
	s_delay_alu instid0(SALU_CYCLE_1) | instskip(NEXT) | instid1(SALU_CYCLE_1)
	s_and_b32 s85, s8, vcc_lo
	s_and_saveexec_b32 s84, s85
	s_cbranch_execz .LBB171_163
; %bb.130:                              ;   in Loop: Header=BB171_12 Depth=1
	ds_load_b64 v[6:7], v3 offset:5120
	s_wait_dscnt 0x0
	s_barrier_signal -1
	s_barrier_wait -1
	v_readfirstlane_b32 s10, v6
	v_readfirstlane_b32 s11, v7
	s_and_saveexec_b32 s8, s6
; %bb.131:                              ;   in Loop: Header=BB171_12 Depth=1
	ds_store_b16 v29, v3
; %bb.132:                              ;   in Loop: Header=BB171_12 Depth=1
	s_or_b32 exec_lo, exec_lo, s8
	s_lshl_b32 s8, 1, s101
	v_or_b32_e32 v9, s24, v9
	v_and_or_b32 v8, v8, s26, s8
	s_mov_b32 s78, -1
	s_mov_b32 s83, 0
	s_cmp_eq_u64 s[10:11], 0
	s_mov_b32 s22, 0
	s_mov_b32 s23, -1
	s_wait_dscnt 0x0
	s_barrier_signal -1
	s_barrier_wait -1
                                        ; implicit-def: $vgpr10
	s_cbranch_scc1 .LBB171_148
; %bb.133:                              ;   in Loop: Header=BB171_12 Depth=1
	s_add_nc_u64 s[20:21], s[10:11], s[64:65]
	s_delay_alu instid0(SALU_CYCLE_1) | instskip(NEXT) | instid1(SALU_CYCLE_1)
	s_and_b64 s[22:23], s[20:21], 0xffffffff00000000
	s_cmp_lg_u64 s[22:23], 0
	s_cbranch_scc0 .LBB171_189
; %bb.134:                              ;   in Loop: Header=BB171_12 Depth=1
	s_cvt_f32_u32 s8, s48
	s_sub_nc_u64 s[44:45], 0, s[48:49]
	s_delay_alu instid0(SALU_CYCLE_2) | instskip(NEXT) | instid1(SALU_CYCLE_3)
	s_fmamk_f32 s8, s100, 0x0, s8
	v_s_rcp_f32 s8, s8
	s_delay_alu instid0(TRANS32_DEP_1) | instskip(NEXT) | instid1(SALU_CYCLE_3)
	s_mul_f32 s8, s8, 0x5f7ffffc
	s_mul_f32 s22, s8, 0x2f800000
	s_delay_alu instid0(SALU_CYCLE_3) | instskip(NEXT) | instid1(SALU_CYCLE_3)
	s_trunc_f32 s22, s22
	s_fmamk_f32 s8, s22, 0xcf800000, s8
	s_cvt_u32_f32 s23, s22
	s_delay_alu instid0(SALU_CYCLE_2) | instskip(NEXT) | instid1(SALU_CYCLE_3)
	s_cvt_u32_f32 s22, s8
	s_mul_u64 s[46:47], s[44:45], s[22:23]
	s_delay_alu instid0(SALU_CYCLE_1)
	s_mul_hi_u32 s87, s22, s47
	s_mul_i32 s86, s22, s47
	s_mul_hi_u32 s28, s22, s46
	s_mul_i32 s52, s23, s46
	s_add_nc_u64 s[86:87], s[28:29], s[86:87]
	s_mul_hi_u32 s8, s23, s46
	s_mul_hi_u32 s53, s23, s47
	s_add_co_u32 s28, s86, s52
	s_add_co_ci_u32 s28, s87, s8
	s_mul_i32 s46, s23, s47
	s_add_co_ci_u32 s47, s53, 0
	s_delay_alu instid0(SALU_CYCLE_1) | instskip(NEXT) | instid1(SALU_CYCLE_1)
	s_add_nc_u64 s[46:47], s[28:29], s[46:47]
	s_add_co_u32 s22, s22, s46
	s_cselect_b32 s8, -1, 0
	s_delay_alu instid0(SALU_CYCLE_1) | instskip(SKIP_1) | instid1(SALU_CYCLE_1)
	s_cmp_lg_u32 s8, 0
	s_add_co_ci_u32 s23, s23, s47
	s_mul_u64 s[44:45], s[44:45], s[22:23]
	s_delay_alu instid0(SALU_CYCLE_1)
	s_mul_hi_u32 s47, s22, s45
	s_mul_i32 s46, s22, s45
	s_mul_hi_u32 s28, s22, s44
	s_mul_i32 s52, s23, s44
	s_add_nc_u64 s[46:47], s[28:29], s[46:47]
	s_mul_hi_u32 s8, s23, s44
	s_mul_hi_u32 s53, s23, s45
	s_add_co_u32 s28, s46, s52
	s_add_co_ci_u32 s28, s47, s8
	s_mul_i32 s44, s23, s45
	s_add_co_ci_u32 s45, s53, 0
	s_delay_alu instid0(SALU_CYCLE_1) | instskip(NEXT) | instid1(SALU_CYCLE_1)
	s_add_nc_u64 s[44:45], s[28:29], s[44:45]
	s_add_co_u32 s8, s22, s44
	s_cselect_b32 s22, -1, 0
	s_mul_hi_u32 s28, s20, s8
	s_cmp_lg_u32 s22, 0
	s_mul_hi_u32 s46, s21, s8
	s_add_co_ci_u32 s44, s23, s45
	s_mul_i32 s8, s21, s8
	s_mul_hi_u32 s23, s20, s44
	s_mul_i32 s22, s20, s44
	s_mul_hi_u32 s45, s21, s44
	s_add_nc_u64 s[22:23], s[28:29], s[22:23]
	s_mul_i32 s44, s21, s44
	s_add_co_u32 s8, s22, s8
	s_add_co_ci_u32 s28, s23, s46
	s_add_co_ci_u32 s45, s45, 0
	s_delay_alu instid0(SALU_CYCLE_1) | instskip(NEXT) | instid1(SALU_CYCLE_1)
	s_add_nc_u64 s[22:23], s[28:29], s[44:45]
	s_and_b64 s[44:45], s[22:23], 0xffffffff00000000
	s_delay_alu instid0(SALU_CYCLE_1) | instskip(NEXT) | instid1(SALU_CYCLE_1)
	s_or_b32 s44, s44, s22
	s_mul_u64 s[22:23], s[48:49], s[44:45]
	s_delay_alu instid0(SALU_CYCLE_1) | instskip(SKIP_1) | instid1(SALU_CYCLE_1)
	s_sub_co_u32 s8, s20, s22
	s_cselect_b32 s22, -1, 0
	s_cmp_lg_u32 s22, 0
	s_sub_co_ci_u32 s22, s21, s23
	s_sub_co_u32 s23, s8, s48
	s_cselect_b32 s28, -1, 0
	s_delay_alu instid0(SALU_CYCLE_1) | instskip(SKIP_3) | instid1(SALU_CYCLE_1)
	s_cmp_lg_u32 s28, 0
	s_sub_co_ci_u32 s28, s22, 0
	s_sub_co_u32 s44, s23, s48
	s_cselect_b32 s45, -1, 0
	s_cmp_lg_u32 s45, 0
	s_sub_co_ci_u32 s45, s28, 0
	s_cmp_ge_u32 s23, s48
	s_cselect_b32 s46, -1, 0
	s_cmp_eq_u32 s28, 0
	s_cselect_b32 s46, s46, -1
	s_delay_alu instid0(SALU_CYCLE_1)
	s_cmp_lg_u32 s46, 0
	s_cselect_b32 s28, s45, s28
	s_cselect_b32 s44, s44, s23
	s_cmp_ge_u32 s8, s48
	s_cselect_b32 s23, -1, 0
	s_cmp_eq_u32 s22, 0
	s_cselect_b32 s23, s23, -1
	s_delay_alu instid0(SALU_CYCLE_1)
	s_cmp_lg_u32 s23, 0
	s_cselect_b32 s23, s28, s22
	s_cselect_b32 s22, s44, s8
	s_cbranch_execnz .LBB171_136
.LBB171_135:                            ;   in Loop: Header=BB171_12 Depth=1
	v_cvt_f32_u32_e32 v6, s48
	s_sub_co_i32 s22, 0, s48
	s_delay_alu instid0(VALU_DEP_1) | instskip(SKIP_1) | instid1(TRANS32_DEP_1)
	v_rcp_iflag_f32_e32 v6, v6
	v_nop
	v_mul_f32_e32 v6, 0x4f7ffffe, v6
	s_delay_alu instid0(VALU_DEP_1) | instskip(NEXT) | instid1(VALU_DEP_1)
	v_cvt_u32_f32_e32 v6, v6
	v_readfirstlane_b32 s8, v6
	s_mul_i32 s22, s22, s8
	s_delay_alu instid0(SALU_CYCLE_1) | instskip(NEXT) | instid1(SALU_CYCLE_1)
	s_mul_hi_u32 s22, s8, s22
	s_add_co_i32 s8, s8, s22
	s_delay_alu instid0(SALU_CYCLE_1) | instskip(NEXT) | instid1(SALU_CYCLE_1)
	s_mul_hi_u32 s8, s20, s8
	s_mul_i32 s8, s8, s48
	s_delay_alu instid0(SALU_CYCLE_1) | instskip(NEXT) | instid1(SALU_CYCLE_1)
	s_sub_co_i32 s8, s20, s8
	s_sub_co_i32 s22, s8, s48
	s_cmp_ge_u32 s8, s48
	s_cselect_b32 s8, s22, s8
	s_delay_alu instid0(SALU_CYCLE_1) | instskip(SKIP_2) | instid1(SALU_CYCLE_1)
	s_sub_co_i32 s22, s8, s48
	s_cmp_ge_u32 s8, s48
	s_cselect_b32 s28, s22, s8
	s_mov_b64 s[22:23], s[28:29]
.LBB171_136:                            ;   in Loop: Header=BB171_12 Depth=1
	s_delay_alu instid0(SALU_CYCLE_1)
	s_sub_nc_u64 s[20:21], s[20:21], s[22:23]
	s_mov_b32 s23, 0
	s_mov_b32 s22, 0
	s_mov_b32 s28, exec_lo
                                        ; implicit-def: $vgpr10
	v_cmpx_gt_u64_e64 s[20:21], v[0:1]
	s_cbranch_execz .LBB171_147
; %bb.137:                              ;   in Loop: Header=BB171_12 Depth=1
	v_mov_b64_e32 v[6:7], v[0:1]
	v_mov_b32_e32 v10, v28
                                        ; implicit-def: $sgpr44
	s_branch .LBB171_140
.LBB171_138:                            ;   in Loop: Header=BB171_140 Depth=2
	s_or_b32 exec_lo, exec_lo, s45
	s_wait_dscnt 0x0
	s_barrier_signal -1
	s_barrier_wait -1
	ds_load_b32 v11, v3 offset:3072
	s_mov_b32 s45, -1
	s_mov_b32 s46, -1
	s_wait_dscnt 0x0
	s_barrier_signal -1
	s_barrier_wait -1
	v_and_b32_e32 v24, 0xffff, v11
	s_delay_alu instid0(VALU_DEP_1)
	v_cmp_ne_u32_e32 vcc_lo, 0, v24
	s_cbranch_vccz .LBB171_143
.LBB171_139:                            ;   in Loop: Header=BB171_140 Depth=2
	s_and_b32 s7, exec_lo, s45
	s_delay_alu instid0(SALU_CYCLE_1) | instskip(SKIP_2) | instid1(SALU_CYCLE_1)
	s_or_b32 s22, s7, s22
	s_and_not1_b32 s7, s44, exec_lo
	s_and_b32 s8, s46, exec_lo
	s_or_b32 s44, s7, s8
	s_and_not1_b32 exec_lo, exec_lo, s22
	s_cbranch_execz .LBB171_146
.LBB171_140:                            ;   Parent Loop BB171_12 Depth=1
                                        ; =>  This Inner Loop Header: Depth=2
	s_mov_b32 s45, exec_lo
	s_delay_alu instid0(VALU_DEP_2)
	v_cmpx_gt_u64_e64 s[10:11], v[6:7]
	s_cbranch_execz .LBB171_138
; %bb.141:                              ;   in Loop: Header=BB171_140 Depth=2
	ds_load_u16 v11, v10
	s_wait_dscnt 0x0
	v_bfe_i32 v24, v11, 0, 16
	s_delay_alu instid0(VALU_DEP_1) | instskip(NEXT) | instid1(VALU_DEP_1)
	v_add_nc_u32_e32 v24, 0x8000, v24
	v_and_b32_e32 v24, v24, v9
	s_delay_alu instid0(VALU_DEP_1)
	v_cmp_eq_u32_e32 vcc_lo, v24, v8
	s_and_b32 exec_lo, exec_lo, vcc_lo
	s_cbranch_execz .LBB171_138
; %bb.142:                              ;   in Loop: Header=BB171_140 Depth=2
	v_perm_b32 v11, v11, 1, 0x5040100
	ds_store_b32 v3, v11 offset:3072
	s_branch .LBB171_138
.LBB171_143:                            ;   in Loop: Header=BB171_140 Depth=2
	v_add_nc_u64_e32 v[6:7], s[48:49], v[6:7]
	v_add_nc_u32_e32 v10, s99, v10
	s_mov_b32 s46, 0
	s_delay_alu instid0(VALU_DEP_2)
	v_cmp_le_u64_e32 vcc_lo, s[20:21], v[6:7]
	s_or_not1_b32 s45, vcc_lo, exec_lo
	s_branch .LBB171_139
.LBB171_144:                            ;   in Loop: Header=BB171_12 Depth=1
                                        ; implicit-def: $sgpr22_sgpr23
	s_branch .LBB171_89
.LBB171_145:                            ;   in Loop: Header=BB171_12 Depth=1
                                        ; implicit-def: $sgpr10_sgpr11
	s_branch .LBB171_106
.LBB171_146:                            ;   in Loop: Header=BB171_12 Depth=1
	s_or_b32 exec_lo, exec_lo, s22
	v_lshrrev_b32_e32 v10, 16, v11
	s_and_b32 s22, s44, exec_lo
.LBB171_147:                            ;   in Loop: Header=BB171_12 Depth=1
	s_or_b32 exec_lo, exec_lo, s28
.LBB171_148:                            ;   in Loop: Header=BB171_12 Depth=1
	s_delay_alu instid0(SALU_CYCLE_1)
	s_and_b32 vcc_lo, exec_lo, s23
	s_cbranch_vccz .LBB171_162
; %bb.149:                              ;   in Loop: Header=BB171_12 Depth=1
	s_and_b64 s[10:11], s[66:67], 0xffffffff00000000
	s_delay_alu instid0(SALU_CYCLE_1)
	s_cmp_lg_u64 s[10:11], 0
	s_cbranch_scc0 .LBB171_190
; %bb.150:                              ;   in Loop: Header=BB171_12 Depth=1
	s_cvt_f32_u32 s8, s48
	s_sub_nc_u64 s[20:21], 0, s[48:49]
	s_delay_alu instid0(SALU_CYCLE_2) | instskip(NEXT) | instid1(SALU_CYCLE_3)
	s_fmamk_f32 s8, s100, 0x0, s8
	v_s_rcp_f32 s8, s8
	s_delay_alu instid0(TRANS32_DEP_1) | instskip(NEXT) | instid1(SALU_CYCLE_3)
	s_mul_f32 s8, s8, 0x5f7ffffc
	s_mul_f32 s10, s8, 0x2f800000
	s_delay_alu instid0(SALU_CYCLE_3) | instskip(NEXT) | instid1(SALU_CYCLE_3)
	s_trunc_f32 s10, s10
	s_fmamk_f32 s8, s10, 0xcf800000, s8
	s_cvt_u32_f32 s11, s10
	s_delay_alu instid0(SALU_CYCLE_2) | instskip(NEXT) | instid1(SALU_CYCLE_3)
	s_cvt_u32_f32 s10, s8
	s_mul_u64 s[44:45], s[20:21], s[10:11]
	s_delay_alu instid0(SALU_CYCLE_1)
	s_mul_hi_u32 s47, s10, s45
	s_mul_i32 s46, s10, s45
	s_mul_hi_u32 s28, s10, s44
	s_mul_i32 s23, s11, s44
	s_add_nc_u64 s[46:47], s[28:29], s[46:47]
	s_mul_hi_u32 s8, s11, s44
	s_mul_hi_u32 s52, s11, s45
	s_add_co_u32 s23, s46, s23
	s_add_co_ci_u32 s28, s47, s8
	s_mul_i32 s44, s11, s45
	s_add_co_ci_u32 s45, s52, 0
	s_delay_alu instid0(SALU_CYCLE_1) | instskip(NEXT) | instid1(SALU_CYCLE_1)
	s_add_nc_u64 s[44:45], s[28:29], s[44:45]
	s_add_co_u32 s10, s10, s44
	s_cselect_b32 s8, -1, 0
	s_delay_alu instid0(SALU_CYCLE_1) | instskip(SKIP_1) | instid1(SALU_CYCLE_1)
	s_cmp_lg_u32 s8, 0
	s_add_co_ci_u32 s11, s11, s45
	s_mul_u64 s[20:21], s[20:21], s[10:11]
	s_delay_alu instid0(SALU_CYCLE_1)
	s_mul_hi_u32 s45, s10, s21
	s_mul_i32 s44, s10, s21
	s_mul_hi_u32 s28, s10, s20
	s_mul_i32 s23, s11, s20
	s_add_nc_u64 s[44:45], s[28:29], s[44:45]
	s_mul_hi_u32 s8, s11, s20
	s_mul_hi_u32 s46, s11, s21
	s_mul_i32 s20, s11, s21
	s_add_co_u32 s21, s44, s23
	s_add_co_ci_u32 s28, s45, s8
	s_add_co_ci_u32 s21, s46, 0
	s_delay_alu instid0(SALU_CYCLE_1) | instskip(NEXT) | instid1(SALU_CYCLE_1)
	s_add_nc_u64 s[20:21], s[28:29], s[20:21]
	s_add_co_u32 s8, s10, s20
	s_cselect_b32 s10, -1, 0
	s_mul_hi_u32 s28, s66, s8
	s_cmp_lg_u32 s10, 0
	s_mul_hi_u32 s23, s67, s8
	s_add_co_ci_u32 s20, s11, s21
	s_mul_i32 s8, s67, s8
	s_mul_hi_u32 s11, s66, s20
	s_mul_i32 s10, s66, s20
	s_mul_hi_u32 s21, s67, s20
	s_add_nc_u64 s[10:11], s[28:29], s[10:11]
	s_mul_i32 s20, s67, s20
	s_add_co_u32 s8, s10, s8
	s_add_co_ci_u32 s28, s11, s23
	s_add_co_ci_u32 s21, s21, 0
	s_delay_alu instid0(SALU_CYCLE_1) | instskip(NEXT) | instid1(SALU_CYCLE_1)
	s_add_nc_u64 s[10:11], s[28:29], s[20:21]
	s_and_b64 s[20:21], s[10:11], 0xffffffff00000000
	s_delay_alu instid0(SALU_CYCLE_1) | instskip(NEXT) | instid1(SALU_CYCLE_1)
	s_or_b32 s20, s20, s10
	s_mul_u64 s[10:11], s[48:49], s[20:21]
	s_delay_alu instid0(SALU_CYCLE_1) | instskip(SKIP_1) | instid1(SALU_CYCLE_1)
	s_sub_co_u32 s8, s66, s10
	s_cselect_b32 s10, -1, 0
	s_cmp_lg_u32 s10, 0
	s_sub_co_ci_u32 s10, s67, s11
	s_sub_co_u32 s11, s8, s48
	s_cselect_b32 s20, -1, 0
	s_delay_alu instid0(SALU_CYCLE_1) | instskip(SKIP_3) | instid1(SALU_CYCLE_1)
	s_cmp_lg_u32 s20, 0
	s_sub_co_ci_u32 s20, s10, 0
	s_sub_co_u32 s21, s11, s48
	s_cselect_b32 s23, -1, 0
	s_cmp_lg_u32 s23, 0
	s_sub_co_ci_u32 s23, s20, 0
	s_cmp_ge_u32 s11, s48
	s_cselect_b32 s28, -1, 0
	s_cmp_eq_u32 s20, 0
	s_cselect_b32 s28, s28, -1
	s_delay_alu instid0(SALU_CYCLE_1)
	s_cmp_lg_u32 s28, 0
	s_cselect_b32 s20, s23, s20
	s_cselect_b32 s21, s21, s11
	s_cmp_ge_u32 s8, s48
	s_cselect_b32 s11, -1, 0
	s_cmp_eq_u32 s10, 0
	s_cselect_b32 s11, s11, -1
	s_delay_alu instid0(SALU_CYCLE_1)
	s_cmp_lg_u32 s11, 0
	s_cselect_b32 s11, s20, s10
	s_cselect_b32 s10, s21, s8
	s_cbranch_execnz .LBB171_152
.LBB171_151:                            ;   in Loop: Header=BB171_12 Depth=1
	v_cvt_f32_u32_e32 v6, s48
	s_sub_co_i32 s10, 0, s48
	s_delay_alu instid0(VALU_DEP_1) | instskip(SKIP_1) | instid1(TRANS32_DEP_1)
	v_rcp_iflag_f32_e32 v6, v6
	v_nop
	v_mul_f32_e32 v6, 0x4f7ffffe, v6
	s_delay_alu instid0(VALU_DEP_1) | instskip(NEXT) | instid1(VALU_DEP_1)
	v_cvt_u32_f32_e32 v6, v6
	v_readfirstlane_b32 s8, v6
	s_mul_i32 s10, s10, s8
	s_delay_alu instid0(SALU_CYCLE_1) | instskip(NEXT) | instid1(SALU_CYCLE_1)
	s_mul_hi_u32 s10, s8, s10
	s_add_co_i32 s8, s8, s10
	s_delay_alu instid0(SALU_CYCLE_1) | instskip(NEXT) | instid1(SALU_CYCLE_1)
	s_mul_hi_u32 s8, s66, s8
	s_mul_i32 s8, s8, s48
	s_delay_alu instid0(SALU_CYCLE_1) | instskip(NEXT) | instid1(SALU_CYCLE_1)
	s_sub_co_i32 s8, s66, s8
	s_sub_co_i32 s10, s8, s48
	s_cmp_ge_u32 s8, s48
	s_cselect_b32 s8, s10, s8
	s_delay_alu instid0(SALU_CYCLE_1) | instskip(SKIP_2) | instid1(SALU_CYCLE_1)
	s_sub_co_i32 s10, s8, s48
	s_cmp_ge_u32 s8, s48
	s_cselect_b32 s28, s10, s8
	s_mov_b64 s[10:11], s[28:29]
.LBB171_152:                            ;   in Loop: Header=BB171_12 Depth=1
	s_delay_alu instid0(SALU_CYCLE_1)
	s_sub_nc_u64 s[10:11], s[66:67], s[10:11]
	s_mov_b32 s20, exec_lo
                                        ; implicit-def: $vgpr10
	v_cmpx_gt_u64_e64 s[10:11], v[0:1]
	s_cbranch_execz .LBB171_161
; %bb.153:                              ;   in Loop: Header=BB171_12 Depth=1
	v_mov_b64_e32 v[6:7], v[0:1]
	s_mov_b32 s21, 0
                                        ; implicit-def: $sgpr23
	s_branch .LBB171_156
.LBB171_154:                            ;   in Loop: Header=BB171_156 Depth=2
	s_or_b32 exec_lo, exec_lo, s28
	s_wait_dscnt 0x0
	s_barrier_signal -1
	s_barrier_wait -1
	ds_load_b32 v10, v3 offset:3072
	s_mov_b32 s28, -1
	s_mov_b32 s8, -1
	s_wait_dscnt 0x0
	s_barrier_signal -1
	s_barrier_wait -1
	v_and_b32_e32 v11, 0xffff, v10
	s_delay_alu instid0(VALU_DEP_1)
	v_cmp_eq_u32_e32 vcc_lo, 0, v11
	s_cbranch_vccnz .LBB171_159
.LBB171_155:                            ;   in Loop: Header=BB171_156 Depth=2
	s_and_b32 s7, exec_lo, s28
	s_delay_alu instid0(SALU_CYCLE_1) | instskip(SKIP_2) | instid1(SALU_CYCLE_1)
	s_or_b32 s21, s7, s21
	s_and_not1_b32 s7, s23, exec_lo
	s_and_b32 s8, s8, exec_lo
	s_or_b32 s23, s7, s8
	s_and_not1_b32 exec_lo, exec_lo, s21
	s_cbranch_execz .LBB171_160
.LBB171_156:                            ;   Parent Loop BB171_12 Depth=1
                                        ; =>  This Inner Loop Header: Depth=2
	s_mov_b32 s28, exec_lo
	s_delay_alu instid0(VALU_DEP_1)
	v_cmpx_gt_u64_e64 s[36:37], v[6:7]
	s_cbranch_execz .LBB171_154
; %bb.157:                              ;   in Loop: Header=BB171_156 Depth=2
	v_mul_u64_e32 v[10:11], s[30:31], v[6:7]
	s_delay_alu instid0(VALU_DEP_1) | instskip(SKIP_4) | instid1(VALU_DEP_1)
	v_lshl_add_u64 v[10:11], v[10:11], 1, s[34:35]
	global_load_u16 v10, v[10:11], off
	s_wait_loadcnt 0x0
	s_wait_xcnt 0x0
	v_bfe_i32 v11, v10, 0, 16
	v_add_nc_u32_e32 v11, 0x8000, v11
	s_delay_alu instid0(VALU_DEP_1) | instskip(NEXT) | instid1(VALU_DEP_1)
	v_and_b32_e32 v11, v11, v9
	v_cmp_eq_u32_e32 vcc_lo, v11, v8
	s_and_b32 exec_lo, exec_lo, vcc_lo
	s_cbranch_execz .LBB171_154
; %bb.158:                              ;   in Loop: Header=BB171_156 Depth=2
	v_perm_b32 v10, v10, 1, 0x5040100
	ds_store_b32 v3, v10 offset:3072
	s_branch .LBB171_154
.LBB171_159:                            ;   in Loop: Header=BB171_156 Depth=2
	v_add_nc_u64_e32 v[6:7], s[48:49], v[6:7]
	s_mov_b32 s8, 0
	s_delay_alu instid0(VALU_DEP_1)
	v_cmp_le_u64_e32 vcc_lo, s[10:11], v[6:7]
	s_or_not1_b32 s28, vcc_lo, exec_lo
	s_branch .LBB171_155
.LBB171_160:                            ;   in Loop: Header=BB171_12 Depth=1
	s_or_b32 exec_lo, exec_lo, s21
	v_lshrrev_b32_e32 v10, 16, v10
	s_and_not1_b32 s7, s22, exec_lo
	s_and_b32 s8, s23, exec_lo
	s_delay_alu instid0(SALU_CYCLE_1)
	s_or_b32 s22, s7, s8
.LBB171_161:                            ;   in Loop: Header=BB171_12 Depth=1
	s_or_b32 exec_lo, exec_lo, s20
	s_mov_b32 s78, 0
	s_mov_b32 s83, -1
.LBB171_162:                            ;   in Loop: Header=BB171_12 Depth=1
	s_or_not1_b32 s10, s22, exec_lo
.LBB171_163:                            ;   in Loop: Header=BB171_12 Depth=1
	s_or_b32 exec_lo, exec_lo, s84
	s_mov_b32 s11, 0
	s_and_saveexec_b32 s84, s10
	s_cbranch_execz .LBB171_272
; %bb.164:                              ;   in Loop: Header=BB171_12 Depth=1
	v_mov_b64_e32 v[6:7], 1
	v_mov_b32_e32 v2, 1
	s_xor_b32 s8, s85, -1
	s_delay_alu instid0(SALU_CYCLE_1)
	s_and_saveexec_b32 s10, s8
	s_cbranch_execz .LBB171_173
; %bb.165:                              ;   in Loop: Header=BB171_12 Depth=1
	s_mov_b32 s8, exec_lo
	v_cmpx_ge_u64_e64 s[14:15], v[4:5]
	s_xor_b32 s11, exec_lo, s8
	s_cbranch_execz .LBB171_170
; %bb.166:                              ;   in Loop: Header=BB171_12 Depth=1
	ds_load_b64 v[6:7], v3 offset:5120
	s_lshl_b32 s8, 1, s101
	v_or_b32_e32 v9, s24, v9
	v_and_or_b32 v8, v8, s26, s8
	s_wait_dscnt 0x0
	v_cmp_ne_u64_e32 vcc_lo, 0, v[6:7]
	s_cbranch_vccnz .LBB171_170
; %bb.167:                              ;   in Loop: Header=BB171_12 Depth=1
	s_and_saveexec_b32 s8, s5
; %bb.168:                              ;   in Loop: Header=BB171_12 Depth=1
	v_mov_b64_e32 v[6:7], s[14:15]
	ds_store_b64 v3, v[6:7] offset:5128
; %bb.169:                              ;   in Loop: Header=BB171_12 Depth=1
	s_or_b32 exec_lo, exec_lo, s8
	s_wait_dscnt 0x0
	s_barrier_signal -1
	s_barrier_wait -1
.LBB171_170:                            ;   in Loop: Header=BB171_12 Depth=1
	s_or_saveexec_b32 s11, s11
	v_mov_b32_e32 v2, 8
	s_mov_b32 s20, 0
	s_xor_b32 exec_lo, exec_lo, s11
; %bb.171:                              ;   in Loop: Header=BB171_12 Depth=1
	v_sub_nc_u64_e64 v[4:5], v[4:5], s[14:15]
	v_mov_b32_e32 v2, 0
	s_mov_b32 s20, exec_lo
; %bb.172:                              ;   in Loop: Header=BB171_12 Depth=1
	s_or_b32 exec_lo, exec_lo, s11
	s_delay_alu instid0(VALU_DEP_2)
	v_mov_b64_e32 v[6:7], v[4:5]
	s_and_b32 s11, s20, exec_lo
.LBB171_173:                            ;   in Loop: Header=BB171_12 Depth=1
	s_or_b32 exec_lo, exec_lo, s10
	s_mov_b32 s10, -1
                                        ; implicit-def: $sgpr86
                                        ; implicit-def: $sgpr87
	s_and_saveexec_b32 s85, s11
	s_cbranch_execz .LBB171_271
; %bb.174:                              ;   in Loop: Header=BB171_12 Depth=1
	s_delay_alu instid0(VALU_DEP_1) | instskip(SKIP_2) | instid1(SALU_CYCLE_1)
	v_cmp_eq_u64_e32 vcc_lo, 1, v[6:7]
	s_cmp_eq_u64 s[16:17], 1
                                        ; implicit-def: $sgpr87
                                        ; implicit-def: $sgpr86
	s_cselect_b32 s8, -1, 0
	s_and_b32 s89, s8, vcc_lo
	s_delay_alu instid0(SALU_CYCLE_1)
	s_and_saveexec_b32 s88, s89
	s_cbranch_execz .LBB171_208
; %bb.175:                              ;   in Loop: Header=BB171_12 Depth=1
	ds_load_b64 v[4:5], v3 offset:5120
	s_wait_dscnt 0x0
	s_barrier_signal -1
	s_barrier_wait -1
	v_readfirstlane_b32 s10, v4
	v_readfirstlane_b32 s11, v5
	s_and_saveexec_b32 s8, s6
; %bb.176:                              ;   in Loop: Header=BB171_12 Depth=1
	ds_store_b16 v29, v3
; %bb.177:                              ;   in Loop: Header=BB171_12 Depth=1
	s_or_b32 exec_lo, exec_lo, s8
	s_lshl_b32 s8, 2, s101
	v_or_b32_e32 v9, s24, v9
	v_and_or_b32 v8, v8, s26, s8
	s_mov_b32 s86, -1
	s_mov_b32 s87, 0
	s_cmp_eq_u64 s[10:11], 0
	s_mov_b32 s22, 0
	s_mov_b32 s23, -1
	s_wait_dscnt 0x0
	s_barrier_signal -1
	s_barrier_wait -1
                                        ; implicit-def: $vgpr10
	s_cbranch_scc1 .LBB171_193
; %bb.178:                              ;   in Loop: Header=BB171_12 Depth=1
	s_add_nc_u64 s[20:21], s[10:11], s[64:65]
	s_delay_alu instid0(SALU_CYCLE_1) | instskip(NEXT) | instid1(SALU_CYCLE_1)
	s_and_b64 s[22:23], s[20:21], 0xffffffff00000000
	s_cmp_lg_u64 s[22:23], 0
	s_cbranch_scc0 .LBB171_225
; %bb.179:                              ;   in Loop: Header=BB171_12 Depth=1
	s_cvt_f32_u32 s8, s48
	s_sub_nc_u64 s[44:45], 0, s[48:49]
	s_delay_alu instid0(SALU_CYCLE_2) | instskip(NEXT) | instid1(SALU_CYCLE_3)
	s_fmamk_f32 s8, s100, 0x0, s8
	v_s_rcp_f32 s8, s8
	s_delay_alu instid0(TRANS32_DEP_1) | instskip(NEXT) | instid1(SALU_CYCLE_3)
	s_mul_f32 s8, s8, 0x5f7ffffc
	s_mul_f32 s22, s8, 0x2f800000
	s_delay_alu instid0(SALU_CYCLE_3) | instskip(NEXT) | instid1(SALU_CYCLE_3)
	s_trunc_f32 s22, s22
	s_fmamk_f32 s8, s22, 0xcf800000, s8
	s_cvt_u32_f32 s23, s22
	s_delay_alu instid0(SALU_CYCLE_2) | instskip(NEXT) | instid1(SALU_CYCLE_3)
	s_cvt_u32_f32 s22, s8
	s_mul_u64 s[46:47], s[44:45], s[22:23]
	s_delay_alu instid0(SALU_CYCLE_1)
	s_mul_hi_u32 s91, s22, s47
	s_mul_i32 s90, s22, s47
	s_mul_hi_u32 s28, s22, s46
	s_mul_i32 s52, s23, s46
	s_add_nc_u64 s[90:91], s[28:29], s[90:91]
	s_mul_hi_u32 s8, s23, s46
	s_mul_hi_u32 s53, s23, s47
	s_add_co_u32 s28, s90, s52
	s_add_co_ci_u32 s28, s91, s8
	s_mul_i32 s46, s23, s47
	s_add_co_ci_u32 s47, s53, 0
	s_delay_alu instid0(SALU_CYCLE_1) | instskip(NEXT) | instid1(SALU_CYCLE_1)
	s_add_nc_u64 s[46:47], s[28:29], s[46:47]
	s_add_co_u32 s22, s22, s46
	s_cselect_b32 s8, -1, 0
	s_delay_alu instid0(SALU_CYCLE_1) | instskip(SKIP_1) | instid1(SALU_CYCLE_1)
	s_cmp_lg_u32 s8, 0
	s_add_co_ci_u32 s23, s23, s47
	s_mul_u64 s[44:45], s[44:45], s[22:23]
	s_delay_alu instid0(SALU_CYCLE_1)
	s_mul_hi_u32 s47, s22, s45
	s_mul_i32 s46, s22, s45
	s_mul_hi_u32 s28, s22, s44
	s_mul_i32 s52, s23, s44
	s_add_nc_u64 s[46:47], s[28:29], s[46:47]
	s_mul_hi_u32 s8, s23, s44
	s_mul_hi_u32 s53, s23, s45
	s_add_co_u32 s28, s46, s52
	s_add_co_ci_u32 s28, s47, s8
	s_mul_i32 s44, s23, s45
	s_add_co_ci_u32 s45, s53, 0
	s_delay_alu instid0(SALU_CYCLE_1) | instskip(NEXT) | instid1(SALU_CYCLE_1)
	s_add_nc_u64 s[44:45], s[28:29], s[44:45]
	s_add_co_u32 s8, s22, s44
	s_cselect_b32 s22, -1, 0
	s_mul_hi_u32 s28, s20, s8
	s_cmp_lg_u32 s22, 0
	s_mul_hi_u32 s46, s21, s8
	s_add_co_ci_u32 s44, s23, s45
	s_mul_i32 s8, s21, s8
	s_mul_hi_u32 s23, s20, s44
	s_mul_i32 s22, s20, s44
	s_mul_hi_u32 s45, s21, s44
	s_add_nc_u64 s[22:23], s[28:29], s[22:23]
	s_mul_i32 s44, s21, s44
	s_add_co_u32 s8, s22, s8
	s_add_co_ci_u32 s28, s23, s46
	s_add_co_ci_u32 s45, s45, 0
	s_delay_alu instid0(SALU_CYCLE_1) | instskip(NEXT) | instid1(SALU_CYCLE_1)
	s_add_nc_u64 s[22:23], s[28:29], s[44:45]
	s_and_b64 s[44:45], s[22:23], 0xffffffff00000000
	s_delay_alu instid0(SALU_CYCLE_1) | instskip(NEXT) | instid1(SALU_CYCLE_1)
	s_or_b32 s44, s44, s22
	s_mul_u64 s[22:23], s[48:49], s[44:45]
	s_delay_alu instid0(SALU_CYCLE_1) | instskip(SKIP_1) | instid1(SALU_CYCLE_1)
	s_sub_co_u32 s8, s20, s22
	s_cselect_b32 s22, -1, 0
	s_cmp_lg_u32 s22, 0
	s_sub_co_ci_u32 s22, s21, s23
	s_sub_co_u32 s23, s8, s48
	s_cselect_b32 s28, -1, 0
	s_delay_alu instid0(SALU_CYCLE_1) | instskip(SKIP_3) | instid1(SALU_CYCLE_1)
	s_cmp_lg_u32 s28, 0
	s_sub_co_ci_u32 s28, s22, 0
	s_sub_co_u32 s44, s23, s48
	s_cselect_b32 s45, -1, 0
	s_cmp_lg_u32 s45, 0
	s_sub_co_ci_u32 s45, s28, 0
	s_cmp_ge_u32 s23, s48
	s_cselect_b32 s46, -1, 0
	s_cmp_eq_u32 s28, 0
	s_cselect_b32 s46, s46, -1
	s_delay_alu instid0(SALU_CYCLE_1)
	s_cmp_lg_u32 s46, 0
	s_cselect_b32 s28, s45, s28
	s_cselect_b32 s44, s44, s23
	s_cmp_ge_u32 s8, s48
	s_cselect_b32 s23, -1, 0
	s_cmp_eq_u32 s22, 0
	s_cselect_b32 s23, s23, -1
	s_delay_alu instid0(SALU_CYCLE_1)
	s_cmp_lg_u32 s23, 0
	s_cselect_b32 s23, s28, s22
	s_cselect_b32 s22, s44, s8
	s_cbranch_execnz .LBB171_181
.LBB171_180:                            ;   in Loop: Header=BB171_12 Depth=1
	v_cvt_f32_u32_e32 v4, s48
	s_sub_co_i32 s22, 0, s48
	s_delay_alu instid0(VALU_DEP_1) | instskip(SKIP_1) | instid1(TRANS32_DEP_1)
	v_rcp_iflag_f32_e32 v4, v4
	v_nop
	v_mul_f32_e32 v4, 0x4f7ffffe, v4
	s_delay_alu instid0(VALU_DEP_1) | instskip(NEXT) | instid1(VALU_DEP_1)
	v_cvt_u32_f32_e32 v4, v4
	v_readfirstlane_b32 s8, v4
	s_mul_i32 s22, s22, s8
	s_delay_alu instid0(SALU_CYCLE_1) | instskip(NEXT) | instid1(SALU_CYCLE_1)
	s_mul_hi_u32 s22, s8, s22
	s_add_co_i32 s8, s8, s22
	s_delay_alu instid0(SALU_CYCLE_1) | instskip(NEXT) | instid1(SALU_CYCLE_1)
	s_mul_hi_u32 s8, s20, s8
	s_mul_i32 s8, s8, s48
	s_delay_alu instid0(SALU_CYCLE_1) | instskip(NEXT) | instid1(SALU_CYCLE_1)
	s_sub_co_i32 s8, s20, s8
	s_sub_co_i32 s22, s8, s48
	s_cmp_ge_u32 s8, s48
	s_cselect_b32 s8, s22, s8
	s_delay_alu instid0(SALU_CYCLE_1) | instskip(SKIP_2) | instid1(SALU_CYCLE_1)
	s_sub_co_i32 s22, s8, s48
	s_cmp_ge_u32 s8, s48
	s_cselect_b32 s28, s22, s8
	s_mov_b64 s[22:23], s[28:29]
.LBB171_181:                            ;   in Loop: Header=BB171_12 Depth=1
	s_delay_alu instid0(SALU_CYCLE_1)
	s_sub_nc_u64 s[20:21], s[20:21], s[22:23]
	s_mov_b32 s23, 0
	s_mov_b32 s22, 0
	s_mov_b32 s28, exec_lo
                                        ; implicit-def: $vgpr10
	v_cmpx_gt_u64_e64 s[20:21], v[0:1]
	s_cbranch_execz .LBB171_192
; %bb.182:                              ;   in Loop: Header=BB171_12 Depth=1
	v_mov_b64_e32 v[4:5], v[0:1]
	v_mov_b32_e32 v10, v28
                                        ; implicit-def: $sgpr44
	s_branch .LBB171_185
.LBB171_183:                            ;   in Loop: Header=BB171_185 Depth=2
	s_or_b32 exec_lo, exec_lo, s45
	s_wait_dscnt 0x0
	s_barrier_signal -1
	s_barrier_wait -1
	ds_load_b32 v11, v3 offset:3072
	s_mov_b32 s45, -1
	s_mov_b32 s46, -1
	s_wait_dscnt 0x0
	s_barrier_signal -1
	s_barrier_wait -1
	v_and_b32_e32 v24, 0xffff, v11
	s_delay_alu instid0(VALU_DEP_1)
	v_cmp_ne_u32_e32 vcc_lo, 0, v24
	s_cbranch_vccz .LBB171_188
.LBB171_184:                            ;   in Loop: Header=BB171_185 Depth=2
	s_and_b32 s7, exec_lo, s45
	s_delay_alu instid0(SALU_CYCLE_1) | instskip(SKIP_2) | instid1(SALU_CYCLE_1)
	s_or_b32 s22, s7, s22
	s_and_not1_b32 s7, s44, exec_lo
	s_and_b32 s8, s46, exec_lo
	s_or_b32 s44, s7, s8
	s_and_not1_b32 exec_lo, exec_lo, s22
	s_cbranch_execz .LBB171_191
.LBB171_185:                            ;   Parent Loop BB171_12 Depth=1
                                        ; =>  This Inner Loop Header: Depth=2
	s_mov_b32 s45, exec_lo
	s_delay_alu instid0(VALU_DEP_2)
	v_cmpx_gt_u64_e64 s[10:11], v[4:5]
	s_cbranch_execz .LBB171_183
; %bb.186:                              ;   in Loop: Header=BB171_185 Depth=2
	ds_load_u16 v11, v10
	s_wait_dscnt 0x0
	v_bfe_i32 v24, v11, 0, 16
	s_delay_alu instid0(VALU_DEP_1) | instskip(NEXT) | instid1(VALU_DEP_1)
	v_add_nc_u32_e32 v24, 0x8000, v24
	v_and_b32_e32 v24, v24, v9
	s_delay_alu instid0(VALU_DEP_1)
	v_cmp_eq_u32_e32 vcc_lo, v24, v8
	s_and_b32 exec_lo, exec_lo, vcc_lo
	s_cbranch_execz .LBB171_183
; %bb.187:                              ;   in Loop: Header=BB171_185 Depth=2
	v_perm_b32 v11, v11, 1, 0x5040100
	ds_store_b32 v3, v11 offset:3072
	s_branch .LBB171_183
.LBB171_188:                            ;   in Loop: Header=BB171_185 Depth=2
	v_add_nc_u64_e32 v[4:5], s[48:49], v[4:5]
	v_add_nc_u32_e32 v10, s99, v10
	s_mov_b32 s46, 0
	s_delay_alu instid0(VALU_DEP_2)
	v_cmp_le_u64_e32 vcc_lo, s[20:21], v[4:5]
	s_or_not1_b32 s45, vcc_lo, exec_lo
	s_branch .LBB171_184
.LBB171_189:                            ;   in Loop: Header=BB171_12 Depth=1
                                        ; implicit-def: $sgpr22_sgpr23
	s_branch .LBB171_135
.LBB171_190:                            ;   in Loop: Header=BB171_12 Depth=1
                                        ; implicit-def: $sgpr10_sgpr11
	s_branch .LBB171_151
.LBB171_191:                            ;   in Loop: Header=BB171_12 Depth=1
	s_or_b32 exec_lo, exec_lo, s22
	v_lshrrev_b32_e32 v10, 16, v11
	s_and_b32 s22, s44, exec_lo
.LBB171_192:                            ;   in Loop: Header=BB171_12 Depth=1
	s_or_b32 exec_lo, exec_lo, s28
.LBB171_193:                            ;   in Loop: Header=BB171_12 Depth=1
	s_delay_alu instid0(SALU_CYCLE_1)
	s_and_b32 vcc_lo, exec_lo, s23
	s_cbranch_vccz .LBB171_207
; %bb.194:                              ;   in Loop: Header=BB171_12 Depth=1
	s_and_b64 s[10:11], s[66:67], 0xffffffff00000000
	s_delay_alu instid0(SALU_CYCLE_1)
	s_cmp_lg_u64 s[10:11], 0
	s_cbranch_scc0 .LBB171_226
; %bb.195:                              ;   in Loop: Header=BB171_12 Depth=1
	s_cvt_f32_u32 s8, s48
	s_sub_nc_u64 s[20:21], 0, s[48:49]
	s_delay_alu instid0(SALU_CYCLE_2) | instskip(NEXT) | instid1(SALU_CYCLE_3)
	s_fmamk_f32 s8, s100, 0x0, s8
	v_s_rcp_f32 s8, s8
	s_delay_alu instid0(TRANS32_DEP_1) | instskip(NEXT) | instid1(SALU_CYCLE_3)
	s_mul_f32 s8, s8, 0x5f7ffffc
	s_mul_f32 s10, s8, 0x2f800000
	s_delay_alu instid0(SALU_CYCLE_3) | instskip(NEXT) | instid1(SALU_CYCLE_3)
	s_trunc_f32 s10, s10
	s_fmamk_f32 s8, s10, 0xcf800000, s8
	s_cvt_u32_f32 s11, s10
	s_delay_alu instid0(SALU_CYCLE_2) | instskip(NEXT) | instid1(SALU_CYCLE_3)
	s_cvt_u32_f32 s10, s8
	s_mul_u64 s[44:45], s[20:21], s[10:11]
	s_delay_alu instid0(SALU_CYCLE_1)
	s_mul_hi_u32 s47, s10, s45
	s_mul_i32 s46, s10, s45
	s_mul_hi_u32 s28, s10, s44
	s_mul_i32 s23, s11, s44
	s_add_nc_u64 s[46:47], s[28:29], s[46:47]
	s_mul_hi_u32 s8, s11, s44
	s_mul_hi_u32 s52, s11, s45
	s_add_co_u32 s23, s46, s23
	s_add_co_ci_u32 s28, s47, s8
	s_mul_i32 s44, s11, s45
	s_add_co_ci_u32 s45, s52, 0
	s_delay_alu instid0(SALU_CYCLE_1) | instskip(NEXT) | instid1(SALU_CYCLE_1)
	s_add_nc_u64 s[44:45], s[28:29], s[44:45]
	s_add_co_u32 s10, s10, s44
	s_cselect_b32 s8, -1, 0
	s_delay_alu instid0(SALU_CYCLE_1) | instskip(SKIP_1) | instid1(SALU_CYCLE_1)
	s_cmp_lg_u32 s8, 0
	s_add_co_ci_u32 s11, s11, s45
	s_mul_u64 s[20:21], s[20:21], s[10:11]
	s_delay_alu instid0(SALU_CYCLE_1)
	s_mul_hi_u32 s45, s10, s21
	s_mul_i32 s44, s10, s21
	s_mul_hi_u32 s28, s10, s20
	s_mul_i32 s23, s11, s20
	s_add_nc_u64 s[44:45], s[28:29], s[44:45]
	s_mul_hi_u32 s8, s11, s20
	s_mul_hi_u32 s46, s11, s21
	s_mul_i32 s20, s11, s21
	s_add_co_u32 s21, s44, s23
	s_add_co_ci_u32 s28, s45, s8
	s_add_co_ci_u32 s21, s46, 0
	s_delay_alu instid0(SALU_CYCLE_1) | instskip(NEXT) | instid1(SALU_CYCLE_1)
	s_add_nc_u64 s[20:21], s[28:29], s[20:21]
	s_add_co_u32 s8, s10, s20
	s_cselect_b32 s10, -1, 0
	s_mul_hi_u32 s28, s66, s8
	s_cmp_lg_u32 s10, 0
	s_mul_hi_u32 s23, s67, s8
	s_add_co_ci_u32 s20, s11, s21
	s_mul_i32 s8, s67, s8
	s_mul_hi_u32 s11, s66, s20
	s_mul_i32 s10, s66, s20
	s_mul_hi_u32 s21, s67, s20
	s_add_nc_u64 s[10:11], s[28:29], s[10:11]
	s_mul_i32 s20, s67, s20
	s_add_co_u32 s8, s10, s8
	s_add_co_ci_u32 s28, s11, s23
	s_add_co_ci_u32 s21, s21, 0
	s_delay_alu instid0(SALU_CYCLE_1) | instskip(NEXT) | instid1(SALU_CYCLE_1)
	s_add_nc_u64 s[10:11], s[28:29], s[20:21]
	s_and_b64 s[20:21], s[10:11], 0xffffffff00000000
	s_delay_alu instid0(SALU_CYCLE_1) | instskip(NEXT) | instid1(SALU_CYCLE_1)
	s_or_b32 s20, s20, s10
	s_mul_u64 s[10:11], s[48:49], s[20:21]
	s_delay_alu instid0(SALU_CYCLE_1) | instskip(SKIP_1) | instid1(SALU_CYCLE_1)
	s_sub_co_u32 s8, s66, s10
	s_cselect_b32 s10, -1, 0
	s_cmp_lg_u32 s10, 0
	s_sub_co_ci_u32 s10, s67, s11
	s_sub_co_u32 s11, s8, s48
	s_cselect_b32 s20, -1, 0
	s_delay_alu instid0(SALU_CYCLE_1) | instskip(SKIP_3) | instid1(SALU_CYCLE_1)
	s_cmp_lg_u32 s20, 0
	s_sub_co_ci_u32 s20, s10, 0
	s_sub_co_u32 s21, s11, s48
	s_cselect_b32 s23, -1, 0
	s_cmp_lg_u32 s23, 0
	s_sub_co_ci_u32 s23, s20, 0
	s_cmp_ge_u32 s11, s48
	s_cselect_b32 s28, -1, 0
	s_cmp_eq_u32 s20, 0
	s_cselect_b32 s28, s28, -1
	s_delay_alu instid0(SALU_CYCLE_1)
	s_cmp_lg_u32 s28, 0
	s_cselect_b32 s20, s23, s20
	s_cselect_b32 s21, s21, s11
	s_cmp_ge_u32 s8, s48
	s_cselect_b32 s11, -1, 0
	s_cmp_eq_u32 s10, 0
	s_cselect_b32 s11, s11, -1
	s_delay_alu instid0(SALU_CYCLE_1)
	s_cmp_lg_u32 s11, 0
	s_cselect_b32 s11, s20, s10
	s_cselect_b32 s10, s21, s8
	s_cbranch_execnz .LBB171_197
.LBB171_196:                            ;   in Loop: Header=BB171_12 Depth=1
	v_cvt_f32_u32_e32 v4, s48
	s_sub_co_i32 s10, 0, s48
	s_delay_alu instid0(VALU_DEP_1) | instskip(SKIP_1) | instid1(TRANS32_DEP_1)
	v_rcp_iflag_f32_e32 v4, v4
	v_nop
	v_mul_f32_e32 v4, 0x4f7ffffe, v4
	s_delay_alu instid0(VALU_DEP_1) | instskip(NEXT) | instid1(VALU_DEP_1)
	v_cvt_u32_f32_e32 v4, v4
	v_readfirstlane_b32 s8, v4
	s_mul_i32 s10, s10, s8
	s_delay_alu instid0(SALU_CYCLE_1) | instskip(NEXT) | instid1(SALU_CYCLE_1)
	s_mul_hi_u32 s10, s8, s10
	s_add_co_i32 s8, s8, s10
	s_delay_alu instid0(SALU_CYCLE_1) | instskip(NEXT) | instid1(SALU_CYCLE_1)
	s_mul_hi_u32 s8, s66, s8
	s_mul_i32 s8, s8, s48
	s_delay_alu instid0(SALU_CYCLE_1) | instskip(NEXT) | instid1(SALU_CYCLE_1)
	s_sub_co_i32 s8, s66, s8
	s_sub_co_i32 s10, s8, s48
	s_cmp_ge_u32 s8, s48
	s_cselect_b32 s8, s10, s8
	s_delay_alu instid0(SALU_CYCLE_1) | instskip(SKIP_2) | instid1(SALU_CYCLE_1)
	s_sub_co_i32 s10, s8, s48
	s_cmp_ge_u32 s8, s48
	s_cselect_b32 s28, s10, s8
	s_mov_b64 s[10:11], s[28:29]
.LBB171_197:                            ;   in Loop: Header=BB171_12 Depth=1
	s_delay_alu instid0(SALU_CYCLE_1)
	s_sub_nc_u64 s[10:11], s[66:67], s[10:11]
	s_mov_b32 s20, exec_lo
                                        ; implicit-def: $vgpr10
	v_cmpx_gt_u64_e64 s[10:11], v[0:1]
	s_cbranch_execz .LBB171_206
; %bb.198:                              ;   in Loop: Header=BB171_12 Depth=1
	v_mov_b64_e32 v[4:5], v[0:1]
	s_mov_b32 s21, 0
                                        ; implicit-def: $sgpr23
	s_branch .LBB171_201
.LBB171_199:                            ;   in Loop: Header=BB171_201 Depth=2
	s_or_b32 exec_lo, exec_lo, s28
	s_wait_dscnt 0x0
	s_barrier_signal -1
	s_barrier_wait -1
	ds_load_b32 v10, v3 offset:3072
	s_mov_b32 s28, -1
	s_mov_b32 s8, -1
	s_wait_dscnt 0x0
	s_barrier_signal -1
	s_barrier_wait -1
	v_and_b32_e32 v11, 0xffff, v10
	s_delay_alu instid0(VALU_DEP_1)
	v_cmp_eq_u32_e32 vcc_lo, 0, v11
	s_cbranch_vccnz .LBB171_204
.LBB171_200:                            ;   in Loop: Header=BB171_201 Depth=2
	s_and_b32 s7, exec_lo, s28
	s_delay_alu instid0(SALU_CYCLE_1) | instskip(SKIP_2) | instid1(SALU_CYCLE_1)
	s_or_b32 s21, s7, s21
	s_and_not1_b32 s7, s23, exec_lo
	s_and_b32 s8, s8, exec_lo
	s_or_b32 s23, s7, s8
	s_and_not1_b32 exec_lo, exec_lo, s21
	s_cbranch_execz .LBB171_205
.LBB171_201:                            ;   Parent Loop BB171_12 Depth=1
                                        ; =>  This Inner Loop Header: Depth=2
	s_mov_b32 s28, exec_lo
	s_delay_alu instid0(VALU_DEP_1)
	v_cmpx_gt_u64_e64 s[36:37], v[4:5]
	s_cbranch_execz .LBB171_199
; %bb.202:                              ;   in Loop: Header=BB171_201 Depth=2
	v_mul_u64_e32 v[10:11], s[30:31], v[4:5]
	s_delay_alu instid0(VALU_DEP_1) | instskip(SKIP_4) | instid1(VALU_DEP_1)
	v_lshl_add_u64 v[10:11], v[10:11], 1, s[34:35]
	global_load_u16 v10, v[10:11], off
	s_wait_loadcnt 0x0
	s_wait_xcnt 0x0
	v_bfe_i32 v11, v10, 0, 16
	v_add_nc_u32_e32 v11, 0x8000, v11
	s_delay_alu instid0(VALU_DEP_1) | instskip(NEXT) | instid1(VALU_DEP_1)
	v_and_b32_e32 v11, v11, v9
	v_cmp_eq_u32_e32 vcc_lo, v11, v8
	s_and_b32 exec_lo, exec_lo, vcc_lo
	s_cbranch_execz .LBB171_199
; %bb.203:                              ;   in Loop: Header=BB171_201 Depth=2
	v_perm_b32 v10, v10, 1, 0x5040100
	ds_store_b32 v3, v10 offset:3072
	s_branch .LBB171_199
.LBB171_204:                            ;   in Loop: Header=BB171_201 Depth=2
	v_add_nc_u64_e32 v[4:5], s[48:49], v[4:5]
	s_mov_b32 s8, 0
	s_delay_alu instid0(VALU_DEP_1)
	v_cmp_le_u64_e32 vcc_lo, s[10:11], v[4:5]
	s_or_not1_b32 s28, vcc_lo, exec_lo
	s_branch .LBB171_200
.LBB171_205:                            ;   in Loop: Header=BB171_12 Depth=1
	s_or_b32 exec_lo, exec_lo, s21
	v_lshrrev_b32_e32 v10, 16, v10
	s_and_not1_b32 s7, s22, exec_lo
	s_and_b32 s8, s23, exec_lo
	s_delay_alu instid0(SALU_CYCLE_1)
	s_or_b32 s22, s7, s8
.LBB171_206:                            ;   in Loop: Header=BB171_12 Depth=1
	s_or_b32 exec_lo, exec_lo, s20
	s_mov_b32 s86, 0
	s_mov_b32 s87, -1
.LBB171_207:                            ;   in Loop: Header=BB171_12 Depth=1
	s_or_not1_b32 s10, s22, exec_lo
.LBB171_208:                            ;   in Loop: Header=BB171_12 Depth=1
	s_or_b32 exec_lo, exec_lo, s88
	s_mov_b32 s11, 0
	s_and_saveexec_b32 s88, s10
	s_cbranch_execz .LBB171_270
; %bb.209:                              ;   in Loop: Header=BB171_12 Depth=1
	v_mov_b64_e32 v[4:5], 1
	v_mov_b32_e32 v2, 1
	s_xor_b32 s8, s89, -1
	s_delay_alu instid0(SALU_CYCLE_1)
	s_and_saveexec_b32 s10, s8
	s_cbranch_execz .LBB171_218
; %bb.210:                              ;   in Loop: Header=BB171_12 Depth=1
	s_mov_b32 s8, exec_lo
	v_cmpx_ge_u64_e64 s[16:17], v[6:7]
	s_xor_b32 s11, exec_lo, s8
	s_cbranch_execz .LBB171_215
; %bb.211:                              ;   in Loop: Header=BB171_12 Depth=1
	ds_load_b64 v[4:5], v3 offset:5120
	s_lshl_b32 s8, 2, s101
	v_or_b32_e32 v9, s24, v9
	v_and_or_b32 v8, v8, s26, s8
	s_wait_dscnt 0x0
	v_cmp_ne_u64_e32 vcc_lo, 0, v[4:5]
	s_cbranch_vccnz .LBB171_215
; %bb.212:                              ;   in Loop: Header=BB171_12 Depth=1
	s_and_saveexec_b32 s8, s5
; %bb.213:                              ;   in Loop: Header=BB171_12 Depth=1
	v_mov_b64_e32 v[4:5], s[16:17]
	ds_store_b64 v3, v[4:5] offset:5128
; %bb.214:                              ;   in Loop: Header=BB171_12 Depth=1
	s_or_b32 exec_lo, exec_lo, s8
	s_wait_dscnt 0x0
	s_barrier_signal -1
	s_barrier_wait -1
.LBB171_215:                            ;   in Loop: Header=BB171_12 Depth=1
	s_or_saveexec_b32 s11, s11
	v_mov_b32_e32 v2, 8
	s_mov_b32 s20, 0
	s_xor_b32 exec_lo, exec_lo, s11
; %bb.216:                              ;   in Loop: Header=BB171_12 Depth=1
	v_sub_nc_u64_e64 v[6:7], v[6:7], s[16:17]
	v_mov_b32_e32 v2, 0
	s_mov_b32 s20, exec_lo
; %bb.217:                              ;   in Loop: Header=BB171_12 Depth=1
	s_or_b32 exec_lo, exec_lo, s11
	s_delay_alu instid0(VALU_DEP_2)
	v_mov_b64_e32 v[4:5], v[6:7]
	s_and_b32 s11, s20, exec_lo
.LBB171_218:                            ;   in Loop: Header=BB171_12 Depth=1
	s_or_b32 exec_lo, exec_lo, s10
	s_mov_b32 s10, -1
                                        ; implicit-def: $sgpr45
                                        ; implicit-def: $sgpr44
	s_and_saveexec_b32 s89, s11
	s_cbranch_execz .LBB171_269
; %bb.219:                              ;   in Loop: Header=BB171_12 Depth=1
	s_delay_alu instid0(VALU_DEP_1) | instskip(SKIP_3) | instid1(SALU_CYCLE_1)
	v_cmp_eq_u64_e32 vcc_lo, 1, v[4:5]
	s_cmp_eq_u64 s[18:19], 1
	s_mov_b32 s11, -1
	s_cselect_b32 s8, -1, 0
                                        ; implicit-def: $sgpr45
                                        ; implicit-def: $sgpr44
	s_and_b32 s90, s8, vcc_lo
	s_delay_alu instid0(SALU_CYCLE_1)
	s_and_saveexec_b32 s91, s90
	s_cbranch_execz .LBB171_257
; %bb.220:                              ;   in Loop: Header=BB171_12 Depth=1
	ds_load_b64 v[6:7], v3 offset:5120
	s_wait_dscnt 0x0
	s_barrier_signal -1
	s_barrier_wait -1
	v_readfirstlane_b32 s10, v6
	v_readfirstlane_b32 s11, v7
	s_and_saveexec_b32 s8, s6
; %bb.221:                              ;   in Loop: Header=BB171_12 Depth=1
	ds_store_b16 v29, v3
; %bb.222:                              ;   in Loop: Header=BB171_12 Depth=1
	s_or_b32 exec_lo, exec_lo, s8
	v_or_b32_e32 v8, s24, v8
	v_or_b32_e32 v9, s24, v9
	s_mov_b32 s44, -1
	s_mov_b32 s45, 0
	s_cmp_eq_u64 s[10:11], 0
	s_mov_b32 s22, 0
	s_mov_b32 s23, -1
	s_wait_dscnt 0x0
	s_barrier_signal -1
	s_barrier_wait -1
                                        ; implicit-def: $vgpr10
	s_cbranch_scc1 .LBB171_240
; %bb.223:                              ;   in Loop: Header=BB171_12 Depth=1
	s_add_nc_u64 s[20:21], s[10:11], s[64:65]
	s_wait_kmcnt 0x0
	s_mov_b64 s[56:57], s[58:59]
	s_and_b64 s[22:23], s[20:21], 0xffffffff00000000
	s_mov_b32 s58, s55
	s_cmp_lg_u64 s[22:23], 0
	s_cbranch_scc0 .LBB171_227
; %bb.224:                              ;   in Loop: Header=BB171_12 Depth=1
	s_cvt_f32_u32 s8, s48
	s_sub_nc_u64 s[46:47], 0, s[48:49]
	s_delay_alu instid0(SALU_CYCLE_2) | instskip(NEXT) | instid1(SALU_CYCLE_3)
	s_fmamk_f32 s8, s100, 0x0, s8
	v_s_rcp_f32 s8, s8
	s_delay_alu instid0(TRANS32_DEP_1) | instskip(NEXT) | instid1(SALU_CYCLE_3)
	s_mul_f32 s8, s8, 0x5f7ffffc
	s_mul_f32 s22, s8, 0x2f800000
	s_delay_alu instid0(SALU_CYCLE_3) | instskip(NEXT) | instid1(SALU_CYCLE_3)
	s_trunc_f32 s22, s22
	s_fmamk_f32 s8, s22, 0xcf800000, s8
	s_cvt_u32_f32 s23, s22
	s_delay_alu instid0(SALU_CYCLE_2) | instskip(NEXT) | instid1(SALU_CYCLE_3)
	s_cvt_u32_f32 s22, s8
	s_mul_u64 s[54:55], s[46:47], s[22:23]
	s_delay_alu instid0(SALU_CYCLE_1)
	s_mul_hi_u32 s53, s22, s55
	s_mul_i32 s52, s22, s55
	s_mul_hi_u32 s28, s22, s54
	s_mul_i32 vcc_lo, s23, s54
	s_add_nc_u64 s[52:53], s[28:29], s[52:53]
	s_mul_hi_u32 s8, s23, s54
	s_mul_hi_u32 s7, s23, s55
	s_add_co_u32 s28, s52, vcc_lo
	s_add_co_ci_u32 s28, s53, s8
	s_mul_i32 s54, s23, s55
	s_add_co_ci_u32 s55, s7, 0
	s_delay_alu instid0(SALU_CYCLE_1) | instskip(NEXT) | instid1(SALU_CYCLE_1)
	s_add_nc_u64 s[52:53], s[28:29], s[54:55]
	s_add_co_u32 s22, s22, s52
	s_cselect_b32 s7, -1, 0
	s_delay_alu instid0(SALU_CYCLE_1) | instskip(SKIP_1) | instid1(SALU_CYCLE_1)
	s_cmp_lg_u32 s7, 0
	s_add_co_ci_u32 s23, s23, s53
	s_mul_u64 s[46:47], s[46:47], s[22:23]
	s_delay_alu instid0(SALU_CYCLE_1)
	s_mul_hi_u32 s53, s22, s47
	s_mul_i32 s52, s22, s47
	s_mul_hi_u32 s28, s22, s46
	s_mul_i32 s8, s23, s46
	s_add_nc_u64 s[52:53], s[28:29], s[52:53]
	s_mul_hi_u32 s7, s23, s46
	s_mul_hi_u32 s54, s23, s47
	s_add_co_u32 s8, s52, s8
	s_add_co_ci_u32 s28, s53, s7
	s_mul_i32 s46, s23, s47
	s_add_co_ci_u32 s47, s54, 0
	s_delay_alu instid0(SALU_CYCLE_1) | instskip(NEXT) | instid1(SALU_CYCLE_1)
	s_add_nc_u64 s[46:47], s[28:29], s[46:47]
	s_add_co_u32 s7, s22, s46
	s_cselect_b32 s8, -1, 0
	s_mul_hi_u32 s28, s20, s7
	s_cmp_lg_u32 s8, 0
	s_mul_hi_u32 s8, s21, s7
	s_add_co_ci_u32 s46, s23, s47
	s_mul_i32 s7, s21, s7
	s_mul_hi_u32 s23, s20, s46
	s_mul_i32 s22, s20, s46
	s_mul_hi_u32 s47, s21, s46
	s_add_nc_u64 s[22:23], s[28:29], s[22:23]
	s_mul_i32 s46, s21, s46
	s_add_co_u32 s7, s22, s7
	s_add_co_ci_u32 s28, s23, s8
	s_add_co_ci_u32 s47, s47, 0
	s_delay_alu instid0(SALU_CYCLE_1) | instskip(NEXT) | instid1(SALU_CYCLE_1)
	s_add_nc_u64 s[22:23], s[28:29], s[46:47]
	s_and_b64 s[46:47], s[22:23], 0xffffffff00000000
	s_delay_alu instid0(SALU_CYCLE_1) | instskip(NEXT) | instid1(SALU_CYCLE_1)
	s_or_b32 s46, s46, s22
	s_mul_u64 s[22:23], s[48:49], s[46:47]
	s_delay_alu instid0(SALU_CYCLE_1) | instskip(SKIP_1) | instid1(SALU_CYCLE_1)
	s_sub_co_u32 s7, s20, s22
	s_cselect_b32 s8, -1, 0
	s_cmp_lg_u32 s8, 0
	s_sub_co_ci_u32 s8, s21, s23
	s_sub_co_u32 s22, s7, s48
	s_cselect_b32 s23, -1, 0
	s_delay_alu instid0(SALU_CYCLE_1) | instskip(SKIP_3) | instid1(SALU_CYCLE_1)
	s_cmp_lg_u32 s23, 0
	s_sub_co_ci_u32 s23, s8, 0
	s_sub_co_u32 s28, s22, s48
	s_cselect_b32 s46, -1, 0
	s_cmp_lg_u32 s46, 0
	s_sub_co_ci_u32 s46, s23, 0
	s_cmp_ge_u32 s22, s48
	s_cselect_b32 s47, -1, 0
	s_cmp_eq_u32 s23, 0
	s_cselect_b32 s47, s47, -1
	s_delay_alu instid0(SALU_CYCLE_1)
	s_cmp_lg_u32 s47, 0
	s_cselect_b32 s23, s46, s23
	s_cselect_b32 s22, s28, s22
	s_cmp_ge_u32 s7, s48
	s_cselect_b32 s28, -1, 0
	s_cmp_eq_u32 s8, 0
	s_cselect_b32 s28, s28, -1
	s_delay_alu instid0(SALU_CYCLE_1)
	s_cmp_lg_u32 s28, 0
	s_cselect_b32 s23, s23, s8
	s_cselect_b32 s22, s22, s7
	s_mov_b32 s8, 0
	s_branch .LBB171_228
.LBB171_225:                            ;   in Loop: Header=BB171_12 Depth=1
                                        ; implicit-def: $sgpr22_sgpr23
	s_branch .LBB171_180
.LBB171_226:                            ;   in Loop: Header=BB171_12 Depth=1
                                        ; implicit-def: $sgpr10_sgpr11
	s_branch .LBB171_196
.LBB171_227:                            ;   in Loop: Header=BB171_12 Depth=1
	s_mov_b32 s8, -1
                                        ; implicit-def: $sgpr22_sgpr23
.LBB171_228:                            ;   in Loop: Header=BB171_12 Depth=1
	s_delay_alu instid0(SALU_CYCLE_1)
	s_and_not1_b32 vcc_lo, exec_lo, s8
	s_cbranch_vccnz .LBB171_230
; %bb.229:                              ;   in Loop: Header=BB171_12 Depth=1
	v_cvt_f32_u32_e32 v6, s48
	s_sub_co_i32 s22, 0, s48
	s_delay_alu instid0(VALU_DEP_1) | instskip(SKIP_1) | instid1(TRANS32_DEP_1)
	v_rcp_iflag_f32_e32 v6, v6
	v_nop
	v_mul_f32_e32 v6, 0x4f7ffffe, v6
	s_delay_alu instid0(VALU_DEP_1) | instskip(NEXT) | instid1(VALU_DEP_1)
	v_cvt_u32_f32_e32 v6, v6
	v_readfirstlane_b32 s8, v6
	s_mul_i32 s22, s22, s8
	s_delay_alu instid0(SALU_CYCLE_1) | instskip(NEXT) | instid1(SALU_CYCLE_1)
	s_mul_hi_u32 s22, s8, s22
	s_add_co_i32 s8, s8, s22
	s_delay_alu instid0(SALU_CYCLE_1) | instskip(NEXT) | instid1(SALU_CYCLE_1)
	s_mul_hi_u32 s8, s20, s8
	s_mul_i32 s8, s8, s48
	s_delay_alu instid0(SALU_CYCLE_1) | instskip(NEXT) | instid1(SALU_CYCLE_1)
	s_sub_co_i32 s8, s20, s8
	s_sub_co_i32 s22, s8, s48
	s_cmp_ge_u32 s8, s48
	s_cselect_b32 s8, s22, s8
	s_delay_alu instid0(SALU_CYCLE_1) | instskip(SKIP_2) | instid1(SALU_CYCLE_1)
	s_sub_co_i32 s22, s8, s48
	s_cmp_ge_u32 s8, s48
	s_cselect_b32 s28, s22, s8
	s_mov_b64 s[22:23], s[28:29]
.LBB171_230:                            ;   in Loop: Header=BB171_12 Depth=1
	s_delay_alu instid0(SALU_CYCLE_1)
	s_sub_nc_u64 s[20:21], s[20:21], s[22:23]
	s_mov_b32 s23, 0
	s_mov_b32 s22, 0
	s_mov_b32 s28, exec_lo
                                        ; implicit-def: $vgpr10
	v_cmpx_gt_u64_e64 s[20:21], v[0:1]
	s_mov_b32 s55, s58
	s_mov_b64 s[58:59], s[56:57]
	s_load_b64 s[56:57], s[0:1], 0x380
	s_cbranch_execz .LBB171_239
; %bb.231:                              ;   in Loop: Header=BB171_12 Depth=1
	v_mov_b64_e32 v[6:7], v[0:1]
	v_mov_b32_e32 v10, v28
                                        ; implicit-def: $sgpr46
	s_branch .LBB171_234
.LBB171_232:                            ;   in Loop: Header=BB171_234 Depth=2
	s_or_b32 exec_lo, exec_lo, s47
	s_wait_dscnt 0x0
	s_barrier_signal -1
	s_barrier_wait -1
	ds_load_b32 v11, v3 offset:3072
	s_mov_b32 s47, -1
	s_mov_b32 s8, -1
	s_wait_dscnt 0x0
	s_barrier_signal -1
	s_barrier_wait -1
	v_and_b32_e32 v24, 0xffff, v11
	s_delay_alu instid0(VALU_DEP_1)
	v_cmp_ne_u32_e32 vcc_lo, 0, v24
	s_cbranch_vccz .LBB171_237
.LBB171_233:                            ;   in Loop: Header=BB171_234 Depth=2
	s_and_b32 s7, exec_lo, s47
	s_delay_alu instid0(SALU_CYCLE_1) | instskip(SKIP_2) | instid1(SALU_CYCLE_1)
	s_or_b32 s22, s7, s22
	s_and_not1_b32 s7, s46, exec_lo
	s_and_b32 s8, s8, exec_lo
	s_or_b32 s46, s7, s8
	s_and_not1_b32 exec_lo, exec_lo, s22
	s_cbranch_execz .LBB171_238
.LBB171_234:                            ;   Parent Loop BB171_12 Depth=1
                                        ; =>  This Inner Loop Header: Depth=2
	s_mov_b32 s47, exec_lo
	s_delay_alu instid0(VALU_DEP_2)
	v_cmpx_gt_u64_e64 s[10:11], v[6:7]
	s_cbranch_execz .LBB171_232
; %bb.235:                              ;   in Loop: Header=BB171_234 Depth=2
	ds_load_u16 v11, v10
	s_wait_dscnt 0x0
	v_bfe_i32 v24, v11, 0, 16
	s_delay_alu instid0(VALU_DEP_1) | instskip(NEXT) | instid1(VALU_DEP_1)
	v_add_nc_u32_e32 v24, 0x8000, v24
	v_and_b32_e32 v24, v24, v9
	s_delay_alu instid0(VALU_DEP_1)
	v_cmp_eq_u32_e32 vcc_lo, v24, v8
	s_and_b32 exec_lo, exec_lo, vcc_lo
	s_cbranch_execz .LBB171_232
; %bb.236:                              ;   in Loop: Header=BB171_234 Depth=2
	v_perm_b32 v11, v11, 1, 0x5040100
	ds_store_b32 v3, v11 offset:3072
	s_branch .LBB171_232
.LBB171_237:                            ;   in Loop: Header=BB171_234 Depth=2
	v_add_nc_u64_e32 v[6:7], s[48:49], v[6:7]
	v_add_nc_u32_e32 v10, s99, v10
	s_mov_b32 s8, 0
	s_delay_alu instid0(VALU_DEP_2)
	v_cmp_le_u64_e32 vcc_lo, s[20:21], v[6:7]
	s_or_not1_b32 s47, vcc_lo, exec_lo
	s_branch .LBB171_233
.LBB171_238:                            ;   in Loop: Header=BB171_12 Depth=1
	s_or_b32 exec_lo, exec_lo, s22
	v_lshrrev_b32_e32 v10, 16, v11
	s_and_b32 s22, s46, exec_lo
.LBB171_239:                            ;   in Loop: Header=BB171_12 Depth=1
	s_or_b32 exec_lo, exec_lo, s28
.LBB171_240:                            ;   in Loop: Header=BB171_12 Depth=1
	s_delay_alu instid0(SALU_CYCLE_1)
	s_and_b32 vcc_lo, exec_lo, s23
	s_cbranch_vccz .LBB171_256
; %bb.241:                              ;   in Loop: Header=BB171_12 Depth=1
	s_and_b64 s[10:11], s[66:67], 0xffffffff00000000
	s_delay_alu instid0(SALU_CYCLE_1)
	s_cmp_lg_u64 s[10:11], 0
	s_cbranch_scc0 .LBB171_243
; %bb.242:                              ;   in Loop: Header=BB171_12 Depth=1
	s_cvt_f32_u32 s7, s48
	s_sub_nc_u64 s[20:21], 0, s[48:49]
	s_delay_alu instid0(SALU_CYCLE_2) | instskip(NEXT) | instid1(SALU_CYCLE_3)
	s_fmamk_f32 s7, s100, 0x0, s7
	v_s_rcp_f32 s7, s7
	s_delay_alu instid0(TRANS32_DEP_1) | instskip(NEXT) | instid1(SALU_CYCLE_3)
	s_mul_f32 s7, s7, 0x5f7ffffc
	s_mul_f32 s8, s7, 0x2f800000
	s_delay_alu instid0(SALU_CYCLE_3) | instskip(NEXT) | instid1(SALU_CYCLE_3)
	s_trunc_f32 s8, s8
	s_fmamk_f32 s7, s8, 0xcf800000, s7
	s_cvt_u32_f32 s11, s8
	s_delay_alu instid0(SALU_CYCLE_2) | instskip(NEXT) | instid1(SALU_CYCLE_3)
	s_cvt_u32_f32 s10, s7
	s_mul_u64 s[44:45], s[20:21], s[10:11]
	s_delay_alu instid0(SALU_CYCLE_1)
	s_mul_hi_u32 s47, s10, s45
	s_mul_i32 s46, s10, s45
	s_mul_hi_u32 s28, s10, s44
	s_mul_i32 s8, s11, s44
	s_add_nc_u64 s[46:47], s[28:29], s[46:47]
	s_mul_hi_u32 s7, s11, s44
	s_mul_hi_u32 s23, s11, s45
	s_add_co_u32 s8, s46, s8
	s_add_co_ci_u32 s28, s47, s7
	s_mul_i32 s44, s11, s45
	s_add_co_ci_u32 s45, s23, 0
	s_delay_alu instid0(SALU_CYCLE_1) | instskip(NEXT) | instid1(SALU_CYCLE_1)
	s_add_nc_u64 s[44:45], s[28:29], s[44:45]
	s_add_co_u32 s10, s10, s44
	s_cselect_b32 s7, -1, 0
	s_delay_alu instid0(SALU_CYCLE_1) | instskip(SKIP_1) | instid1(SALU_CYCLE_1)
	s_cmp_lg_u32 s7, 0
	s_add_co_ci_u32 s11, s11, s45
	s_mul_u64 s[20:21], s[20:21], s[10:11]
	s_delay_alu instid0(SALU_CYCLE_1)
	s_mul_hi_u32 s45, s10, s21
	s_mul_i32 s44, s10, s21
	s_mul_hi_u32 s28, s10, s20
	s_mul_i32 s8, s11, s20
	s_add_nc_u64 s[44:45], s[28:29], s[44:45]
	s_mul_hi_u32 s7, s11, s20
	s_mul_hi_u32 s23, s11, s21
	s_add_co_u32 s8, s44, s8
	s_add_co_ci_u32 s28, s45, s7
	s_mul_i32 s20, s11, s21
	s_add_co_ci_u32 s21, s23, 0
	s_delay_alu instid0(SALU_CYCLE_1) | instskip(NEXT) | instid1(SALU_CYCLE_1)
	s_add_nc_u64 s[20:21], s[28:29], s[20:21]
	s_add_co_u32 s7, s10, s20
	s_cselect_b32 s8, -1, 0
	s_mul_hi_u32 s28, s66, s7
	s_cmp_lg_u32 s8, 0
	s_mul_hi_u32 s8, s67, s7
	s_add_co_ci_u32 s20, s11, s21
	s_mul_i32 s7, s67, s7
	s_mul_hi_u32 s11, s66, s20
	s_mul_i32 s10, s66, s20
	s_mul_hi_u32 s21, s67, s20
	s_add_nc_u64 s[10:11], s[28:29], s[10:11]
	s_mul_i32 s20, s67, s20
	s_add_co_u32 s7, s10, s7
	s_add_co_ci_u32 s28, s11, s8
	s_add_co_ci_u32 s21, s21, 0
	s_delay_alu instid0(SALU_CYCLE_1) | instskip(NEXT) | instid1(SALU_CYCLE_1)
	s_add_nc_u64 s[10:11], s[28:29], s[20:21]
	s_and_b64 s[20:21], s[10:11], 0xffffffff00000000
	s_delay_alu instid0(SALU_CYCLE_1) | instskip(NEXT) | instid1(SALU_CYCLE_1)
	s_or_b32 s20, s20, s10
	s_mul_u64 s[10:11], s[48:49], s[20:21]
	s_delay_alu instid0(SALU_CYCLE_1) | instskip(SKIP_1) | instid1(SALU_CYCLE_1)
	s_sub_co_u32 s7, s66, s10
	s_cselect_b32 s8, -1, 0
	s_cmp_lg_u32 s8, 0
	s_sub_co_ci_u32 s8, s67, s11
	s_sub_co_u32 s10, s7, s48
	s_cselect_b32 s11, -1, 0
	s_delay_alu instid0(SALU_CYCLE_1) | instskip(SKIP_3) | instid1(SALU_CYCLE_1)
	s_cmp_lg_u32 s11, 0
	s_sub_co_ci_u32 s11, s8, 0
	s_sub_co_u32 s20, s10, s48
	s_cselect_b32 s21, -1, 0
	s_cmp_lg_u32 s21, 0
	s_sub_co_ci_u32 s21, s11, 0
	s_cmp_ge_u32 s10, s48
	s_cselect_b32 s23, -1, 0
	s_cmp_eq_u32 s11, 0
	s_cselect_b32 s23, s23, -1
	s_delay_alu instid0(SALU_CYCLE_1)
	s_cmp_lg_u32 s23, 0
	s_cselect_b32 s11, s21, s11
	s_cselect_b32 s10, s20, s10
	s_cmp_ge_u32 s7, s48
	s_cselect_b32 s20, -1, 0
	s_cmp_eq_u32 s8, 0
	s_cselect_b32 s20, s20, -1
	s_delay_alu instid0(SALU_CYCLE_1)
	s_cmp_lg_u32 s20, 0
	s_cselect_b32 s11, s11, s8
	s_cselect_b32 s10, s10, s7
	s_mov_b32 s8, 0
	s_branch .LBB171_244
.LBB171_243:                            ;   in Loop: Header=BB171_12 Depth=1
	s_mov_b32 s8, -1
                                        ; implicit-def: $sgpr10_sgpr11
.LBB171_244:                            ;   in Loop: Header=BB171_12 Depth=1
	s_delay_alu instid0(SALU_CYCLE_1)
	s_and_not1_b32 vcc_lo, exec_lo, s8
	s_cbranch_vccnz .LBB171_246
; %bb.245:                              ;   in Loop: Header=BB171_12 Depth=1
	v_cvt_f32_u32_e32 v6, s48
	s_sub_co_i32 s8, 0, s48
	s_delay_alu instid0(VALU_DEP_1) | instskip(SKIP_1) | instid1(TRANS32_DEP_1)
	v_rcp_iflag_f32_e32 v6, v6
	v_nop
	v_mul_f32_e32 v6, 0x4f7ffffe, v6
	s_delay_alu instid0(VALU_DEP_1) | instskip(NEXT) | instid1(VALU_DEP_1)
	v_cvt_u32_f32_e32 v6, v6
	v_readfirstlane_b32 s7, v6
	s_mul_i32 s8, s8, s7
	s_delay_alu instid0(SALU_CYCLE_1) | instskip(NEXT) | instid1(SALU_CYCLE_1)
	s_mul_hi_u32 s8, s7, s8
	s_add_co_i32 s7, s7, s8
	s_delay_alu instid0(SALU_CYCLE_1) | instskip(NEXT) | instid1(SALU_CYCLE_1)
	s_mul_hi_u32 s7, s66, s7
	s_mul_i32 s7, s7, s48
	s_delay_alu instid0(SALU_CYCLE_1) | instskip(NEXT) | instid1(SALU_CYCLE_1)
	s_sub_co_i32 s7, s66, s7
	s_sub_co_i32 s8, s7, s48
	s_cmp_ge_u32 s7, s48
	s_cselect_b32 s7, s8, s7
	s_delay_alu instid0(SALU_CYCLE_1) | instskip(SKIP_2) | instid1(SALU_CYCLE_1)
	s_sub_co_i32 s8, s7, s48
	s_cmp_ge_u32 s7, s48
	s_cselect_b32 s28, s8, s7
	s_mov_b64 s[10:11], s[28:29]
.LBB171_246:                            ;   in Loop: Header=BB171_12 Depth=1
	s_delay_alu instid0(SALU_CYCLE_1)
	s_sub_nc_u64 s[10:11], s[66:67], s[10:11]
	s_mov_b32 s20, exec_lo
                                        ; implicit-def: $vgpr10
	v_cmpx_gt_u64_e64 s[10:11], v[0:1]
	s_cbranch_execz .LBB171_255
; %bb.247:                              ;   in Loop: Header=BB171_12 Depth=1
	v_mov_b64_e32 v[6:7], v[0:1]
	s_mov_b32 s21, 0
                                        ; implicit-def: $sgpr23
	s_branch .LBB171_250
.LBB171_248:                            ;   in Loop: Header=BB171_250 Depth=2
	s_or_b32 exec_lo, exec_lo, s28
	s_wait_dscnt 0x0
	s_barrier_signal -1
	s_barrier_wait -1
	ds_load_b32 v10, v3 offset:3072
	s_mov_b32 s28, -1
	s_mov_b32 s8, -1
	s_wait_dscnt 0x0
	s_barrier_signal -1
	s_barrier_wait -1
	v_and_b32_e32 v11, 0xffff, v10
	s_delay_alu instid0(VALU_DEP_1)
	v_cmp_eq_u32_e32 vcc_lo, 0, v11
	s_cbranch_vccnz .LBB171_253
.LBB171_249:                            ;   in Loop: Header=BB171_250 Depth=2
	s_and_b32 s7, exec_lo, s28
	s_delay_alu instid0(SALU_CYCLE_1) | instskip(SKIP_2) | instid1(SALU_CYCLE_1)
	s_or_b32 s21, s7, s21
	s_and_not1_b32 s7, s23, exec_lo
	s_and_b32 s8, s8, exec_lo
	s_or_b32 s23, s7, s8
	s_and_not1_b32 exec_lo, exec_lo, s21
	s_cbranch_execz .LBB171_254
.LBB171_250:                            ;   Parent Loop BB171_12 Depth=1
                                        ; =>  This Inner Loop Header: Depth=2
	s_mov_b32 s28, exec_lo
	s_delay_alu instid0(VALU_DEP_1)
	v_cmpx_gt_u64_e64 s[36:37], v[6:7]
	s_cbranch_execz .LBB171_248
; %bb.251:                              ;   in Loop: Header=BB171_250 Depth=2
	v_mul_u64_e32 v[10:11], s[30:31], v[6:7]
	s_delay_alu instid0(VALU_DEP_1) | instskip(SKIP_3) | instid1(VALU_DEP_1)
	v_lshl_add_u64 v[10:11], v[10:11], 1, s[34:35]
	global_load_u16 v10, v[10:11], off
	s_wait_loadcnt 0x0
	v_bfe_i32 v11, v10, 0, 16
	v_add_nc_u32_e32 v11, 0x8000, v11
	s_delay_alu instid0(VALU_DEP_1) | instskip(NEXT) | instid1(VALU_DEP_1)
	v_and_b32_e32 v11, v11, v9
	v_cmp_eq_u32_e32 vcc_lo, v11, v8
	s_and_b32 exec_lo, exec_lo, vcc_lo
	s_cbranch_execz .LBB171_248
; %bb.252:                              ;   in Loop: Header=BB171_250 Depth=2
	v_perm_b32 v10, v10, 1, 0x5040100
	ds_store_b32 v3, v10 offset:3072
	s_branch .LBB171_248
.LBB171_253:                            ;   in Loop: Header=BB171_250 Depth=2
	v_add_nc_u64_e32 v[6:7], s[48:49], v[6:7]
	s_mov_b32 s8, 0
	s_delay_alu instid0(VALU_DEP_1)
	v_cmp_le_u64_e32 vcc_lo, s[10:11], v[6:7]
	s_or_not1_b32 s28, vcc_lo, exec_lo
	s_branch .LBB171_249
.LBB171_254:                            ;   in Loop: Header=BB171_12 Depth=1
	s_or_b32 exec_lo, exec_lo, s21
	v_lshrrev_b32_e32 v10, 16, v10
	s_and_not1_b32 s7, s22, exec_lo
	s_and_b32 s8, s23, exec_lo
	s_delay_alu instid0(SALU_CYCLE_1)
	s_or_b32 s22, s7, s8
.LBB171_255:                            ;   in Loop: Header=BB171_12 Depth=1
	s_or_b32 exec_lo, exec_lo, s20
	s_mov_b32 s44, 0
	s_mov_b32 s45, -1
.LBB171_256:                            ;   in Loop: Header=BB171_12 Depth=1
	s_or_not1_b32 s11, s22, exec_lo
.LBB171_257:                            ;   in Loop: Header=BB171_12 Depth=1
	s_or_b32 exec_lo, exec_lo, s91
	s_mov_b32 s20, 0
	s_and_saveexec_b32 s10, s11
	s_cbranch_execz .LBB171_268
; %bb.258:                              ;   in Loop: Header=BB171_12 Depth=1
	v_mov_b64_e32 v[6:7], 1
	v_mov_b32_e32 v2, 1
	s_xor_b32 s7, s90, -1
	s_delay_alu instid0(SALU_CYCLE_1)
	s_and_saveexec_b32 s11, s7
	s_cbranch_execz .LBB171_267
; %bb.259:                              ;   in Loop: Header=BB171_12 Depth=1
	s_mov_b32 s7, exec_lo
	v_cmpx_ge_u64_e64 s[18:19], v[4:5]
	s_xor_b32 s20, exec_lo, s7
	s_cbranch_execz .LBB171_264
; %bb.260:                              ;   in Loop: Header=BB171_12 Depth=1
	ds_load_b64 v[6:7], v3 offset:5120
	v_or_b32_e32 v8, s24, v8
	v_or_b32_e32 v9, s24, v9
	s_wait_dscnt 0x0
	v_cmp_ne_u64_e32 vcc_lo, 0, v[6:7]
	s_cbranch_vccnz .LBB171_264
; %bb.261:                              ;   in Loop: Header=BB171_12 Depth=1
	s_and_saveexec_b32 s8, s5
; %bb.262:                              ;   in Loop: Header=BB171_12 Depth=1
	v_mov_b64_e32 v[6:7], s[18:19]
	ds_store_b64 v3, v[6:7] offset:5128
; %bb.263:                              ;   in Loop: Header=BB171_12 Depth=1
	s_or_b32 exec_lo, exec_lo, s8
	s_wait_dscnt 0x0
	s_barrier_signal -1
	s_barrier_wait -1
.LBB171_264:                            ;   in Loop: Header=BB171_12 Depth=1
	s_and_not1_saveexec_b32 s20, s20
; %bb.265:                              ;   in Loop: Header=BB171_12 Depth=1
	v_sub_nc_u64_e64 v[4:5], v[4:5], s[18:19]
; %bb.266:                              ;   in Loop: Header=BB171_12 Depth=1
	s_or_b32 exec_lo, exec_lo, s20
	s_delay_alu instid0(VALU_DEP_1)
	v_mov_b64_e32 v[6:7], v[4:5]
	v_mov_b32_e32 v2, 8
.LBB171_267:                            ;   in Loop: Header=BB171_12 Depth=1
	s_or_b32 exec_lo, exec_lo, s11
	s_delay_alu instid0(VALU_DEP_2)
	v_mov_b64_e32 v[4:5], v[6:7]
	s_mov_b32 s20, exec_lo
.LBB171_268:                            ;   in Loop: Header=BB171_12 Depth=1
	s_or_b32 exec_lo, exec_lo, s10
	s_delay_alu instid0(SALU_CYCLE_1)
	s_or_not1_b32 s10, s20, exec_lo
.LBB171_269:                            ;   in Loop: Header=BB171_12 Depth=1
	s_or_b32 exec_lo, exec_lo, s89
	s_delay_alu instid0(VALU_DEP_1)
	v_mov_b64_e32 v[6:7], v[4:5]
	s_and_not1_b32 s8, s87, exec_lo
	s_and_b32 s11, s45, exec_lo
	s_and_not1_b32 s20, s86, exec_lo
	s_and_b32 s21, s44, exec_lo
	s_or_b32 s87, s8, s11
	s_or_b32 s86, s20, s21
	s_and_b32 s11, s10, exec_lo
.LBB171_270:                            ;   in Loop: Header=BB171_12 Depth=1
	s_or_b32 exec_lo, exec_lo, s88
	s_delay_alu instid0(SALU_CYCLE_1)
	s_or_not1_b32 s10, s11, exec_lo
.LBB171_271:                            ;   in Loop: Header=BB171_12 Depth=1
	s_or_b32 exec_lo, exec_lo, s85
	v_mov_b64_e32 v[4:5], v[6:7]
	s_and_not1_b32 s8, s83, exec_lo
	s_and_b32 s11, s87, exec_lo
	s_and_not1_b32 s20, s78, exec_lo
	s_and_b32 s21, s86, exec_lo
	s_or_b32 s83, s8, s11
	s_or_b32 s78, s20, s21
	s_and_b32 s11, s10, exec_lo
.LBB171_272:                            ;   in Loop: Header=BB171_12 Depth=1
	s_or_b32 exec_lo, exec_lo, s84
	s_delay_alu instid0(SALU_CYCLE_1)
	s_or_not1_b32 s10, s11, exec_lo
.LBB171_273:                            ;   in Loop: Header=BB171_12 Depth=1
	s_or_b32 exec_lo, exec_lo, s27
	s_mov_b32 s11, 0
	s_mov_b32 s20, 0
	s_and_saveexec_b32 s8, s10
	s_delay_alu instid0(SALU_CYCLE_1)
	s_xor_b32 s8, exec_lo, s8
; %bb.274:                              ;   in Loop: Header=BB171_12 Depth=1
	v_cmp_ne_u32_e32 vcc_lo, 8, v2
	v_cmp_eq_u32_e64 s10, 8, v2
	s_and_b32 s20, vcc_lo, exec_lo
	s_and_b32 s11, s10, exec_lo
; %bb.275:                              ;   in Loop: Header=BB171_12 Depth=1
	s_or_b32 exec_lo, exec_lo, s8
	s_delay_alu instid0(SALU_CYCLE_1)
	s_and_not1_b32 s8, s80, exec_lo
	s_and_b32 s10, s83, exec_lo
	s_and_not1_b32 s21, s79, exec_lo
	s_and_b32 s22, s78, exec_lo
	s_or_b32 s80, s8, s10
	s_or_b32 s79, s21, s22
	s_and_b32 s27, s20, exec_lo
	s_and_b32 s78, s11, exec_lo
.LBB171_276:                            ;   in Loop: Header=BB171_12 Depth=1
	s_or_b32 exec_lo, exec_lo, s82
.LBB171_277:                            ;   in Loop: Header=BB171_12 Depth=1
	s_delay_alu instid0(SALU_CYCLE_1)
	s_and_b32 vcc_lo, exec_lo, s81
	s_cbranch_vccz .LBB171_293
; %bb.278:                              ;   in Loop: Header=BB171_12 Depth=1
	s_cmp_eq_u64 s[18:19], 1
	s_mov_b32 s10, -1
	s_cselect_b32 s8, -1, 0
                                        ; implicit-def: $sgpr81
                                        ; implicit-def: $sgpr25
	s_delay_alu instid0(SALU_CYCLE_1) | instskip(NEXT) | instid1(SALU_CYCLE_1)
	s_and_b32 s9, s8, s9
	s_and_saveexec_b32 s79, s9
	s_cbranch_execz .LBB171_311
; %bb.279:                              ;   in Loop: Header=BB171_12 Depth=1
	ds_load_b64 v[4:5], v3 offset:5120
	s_wait_dscnt 0x0
	s_barrier_signal -1
	s_barrier_wait -1
	v_readfirstlane_b32 s10, v4
	v_readfirstlane_b32 s11, v5
	s_and_saveexec_b32 s8, s6
; %bb.280:                              ;   in Loop: Header=BB171_12 Depth=1
	ds_store_b16 v29, v3
; %bb.281:                              ;   in Loop: Header=BB171_12 Depth=1
	s_or_b32 exec_lo, exec_lo, s8
	v_or_b32_e32 v31, s24, v31
	v_or_b32_e32 v34, s24, v34
	s_mov_b32 s25, -1
	s_mov_b32 s81, 0
	s_cmp_eq_u64 s[10:11], 0
	s_mov_b32 s22, 0
	s_mov_b32 s23, -1
	s_wait_dscnt 0x0
	s_barrier_signal -1
	s_barrier_wait -1
                                        ; implicit-def: $vgpr35
	s_cbranch_scc1 .LBB171_296
; %bb.282:                              ;   in Loop: Header=BB171_12 Depth=1
	s_add_nc_u64 s[20:21], s[10:11], s[64:65]
	s_delay_alu instid0(SALU_CYCLE_1) | instskip(NEXT) | instid1(SALU_CYCLE_1)
	s_and_b64 s[22:23], s[20:21], 0xffffffff00000000
	s_cmp_lg_u64 s[22:23], 0
	s_cbranch_scc0 .LBB171_334
; %bb.283:                              ;   in Loop: Header=BB171_12 Depth=1
	s_cvt_f32_u32 s8, s48
	s_sub_nc_u64 s[44:45], 0, s[48:49]
	s_delay_alu instid0(SALU_CYCLE_2) | instskip(NEXT) | instid1(SALU_CYCLE_3)
	s_fmamk_f32 s8, s100, 0x0, s8
	v_s_rcp_f32 s8, s8
	s_delay_alu instid0(TRANS32_DEP_1) | instskip(NEXT) | instid1(SALU_CYCLE_3)
	s_mul_f32 s8, s8, 0x5f7ffffc
	s_mul_f32 s22, s8, 0x2f800000
	s_delay_alu instid0(SALU_CYCLE_3) | instskip(NEXT) | instid1(SALU_CYCLE_3)
	s_trunc_f32 s22, s22
	s_fmamk_f32 s8, s22, 0xcf800000, s8
	s_cvt_u32_f32 s23, s22
	s_delay_alu instid0(SALU_CYCLE_2) | instskip(NEXT) | instid1(SALU_CYCLE_3)
	s_cvt_u32_f32 s22, s8
	s_mul_u64 s[46:47], s[44:45], s[22:23]
	s_delay_alu instid0(SALU_CYCLE_1)
	s_mul_hi_u32 s83, s22, s47
	s_mul_i32 s82, s22, s47
	s_mul_hi_u32 s28, s22, s46
	s_mul_i32 s52, s23, s46
	s_add_nc_u64 s[82:83], s[28:29], s[82:83]
	s_mul_hi_u32 s8, s23, s46
	s_mul_hi_u32 s53, s23, s47
	s_add_co_u32 s28, s82, s52
	s_add_co_ci_u32 s28, s83, s8
	s_mul_i32 s46, s23, s47
	s_add_co_ci_u32 s47, s53, 0
	s_delay_alu instid0(SALU_CYCLE_1) | instskip(NEXT) | instid1(SALU_CYCLE_1)
	s_add_nc_u64 s[46:47], s[28:29], s[46:47]
	s_add_co_u32 s22, s22, s46
	s_cselect_b32 s8, -1, 0
	s_delay_alu instid0(SALU_CYCLE_1) | instskip(SKIP_1) | instid1(SALU_CYCLE_1)
	s_cmp_lg_u32 s8, 0
	s_add_co_ci_u32 s23, s23, s47
	s_mul_u64 s[44:45], s[44:45], s[22:23]
	s_delay_alu instid0(SALU_CYCLE_1)
	s_mul_hi_u32 s47, s22, s45
	s_mul_i32 s46, s22, s45
	s_mul_hi_u32 s28, s22, s44
	s_mul_i32 s52, s23, s44
	s_add_nc_u64 s[46:47], s[28:29], s[46:47]
	s_mul_hi_u32 s8, s23, s44
	s_mul_hi_u32 s53, s23, s45
	s_add_co_u32 s28, s46, s52
	s_add_co_ci_u32 s28, s47, s8
	s_mul_i32 s44, s23, s45
	s_add_co_ci_u32 s45, s53, 0
	s_delay_alu instid0(SALU_CYCLE_1) | instskip(NEXT) | instid1(SALU_CYCLE_1)
	s_add_nc_u64 s[44:45], s[28:29], s[44:45]
	s_add_co_u32 s8, s22, s44
	s_cselect_b32 s22, -1, 0
	s_mul_hi_u32 s28, s20, s8
	s_cmp_lg_u32 s22, 0
	s_mul_hi_u32 s46, s21, s8
	s_add_co_ci_u32 s44, s23, s45
	s_mul_i32 s8, s21, s8
	s_mul_hi_u32 s23, s20, s44
	s_mul_i32 s22, s20, s44
	s_mul_hi_u32 s45, s21, s44
	s_add_nc_u64 s[22:23], s[28:29], s[22:23]
	s_mul_i32 s44, s21, s44
	s_add_co_u32 s8, s22, s8
	s_add_co_ci_u32 s28, s23, s46
	s_add_co_ci_u32 s45, s45, 0
	s_delay_alu instid0(SALU_CYCLE_1) | instskip(NEXT) | instid1(SALU_CYCLE_1)
	s_add_nc_u64 s[22:23], s[28:29], s[44:45]
	s_and_b64 s[44:45], s[22:23], 0xffffffff00000000
	s_delay_alu instid0(SALU_CYCLE_1) | instskip(NEXT) | instid1(SALU_CYCLE_1)
	s_or_b32 s44, s44, s22
	s_mul_u64 s[22:23], s[48:49], s[44:45]
	s_delay_alu instid0(SALU_CYCLE_1) | instskip(SKIP_1) | instid1(SALU_CYCLE_1)
	s_sub_co_u32 s8, s20, s22
	s_cselect_b32 s22, -1, 0
	s_cmp_lg_u32 s22, 0
	s_sub_co_ci_u32 s22, s21, s23
	s_sub_co_u32 s23, s8, s48
	s_cselect_b32 s28, -1, 0
	s_delay_alu instid0(SALU_CYCLE_1) | instskip(SKIP_3) | instid1(SALU_CYCLE_1)
	s_cmp_lg_u32 s28, 0
	s_sub_co_ci_u32 s28, s22, 0
	s_sub_co_u32 s44, s23, s48
	s_cselect_b32 s45, -1, 0
	s_cmp_lg_u32 s45, 0
	s_sub_co_ci_u32 s45, s28, 0
	s_cmp_ge_u32 s23, s48
	s_cselect_b32 s46, -1, 0
	s_cmp_eq_u32 s28, 0
	s_cselect_b32 s46, s46, -1
	s_delay_alu instid0(SALU_CYCLE_1)
	s_cmp_lg_u32 s46, 0
	s_cselect_b32 s28, s45, s28
	s_cselect_b32 s44, s44, s23
	s_cmp_ge_u32 s8, s48
	s_cselect_b32 s23, -1, 0
	s_cmp_eq_u32 s22, 0
	s_cselect_b32 s23, s23, -1
	s_delay_alu instid0(SALU_CYCLE_1)
	s_cmp_lg_u32 s23, 0
	s_cselect_b32 s23, s28, s22
	s_cselect_b32 s22, s44, s8
	s_cbranch_execnz .LBB171_285
.LBB171_284:                            ;   in Loop: Header=BB171_12 Depth=1
	v_cvt_f32_u32_e32 v2, s48
	s_sub_co_i32 s22, 0, s48
	s_delay_alu instid0(VALU_DEP_1) | instskip(SKIP_1) | instid1(TRANS32_DEP_1)
	v_rcp_iflag_f32_e32 v2, v2
	v_nop
	v_mul_f32_e32 v2, 0x4f7ffffe, v2
	s_delay_alu instid0(VALU_DEP_1) | instskip(NEXT) | instid1(VALU_DEP_1)
	v_cvt_u32_f32_e32 v2, v2
	v_readfirstlane_b32 s8, v2
	s_mul_i32 s22, s22, s8
	s_delay_alu instid0(SALU_CYCLE_1) | instskip(NEXT) | instid1(SALU_CYCLE_1)
	s_mul_hi_u32 s22, s8, s22
	s_add_co_i32 s8, s8, s22
	s_delay_alu instid0(SALU_CYCLE_1) | instskip(NEXT) | instid1(SALU_CYCLE_1)
	s_mul_hi_u32 s8, s20, s8
	s_mul_i32 s8, s8, s48
	s_delay_alu instid0(SALU_CYCLE_1) | instskip(NEXT) | instid1(SALU_CYCLE_1)
	s_sub_co_i32 s8, s20, s8
	s_sub_co_i32 s22, s8, s48
	s_cmp_ge_u32 s8, s48
	s_cselect_b32 s8, s22, s8
	s_delay_alu instid0(SALU_CYCLE_1) | instskip(SKIP_2) | instid1(SALU_CYCLE_1)
	s_sub_co_i32 s22, s8, s48
	s_cmp_ge_u32 s8, s48
	s_cselect_b32 s28, s22, s8
	s_mov_b64 s[22:23], s[28:29]
.LBB171_285:                            ;   in Loop: Header=BB171_12 Depth=1
	s_delay_alu instid0(SALU_CYCLE_1)
	s_sub_nc_u64 s[20:21], s[20:21], s[22:23]
	s_mov_b32 s23, 0
	s_mov_b32 s22, 0
	s_mov_b32 s28, exec_lo
                                        ; implicit-def: $vgpr35
	v_cmpx_gt_u64_e64 s[20:21], v[0:1]
	s_cbranch_execz .LBB171_295
; %bb.286:                              ;   in Loop: Header=BB171_12 Depth=1
	v_mov_b64_e32 v[4:5], v[0:1]
	v_mov_b32_e32 v2, v28
                                        ; implicit-def: $sgpr44
	s_branch .LBB171_289
.LBB171_287:                            ;   in Loop: Header=BB171_289 Depth=2
	s_or_b32 exec_lo, exec_lo, s45
	s_wait_dscnt 0x0
	s_barrier_signal -1
	s_barrier_wait -1
	ds_load_b32 v6, v3 offset:3072
	s_mov_b32 s8, -1
	s_mov_b32 s45, -1
	s_wait_dscnt 0x0
	s_barrier_signal -1
	s_barrier_wait -1
	v_and_b32_e32 v7, 0xffff, v6
	s_delay_alu instid0(VALU_DEP_1)
	v_cmp_ne_u32_e32 vcc_lo, 0, v7
	s_cbranch_vccz .LBB171_292
.LBB171_288:                            ;   in Loop: Header=BB171_289 Depth=2
	s_and_b32 s7, exec_lo, s8
	s_delay_alu instid0(SALU_CYCLE_1) | instskip(SKIP_2) | instid1(SALU_CYCLE_1)
	s_or_b32 s22, s7, s22
	s_and_not1_b32 s7, s44, exec_lo
	s_and_b32 s8, s45, exec_lo
	s_or_b32 s44, s7, s8
	s_and_not1_b32 exec_lo, exec_lo, s22
	s_cbranch_execz .LBB171_294
.LBB171_289:                            ;   Parent Loop BB171_12 Depth=1
                                        ; =>  This Inner Loop Header: Depth=2
	s_mov_b32 s45, exec_lo
	s_delay_alu instid0(VALU_DEP_2)
	v_cmpx_gt_u64_e64 s[10:11], v[4:5]
	s_cbranch_execz .LBB171_287
; %bb.290:                              ;   in Loop: Header=BB171_289 Depth=2
	ds_load_u16 v6, v2
	s_wait_dscnt 0x0
	v_bfe_i32 v7, v6, 0, 16
	s_delay_alu instid0(VALU_DEP_1) | instskip(NEXT) | instid1(VALU_DEP_1)
	v_add_nc_u32_e32 v7, 0x8000, v7
	v_and_b32_e32 v7, v7, v34
	s_delay_alu instid0(VALU_DEP_1)
	v_cmp_eq_u32_e32 vcc_lo, v7, v31
	s_and_b32 exec_lo, exec_lo, vcc_lo
	s_cbranch_execz .LBB171_287
; %bb.291:                              ;   in Loop: Header=BB171_289 Depth=2
	v_perm_b32 v6, v6, 1, 0x5040100
	ds_store_b32 v3, v6 offset:3072
	s_branch .LBB171_287
.LBB171_292:                            ;   in Loop: Header=BB171_289 Depth=2
	v_add_nc_u64_e32 v[4:5], s[48:49], v[4:5]
	v_add_nc_u32_e32 v2, s99, v2
	s_mov_b32 s45, 0
	s_delay_alu instid0(VALU_DEP_2)
	v_cmp_le_u64_e32 vcc_lo, s[20:21], v[4:5]
	s_or_not1_b32 s8, vcc_lo, exec_lo
	s_branch .LBB171_288
.LBB171_293:                            ;   in Loop: Header=BB171_12 Depth=1
	v_dual_mov_b32 v31, v8 :: v_dual_mov_b32 v34, v9
	v_mov_b32_e32 v35, v10
	s_mov_b32 s81, 0
	s_and_saveexec_b32 s8, s78
	s_cbranch_execnz .LBB171_470
	s_branch .LBB171_471
.LBB171_294:                            ;   in Loop: Header=BB171_12 Depth=1
	s_or_b32 exec_lo, exec_lo, s22
	v_lshrrev_b32_e32 v35, 16, v6
	s_and_b32 s22, s44, exec_lo
.LBB171_295:                            ;   in Loop: Header=BB171_12 Depth=1
	s_or_b32 exec_lo, exec_lo, s28
.LBB171_296:                            ;   in Loop: Header=BB171_12 Depth=1
	s_delay_alu instid0(SALU_CYCLE_1)
	s_and_b32 vcc_lo, exec_lo, s23
	s_cbranch_vccz .LBB171_310
; %bb.297:                              ;   in Loop: Header=BB171_12 Depth=1
	s_and_b64 s[10:11], s[66:67], 0xffffffff00000000
	s_delay_alu instid0(SALU_CYCLE_1)
	s_cmp_lg_u64 s[10:11], 0
	s_cbranch_scc0 .LBB171_335
; %bb.298:                              ;   in Loop: Header=BB171_12 Depth=1
	s_cvt_f32_u32 s8, s48
	s_sub_nc_u64 s[20:21], 0, s[48:49]
	s_delay_alu instid0(SALU_CYCLE_2) | instskip(NEXT) | instid1(SALU_CYCLE_3)
	s_fmamk_f32 s8, s100, 0x0, s8
	v_s_rcp_f32 s8, s8
	s_delay_alu instid0(TRANS32_DEP_1) | instskip(NEXT) | instid1(SALU_CYCLE_3)
	s_mul_f32 s8, s8, 0x5f7ffffc
	s_mul_f32 s10, s8, 0x2f800000
	s_delay_alu instid0(SALU_CYCLE_3) | instskip(NEXT) | instid1(SALU_CYCLE_3)
	s_trunc_f32 s10, s10
	s_fmamk_f32 s8, s10, 0xcf800000, s8
	s_cvt_u32_f32 s11, s10
	s_delay_alu instid0(SALU_CYCLE_2) | instskip(NEXT) | instid1(SALU_CYCLE_3)
	s_cvt_u32_f32 s10, s8
	s_mul_u64 s[44:45], s[20:21], s[10:11]
	s_delay_alu instid0(SALU_CYCLE_1)
	s_mul_hi_u32 s47, s10, s45
	s_mul_i32 s46, s10, s45
	s_mul_hi_u32 s28, s10, s44
	s_mul_i32 s23, s11, s44
	s_add_nc_u64 s[46:47], s[28:29], s[46:47]
	s_mul_hi_u32 s8, s11, s44
	s_mul_hi_u32 s25, s11, s45
	s_add_co_u32 s23, s46, s23
	s_add_co_ci_u32 s28, s47, s8
	s_mul_i32 s44, s11, s45
	s_add_co_ci_u32 s45, s25, 0
	s_delay_alu instid0(SALU_CYCLE_1) | instskip(NEXT) | instid1(SALU_CYCLE_1)
	s_add_nc_u64 s[44:45], s[28:29], s[44:45]
	s_add_co_u32 s10, s10, s44
	s_cselect_b32 s8, -1, 0
	s_delay_alu instid0(SALU_CYCLE_1) | instskip(SKIP_1) | instid1(SALU_CYCLE_1)
	s_cmp_lg_u32 s8, 0
	s_add_co_ci_u32 s11, s11, s45
	s_mul_u64 s[20:21], s[20:21], s[10:11]
	s_delay_alu instid0(SALU_CYCLE_1)
	s_mul_hi_u32 s45, s10, s21
	s_mul_i32 s44, s10, s21
	s_mul_hi_u32 s28, s10, s20
	s_mul_i32 s23, s11, s20
	s_add_nc_u64 s[44:45], s[28:29], s[44:45]
	s_mul_hi_u32 s8, s11, s20
	s_mul_hi_u32 s25, s11, s21
	s_mul_i32 s20, s11, s21
	s_add_co_u32 s21, s44, s23
	s_add_co_ci_u32 s28, s45, s8
	s_add_co_ci_u32 s21, s25, 0
	s_delay_alu instid0(SALU_CYCLE_1) | instskip(NEXT) | instid1(SALU_CYCLE_1)
	s_add_nc_u64 s[20:21], s[28:29], s[20:21]
	s_add_co_u32 s8, s10, s20
	s_cselect_b32 s10, -1, 0
	s_mul_hi_u32 s28, s66, s8
	s_cmp_lg_u32 s10, 0
	s_mul_hi_u32 s23, s67, s8
	s_add_co_ci_u32 s20, s11, s21
	s_mul_i32 s8, s67, s8
	s_mul_hi_u32 s11, s66, s20
	s_mul_i32 s10, s66, s20
	s_mul_hi_u32 s21, s67, s20
	s_add_nc_u64 s[10:11], s[28:29], s[10:11]
	s_mul_i32 s20, s67, s20
	s_add_co_u32 s8, s10, s8
	s_add_co_ci_u32 s28, s11, s23
	s_add_co_ci_u32 s21, s21, 0
	s_delay_alu instid0(SALU_CYCLE_1) | instskip(NEXT) | instid1(SALU_CYCLE_1)
	s_add_nc_u64 s[10:11], s[28:29], s[20:21]
	s_and_b64 s[20:21], s[10:11], 0xffffffff00000000
	s_delay_alu instid0(SALU_CYCLE_1) | instskip(NEXT) | instid1(SALU_CYCLE_1)
	s_or_b32 s20, s20, s10
	s_mul_u64 s[10:11], s[48:49], s[20:21]
	s_delay_alu instid0(SALU_CYCLE_1) | instskip(SKIP_1) | instid1(SALU_CYCLE_1)
	s_sub_co_u32 s8, s66, s10
	s_cselect_b32 s10, -1, 0
	s_cmp_lg_u32 s10, 0
	s_sub_co_ci_u32 s10, s67, s11
	s_sub_co_u32 s11, s8, s48
	s_cselect_b32 s20, -1, 0
	s_delay_alu instid0(SALU_CYCLE_1) | instskip(SKIP_3) | instid1(SALU_CYCLE_1)
	s_cmp_lg_u32 s20, 0
	s_sub_co_ci_u32 s20, s10, 0
	s_sub_co_u32 s21, s11, s48
	s_cselect_b32 s23, -1, 0
	s_cmp_lg_u32 s23, 0
	s_sub_co_ci_u32 s23, s20, 0
	s_cmp_ge_u32 s11, s48
	s_cselect_b32 s25, -1, 0
	s_cmp_eq_u32 s20, 0
	s_cselect_b32 s25, s25, -1
	s_delay_alu instid0(SALU_CYCLE_1)
	s_cmp_lg_u32 s25, 0
	s_cselect_b32 s20, s23, s20
	s_cselect_b32 s21, s21, s11
	s_cmp_ge_u32 s8, s48
	s_cselect_b32 s11, -1, 0
	s_cmp_eq_u32 s10, 0
	s_cselect_b32 s11, s11, -1
	s_delay_alu instid0(SALU_CYCLE_1)
	s_cmp_lg_u32 s11, 0
	s_cselect_b32 s11, s20, s10
	s_cselect_b32 s10, s21, s8
	s_cbranch_execnz .LBB171_300
.LBB171_299:                            ;   in Loop: Header=BB171_12 Depth=1
	v_cvt_f32_u32_e32 v2, s48
	s_sub_co_i32 s10, 0, s48
	s_delay_alu instid0(VALU_DEP_1) | instskip(SKIP_1) | instid1(TRANS32_DEP_1)
	v_rcp_iflag_f32_e32 v2, v2
	v_nop
	v_mul_f32_e32 v2, 0x4f7ffffe, v2
	s_delay_alu instid0(VALU_DEP_1) | instskip(NEXT) | instid1(VALU_DEP_1)
	v_cvt_u32_f32_e32 v2, v2
	v_readfirstlane_b32 s8, v2
	s_mul_i32 s10, s10, s8
	s_delay_alu instid0(SALU_CYCLE_1) | instskip(NEXT) | instid1(SALU_CYCLE_1)
	s_mul_hi_u32 s10, s8, s10
	s_add_co_i32 s8, s8, s10
	s_delay_alu instid0(SALU_CYCLE_1) | instskip(NEXT) | instid1(SALU_CYCLE_1)
	s_mul_hi_u32 s8, s66, s8
	s_mul_i32 s8, s8, s48
	s_delay_alu instid0(SALU_CYCLE_1) | instskip(NEXT) | instid1(SALU_CYCLE_1)
	s_sub_co_i32 s8, s66, s8
	s_sub_co_i32 s10, s8, s48
	s_cmp_ge_u32 s8, s48
	s_cselect_b32 s8, s10, s8
	s_delay_alu instid0(SALU_CYCLE_1) | instskip(SKIP_2) | instid1(SALU_CYCLE_1)
	s_sub_co_i32 s10, s8, s48
	s_cmp_ge_u32 s8, s48
	s_cselect_b32 s28, s10, s8
	s_mov_b64 s[10:11], s[28:29]
.LBB171_300:                            ;   in Loop: Header=BB171_12 Depth=1
	s_delay_alu instid0(SALU_CYCLE_1)
	s_sub_nc_u64 s[10:11], s[66:67], s[10:11]
	s_mov_b32 s20, exec_lo
                                        ; implicit-def: $vgpr35
	v_cmpx_gt_u64_e64 s[10:11], v[0:1]
	s_cbranch_execz .LBB171_309
; %bb.301:                              ;   in Loop: Header=BB171_12 Depth=1
	v_mov_b64_e32 v[4:5], v[0:1]
	s_mov_b32 s21, 0
                                        ; implicit-def: $sgpr23
	s_branch .LBB171_304
.LBB171_302:                            ;   in Loop: Header=BB171_304 Depth=2
	s_or_b32 exec_lo, exec_lo, s25
	s_wait_dscnt 0x0
	s_barrier_signal -1
	s_barrier_wait -1
	ds_load_b32 v2, v3 offset:3072
	s_mov_b32 s25, -1
	s_mov_b32 s8, -1
	s_wait_dscnt 0x0
	s_barrier_signal -1
	s_barrier_wait -1
	v_and_b32_e32 v6, 0xffff, v2
	s_delay_alu instid0(VALU_DEP_1)
	v_cmp_ne_u32_e32 vcc_lo, 0, v6
	s_cbranch_vccz .LBB171_307
.LBB171_303:                            ;   in Loop: Header=BB171_304 Depth=2
	s_and_b32 s7, exec_lo, s25
	s_delay_alu instid0(SALU_CYCLE_1) | instskip(SKIP_2) | instid1(SALU_CYCLE_1)
	s_or_b32 s21, s7, s21
	s_and_not1_b32 s7, s23, exec_lo
	s_and_b32 s8, s8, exec_lo
	s_or_b32 s23, s7, s8
	s_and_not1_b32 exec_lo, exec_lo, s21
	s_cbranch_execz .LBB171_308
.LBB171_304:                            ;   Parent Loop BB171_12 Depth=1
                                        ; =>  This Inner Loop Header: Depth=2
	s_mov_b32 s25, exec_lo
	s_delay_alu instid0(VALU_DEP_1)
	v_cmpx_gt_u64_e64 s[36:37], v[4:5]
	s_cbranch_execz .LBB171_302
; %bb.305:                              ;   in Loop: Header=BB171_304 Depth=2
	v_mul_u64_e32 v[6:7], s[30:31], v[4:5]
	s_delay_alu instid0(VALU_DEP_1) | instskip(SKIP_3) | instid1(VALU_DEP_1)
	v_lshl_add_u64 v[6:7], v[6:7], 1, s[34:35]
	global_load_u16 v2, v[6:7], off
	s_wait_loadcnt 0x0
	v_bfe_i32 v6, v2, 0, 16
	v_add_nc_u32_e32 v6, 0x8000, v6
	s_delay_alu instid0(VALU_DEP_1) | instskip(NEXT) | instid1(VALU_DEP_1)
	v_and_b32_e32 v6, v6, v34
	v_cmp_eq_u32_e32 vcc_lo, v6, v31
	s_and_b32 exec_lo, exec_lo, vcc_lo
	s_cbranch_execz .LBB171_302
; %bb.306:                              ;   in Loop: Header=BB171_304 Depth=2
	v_perm_b32 v2, v2, 1, 0x5040100
	ds_store_b32 v3, v2 offset:3072
	s_branch .LBB171_302
.LBB171_307:                            ;   in Loop: Header=BB171_304 Depth=2
	v_add_nc_u64_e32 v[4:5], s[48:49], v[4:5]
	s_mov_b32 s8, 0
	s_delay_alu instid0(VALU_DEP_1)
	v_cmp_le_u64_e32 vcc_lo, s[10:11], v[4:5]
	s_or_not1_b32 s25, vcc_lo, exec_lo
	s_branch .LBB171_303
.LBB171_308:                            ;   in Loop: Header=BB171_12 Depth=1
	s_or_b32 exec_lo, exec_lo, s21
	v_lshrrev_b32_e32 v35, 16, v2
	s_and_not1_b32 s7, s22, exec_lo
	s_and_b32 s8, s23, exec_lo
	s_delay_alu instid0(SALU_CYCLE_1)
	s_or_b32 s22, s7, s8
.LBB171_309:                            ;   in Loop: Header=BB171_12 Depth=1
	s_or_b32 exec_lo, exec_lo, s20
	s_mov_b32 s25, 0
	s_mov_b32 s81, -1
.LBB171_310:                            ;   in Loop: Header=BB171_12 Depth=1
	s_or_not1_b32 s10, s22, exec_lo
.LBB171_311:                            ;   in Loop: Header=BB171_12 Depth=1
	s_or_b32 exec_lo, exec_lo, s79
                                        ; implicit-def: $vgpr4_vgpr5
                                        ; implicit-def: $vgpr2
	s_and_saveexec_b32 s22, s10
	s_cbranch_execz .LBB171_469
; %bb.312:                              ;   in Loop: Header=BB171_12 Depth=1
	v_mov_b64_e32 v[4:5], 1
	v_mov_b32_e32 v2, 1
	s_xor_b32 s8, s9, -1
	s_mov_b32 s11, 0
	s_and_saveexec_b32 s9, s8
	s_cbranch_execz .LBB171_318
; %bb.313:                              ;   in Loop: Header=BB171_12 Depth=1
	s_mov_b32 s8, exec_lo
	v_cmpx_ge_u64_e64 s[18:19], v[22:23]
	s_xor_b32 s10, exec_lo, s8
	s_cbranch_execz .LBB171_315
; %bb.314:                              ;   in Loop: Header=BB171_12 Depth=1
	ds_load_b64 v[4:5], v3 offset:5120
	v_or_b32_e32 v31, s24, v31
	v_or_b32_e32 v34, s24, v34
	s_wait_dscnt 0x0
	v_cmp_ne_u64_e32 vcc_lo, 0, v[4:5]
	s_cbranch_vccz .LBB171_336
.LBB171_315:                            ;   in Loop: Header=BB171_12 Depth=1
	s_or_saveexec_b32 s10, s10
	v_mov_b32_e32 v2, 5
	s_xor_b32 exec_lo, exec_lo, s10
.LBB171_316:                            ;   in Loop: Header=BB171_12 Depth=1
	v_sub_nc_u64_e64 v[22:23], v[22:23], s[18:19]
	v_mov_b32_e32 v2, 0
	s_mov_b32 s11, exec_lo
.LBB171_317:                            ;   in Loop: Header=BB171_12 Depth=1
	s_or_b32 exec_lo, exec_lo, s10
	s_delay_alu instid0(VALU_DEP_2)
	v_mov_b64_e32 v[4:5], v[22:23]
	s_and_b32 s11, s11, exec_lo
.LBB171_318:                            ;   in Loop: Header=BB171_12 Depth=1
	s_or_b32 exec_lo, exec_lo, s9
	s_mov_b32 s10, -1
                                        ; implicit-def: $sgpr23
                                        ; implicit-def: $sgpr79
	s_and_saveexec_b32 s8, s11
	s_delay_alu instid0(SALU_CYCLE_1)
	s_xor_b32 s9, exec_lo, s8
	s_cbranch_execz .LBB171_466
; %bb.319:                              ;   in Loop: Header=BB171_12 Depth=1
	v_cmp_eq_u64_e32 vcc_lo, 1, v[4:5]
	s_cmp_eq_u64 s[16:17], 1
                                        ; implicit-def: $sgpr79
                                        ; implicit-def: $sgpr23
	s_cselect_b32 s8, -1, 0
	s_delay_alu instid0(SALU_CYCLE_1) | instskip(NEXT) | instid1(SALU_CYCLE_1)
	s_and_b32 s80, s8, vcc_lo
	s_and_saveexec_b32 s82, s80
	s_cbranch_execz .LBB171_356
; %bb.320:                              ;   in Loop: Header=BB171_12 Depth=1
	ds_load_b64 v[6:7], v3 offset:5120
	s_wait_dscnt 0x0
	s_barrier_signal -1
	s_barrier_wait -1
	v_readfirstlane_b32 s10, v6
	v_readfirstlane_b32 s11, v7
	s_and_saveexec_b32 s8, s6
; %bb.321:                              ;   in Loop: Header=BB171_12 Depth=1
	ds_store_b16 v29, v3
; %bb.322:                              ;   in Loop: Header=BB171_12 Depth=1
	s_or_b32 exec_lo, exec_lo, s8
	s_lshl_b32 s8, 2, s101
	v_or_b32_e32 v34, s24, v34
	v_and_or_b32 v31, v31, s26, s8
	s_mov_b32 s23, -1
	s_mov_b32 s79, 0
	s_cmp_eq_u64 s[10:11], 0
	s_mov_b32 s20, 0
	s_mov_b32 s21, -1
	s_wait_dscnt 0x0
	s_barrier_signal -1
	s_barrier_wait -1
                                        ; implicit-def: $vgpr35
	s_cbranch_scc1 .LBB171_341
; %bb.323:                              ;   in Loop: Header=BB171_12 Depth=1
	s_add_nc_u64 s[18:19], s[10:11], s[64:65]
	s_delay_alu instid0(SALU_CYCLE_1) | instskip(NEXT) | instid1(SALU_CYCLE_1)
	s_and_b64 s[20:21], s[18:19], 0xffffffff00000000
	s_cmp_lg_u64 s[20:21], 0
	s_cbranch_scc0 .LBB171_382
; %bb.324:                              ;   in Loop: Header=BB171_12 Depth=1
	s_cvt_f32_u32 s8, s48
	s_sub_nc_u64 s[44:45], 0, s[48:49]
	s_delay_alu instid0(SALU_CYCLE_2) | instskip(NEXT) | instid1(SALU_CYCLE_3)
	s_fmamk_f32 s8, s100, 0x0, s8
	v_s_rcp_f32 s8, s8
	s_delay_alu instid0(TRANS32_DEP_1) | instskip(NEXT) | instid1(SALU_CYCLE_3)
	s_mul_f32 s8, s8, 0x5f7ffffc
	s_mul_f32 s20, s8, 0x2f800000
	s_delay_alu instid0(SALU_CYCLE_3) | instskip(NEXT) | instid1(SALU_CYCLE_3)
	s_trunc_f32 s20, s20
	s_fmamk_f32 s8, s20, 0xcf800000, s8
	s_cvt_u32_f32 s21, s20
	s_delay_alu instid0(SALU_CYCLE_2) | instskip(NEXT) | instid1(SALU_CYCLE_3)
	s_cvt_u32_f32 s20, s8
	s_mul_u64 s[46:47], s[44:45], s[20:21]
	s_delay_alu instid0(SALU_CYCLE_1)
	s_mul_hi_u32 s85, s20, s47
	s_mul_i32 s84, s20, s47
	s_mul_hi_u32 s28, s20, s46
	s_mul_i32 s52, s21, s46
	s_add_nc_u64 s[84:85], s[28:29], s[84:85]
	s_mul_hi_u32 s8, s21, s46
	s_mul_hi_u32 s53, s21, s47
	s_add_co_u32 s28, s84, s52
	s_add_co_ci_u32 s28, s85, s8
	s_mul_i32 s46, s21, s47
	s_add_co_ci_u32 s47, s53, 0
	s_delay_alu instid0(SALU_CYCLE_1) | instskip(NEXT) | instid1(SALU_CYCLE_1)
	s_add_nc_u64 s[46:47], s[28:29], s[46:47]
	s_add_co_u32 s20, s20, s46
	s_cselect_b32 s8, -1, 0
	s_delay_alu instid0(SALU_CYCLE_1) | instskip(SKIP_1) | instid1(SALU_CYCLE_1)
	s_cmp_lg_u32 s8, 0
	s_add_co_ci_u32 s21, s21, s47
	s_mul_u64 s[44:45], s[44:45], s[20:21]
	s_delay_alu instid0(SALU_CYCLE_1)
	s_mul_hi_u32 s47, s20, s45
	s_mul_i32 s46, s20, s45
	s_mul_hi_u32 s28, s20, s44
	s_mul_i32 s52, s21, s44
	s_add_nc_u64 s[46:47], s[28:29], s[46:47]
	s_mul_hi_u32 s8, s21, s44
	s_mul_hi_u32 s53, s21, s45
	s_add_co_u32 s28, s46, s52
	s_add_co_ci_u32 s28, s47, s8
	s_mul_i32 s44, s21, s45
	s_add_co_ci_u32 s45, s53, 0
	s_delay_alu instid0(SALU_CYCLE_1) | instskip(NEXT) | instid1(SALU_CYCLE_1)
	s_add_nc_u64 s[44:45], s[28:29], s[44:45]
	s_add_co_u32 s8, s20, s44
	s_cselect_b32 s20, -1, 0
	s_mul_hi_u32 s28, s18, s8
	s_cmp_lg_u32 s20, 0
	s_mul_hi_u32 s46, s19, s8
	s_add_co_ci_u32 s44, s21, s45
	s_mul_i32 s8, s19, s8
	s_mul_hi_u32 s21, s18, s44
	s_mul_i32 s20, s18, s44
	s_mul_hi_u32 s45, s19, s44
	s_add_nc_u64 s[20:21], s[28:29], s[20:21]
	s_mul_i32 s44, s19, s44
	s_add_co_u32 s8, s20, s8
	s_add_co_ci_u32 s28, s21, s46
	s_add_co_ci_u32 s45, s45, 0
	s_delay_alu instid0(SALU_CYCLE_1) | instskip(NEXT) | instid1(SALU_CYCLE_1)
	s_add_nc_u64 s[20:21], s[28:29], s[44:45]
	s_and_b64 s[44:45], s[20:21], 0xffffffff00000000
	s_delay_alu instid0(SALU_CYCLE_1) | instskip(NEXT) | instid1(SALU_CYCLE_1)
	s_or_b32 s44, s44, s20
	s_mul_u64 s[20:21], s[48:49], s[44:45]
	s_delay_alu instid0(SALU_CYCLE_1) | instskip(SKIP_1) | instid1(SALU_CYCLE_1)
	s_sub_co_u32 s8, s18, s20
	s_cselect_b32 s20, -1, 0
	s_cmp_lg_u32 s20, 0
	s_sub_co_ci_u32 s20, s19, s21
	s_sub_co_u32 s21, s8, s48
	s_cselect_b32 s28, -1, 0
	s_delay_alu instid0(SALU_CYCLE_1) | instskip(SKIP_3) | instid1(SALU_CYCLE_1)
	s_cmp_lg_u32 s28, 0
	s_sub_co_ci_u32 s28, s20, 0
	s_sub_co_u32 s44, s21, s48
	s_cselect_b32 s45, -1, 0
	s_cmp_lg_u32 s45, 0
	s_sub_co_ci_u32 s45, s28, 0
	s_cmp_ge_u32 s21, s48
	s_cselect_b32 s46, -1, 0
	s_cmp_eq_u32 s28, 0
	s_cselect_b32 s46, s46, -1
	s_delay_alu instid0(SALU_CYCLE_1)
	s_cmp_lg_u32 s46, 0
	s_cselect_b32 s28, s45, s28
	s_cselect_b32 s44, s44, s21
	s_cmp_ge_u32 s8, s48
	s_cselect_b32 s21, -1, 0
	s_cmp_eq_u32 s20, 0
	s_cselect_b32 s21, s21, -1
	s_delay_alu instid0(SALU_CYCLE_1)
	s_cmp_lg_u32 s21, 0
	s_cselect_b32 s21, s28, s20
	s_cselect_b32 s20, s44, s8
	s_cbranch_execnz .LBB171_326
.LBB171_325:                            ;   in Loop: Header=BB171_12 Depth=1
	v_cvt_f32_u32_e32 v6, s48
	s_sub_co_i32 s20, 0, s48
	s_delay_alu instid0(VALU_DEP_1) | instskip(SKIP_1) | instid1(TRANS32_DEP_1)
	v_rcp_iflag_f32_e32 v6, v6
	v_nop
	v_mul_f32_e32 v6, 0x4f7ffffe, v6
	s_delay_alu instid0(VALU_DEP_1) | instskip(NEXT) | instid1(VALU_DEP_1)
	v_cvt_u32_f32_e32 v6, v6
	v_readfirstlane_b32 s8, v6
	s_mul_i32 s20, s20, s8
	s_delay_alu instid0(SALU_CYCLE_1) | instskip(NEXT) | instid1(SALU_CYCLE_1)
	s_mul_hi_u32 s20, s8, s20
	s_add_co_i32 s8, s8, s20
	s_delay_alu instid0(SALU_CYCLE_1) | instskip(NEXT) | instid1(SALU_CYCLE_1)
	s_mul_hi_u32 s8, s18, s8
	s_mul_i32 s8, s8, s48
	s_delay_alu instid0(SALU_CYCLE_1) | instskip(NEXT) | instid1(SALU_CYCLE_1)
	s_sub_co_i32 s8, s18, s8
	s_sub_co_i32 s20, s8, s48
	s_cmp_ge_u32 s8, s48
	s_cselect_b32 s8, s20, s8
	s_delay_alu instid0(SALU_CYCLE_1) | instskip(SKIP_2) | instid1(SALU_CYCLE_1)
	s_sub_co_i32 s20, s8, s48
	s_cmp_ge_u32 s8, s48
	s_cselect_b32 s28, s20, s8
	s_mov_b64 s[20:21], s[28:29]
.LBB171_326:                            ;   in Loop: Header=BB171_12 Depth=1
	s_delay_alu instid0(SALU_CYCLE_1)
	s_sub_nc_u64 s[18:19], s[18:19], s[20:21]
	s_mov_b32 s21, 0
	s_mov_b32 s20, 0
	s_mov_b32 s28, exec_lo
                                        ; implicit-def: $vgpr35
	v_cmpx_gt_u64_e64 s[18:19], v[0:1]
	s_cbranch_execz .LBB171_340
; %bb.327:                              ;   in Loop: Header=BB171_12 Depth=1
	v_mov_b64_e32 v[6:7], v[0:1]
	v_mov_b32_e32 v8, v28
                                        ; implicit-def: $sgpr44
	s_branch .LBB171_330
.LBB171_328:                            ;   in Loop: Header=BB171_330 Depth=2
	s_or_b32 exec_lo, exec_lo, s45
	s_wait_dscnt 0x0
	s_barrier_signal -1
	s_barrier_wait -1
	ds_load_b32 v9, v3 offset:3072
	s_mov_b32 s8, -1
	s_mov_b32 s45, -1
	s_wait_dscnt 0x0
	s_barrier_signal -1
	s_barrier_wait -1
	v_and_b32_e32 v10, 0xffff, v9
	s_delay_alu instid0(VALU_DEP_1)
	v_cmp_ne_u32_e32 vcc_lo, 0, v10
	s_cbranch_vccz .LBB171_333
.LBB171_329:                            ;   in Loop: Header=BB171_330 Depth=2
	s_and_b32 s7, exec_lo, s8
	s_delay_alu instid0(SALU_CYCLE_1) | instskip(SKIP_2) | instid1(SALU_CYCLE_1)
	s_or_b32 s20, s7, s20
	s_and_not1_b32 s7, s44, exec_lo
	s_and_b32 s8, s45, exec_lo
	s_or_b32 s44, s7, s8
	s_and_not1_b32 exec_lo, exec_lo, s20
	s_cbranch_execz .LBB171_339
.LBB171_330:                            ;   Parent Loop BB171_12 Depth=1
                                        ; =>  This Inner Loop Header: Depth=2
	s_mov_b32 s45, exec_lo
	s_delay_alu instid0(VALU_DEP_2)
	v_cmpx_gt_u64_e64 s[10:11], v[6:7]
	s_cbranch_execz .LBB171_328
; %bb.331:                              ;   in Loop: Header=BB171_330 Depth=2
	ds_load_u16 v9, v8
	s_wait_dscnt 0x0
	v_bfe_i32 v10, v9, 0, 16
	s_delay_alu instid0(VALU_DEP_1) | instskip(NEXT) | instid1(VALU_DEP_1)
	v_add_nc_u32_e32 v10, 0x8000, v10
	v_and_b32_e32 v10, v10, v34
	s_delay_alu instid0(VALU_DEP_1)
	v_cmp_eq_u32_e32 vcc_lo, v10, v31
	s_and_b32 exec_lo, exec_lo, vcc_lo
	s_cbranch_execz .LBB171_328
; %bb.332:                              ;   in Loop: Header=BB171_330 Depth=2
	v_perm_b32 v9, v9, 1, 0x5040100
	ds_store_b32 v3, v9 offset:3072
	s_branch .LBB171_328
.LBB171_333:                            ;   in Loop: Header=BB171_330 Depth=2
	v_add_nc_u64_e32 v[6:7], s[48:49], v[6:7]
	v_add_nc_u32_e32 v8, s99, v8
	s_mov_b32 s45, 0
	s_delay_alu instid0(VALU_DEP_2)
	v_cmp_le_u64_e32 vcc_lo, s[18:19], v[6:7]
	s_or_not1_b32 s8, vcc_lo, exec_lo
	s_branch .LBB171_329
.LBB171_334:                            ;   in Loop: Header=BB171_12 Depth=1
                                        ; implicit-def: $sgpr22_sgpr23
	s_branch .LBB171_284
.LBB171_335:                            ;   in Loop: Header=BB171_12 Depth=1
                                        ; implicit-def: $sgpr10_sgpr11
	s_branch .LBB171_299
.LBB171_336:                            ;   in Loop: Header=BB171_12 Depth=1
	s_and_saveexec_b32 s8, s5
; %bb.337:                              ;   in Loop: Header=BB171_12 Depth=1
	v_mov_b64_e32 v[4:5], s[18:19]
	ds_store_b64 v3, v[4:5] offset:5128
; %bb.338:                              ;   in Loop: Header=BB171_12 Depth=1
	s_or_b32 exec_lo, exec_lo, s8
	s_wait_dscnt 0x0
	s_barrier_signal -1
	s_barrier_wait -1
	s_or_saveexec_b32 s10, s10
	v_mov_b32_e32 v2, 5
	s_xor_b32 exec_lo, exec_lo, s10
	s_cbranch_execnz .LBB171_316
	s_branch .LBB171_317
.LBB171_339:                            ;   in Loop: Header=BB171_12 Depth=1
	s_or_b32 exec_lo, exec_lo, s20
	v_lshrrev_b32_e32 v35, 16, v9
	s_and_b32 s20, s44, exec_lo
.LBB171_340:                            ;   in Loop: Header=BB171_12 Depth=1
	s_or_b32 exec_lo, exec_lo, s28
.LBB171_341:                            ;   in Loop: Header=BB171_12 Depth=1
	s_delay_alu instid0(SALU_CYCLE_1)
	s_and_b32 vcc_lo, exec_lo, s21
	s_cbranch_vccz .LBB171_355
; %bb.342:                              ;   in Loop: Header=BB171_12 Depth=1
	s_and_b64 s[10:11], s[66:67], 0xffffffff00000000
	s_delay_alu instid0(SALU_CYCLE_1)
	s_cmp_lg_u64 s[10:11], 0
	s_cbranch_scc0 .LBB171_383
; %bb.343:                              ;   in Loop: Header=BB171_12 Depth=1
	s_cvt_f32_u32 s8, s48
	s_sub_nc_u64 s[18:19], 0, s[48:49]
	s_delay_alu instid0(SALU_CYCLE_2) | instskip(NEXT) | instid1(SALU_CYCLE_3)
	s_fmamk_f32 s8, s100, 0x0, s8
	v_s_rcp_f32 s8, s8
	s_delay_alu instid0(TRANS32_DEP_1) | instskip(NEXT) | instid1(SALU_CYCLE_3)
	s_mul_f32 s8, s8, 0x5f7ffffc
	s_mul_f32 s10, s8, 0x2f800000
	s_delay_alu instid0(SALU_CYCLE_3) | instskip(NEXT) | instid1(SALU_CYCLE_3)
	s_trunc_f32 s10, s10
	s_fmamk_f32 s8, s10, 0xcf800000, s8
	s_cvt_u32_f32 s11, s10
	s_delay_alu instid0(SALU_CYCLE_2) | instskip(NEXT) | instid1(SALU_CYCLE_3)
	s_cvt_u32_f32 s10, s8
	s_mul_u64 s[44:45], s[18:19], s[10:11]
	s_delay_alu instid0(SALU_CYCLE_1)
	s_mul_hi_u32 s47, s10, s45
	s_mul_i32 s46, s10, s45
	s_mul_hi_u32 s28, s10, s44
	s_mul_i32 s21, s11, s44
	s_add_nc_u64 s[46:47], s[28:29], s[46:47]
	s_mul_hi_u32 s8, s11, s44
	s_mul_hi_u32 s23, s11, s45
	s_add_co_u32 s21, s46, s21
	s_add_co_ci_u32 s28, s47, s8
	s_mul_i32 s44, s11, s45
	s_add_co_ci_u32 s45, s23, 0
	s_delay_alu instid0(SALU_CYCLE_1) | instskip(NEXT) | instid1(SALU_CYCLE_1)
	s_add_nc_u64 s[44:45], s[28:29], s[44:45]
	s_add_co_u32 s10, s10, s44
	s_cselect_b32 s8, -1, 0
	s_delay_alu instid0(SALU_CYCLE_1) | instskip(SKIP_1) | instid1(SALU_CYCLE_1)
	s_cmp_lg_u32 s8, 0
	s_add_co_ci_u32 s11, s11, s45
	s_mul_u64 s[18:19], s[18:19], s[10:11]
	s_delay_alu instid0(SALU_CYCLE_1)
	s_mul_hi_u32 s45, s10, s19
	s_mul_i32 s44, s10, s19
	s_mul_hi_u32 s28, s10, s18
	s_mul_i32 s21, s11, s18
	s_add_nc_u64 s[44:45], s[28:29], s[44:45]
	s_mul_hi_u32 s8, s11, s18
	s_mul_hi_u32 s23, s11, s19
	s_mul_i32 s18, s11, s19
	s_add_co_u32 s19, s44, s21
	s_add_co_ci_u32 s28, s45, s8
	s_add_co_ci_u32 s19, s23, 0
	s_delay_alu instid0(SALU_CYCLE_1) | instskip(NEXT) | instid1(SALU_CYCLE_1)
	s_add_nc_u64 s[18:19], s[28:29], s[18:19]
	s_add_co_u32 s8, s10, s18
	s_cselect_b32 s10, -1, 0
	s_mul_hi_u32 s28, s66, s8
	s_cmp_lg_u32 s10, 0
	s_mul_hi_u32 s21, s67, s8
	s_add_co_ci_u32 s18, s11, s19
	s_mul_i32 s8, s67, s8
	s_mul_hi_u32 s11, s66, s18
	s_mul_i32 s10, s66, s18
	s_mul_hi_u32 s19, s67, s18
	s_add_nc_u64 s[10:11], s[28:29], s[10:11]
	s_mul_i32 s18, s67, s18
	s_add_co_u32 s8, s10, s8
	s_add_co_ci_u32 s28, s11, s21
	s_add_co_ci_u32 s19, s19, 0
	s_delay_alu instid0(SALU_CYCLE_1) | instskip(NEXT) | instid1(SALU_CYCLE_1)
	s_add_nc_u64 s[10:11], s[28:29], s[18:19]
	s_and_b64 s[18:19], s[10:11], 0xffffffff00000000
	s_delay_alu instid0(SALU_CYCLE_1) | instskip(NEXT) | instid1(SALU_CYCLE_1)
	s_or_b32 s18, s18, s10
	s_mul_u64 s[10:11], s[48:49], s[18:19]
	s_delay_alu instid0(SALU_CYCLE_1) | instskip(SKIP_1) | instid1(SALU_CYCLE_1)
	s_sub_co_u32 s8, s66, s10
	s_cselect_b32 s10, -1, 0
	s_cmp_lg_u32 s10, 0
	s_sub_co_ci_u32 s10, s67, s11
	s_sub_co_u32 s11, s8, s48
	s_cselect_b32 s18, -1, 0
	s_delay_alu instid0(SALU_CYCLE_1) | instskip(SKIP_3) | instid1(SALU_CYCLE_1)
	s_cmp_lg_u32 s18, 0
	s_sub_co_ci_u32 s18, s10, 0
	s_sub_co_u32 s19, s11, s48
	s_cselect_b32 s21, -1, 0
	s_cmp_lg_u32 s21, 0
	s_sub_co_ci_u32 s21, s18, 0
	s_cmp_ge_u32 s11, s48
	s_cselect_b32 s23, -1, 0
	s_cmp_eq_u32 s18, 0
	s_cselect_b32 s23, s23, -1
	s_delay_alu instid0(SALU_CYCLE_1)
	s_cmp_lg_u32 s23, 0
	s_cselect_b32 s18, s21, s18
	s_cselect_b32 s19, s19, s11
	s_cmp_ge_u32 s8, s48
	s_cselect_b32 s11, -1, 0
	s_cmp_eq_u32 s10, 0
	s_cselect_b32 s11, s11, -1
	s_delay_alu instid0(SALU_CYCLE_1)
	s_cmp_lg_u32 s11, 0
	s_cselect_b32 s11, s18, s10
	s_cselect_b32 s10, s19, s8
	s_cbranch_execnz .LBB171_345
.LBB171_344:                            ;   in Loop: Header=BB171_12 Depth=1
	v_cvt_f32_u32_e32 v6, s48
	s_sub_co_i32 s10, 0, s48
	s_delay_alu instid0(VALU_DEP_1) | instskip(SKIP_1) | instid1(TRANS32_DEP_1)
	v_rcp_iflag_f32_e32 v6, v6
	v_nop
	v_mul_f32_e32 v6, 0x4f7ffffe, v6
	s_delay_alu instid0(VALU_DEP_1) | instskip(NEXT) | instid1(VALU_DEP_1)
	v_cvt_u32_f32_e32 v6, v6
	v_readfirstlane_b32 s8, v6
	s_mul_i32 s10, s10, s8
	s_delay_alu instid0(SALU_CYCLE_1) | instskip(NEXT) | instid1(SALU_CYCLE_1)
	s_mul_hi_u32 s10, s8, s10
	s_add_co_i32 s8, s8, s10
	s_delay_alu instid0(SALU_CYCLE_1) | instskip(NEXT) | instid1(SALU_CYCLE_1)
	s_mul_hi_u32 s8, s66, s8
	s_mul_i32 s8, s8, s48
	s_delay_alu instid0(SALU_CYCLE_1) | instskip(NEXT) | instid1(SALU_CYCLE_1)
	s_sub_co_i32 s8, s66, s8
	s_sub_co_i32 s10, s8, s48
	s_cmp_ge_u32 s8, s48
	s_cselect_b32 s8, s10, s8
	s_delay_alu instid0(SALU_CYCLE_1) | instskip(SKIP_2) | instid1(SALU_CYCLE_1)
	s_sub_co_i32 s10, s8, s48
	s_cmp_ge_u32 s8, s48
	s_cselect_b32 s28, s10, s8
	s_mov_b64 s[10:11], s[28:29]
.LBB171_345:                            ;   in Loop: Header=BB171_12 Depth=1
	s_delay_alu instid0(SALU_CYCLE_1)
	s_sub_nc_u64 s[10:11], s[66:67], s[10:11]
	s_mov_b32 s18, exec_lo
                                        ; implicit-def: $vgpr35
	v_cmpx_gt_u64_e64 s[10:11], v[0:1]
	s_cbranch_execz .LBB171_354
; %bb.346:                              ;   in Loop: Header=BB171_12 Depth=1
	v_mov_b64_e32 v[6:7], v[0:1]
	s_mov_b32 s19, 0
                                        ; implicit-def: $sgpr21
	s_branch .LBB171_349
.LBB171_347:                            ;   in Loop: Header=BB171_349 Depth=2
	s_or_b32 exec_lo, exec_lo, s23
	s_wait_dscnt 0x0
	s_barrier_signal -1
	s_barrier_wait -1
	ds_load_b32 v8, v3 offset:3072
	s_mov_b32 s23, -1
	s_mov_b32 s8, -1
	s_wait_dscnt 0x0
	s_barrier_signal -1
	s_barrier_wait -1
	v_and_b32_e32 v9, 0xffff, v8
	s_delay_alu instid0(VALU_DEP_1)
	v_cmp_eq_u32_e32 vcc_lo, 0, v9
	s_cbranch_vccnz .LBB171_352
.LBB171_348:                            ;   in Loop: Header=BB171_349 Depth=2
	s_and_b32 s7, exec_lo, s23
	s_delay_alu instid0(SALU_CYCLE_1) | instskip(SKIP_2) | instid1(SALU_CYCLE_1)
	s_or_b32 s19, s7, s19
	s_and_not1_b32 s7, s21, exec_lo
	s_and_b32 s8, s8, exec_lo
	s_or_b32 s21, s7, s8
	s_and_not1_b32 exec_lo, exec_lo, s19
	s_cbranch_execz .LBB171_353
.LBB171_349:                            ;   Parent Loop BB171_12 Depth=1
                                        ; =>  This Inner Loop Header: Depth=2
	s_mov_b32 s23, exec_lo
	s_delay_alu instid0(VALU_DEP_1)
	v_cmpx_gt_u64_e64 s[36:37], v[6:7]
	s_cbranch_execz .LBB171_347
; %bb.350:                              ;   in Loop: Header=BB171_349 Depth=2
	v_mul_u64_e32 v[8:9], s[30:31], v[6:7]
	s_delay_alu instid0(VALU_DEP_1) | instskip(SKIP_3) | instid1(VALU_DEP_1)
	v_lshl_add_u64 v[8:9], v[8:9], 1, s[34:35]
	global_load_u16 v8, v[8:9], off
	s_wait_loadcnt 0x0
	v_bfe_i32 v9, v8, 0, 16
	v_add_nc_u32_e32 v9, 0x8000, v9
	s_delay_alu instid0(VALU_DEP_1) | instskip(NEXT) | instid1(VALU_DEP_1)
	v_and_b32_e32 v9, v9, v34
	v_cmp_eq_u32_e32 vcc_lo, v9, v31
	s_and_b32 exec_lo, exec_lo, vcc_lo
	s_cbranch_execz .LBB171_347
; %bb.351:                              ;   in Loop: Header=BB171_349 Depth=2
	v_perm_b32 v8, v8, 1, 0x5040100
	ds_store_b32 v3, v8 offset:3072
	s_branch .LBB171_347
.LBB171_352:                            ;   in Loop: Header=BB171_349 Depth=2
	v_add_nc_u64_e32 v[6:7], s[48:49], v[6:7]
	s_mov_b32 s8, 0
	s_delay_alu instid0(VALU_DEP_1)
	v_cmp_le_u64_e32 vcc_lo, s[10:11], v[6:7]
	s_or_not1_b32 s23, vcc_lo, exec_lo
	s_branch .LBB171_348
.LBB171_353:                            ;   in Loop: Header=BB171_12 Depth=1
	s_or_b32 exec_lo, exec_lo, s19
	v_lshrrev_b32_e32 v35, 16, v8
	s_and_not1_b32 s7, s20, exec_lo
	s_and_b32 s8, s21, exec_lo
	s_delay_alu instid0(SALU_CYCLE_1)
	s_or_b32 s20, s7, s8
.LBB171_354:                            ;   in Loop: Header=BB171_12 Depth=1
	s_or_b32 exec_lo, exec_lo, s18
	s_mov_b32 s23, 0
	s_mov_b32 s79, -1
.LBB171_355:                            ;   in Loop: Header=BB171_12 Depth=1
	s_or_not1_b32 s10, s20, exec_lo
.LBB171_356:                            ;   in Loop: Header=BB171_12 Depth=1
	s_or_b32 exec_lo, exec_lo, s82
	s_mov_b32 s11, 0
	s_and_saveexec_b32 s20, s10
	s_cbranch_execz .LBB171_465
; %bb.357:                              ;   in Loop: Header=BB171_12 Depth=1
	v_mov_b64_e32 v[6:7], 1
	v_mov_b32_e32 v2, 1
	s_xor_b32 s8, s80, -1
	s_delay_alu instid0(SALU_CYCLE_1)
	s_and_saveexec_b32 s10, s8
	s_cbranch_execz .LBB171_366
; %bb.358:                              ;   in Loop: Header=BB171_12 Depth=1
	s_mov_b32 s8, exec_lo
	v_cmpx_ge_u64_e64 s[16:17], v[4:5]
	s_xor_b32 s11, exec_lo, s8
	s_cbranch_execz .LBB171_363
; %bb.359:                              ;   in Loop: Header=BB171_12 Depth=1
	ds_load_b64 v[6:7], v3 offset:5120
	s_lshl_b32 s8, 2, s101
	v_or_b32_e32 v34, s24, v34
	v_and_or_b32 v31, v31, s26, s8
	s_wait_dscnt 0x0
	v_cmp_ne_u64_e32 vcc_lo, 0, v[6:7]
	s_cbranch_vccnz .LBB171_363
; %bb.360:                              ;   in Loop: Header=BB171_12 Depth=1
	s_and_saveexec_b32 s8, s5
; %bb.361:                              ;   in Loop: Header=BB171_12 Depth=1
	v_mov_b64_e32 v[6:7], s[16:17]
	ds_store_b64 v3, v[6:7] offset:5128
; %bb.362:                              ;   in Loop: Header=BB171_12 Depth=1
	s_or_b32 exec_lo, exec_lo, s8
	s_wait_dscnt 0x0
	s_barrier_signal -1
	s_barrier_wait -1
.LBB171_363:                            ;   in Loop: Header=BB171_12 Depth=1
	s_or_saveexec_b32 s11, s11
	v_mov_b32_e32 v2, 5
	s_mov_b32 s18, 0
	s_xor_b32 exec_lo, exec_lo, s11
; %bb.364:                              ;   in Loop: Header=BB171_12 Depth=1
	v_sub_nc_u64_e64 v[4:5], v[4:5], s[16:17]
	v_mov_b32_e32 v2, 0
	s_mov_b32 s18, exec_lo
; %bb.365:                              ;   in Loop: Header=BB171_12 Depth=1
	s_or_b32 exec_lo, exec_lo, s11
	s_delay_alu instid0(VALU_DEP_2)
	v_mov_b64_e32 v[6:7], v[4:5]
	s_and_b32 s11, s18, exec_lo
.LBB171_366:                            ;   in Loop: Header=BB171_12 Depth=1
	s_or_b32 exec_lo, exec_lo, s10
	s_mov_b32 s10, -1
                                        ; implicit-def: $sgpr80
                                        ; implicit-def: $sgpr82
	s_and_saveexec_b32 s21, s11
	s_cbranch_execz .LBB171_464
; %bb.367:                              ;   in Loop: Header=BB171_12 Depth=1
	s_delay_alu instid0(VALU_DEP_1) | instskip(SKIP_2) | instid1(SALU_CYCLE_1)
	v_cmp_eq_u64_e32 vcc_lo, 1, v[6:7]
	s_cmp_eq_u64 s[14:15], 1
                                        ; implicit-def: $sgpr82
                                        ; implicit-def: $sgpr80
	s_cselect_b32 s8, -1, 0
	s_and_b32 s83, s8, vcc_lo
	s_delay_alu instid0(SALU_CYCLE_1)
	s_and_saveexec_b32 s84, s83
	s_cbranch_execz .LBB171_401
; %bb.368:                              ;   in Loop: Header=BB171_12 Depth=1
	ds_load_b64 v[4:5], v3 offset:5120
	s_wait_dscnt 0x0
	s_barrier_signal -1
	s_barrier_wait -1
	v_readfirstlane_b32 s10, v4
	v_readfirstlane_b32 s11, v5
	s_and_saveexec_b32 s8, s6
; %bb.369:                              ;   in Loop: Header=BB171_12 Depth=1
	ds_store_b16 v29, v3
; %bb.370:                              ;   in Loop: Header=BB171_12 Depth=1
	s_or_b32 exec_lo, exec_lo, s8
	s_lshl_b32 s8, 1, s101
	v_or_b32_e32 v34, s24, v34
	v_and_or_b32 v31, v31, s26, s8
	s_mov_b32 s80, -1
	s_mov_b32 s82, 0
	s_cmp_eq_u64 s[10:11], 0
	s_mov_b32 s18, 0
	s_mov_b32 s19, -1
	s_wait_dscnt 0x0
	s_barrier_signal -1
	s_barrier_wait -1
                                        ; implicit-def: $vgpr35
	s_cbranch_scc1 .LBB171_386
; %bb.371:                              ;   in Loop: Header=BB171_12 Depth=1
	s_add_nc_u64 s[16:17], s[10:11], s[64:65]
	s_delay_alu instid0(SALU_CYCLE_1) | instskip(NEXT) | instid1(SALU_CYCLE_1)
	s_and_b64 s[18:19], s[16:17], 0xffffffff00000000
	s_cmp_lg_u64 s[18:19], 0
	s_cbranch_scc0 .LBB171_418
; %bb.372:                              ;   in Loop: Header=BB171_12 Depth=1
	s_cvt_f32_u32 s8, s48
	s_sub_nc_u64 s[44:45], 0, s[48:49]
	s_delay_alu instid0(SALU_CYCLE_2) | instskip(NEXT) | instid1(SALU_CYCLE_3)
	s_fmamk_f32 s8, s100, 0x0, s8
	v_s_rcp_f32 s8, s8
	s_delay_alu instid0(TRANS32_DEP_1) | instskip(NEXT) | instid1(SALU_CYCLE_3)
	s_mul_f32 s8, s8, 0x5f7ffffc
	s_mul_f32 s18, s8, 0x2f800000
	s_delay_alu instid0(SALU_CYCLE_3) | instskip(NEXT) | instid1(SALU_CYCLE_3)
	s_trunc_f32 s18, s18
	s_fmamk_f32 s8, s18, 0xcf800000, s8
	s_cvt_u32_f32 s19, s18
	s_delay_alu instid0(SALU_CYCLE_2) | instskip(NEXT) | instid1(SALU_CYCLE_3)
	s_cvt_u32_f32 s18, s8
	s_mul_u64 s[46:47], s[44:45], s[18:19]
	s_delay_alu instid0(SALU_CYCLE_1)
	s_mul_hi_u32 s87, s18, s47
	s_mul_i32 s86, s18, s47
	s_mul_hi_u32 s28, s18, s46
	s_mul_i32 s52, s19, s46
	s_add_nc_u64 s[86:87], s[28:29], s[86:87]
	s_mul_hi_u32 s8, s19, s46
	s_mul_hi_u32 s53, s19, s47
	s_add_co_u32 s28, s86, s52
	s_add_co_ci_u32 s28, s87, s8
	s_mul_i32 s46, s19, s47
	s_add_co_ci_u32 s47, s53, 0
	s_delay_alu instid0(SALU_CYCLE_1) | instskip(NEXT) | instid1(SALU_CYCLE_1)
	s_add_nc_u64 s[46:47], s[28:29], s[46:47]
	s_add_co_u32 s18, s18, s46
	s_cselect_b32 s8, -1, 0
	s_delay_alu instid0(SALU_CYCLE_1) | instskip(SKIP_1) | instid1(SALU_CYCLE_1)
	s_cmp_lg_u32 s8, 0
	s_add_co_ci_u32 s19, s19, s47
	s_mul_u64 s[44:45], s[44:45], s[18:19]
	s_delay_alu instid0(SALU_CYCLE_1)
	s_mul_hi_u32 s47, s18, s45
	s_mul_i32 s46, s18, s45
	s_mul_hi_u32 s28, s18, s44
	s_mul_i32 s52, s19, s44
	s_add_nc_u64 s[46:47], s[28:29], s[46:47]
	s_mul_hi_u32 s8, s19, s44
	s_mul_hi_u32 s53, s19, s45
	s_add_co_u32 s28, s46, s52
	s_add_co_ci_u32 s28, s47, s8
	s_mul_i32 s44, s19, s45
	s_add_co_ci_u32 s45, s53, 0
	s_delay_alu instid0(SALU_CYCLE_1) | instskip(NEXT) | instid1(SALU_CYCLE_1)
	s_add_nc_u64 s[44:45], s[28:29], s[44:45]
	s_add_co_u32 s8, s18, s44
	s_cselect_b32 s18, -1, 0
	s_mul_hi_u32 s28, s16, s8
	s_cmp_lg_u32 s18, 0
	s_mul_hi_u32 s46, s17, s8
	s_add_co_ci_u32 s44, s19, s45
	s_mul_i32 s8, s17, s8
	s_mul_hi_u32 s19, s16, s44
	s_mul_i32 s18, s16, s44
	s_mul_hi_u32 s45, s17, s44
	s_add_nc_u64 s[18:19], s[28:29], s[18:19]
	s_mul_i32 s44, s17, s44
	s_add_co_u32 s8, s18, s8
	s_add_co_ci_u32 s28, s19, s46
	s_add_co_ci_u32 s45, s45, 0
	s_delay_alu instid0(SALU_CYCLE_1) | instskip(NEXT) | instid1(SALU_CYCLE_1)
	s_add_nc_u64 s[18:19], s[28:29], s[44:45]
	s_and_b64 s[44:45], s[18:19], 0xffffffff00000000
	s_delay_alu instid0(SALU_CYCLE_1) | instskip(NEXT) | instid1(SALU_CYCLE_1)
	s_or_b32 s44, s44, s18
	s_mul_u64 s[18:19], s[48:49], s[44:45]
	s_delay_alu instid0(SALU_CYCLE_1) | instskip(SKIP_1) | instid1(SALU_CYCLE_1)
	s_sub_co_u32 s8, s16, s18
	s_cselect_b32 s18, -1, 0
	s_cmp_lg_u32 s18, 0
	s_sub_co_ci_u32 s18, s17, s19
	s_sub_co_u32 s19, s8, s48
	s_cselect_b32 s28, -1, 0
	s_delay_alu instid0(SALU_CYCLE_1) | instskip(SKIP_3) | instid1(SALU_CYCLE_1)
	s_cmp_lg_u32 s28, 0
	s_sub_co_ci_u32 s28, s18, 0
	s_sub_co_u32 s44, s19, s48
	s_cselect_b32 s45, -1, 0
	s_cmp_lg_u32 s45, 0
	s_sub_co_ci_u32 s45, s28, 0
	s_cmp_ge_u32 s19, s48
	s_cselect_b32 s46, -1, 0
	s_cmp_eq_u32 s28, 0
	s_cselect_b32 s46, s46, -1
	s_delay_alu instid0(SALU_CYCLE_1)
	s_cmp_lg_u32 s46, 0
	s_cselect_b32 s28, s45, s28
	s_cselect_b32 s44, s44, s19
	s_cmp_ge_u32 s8, s48
	s_cselect_b32 s19, -1, 0
	s_cmp_eq_u32 s18, 0
	s_cselect_b32 s19, s19, -1
	s_delay_alu instid0(SALU_CYCLE_1)
	s_cmp_lg_u32 s19, 0
	s_cselect_b32 s19, s28, s18
	s_cselect_b32 s18, s44, s8
	s_cbranch_execnz .LBB171_374
.LBB171_373:                            ;   in Loop: Header=BB171_12 Depth=1
	v_cvt_f32_u32_e32 v4, s48
	s_sub_co_i32 s18, 0, s48
	s_delay_alu instid0(VALU_DEP_1) | instskip(SKIP_1) | instid1(TRANS32_DEP_1)
	v_rcp_iflag_f32_e32 v4, v4
	v_nop
	v_mul_f32_e32 v4, 0x4f7ffffe, v4
	s_delay_alu instid0(VALU_DEP_1) | instskip(NEXT) | instid1(VALU_DEP_1)
	v_cvt_u32_f32_e32 v4, v4
	v_readfirstlane_b32 s8, v4
	s_mul_i32 s18, s18, s8
	s_delay_alu instid0(SALU_CYCLE_1) | instskip(NEXT) | instid1(SALU_CYCLE_1)
	s_mul_hi_u32 s18, s8, s18
	s_add_co_i32 s8, s8, s18
	s_delay_alu instid0(SALU_CYCLE_1) | instskip(NEXT) | instid1(SALU_CYCLE_1)
	s_mul_hi_u32 s8, s16, s8
	s_mul_i32 s8, s8, s48
	s_delay_alu instid0(SALU_CYCLE_1) | instskip(NEXT) | instid1(SALU_CYCLE_1)
	s_sub_co_i32 s8, s16, s8
	s_sub_co_i32 s18, s8, s48
	s_cmp_ge_u32 s8, s48
	s_cselect_b32 s8, s18, s8
	s_delay_alu instid0(SALU_CYCLE_1) | instskip(SKIP_2) | instid1(SALU_CYCLE_1)
	s_sub_co_i32 s18, s8, s48
	s_cmp_ge_u32 s8, s48
	s_cselect_b32 s28, s18, s8
	s_mov_b64 s[18:19], s[28:29]
.LBB171_374:                            ;   in Loop: Header=BB171_12 Depth=1
	s_delay_alu instid0(SALU_CYCLE_1)
	s_sub_nc_u64 s[16:17], s[16:17], s[18:19]
	s_mov_b32 s19, 0
	s_mov_b32 s18, 0
	s_mov_b32 s28, exec_lo
                                        ; implicit-def: $vgpr35
	v_cmpx_gt_u64_e64 s[16:17], v[0:1]
	s_cbranch_execz .LBB171_385
; %bb.375:                              ;   in Loop: Header=BB171_12 Depth=1
	v_mov_b64_e32 v[4:5], v[0:1]
	v_mov_b32_e32 v8, v28
                                        ; implicit-def: $sgpr44
	s_branch .LBB171_378
.LBB171_376:                            ;   in Loop: Header=BB171_378 Depth=2
	s_or_b32 exec_lo, exec_lo, s45
	s_wait_dscnt 0x0
	s_barrier_signal -1
	s_barrier_wait -1
	ds_load_b32 v9, v3 offset:3072
	s_mov_b32 s8, -1
	s_mov_b32 s45, -1
	s_wait_dscnt 0x0
	s_barrier_signal -1
	s_barrier_wait -1
	v_and_b32_e32 v10, 0xffff, v9
	s_delay_alu instid0(VALU_DEP_1)
	v_cmp_ne_u32_e32 vcc_lo, 0, v10
	s_cbranch_vccz .LBB171_381
.LBB171_377:                            ;   in Loop: Header=BB171_378 Depth=2
	s_and_b32 s7, exec_lo, s8
	s_delay_alu instid0(SALU_CYCLE_1) | instskip(SKIP_2) | instid1(SALU_CYCLE_1)
	s_or_b32 s18, s7, s18
	s_and_not1_b32 s7, s44, exec_lo
	s_and_b32 s8, s45, exec_lo
	s_or_b32 s44, s7, s8
	s_and_not1_b32 exec_lo, exec_lo, s18
	s_cbranch_execz .LBB171_384
.LBB171_378:                            ;   Parent Loop BB171_12 Depth=1
                                        ; =>  This Inner Loop Header: Depth=2
	s_mov_b32 s45, exec_lo
	s_delay_alu instid0(VALU_DEP_2)
	v_cmpx_gt_u64_e64 s[10:11], v[4:5]
	s_cbranch_execz .LBB171_376
; %bb.379:                              ;   in Loop: Header=BB171_378 Depth=2
	ds_load_u16 v9, v8
	s_wait_dscnt 0x0
	v_bfe_i32 v10, v9, 0, 16
	s_delay_alu instid0(VALU_DEP_1) | instskip(NEXT) | instid1(VALU_DEP_1)
	v_add_nc_u32_e32 v10, 0x8000, v10
	v_and_b32_e32 v10, v10, v34
	s_delay_alu instid0(VALU_DEP_1)
	v_cmp_eq_u32_e32 vcc_lo, v10, v31
	s_and_b32 exec_lo, exec_lo, vcc_lo
	s_cbranch_execz .LBB171_376
; %bb.380:                              ;   in Loop: Header=BB171_378 Depth=2
	v_perm_b32 v9, v9, 1, 0x5040100
	ds_store_b32 v3, v9 offset:3072
	s_branch .LBB171_376
.LBB171_381:                            ;   in Loop: Header=BB171_378 Depth=2
	v_add_nc_u64_e32 v[4:5], s[48:49], v[4:5]
	v_add_nc_u32_e32 v8, s99, v8
	s_mov_b32 s45, 0
	s_delay_alu instid0(VALU_DEP_2)
	v_cmp_le_u64_e32 vcc_lo, s[16:17], v[4:5]
	s_or_not1_b32 s8, vcc_lo, exec_lo
	s_branch .LBB171_377
.LBB171_382:                            ;   in Loop: Header=BB171_12 Depth=1
                                        ; implicit-def: $sgpr20_sgpr21
	s_branch .LBB171_325
.LBB171_383:                            ;   in Loop: Header=BB171_12 Depth=1
                                        ; implicit-def: $sgpr10_sgpr11
	s_branch .LBB171_344
.LBB171_384:                            ;   in Loop: Header=BB171_12 Depth=1
	s_or_b32 exec_lo, exec_lo, s18
	v_lshrrev_b32_e32 v35, 16, v9
	s_and_b32 s18, s44, exec_lo
.LBB171_385:                            ;   in Loop: Header=BB171_12 Depth=1
	s_or_b32 exec_lo, exec_lo, s28
.LBB171_386:                            ;   in Loop: Header=BB171_12 Depth=1
	s_delay_alu instid0(SALU_CYCLE_1)
	s_and_b32 vcc_lo, exec_lo, s19
	s_cbranch_vccz .LBB171_400
; %bb.387:                              ;   in Loop: Header=BB171_12 Depth=1
	s_and_b64 s[10:11], s[66:67], 0xffffffff00000000
	s_delay_alu instid0(SALU_CYCLE_1)
	s_cmp_lg_u64 s[10:11], 0
	s_cbranch_scc0 .LBB171_419
; %bb.388:                              ;   in Loop: Header=BB171_12 Depth=1
	s_cvt_f32_u32 s8, s48
	s_sub_nc_u64 s[16:17], 0, s[48:49]
	s_delay_alu instid0(SALU_CYCLE_2) | instskip(NEXT) | instid1(SALU_CYCLE_3)
	s_fmamk_f32 s8, s100, 0x0, s8
	v_s_rcp_f32 s8, s8
	s_delay_alu instid0(TRANS32_DEP_1) | instskip(NEXT) | instid1(SALU_CYCLE_3)
	s_mul_f32 s8, s8, 0x5f7ffffc
	s_mul_f32 s10, s8, 0x2f800000
	s_delay_alu instid0(SALU_CYCLE_3) | instskip(NEXT) | instid1(SALU_CYCLE_3)
	s_trunc_f32 s10, s10
	s_fmamk_f32 s8, s10, 0xcf800000, s8
	s_cvt_u32_f32 s11, s10
	s_delay_alu instid0(SALU_CYCLE_2) | instskip(NEXT) | instid1(SALU_CYCLE_3)
	s_cvt_u32_f32 s10, s8
	s_mul_u64 s[44:45], s[16:17], s[10:11]
	s_delay_alu instid0(SALU_CYCLE_1)
	s_mul_hi_u32 s47, s10, s45
	s_mul_i32 s46, s10, s45
	s_mul_hi_u32 s28, s10, s44
	s_mul_i32 s19, s11, s44
	s_add_nc_u64 s[46:47], s[28:29], s[46:47]
	s_mul_hi_u32 s8, s11, s44
	s_mul_hi_u32 s52, s11, s45
	s_add_co_u32 s19, s46, s19
	s_add_co_ci_u32 s28, s47, s8
	s_mul_i32 s44, s11, s45
	s_add_co_ci_u32 s45, s52, 0
	s_delay_alu instid0(SALU_CYCLE_1) | instskip(NEXT) | instid1(SALU_CYCLE_1)
	s_add_nc_u64 s[44:45], s[28:29], s[44:45]
	s_add_co_u32 s10, s10, s44
	s_cselect_b32 s8, -1, 0
	s_delay_alu instid0(SALU_CYCLE_1) | instskip(SKIP_1) | instid1(SALU_CYCLE_1)
	s_cmp_lg_u32 s8, 0
	s_add_co_ci_u32 s11, s11, s45
	s_mul_u64 s[16:17], s[16:17], s[10:11]
	s_delay_alu instid0(SALU_CYCLE_1)
	s_mul_hi_u32 s45, s10, s17
	s_mul_i32 s44, s10, s17
	s_mul_hi_u32 s28, s10, s16
	s_mul_i32 s19, s11, s16
	s_add_nc_u64 s[44:45], s[28:29], s[44:45]
	s_mul_hi_u32 s8, s11, s16
	s_mul_hi_u32 s46, s11, s17
	s_mul_i32 s16, s11, s17
	s_add_co_u32 s17, s44, s19
	s_add_co_ci_u32 s28, s45, s8
	s_add_co_ci_u32 s17, s46, 0
	s_delay_alu instid0(SALU_CYCLE_1) | instskip(NEXT) | instid1(SALU_CYCLE_1)
	s_add_nc_u64 s[16:17], s[28:29], s[16:17]
	s_add_co_u32 s8, s10, s16
	s_cselect_b32 s10, -1, 0
	s_mul_hi_u32 s28, s66, s8
	s_cmp_lg_u32 s10, 0
	s_mul_hi_u32 s19, s67, s8
	s_add_co_ci_u32 s16, s11, s17
	s_mul_i32 s8, s67, s8
	s_mul_hi_u32 s11, s66, s16
	s_mul_i32 s10, s66, s16
	s_mul_hi_u32 s17, s67, s16
	s_add_nc_u64 s[10:11], s[28:29], s[10:11]
	s_mul_i32 s16, s67, s16
	s_add_co_u32 s8, s10, s8
	s_add_co_ci_u32 s28, s11, s19
	s_add_co_ci_u32 s17, s17, 0
	s_delay_alu instid0(SALU_CYCLE_1) | instskip(NEXT) | instid1(SALU_CYCLE_1)
	s_add_nc_u64 s[10:11], s[28:29], s[16:17]
	s_and_b64 s[16:17], s[10:11], 0xffffffff00000000
	s_delay_alu instid0(SALU_CYCLE_1) | instskip(NEXT) | instid1(SALU_CYCLE_1)
	s_or_b32 s16, s16, s10
	s_mul_u64 s[10:11], s[48:49], s[16:17]
	s_delay_alu instid0(SALU_CYCLE_1) | instskip(SKIP_1) | instid1(SALU_CYCLE_1)
	s_sub_co_u32 s8, s66, s10
	s_cselect_b32 s10, -1, 0
	s_cmp_lg_u32 s10, 0
	s_sub_co_ci_u32 s10, s67, s11
	s_sub_co_u32 s11, s8, s48
	s_cselect_b32 s16, -1, 0
	s_delay_alu instid0(SALU_CYCLE_1) | instskip(SKIP_3) | instid1(SALU_CYCLE_1)
	s_cmp_lg_u32 s16, 0
	s_sub_co_ci_u32 s16, s10, 0
	s_sub_co_u32 s17, s11, s48
	s_cselect_b32 s19, -1, 0
	s_cmp_lg_u32 s19, 0
	s_sub_co_ci_u32 s19, s16, 0
	s_cmp_ge_u32 s11, s48
	s_cselect_b32 s28, -1, 0
	s_cmp_eq_u32 s16, 0
	s_cselect_b32 s28, s28, -1
	s_delay_alu instid0(SALU_CYCLE_1)
	s_cmp_lg_u32 s28, 0
	s_cselect_b32 s16, s19, s16
	s_cselect_b32 s17, s17, s11
	s_cmp_ge_u32 s8, s48
	s_cselect_b32 s11, -1, 0
	s_cmp_eq_u32 s10, 0
	s_cselect_b32 s11, s11, -1
	s_delay_alu instid0(SALU_CYCLE_1)
	s_cmp_lg_u32 s11, 0
	s_cselect_b32 s11, s16, s10
	s_cselect_b32 s10, s17, s8
	s_cbranch_execnz .LBB171_390
.LBB171_389:                            ;   in Loop: Header=BB171_12 Depth=1
	v_cvt_f32_u32_e32 v4, s48
	s_sub_co_i32 s10, 0, s48
	s_delay_alu instid0(VALU_DEP_1) | instskip(SKIP_1) | instid1(TRANS32_DEP_1)
	v_rcp_iflag_f32_e32 v4, v4
	v_nop
	v_mul_f32_e32 v4, 0x4f7ffffe, v4
	s_delay_alu instid0(VALU_DEP_1) | instskip(NEXT) | instid1(VALU_DEP_1)
	v_cvt_u32_f32_e32 v4, v4
	v_readfirstlane_b32 s8, v4
	s_mul_i32 s10, s10, s8
	s_delay_alu instid0(SALU_CYCLE_1) | instskip(NEXT) | instid1(SALU_CYCLE_1)
	s_mul_hi_u32 s10, s8, s10
	s_add_co_i32 s8, s8, s10
	s_delay_alu instid0(SALU_CYCLE_1) | instskip(NEXT) | instid1(SALU_CYCLE_1)
	s_mul_hi_u32 s8, s66, s8
	s_mul_i32 s8, s8, s48
	s_delay_alu instid0(SALU_CYCLE_1) | instskip(NEXT) | instid1(SALU_CYCLE_1)
	s_sub_co_i32 s8, s66, s8
	s_sub_co_i32 s10, s8, s48
	s_cmp_ge_u32 s8, s48
	s_cselect_b32 s8, s10, s8
	s_delay_alu instid0(SALU_CYCLE_1) | instskip(SKIP_2) | instid1(SALU_CYCLE_1)
	s_sub_co_i32 s10, s8, s48
	s_cmp_ge_u32 s8, s48
	s_cselect_b32 s28, s10, s8
	s_mov_b64 s[10:11], s[28:29]
.LBB171_390:                            ;   in Loop: Header=BB171_12 Depth=1
	s_delay_alu instid0(SALU_CYCLE_1)
	s_sub_nc_u64 s[10:11], s[66:67], s[10:11]
	s_mov_b32 s16, exec_lo
                                        ; implicit-def: $vgpr35
	v_cmpx_gt_u64_e64 s[10:11], v[0:1]
	s_cbranch_execz .LBB171_399
; %bb.391:                              ;   in Loop: Header=BB171_12 Depth=1
	v_mov_b64_e32 v[4:5], v[0:1]
	s_mov_b32 s17, 0
                                        ; implicit-def: $sgpr19
	s_branch .LBB171_394
.LBB171_392:                            ;   in Loop: Header=BB171_394 Depth=2
	s_or_b32 exec_lo, exec_lo, s28
	s_wait_dscnt 0x0
	s_barrier_signal -1
	s_barrier_wait -1
	ds_load_b32 v8, v3 offset:3072
	s_mov_b32 s28, -1
	s_mov_b32 s8, -1
	s_wait_dscnt 0x0
	s_barrier_signal -1
	s_barrier_wait -1
	v_and_b32_e32 v9, 0xffff, v8
	s_delay_alu instid0(VALU_DEP_1)
	v_cmp_eq_u32_e32 vcc_lo, 0, v9
	s_cbranch_vccnz .LBB171_397
.LBB171_393:                            ;   in Loop: Header=BB171_394 Depth=2
	s_and_b32 s7, exec_lo, s28
	s_delay_alu instid0(SALU_CYCLE_1) | instskip(SKIP_2) | instid1(SALU_CYCLE_1)
	s_or_b32 s17, s7, s17
	s_and_not1_b32 s7, s19, exec_lo
	s_and_b32 s8, s8, exec_lo
	s_or_b32 s19, s7, s8
	s_and_not1_b32 exec_lo, exec_lo, s17
	s_cbranch_execz .LBB171_398
.LBB171_394:                            ;   Parent Loop BB171_12 Depth=1
                                        ; =>  This Inner Loop Header: Depth=2
	s_mov_b32 s28, exec_lo
	s_delay_alu instid0(VALU_DEP_1)
	v_cmpx_gt_u64_e64 s[36:37], v[4:5]
	s_cbranch_execz .LBB171_392
; %bb.395:                              ;   in Loop: Header=BB171_394 Depth=2
	v_mul_u64_e32 v[8:9], s[30:31], v[4:5]
	s_delay_alu instid0(VALU_DEP_1) | instskip(SKIP_3) | instid1(VALU_DEP_1)
	v_lshl_add_u64 v[8:9], v[8:9], 1, s[34:35]
	global_load_u16 v8, v[8:9], off
	s_wait_loadcnt 0x0
	v_bfe_i32 v9, v8, 0, 16
	v_add_nc_u32_e32 v9, 0x8000, v9
	s_delay_alu instid0(VALU_DEP_1) | instskip(NEXT) | instid1(VALU_DEP_1)
	v_and_b32_e32 v9, v9, v34
	v_cmp_eq_u32_e32 vcc_lo, v9, v31
	s_and_b32 exec_lo, exec_lo, vcc_lo
	s_cbranch_execz .LBB171_392
; %bb.396:                              ;   in Loop: Header=BB171_394 Depth=2
	v_perm_b32 v8, v8, 1, 0x5040100
	ds_store_b32 v3, v8 offset:3072
	s_branch .LBB171_392
.LBB171_397:                            ;   in Loop: Header=BB171_394 Depth=2
	v_add_nc_u64_e32 v[4:5], s[48:49], v[4:5]
	s_mov_b32 s8, 0
	s_delay_alu instid0(VALU_DEP_1)
	v_cmp_le_u64_e32 vcc_lo, s[10:11], v[4:5]
	s_or_not1_b32 s28, vcc_lo, exec_lo
	s_branch .LBB171_393
.LBB171_398:                            ;   in Loop: Header=BB171_12 Depth=1
	s_or_b32 exec_lo, exec_lo, s17
	v_lshrrev_b32_e32 v35, 16, v8
	s_and_not1_b32 s7, s18, exec_lo
	s_and_b32 s8, s19, exec_lo
	s_delay_alu instid0(SALU_CYCLE_1)
	s_or_b32 s18, s7, s8
.LBB171_399:                            ;   in Loop: Header=BB171_12 Depth=1
	s_or_b32 exec_lo, exec_lo, s16
	s_mov_b32 s80, 0
	s_mov_b32 s82, -1
.LBB171_400:                            ;   in Loop: Header=BB171_12 Depth=1
	s_or_not1_b32 s10, s18, exec_lo
.LBB171_401:                            ;   in Loop: Header=BB171_12 Depth=1
	s_or_b32 exec_lo, exec_lo, s84
	s_mov_b32 s11, 0
	s_and_saveexec_b32 s18, s10
	s_cbranch_execz .LBB171_463
; %bb.402:                              ;   in Loop: Header=BB171_12 Depth=1
	v_mov_b64_e32 v[4:5], 1
	v_mov_b32_e32 v2, 1
	s_xor_b32 s8, s83, -1
	s_delay_alu instid0(SALU_CYCLE_1)
	s_and_saveexec_b32 s10, s8
	s_cbranch_execz .LBB171_411
; %bb.403:                              ;   in Loop: Header=BB171_12 Depth=1
	s_mov_b32 s8, exec_lo
	v_cmpx_ge_u64_e64 s[14:15], v[6:7]
	s_xor_b32 s11, exec_lo, s8
	s_cbranch_execz .LBB171_408
; %bb.404:                              ;   in Loop: Header=BB171_12 Depth=1
	ds_load_b64 v[4:5], v3 offset:5120
	s_lshl_b32 s8, 1, s101
	v_or_b32_e32 v34, s24, v34
	v_and_or_b32 v31, v31, s26, s8
	s_wait_dscnt 0x0
	v_cmp_ne_u64_e32 vcc_lo, 0, v[4:5]
	s_cbranch_vccnz .LBB171_408
; %bb.405:                              ;   in Loop: Header=BB171_12 Depth=1
	s_and_saveexec_b32 s8, s5
; %bb.406:                              ;   in Loop: Header=BB171_12 Depth=1
	v_mov_b64_e32 v[4:5], s[14:15]
	ds_store_b64 v3, v[4:5] offset:5128
; %bb.407:                              ;   in Loop: Header=BB171_12 Depth=1
	s_or_b32 exec_lo, exec_lo, s8
	s_wait_dscnt 0x0
	s_barrier_signal -1
	s_barrier_wait -1
.LBB171_408:                            ;   in Loop: Header=BB171_12 Depth=1
	s_or_saveexec_b32 s11, s11
	v_mov_b32_e32 v2, 5
	s_mov_b32 s16, 0
	s_xor_b32 exec_lo, exec_lo, s11
; %bb.409:                              ;   in Loop: Header=BB171_12 Depth=1
	v_sub_nc_u64_e64 v[6:7], v[6:7], s[14:15]
	v_mov_b32_e32 v2, 0
	s_mov_b32 s16, exec_lo
; %bb.410:                              ;   in Loop: Header=BB171_12 Depth=1
	s_or_b32 exec_lo, exec_lo, s11
	s_delay_alu instid0(VALU_DEP_2)
	v_mov_b64_e32 v[4:5], v[6:7]
	s_and_b32 s11, s16, exec_lo
.LBB171_411:                            ;   in Loop: Header=BB171_12 Depth=1
	s_or_b32 exec_lo, exec_lo, s10
	s_mov_b32 s10, -1
                                        ; implicit-def: $sgpr44
                                        ; implicit-def: $sgpr85
	s_and_saveexec_b32 s19, s11
	s_cbranch_execz .LBB171_462
; %bb.412:                              ;   in Loop: Header=BB171_12 Depth=1
	s_delay_alu instid0(VALU_DEP_1) | instskip(SKIP_3) | instid1(SALU_CYCLE_1)
	v_cmp_eq_u64_e32 vcc_lo, 1, v[4:5]
	s_cmp_eq_u64 s[12:13], 1
	s_mov_b32 s11, -1
	s_cselect_b32 s8, -1, 0
                                        ; implicit-def: $sgpr44
                                        ; implicit-def: $sgpr85
	s_and_b32 s83, s8, vcc_lo
	s_delay_alu instid0(SALU_CYCLE_1)
	s_and_saveexec_b32 s84, s83
	s_cbranch_execz .LBB171_450
; %bb.413:                              ;   in Loop: Header=BB171_12 Depth=1
	ds_load_b64 v[6:7], v3 offset:5120
	s_wait_dscnt 0x0
	s_barrier_signal -1
	s_barrier_wait -1
	v_readfirstlane_b32 s10, v6
	v_readfirstlane_b32 s11, v7
	s_and_saveexec_b32 s8, s6
; %bb.414:                              ;   in Loop: Header=BB171_12 Depth=1
	ds_store_b16 v29, v3
; %bb.415:                              ;   in Loop: Header=BB171_12 Depth=1
	s_or_b32 exec_lo, exec_lo, s8
	v_and_b32_e32 v31, s26, v31
	v_or_b32_e32 v34, s24, v34
	s_mov_b32 s85, -1
	s_mov_b32 s44, 0
	s_cmp_eq_u64 s[10:11], 0
	s_mov_b32 s16, 0
	s_mov_b32 s17, -1
	s_wait_dscnt 0x0
	s_barrier_signal -1
	s_barrier_wait -1
                                        ; implicit-def: $vgpr35
	s_cbranch_scc1 .LBB171_433
; %bb.416:                              ;   in Loop: Header=BB171_12 Depth=1
	s_add_nc_u64 s[14:15], s[10:11], s[64:65]
	s_delay_alu instid0(SALU_CYCLE_1) | instskip(NEXT) | instid1(SALU_CYCLE_1)
	s_and_b64 s[16:17], s[14:15], 0xffffffff00000000
	s_cmp_lg_u64 s[16:17], 0
	s_cbranch_scc0 .LBB171_420
; %bb.417:                              ;   in Loop: Header=BB171_12 Depth=1
	s_cvt_f32_u32 s8, s48
	s_sub_nc_u64 s[46:47], 0, s[48:49]
	s_delay_alu instid0(SALU_CYCLE_2) | instskip(NEXT) | instid1(SALU_CYCLE_3)
	s_fmamk_f32 s8, s100, 0x0, s8
	v_s_rcp_f32 s8, s8
	s_delay_alu instid0(TRANS32_DEP_1) | instskip(NEXT) | instid1(SALU_CYCLE_3)
	s_mul_f32 s8, s8, 0x5f7ffffc
	s_mul_f32 s16, s8, 0x2f800000
	s_delay_alu instid0(SALU_CYCLE_3) | instskip(NEXT) | instid1(SALU_CYCLE_3)
	s_trunc_f32 s16, s16
	s_fmamk_f32 s8, s16, 0xcf800000, s8
	s_cvt_u32_f32 s17, s16
	s_delay_alu instid0(SALU_CYCLE_2) | instskip(NEXT) | instid1(SALU_CYCLE_3)
	s_cvt_u32_f32 s16, s8
	s_mul_u64 s[86:87], s[46:47], s[16:17]
	s_delay_alu instid0(SALU_CYCLE_1)
	s_mul_hi_u32 s89, s16, s87
	s_mul_i32 s88, s16, s87
	s_mul_hi_u32 s28, s16, s86
	s_mul_i32 s45, s17, s86
	s_add_nc_u64 s[88:89], s[28:29], s[88:89]
	s_mul_hi_u32 s8, s17, s86
	s_mul_hi_u32 s52, s17, s87
	s_add_co_u32 s28, s88, s45
	s_add_co_ci_u32 s28, s89, s8
	s_mul_i32 s86, s17, s87
	s_add_co_ci_u32 s87, s52, 0
	s_delay_alu instid0(SALU_CYCLE_1) | instskip(NEXT) | instid1(SALU_CYCLE_1)
	s_add_nc_u64 s[86:87], s[28:29], s[86:87]
	s_add_co_u32 s16, s16, s86
	s_cselect_b32 s8, -1, 0
	s_delay_alu instid0(SALU_CYCLE_1) | instskip(SKIP_1) | instid1(SALU_CYCLE_1)
	s_cmp_lg_u32 s8, 0
	s_add_co_ci_u32 s17, s17, s87
	s_mul_u64 s[46:47], s[46:47], s[16:17]
	s_delay_alu instid0(SALU_CYCLE_1)
	s_mul_hi_u32 s87, s16, s47
	s_mul_i32 s86, s16, s47
	s_mul_hi_u32 s28, s16, s46
	s_mul_i32 s45, s17, s46
	s_add_nc_u64 s[86:87], s[28:29], s[86:87]
	s_mul_hi_u32 s8, s17, s46
	s_mul_hi_u32 s52, s17, s47
	s_add_co_u32 s28, s86, s45
	s_add_co_ci_u32 s28, s87, s8
	s_mul_i32 s46, s17, s47
	s_add_co_ci_u32 s47, s52, 0
	s_delay_alu instid0(SALU_CYCLE_1) | instskip(NEXT) | instid1(SALU_CYCLE_1)
	s_add_nc_u64 s[46:47], s[28:29], s[46:47]
	s_add_co_u32 s8, s16, s46
	s_cselect_b32 s16, -1, 0
	s_mul_hi_u32 s28, s14, s8
	s_cmp_lg_u32 s16, 0
	s_mul_hi_u32 s45, s15, s8
	s_add_co_ci_u32 s46, s17, s47
	s_mul_i32 s8, s15, s8
	s_mul_hi_u32 s17, s14, s46
	s_mul_i32 s16, s14, s46
	s_mul_hi_u32 s47, s15, s46
	s_add_nc_u64 s[16:17], s[28:29], s[16:17]
	s_mul_i32 s46, s15, s46
	s_add_co_u32 s8, s16, s8
	s_add_co_ci_u32 s28, s17, s45
	s_add_co_ci_u32 s47, s47, 0
	s_delay_alu instid0(SALU_CYCLE_1) | instskip(NEXT) | instid1(SALU_CYCLE_1)
	s_add_nc_u64 s[16:17], s[28:29], s[46:47]
	s_and_b64 s[46:47], s[16:17], 0xffffffff00000000
	s_delay_alu instid0(SALU_CYCLE_1) | instskip(NEXT) | instid1(SALU_CYCLE_1)
	s_or_b32 s46, s46, s16
	s_mul_u64 s[16:17], s[48:49], s[46:47]
	s_delay_alu instid0(SALU_CYCLE_1) | instskip(SKIP_1) | instid1(SALU_CYCLE_1)
	s_sub_co_u32 s8, s14, s16
	s_cselect_b32 s16, -1, 0
	s_cmp_lg_u32 s16, 0
	s_sub_co_ci_u32 s16, s15, s17
	s_sub_co_u32 s17, s8, s48
	s_cselect_b32 s28, -1, 0
	s_delay_alu instid0(SALU_CYCLE_1) | instskip(SKIP_3) | instid1(SALU_CYCLE_1)
	s_cmp_lg_u32 s28, 0
	s_sub_co_ci_u32 s28, s16, 0
	s_sub_co_u32 s45, s17, s48
	s_cselect_b32 s46, -1, 0
	s_cmp_lg_u32 s46, 0
	s_sub_co_ci_u32 s46, s28, 0
	s_cmp_ge_u32 s17, s48
	s_cselect_b32 s47, -1, 0
	s_cmp_eq_u32 s28, 0
	s_cselect_b32 s47, s47, -1
	s_delay_alu instid0(SALU_CYCLE_1)
	s_cmp_lg_u32 s47, 0
	s_cselect_b32 s28, s46, s28
	s_cselect_b32 s45, s45, s17
	s_cmp_ge_u32 s8, s48
	s_cselect_b32 s17, -1, 0
	s_cmp_eq_u32 s16, 0
	s_cselect_b32 s17, s17, -1
	s_delay_alu instid0(SALU_CYCLE_1)
	s_cmp_lg_u32 s17, 0
	s_cselect_b32 s17, s28, s16
	s_cselect_b32 s16, s45, s8
	s_mov_b32 s8, 0
	s_branch .LBB171_421
.LBB171_418:                            ;   in Loop: Header=BB171_12 Depth=1
                                        ; implicit-def: $sgpr18_sgpr19
	s_branch .LBB171_373
.LBB171_419:                            ;   in Loop: Header=BB171_12 Depth=1
                                        ; implicit-def: $sgpr10_sgpr11
	s_branch .LBB171_389
.LBB171_420:                            ;   in Loop: Header=BB171_12 Depth=1
	s_mov_b32 s8, -1
                                        ; implicit-def: $sgpr16_sgpr17
.LBB171_421:                            ;   in Loop: Header=BB171_12 Depth=1
	s_delay_alu instid0(SALU_CYCLE_1)
	s_and_not1_b32 vcc_lo, exec_lo, s8
	s_cbranch_vccnz .LBB171_423
; %bb.422:                              ;   in Loop: Header=BB171_12 Depth=1
	v_cvt_f32_u32_e32 v6, s48
	s_sub_co_i32 s16, 0, s48
	s_delay_alu instid0(VALU_DEP_1) | instskip(SKIP_1) | instid1(TRANS32_DEP_1)
	v_rcp_iflag_f32_e32 v6, v6
	v_nop
	v_mul_f32_e32 v6, 0x4f7ffffe, v6
	s_delay_alu instid0(VALU_DEP_1) | instskip(NEXT) | instid1(VALU_DEP_1)
	v_cvt_u32_f32_e32 v6, v6
	v_readfirstlane_b32 s8, v6
	s_mul_i32 s16, s16, s8
	s_delay_alu instid0(SALU_CYCLE_1) | instskip(NEXT) | instid1(SALU_CYCLE_1)
	s_mul_hi_u32 s16, s8, s16
	s_add_co_i32 s8, s8, s16
	s_delay_alu instid0(SALU_CYCLE_1) | instskip(NEXT) | instid1(SALU_CYCLE_1)
	s_mul_hi_u32 s8, s14, s8
	s_mul_i32 s8, s8, s48
	s_delay_alu instid0(SALU_CYCLE_1) | instskip(NEXT) | instid1(SALU_CYCLE_1)
	s_sub_co_i32 s8, s14, s8
	s_sub_co_i32 s16, s8, s48
	s_cmp_ge_u32 s8, s48
	s_cselect_b32 s8, s16, s8
	s_delay_alu instid0(SALU_CYCLE_1) | instskip(SKIP_2) | instid1(SALU_CYCLE_1)
	s_sub_co_i32 s16, s8, s48
	s_cmp_ge_u32 s8, s48
	s_cselect_b32 s28, s16, s8
	s_mov_b64 s[16:17], s[28:29]
.LBB171_423:                            ;   in Loop: Header=BB171_12 Depth=1
	s_delay_alu instid0(SALU_CYCLE_1)
	s_sub_nc_u64 s[14:15], s[14:15], s[16:17]
	s_mov_b32 s17, 0
	s_mov_b32 s16, 0
	s_mov_b32 s28, exec_lo
                                        ; implicit-def: $vgpr35
	v_cmpx_gt_u64_e64 s[14:15], v[0:1]
	s_cbranch_execz .LBB171_432
; %bb.424:                              ;   in Loop: Header=BB171_12 Depth=1
	v_mov_b64_e32 v[6:7], v[0:1]
	v_mov_b32_e32 v8, v28
                                        ; implicit-def: $sgpr45
	s_branch .LBB171_427
.LBB171_425:                            ;   in Loop: Header=BB171_427 Depth=2
	s_or_b32 exec_lo, exec_lo, s46
	s_wait_dscnt 0x0
	s_barrier_signal -1
	s_barrier_wait -1
	ds_load_b32 v9, v3 offset:3072
	s_mov_b32 s8, -1
	s_mov_b32 s46, -1
	s_wait_dscnt 0x0
	s_barrier_signal -1
	s_barrier_wait -1
	v_and_b32_e32 v10, 0xffff, v9
	s_delay_alu instid0(VALU_DEP_1)
	v_cmp_ne_u32_e32 vcc_lo, 0, v10
	s_cbranch_vccz .LBB171_430
.LBB171_426:                            ;   in Loop: Header=BB171_427 Depth=2
	s_and_b32 s7, exec_lo, s8
	s_delay_alu instid0(SALU_CYCLE_1) | instskip(SKIP_2) | instid1(SALU_CYCLE_1)
	s_or_b32 s16, s7, s16
	s_and_not1_b32 s7, s45, exec_lo
	s_and_b32 s8, s46, exec_lo
	s_or_b32 s45, s7, s8
	s_and_not1_b32 exec_lo, exec_lo, s16
	s_cbranch_execz .LBB171_431
.LBB171_427:                            ;   Parent Loop BB171_12 Depth=1
                                        ; =>  This Inner Loop Header: Depth=2
	s_mov_b32 s46, exec_lo
	s_delay_alu instid0(VALU_DEP_2)
	v_cmpx_gt_u64_e64 s[10:11], v[6:7]
	s_cbranch_execz .LBB171_425
; %bb.428:                              ;   in Loop: Header=BB171_427 Depth=2
	ds_load_u16 v9, v8
	s_wait_dscnt 0x0
	v_bfe_i32 v10, v9, 0, 16
	s_delay_alu instid0(VALU_DEP_1) | instskip(NEXT) | instid1(VALU_DEP_1)
	v_add_nc_u32_e32 v10, 0x8000, v10
	v_and_b32_e32 v10, v10, v34
	s_delay_alu instid0(VALU_DEP_1)
	v_cmp_eq_u32_e32 vcc_lo, v10, v31
	s_and_b32 exec_lo, exec_lo, vcc_lo
	s_cbranch_execz .LBB171_425
; %bb.429:                              ;   in Loop: Header=BB171_427 Depth=2
	v_perm_b32 v9, v9, 1, 0x5040100
	ds_store_b32 v3, v9 offset:3072
	s_branch .LBB171_425
.LBB171_430:                            ;   in Loop: Header=BB171_427 Depth=2
	v_add_nc_u64_e32 v[6:7], s[48:49], v[6:7]
	v_add_nc_u32_e32 v8, s99, v8
	s_mov_b32 s46, 0
	s_delay_alu instid0(VALU_DEP_2)
	v_cmp_le_u64_e32 vcc_lo, s[14:15], v[6:7]
	s_or_not1_b32 s8, vcc_lo, exec_lo
	s_branch .LBB171_426
.LBB171_431:                            ;   in Loop: Header=BB171_12 Depth=1
	s_or_b32 exec_lo, exec_lo, s16
	v_lshrrev_b32_e32 v35, 16, v9
	s_and_b32 s16, s45, exec_lo
.LBB171_432:                            ;   in Loop: Header=BB171_12 Depth=1
	s_or_b32 exec_lo, exec_lo, s28
.LBB171_433:                            ;   in Loop: Header=BB171_12 Depth=1
	s_delay_alu instid0(SALU_CYCLE_1)
	s_and_b32 vcc_lo, exec_lo, s17
	s_cbranch_vccz .LBB171_449
; %bb.434:                              ;   in Loop: Header=BB171_12 Depth=1
	s_and_b64 s[10:11], s[66:67], 0xffffffff00000000
	s_delay_alu instid0(SALU_CYCLE_1)
	s_cmp_lg_u64 s[10:11], 0
	s_cbranch_scc0 .LBB171_436
; %bb.435:                              ;   in Loop: Header=BB171_12 Depth=1
	s_cvt_f32_u32 s8, s48
	s_sub_nc_u64 s[14:15], 0, s[48:49]
	s_delay_alu instid0(SALU_CYCLE_2) | instskip(NEXT) | instid1(SALU_CYCLE_3)
	s_fmamk_f32 s8, s100, 0x0, s8
	v_s_rcp_f32 s8, s8
	s_delay_alu instid0(TRANS32_DEP_1) | instskip(NEXT) | instid1(SALU_CYCLE_3)
	s_mul_f32 s8, s8, 0x5f7ffffc
	s_mul_f32 s10, s8, 0x2f800000
	s_delay_alu instid0(SALU_CYCLE_3) | instskip(NEXT) | instid1(SALU_CYCLE_3)
	s_trunc_f32 s10, s10
	s_fmamk_f32 s8, s10, 0xcf800000, s8
	s_cvt_u32_f32 s11, s10
	s_delay_alu instid0(SALU_CYCLE_2) | instskip(NEXT) | instid1(SALU_CYCLE_3)
	s_cvt_u32_f32 s10, s8
	s_mul_u64 s[44:45], s[14:15], s[10:11]
	s_delay_alu instid0(SALU_CYCLE_1)
	s_mul_hi_u32 s47, s10, s45
	s_mul_i32 s46, s10, s45
	s_mul_hi_u32 s28, s10, s44
	s_mul_i32 s17, s11, s44
	s_add_nc_u64 s[46:47], s[28:29], s[46:47]
	s_mul_hi_u32 s8, s11, s44
	s_mul_hi_u32 s52, s11, s45
	s_add_co_u32 s17, s46, s17
	s_add_co_ci_u32 s28, s47, s8
	s_mul_i32 s44, s11, s45
	s_add_co_ci_u32 s45, s52, 0
	s_delay_alu instid0(SALU_CYCLE_1) | instskip(NEXT) | instid1(SALU_CYCLE_1)
	s_add_nc_u64 s[44:45], s[28:29], s[44:45]
	s_add_co_u32 s10, s10, s44
	s_cselect_b32 s8, -1, 0
	s_delay_alu instid0(SALU_CYCLE_1) | instskip(SKIP_1) | instid1(SALU_CYCLE_1)
	s_cmp_lg_u32 s8, 0
	s_add_co_ci_u32 s11, s11, s45
	s_mul_u64 s[14:15], s[14:15], s[10:11]
	s_delay_alu instid0(SALU_CYCLE_1)
	s_mul_hi_u32 s45, s10, s15
	s_mul_i32 s44, s10, s15
	s_mul_hi_u32 s28, s10, s14
	s_mul_i32 s17, s11, s14
	s_add_nc_u64 s[44:45], s[28:29], s[44:45]
	s_mul_hi_u32 s8, s11, s14
	s_mul_hi_u32 s46, s11, s15
	s_mul_i32 s14, s11, s15
	s_add_co_u32 s15, s44, s17
	s_add_co_ci_u32 s28, s45, s8
	s_add_co_ci_u32 s15, s46, 0
	s_delay_alu instid0(SALU_CYCLE_1) | instskip(NEXT) | instid1(SALU_CYCLE_1)
	s_add_nc_u64 s[14:15], s[28:29], s[14:15]
	s_add_co_u32 s8, s10, s14
	s_cselect_b32 s10, -1, 0
	s_mul_hi_u32 s28, s66, s8
	s_cmp_lg_u32 s10, 0
	s_mul_hi_u32 s17, s67, s8
	s_add_co_ci_u32 s14, s11, s15
	s_mul_i32 s8, s67, s8
	s_mul_hi_u32 s11, s66, s14
	s_mul_i32 s10, s66, s14
	s_mul_hi_u32 s15, s67, s14
	s_add_nc_u64 s[10:11], s[28:29], s[10:11]
	s_mul_i32 s14, s67, s14
	s_add_co_u32 s8, s10, s8
	s_add_co_ci_u32 s28, s11, s17
	s_add_co_ci_u32 s15, s15, 0
	s_delay_alu instid0(SALU_CYCLE_1) | instskip(NEXT) | instid1(SALU_CYCLE_1)
	s_add_nc_u64 s[10:11], s[28:29], s[14:15]
	s_and_b64 s[14:15], s[10:11], 0xffffffff00000000
	s_delay_alu instid0(SALU_CYCLE_1) | instskip(NEXT) | instid1(SALU_CYCLE_1)
	s_or_b32 s14, s14, s10
	s_mul_u64 s[10:11], s[48:49], s[14:15]
	s_delay_alu instid0(SALU_CYCLE_1) | instskip(SKIP_1) | instid1(SALU_CYCLE_1)
	s_sub_co_u32 s8, s66, s10
	s_cselect_b32 s10, -1, 0
	s_cmp_lg_u32 s10, 0
	s_sub_co_ci_u32 s10, s67, s11
	s_sub_co_u32 s11, s8, s48
	s_cselect_b32 s14, -1, 0
	s_delay_alu instid0(SALU_CYCLE_1) | instskip(SKIP_3) | instid1(SALU_CYCLE_1)
	s_cmp_lg_u32 s14, 0
	s_sub_co_ci_u32 s14, s10, 0
	s_sub_co_u32 s15, s11, s48
	s_cselect_b32 s17, -1, 0
	s_cmp_lg_u32 s17, 0
	s_sub_co_ci_u32 s17, s14, 0
	s_cmp_ge_u32 s11, s48
	s_cselect_b32 s28, -1, 0
	s_cmp_eq_u32 s14, 0
	s_cselect_b32 s28, s28, -1
	s_delay_alu instid0(SALU_CYCLE_1)
	s_cmp_lg_u32 s28, 0
	s_cselect_b32 s14, s17, s14
	s_cselect_b32 s15, s15, s11
	s_cmp_ge_u32 s8, s48
	s_cselect_b32 s11, -1, 0
	s_cmp_eq_u32 s10, 0
	s_cselect_b32 s11, s11, -1
	s_delay_alu instid0(SALU_CYCLE_1)
	s_cmp_lg_u32 s11, 0
	s_cselect_b32 s11, s14, s10
	s_cselect_b32 s10, s15, s8
	s_mov_b32 s8, 0
	s_branch .LBB171_437
.LBB171_436:                            ;   in Loop: Header=BB171_12 Depth=1
	s_mov_b32 s8, -1
                                        ; implicit-def: $sgpr10_sgpr11
.LBB171_437:                            ;   in Loop: Header=BB171_12 Depth=1
	s_delay_alu instid0(SALU_CYCLE_1)
	s_and_not1_b32 vcc_lo, exec_lo, s8
	s_cbranch_vccnz .LBB171_439
; %bb.438:                              ;   in Loop: Header=BB171_12 Depth=1
	v_cvt_f32_u32_e32 v6, s48
	s_sub_co_i32 s10, 0, s48
	s_delay_alu instid0(VALU_DEP_1) | instskip(SKIP_1) | instid1(TRANS32_DEP_1)
	v_rcp_iflag_f32_e32 v6, v6
	v_nop
	v_mul_f32_e32 v6, 0x4f7ffffe, v6
	s_delay_alu instid0(VALU_DEP_1) | instskip(NEXT) | instid1(VALU_DEP_1)
	v_cvt_u32_f32_e32 v6, v6
	v_readfirstlane_b32 s8, v6
	s_mul_i32 s10, s10, s8
	s_delay_alu instid0(SALU_CYCLE_1) | instskip(NEXT) | instid1(SALU_CYCLE_1)
	s_mul_hi_u32 s10, s8, s10
	s_add_co_i32 s8, s8, s10
	s_delay_alu instid0(SALU_CYCLE_1) | instskip(NEXT) | instid1(SALU_CYCLE_1)
	s_mul_hi_u32 s8, s66, s8
	s_mul_i32 s8, s8, s48
	s_delay_alu instid0(SALU_CYCLE_1) | instskip(NEXT) | instid1(SALU_CYCLE_1)
	s_sub_co_i32 s8, s66, s8
	s_sub_co_i32 s10, s8, s48
	s_cmp_ge_u32 s8, s48
	s_cselect_b32 s8, s10, s8
	s_delay_alu instid0(SALU_CYCLE_1) | instskip(SKIP_2) | instid1(SALU_CYCLE_1)
	s_sub_co_i32 s10, s8, s48
	s_cmp_ge_u32 s8, s48
	s_cselect_b32 s28, s10, s8
	s_mov_b64 s[10:11], s[28:29]
.LBB171_439:                            ;   in Loop: Header=BB171_12 Depth=1
	s_delay_alu instid0(SALU_CYCLE_1)
	s_sub_nc_u64 s[10:11], s[66:67], s[10:11]
	s_mov_b32 s14, exec_lo
                                        ; implicit-def: $vgpr35
	v_cmpx_gt_u64_e64 s[10:11], v[0:1]
	s_cbranch_execz .LBB171_448
; %bb.440:                              ;   in Loop: Header=BB171_12 Depth=1
	v_mov_b64_e32 v[6:7], v[0:1]
	s_mov_b32 s15, 0
                                        ; implicit-def: $sgpr17
	s_branch .LBB171_443
.LBB171_441:                            ;   in Loop: Header=BB171_443 Depth=2
	s_or_b32 exec_lo, exec_lo, s28
	s_wait_dscnt 0x0
	s_barrier_signal -1
	s_barrier_wait -1
	ds_load_b32 v8, v3 offset:3072
	s_mov_b32 s28, -1
	s_mov_b32 s8, -1
	s_wait_dscnt 0x0
	s_barrier_signal -1
	s_barrier_wait -1
	v_and_b32_e32 v9, 0xffff, v8
	s_delay_alu instid0(VALU_DEP_1)
	v_cmp_eq_u32_e32 vcc_lo, 0, v9
	s_cbranch_vccnz .LBB171_446
.LBB171_442:                            ;   in Loop: Header=BB171_443 Depth=2
	s_and_b32 s7, exec_lo, s28
	s_delay_alu instid0(SALU_CYCLE_1) | instskip(SKIP_2) | instid1(SALU_CYCLE_1)
	s_or_b32 s15, s7, s15
	s_and_not1_b32 s7, s17, exec_lo
	s_and_b32 s8, s8, exec_lo
	s_or_b32 s17, s7, s8
	s_and_not1_b32 exec_lo, exec_lo, s15
	s_cbranch_execz .LBB171_447
.LBB171_443:                            ;   Parent Loop BB171_12 Depth=1
                                        ; =>  This Inner Loop Header: Depth=2
	s_mov_b32 s28, exec_lo
	s_delay_alu instid0(VALU_DEP_1)
	v_cmpx_gt_u64_e64 s[36:37], v[6:7]
	s_cbranch_execz .LBB171_441
; %bb.444:                              ;   in Loop: Header=BB171_443 Depth=2
	v_mul_u64_e32 v[8:9], s[30:31], v[6:7]
	s_delay_alu instid0(VALU_DEP_1) | instskip(SKIP_3) | instid1(VALU_DEP_1)
	v_lshl_add_u64 v[8:9], v[8:9], 1, s[34:35]
	global_load_u16 v8, v[8:9], off
	s_wait_loadcnt 0x0
	v_bfe_i32 v9, v8, 0, 16
	v_add_nc_u32_e32 v9, 0x8000, v9
	s_delay_alu instid0(VALU_DEP_1) | instskip(NEXT) | instid1(VALU_DEP_1)
	v_and_b32_e32 v9, v9, v34
	v_cmp_eq_u32_e32 vcc_lo, v9, v31
	s_and_b32 exec_lo, exec_lo, vcc_lo
	s_cbranch_execz .LBB171_441
; %bb.445:                              ;   in Loop: Header=BB171_443 Depth=2
	v_perm_b32 v8, v8, 1, 0x5040100
	ds_store_b32 v3, v8 offset:3072
	s_branch .LBB171_441
.LBB171_446:                            ;   in Loop: Header=BB171_443 Depth=2
	v_add_nc_u64_e32 v[6:7], s[48:49], v[6:7]
	s_mov_b32 s8, 0
	s_delay_alu instid0(VALU_DEP_1)
	v_cmp_le_u64_e32 vcc_lo, s[10:11], v[6:7]
	s_or_not1_b32 s28, vcc_lo, exec_lo
	s_branch .LBB171_442
.LBB171_447:                            ;   in Loop: Header=BB171_12 Depth=1
	s_or_b32 exec_lo, exec_lo, s15
	v_lshrrev_b32_e32 v35, 16, v8
	s_and_not1_b32 s7, s16, exec_lo
	s_and_b32 s8, s17, exec_lo
	s_delay_alu instid0(SALU_CYCLE_1)
	s_or_b32 s16, s7, s8
.LBB171_448:                            ;   in Loop: Header=BB171_12 Depth=1
	s_or_b32 exec_lo, exec_lo, s14
	s_mov_b32 s85, 0
	s_mov_b32 s44, -1
.LBB171_449:                            ;   in Loop: Header=BB171_12 Depth=1
	s_or_not1_b32 s11, s16, exec_lo
.LBB171_450:                            ;   in Loop: Header=BB171_12 Depth=1
	s_or_b32 exec_lo, exec_lo, s84
	s_mov_b32 s14, 0
	s_and_saveexec_b32 s10, s11
	s_cbranch_execz .LBB171_461
; %bb.451:                              ;   in Loop: Header=BB171_12 Depth=1
	v_mov_b64_e32 v[6:7], 1
	v_mov_b32_e32 v2, 1
	s_xor_b32 s8, s83, -1
	s_delay_alu instid0(SALU_CYCLE_1)
	s_and_saveexec_b32 s11, s8
	s_cbranch_execz .LBB171_460
; %bb.452:                              ;   in Loop: Header=BB171_12 Depth=1
	s_mov_b32 s8, exec_lo
	v_cmpx_ge_u64_e64 s[12:13], v[4:5]
	s_xor_b32 s14, exec_lo, s8
	s_cbranch_execz .LBB171_457
; %bb.453:                              ;   in Loop: Header=BB171_12 Depth=1
	ds_load_b64 v[6:7], v3 offset:5120
	v_and_b32_e32 v31, s26, v31
	v_or_b32_e32 v34, s24, v34
	s_wait_dscnt 0x0
	v_cmp_ne_u64_e32 vcc_lo, 0, v[6:7]
	s_cbranch_vccnz .LBB171_457
; %bb.454:                              ;   in Loop: Header=BB171_12 Depth=1
	s_and_saveexec_b32 s8, s5
; %bb.455:                              ;   in Loop: Header=BB171_12 Depth=1
	v_mov_b64_e32 v[6:7], s[12:13]
	ds_store_b64 v3, v[6:7] offset:5128
; %bb.456:                              ;   in Loop: Header=BB171_12 Depth=1
	s_or_b32 exec_lo, exec_lo, s8
	s_wait_dscnt 0x0
	s_barrier_signal -1
	s_barrier_wait -1
.LBB171_457:                            ;   in Loop: Header=BB171_12 Depth=1
	s_and_not1_saveexec_b32 s14, s14
; %bb.458:                              ;   in Loop: Header=BB171_12 Depth=1
	v_sub_nc_u64_e64 v[4:5], v[4:5], s[12:13]
; %bb.459:                              ;   in Loop: Header=BB171_12 Depth=1
	s_or_b32 exec_lo, exec_lo, s14
	s_delay_alu instid0(VALU_DEP_1)
	v_mov_b64_e32 v[6:7], v[4:5]
	v_mov_b32_e32 v2, 5
.LBB171_460:                            ;   in Loop: Header=BB171_12 Depth=1
	s_or_b32 exec_lo, exec_lo, s11
	s_delay_alu instid0(VALU_DEP_2)
	v_mov_b64_e32 v[4:5], v[6:7]
	s_mov_b32 s14, exec_lo
.LBB171_461:                            ;   in Loop: Header=BB171_12 Depth=1
	s_or_b32 exec_lo, exec_lo, s10
	s_delay_alu instid0(SALU_CYCLE_1)
	s_or_not1_b32 s10, s14, exec_lo
.LBB171_462:                            ;   in Loop: Header=BB171_12 Depth=1
	s_or_b32 exec_lo, exec_lo, s19
	s_delay_alu instid0(VALU_DEP_1)
	v_mov_b64_e32 v[6:7], v[4:5]
	s_and_not1_b32 s8, s82, exec_lo
	s_and_b32 s11, s44, exec_lo
	s_and_not1_b32 s12, s80, exec_lo
	s_and_b32 s13, s85, exec_lo
	s_or_b32 s82, s8, s11
	s_or_b32 s80, s12, s13
	s_and_b32 s11, s10, exec_lo
.LBB171_463:                            ;   in Loop: Header=BB171_12 Depth=1
	s_or_b32 exec_lo, exec_lo, s18
	s_delay_alu instid0(SALU_CYCLE_1)
	s_or_not1_b32 s10, s11, exec_lo
.LBB171_464:                            ;   in Loop: Header=BB171_12 Depth=1
	s_or_b32 exec_lo, exec_lo, s21
	v_mov_b64_e32 v[4:5], v[6:7]
	s_and_not1_b32 s8, s79, exec_lo
	s_and_b32 s11, s82, exec_lo
	s_and_not1_b32 s12, s23, exec_lo
	s_and_b32 s13, s80, exec_lo
	s_or_b32 s79, s8, s11
	s_or_b32 s23, s12, s13
	s_and_b32 s11, s10, exec_lo
.LBB171_465:                            ;   in Loop: Header=BB171_12 Depth=1
	s_or_b32 exec_lo, exec_lo, s20
	s_delay_alu instid0(SALU_CYCLE_1)
	s_or_not1_b32 s10, s11, exec_lo
.LBB171_466:                            ;   in Loop: Header=BB171_12 Depth=1
	s_or_b32 exec_lo, exec_lo, s9
	s_mov_b32 s9, s78
	s_mov_b32 s11, s27
	s_and_saveexec_b32 s12, s10
; %bb.467:                              ;   in Loop: Header=BB171_12 Depth=1
	v_cmp_ne_u32_e32 vcc_lo, 5, v2
	v_cmp_eq_u32_e64 s9, 5, v2
	s_and_not1_b32 s8, s27, exec_lo
	s_and_not1_b32 s10, s78, exec_lo
	s_and_b32 s11, vcc_lo, exec_lo
	s_and_b32 s9, s9, exec_lo
	s_or_b32 s11, s8, s11
	s_or_b32 s9, s10, s9
; %bb.468:                              ;   in Loop: Header=BB171_12 Depth=1
	s_or_b32 exec_lo, exec_lo, s12
	s_delay_alu instid0(SALU_CYCLE_1)
	s_and_not1_b32 s7, s81, exec_lo
	s_and_b32 s8, s79, exec_lo
	s_and_not1_b32 s10, s25, exec_lo
	s_and_b32 s12, s23, exec_lo
	s_or_b32 s81, s7, s8
	s_or_b32 s25, s10, s12
	s_and_not1_b32 s7, s27, exec_lo
	s_and_b32 s8, s11, exec_lo
	s_and_not1_b32 s10, s78, exec_lo
	s_and_b32 s9, s9, exec_lo
	s_or_b32 s27, s7, s8
	s_or_b32 s78, s10, s9
.LBB171_469:                            ;   in Loop: Header=BB171_12 Depth=1
	s_or_b32 exec_lo, exec_lo, s22
	s_mov_b32 s79, 0
	s_mov_b32 s80, 0
	s_and_saveexec_b32 s8, s78
.LBB171_470:                            ;   in Loop: Header=BB171_12 Depth=1
	v_mov_b32_e32 v2, 0
	s_or_b32 s27, s27, exec_lo
.LBB171_471:                            ;   in Loop: Header=BB171_12 Depth=1
	s_or_b32 exec_lo, exec_lo, s8
	v_mov_b64_e32 v[22:23], v[4:5]
	s_and_not1_b32 s7, s41, exec_lo
	s_and_b32 s8, s81, exec_lo
	s_and_not1_b32 s9, s63, exec_lo
	s_and_b32 s11, s25, exec_lo
	s_or_b32 s41, s7, s8
	s_or_b32 s63, s9, s11
	s_and_not1_b32 s7, s43, exec_lo
	s_and_b32 s8, s80, exec_lo
	s_and_not1_b32 s9, s42, exec_lo
	s_and_b32 s11, s79, exec_lo
	s_mov_b32 s10, -1
	s_and_not1_b32 s40, s40, exec_lo
	s_or_b32 s43, s7, s8
	s_or_b32 s42, s9, s11
	s_and_saveexec_b32 s7, s27
	s_delay_alu instid0(SALU_CYCLE_1)
	s_xor_b32 s9, exec_lo, s7
	s_cbranch_execz .LBB171_11
; %bb.472:                              ;   in Loop: Header=BB171_12 Depth=1
	s_mov_b32 s11, -1
	s_mov_b32 s8, exec_lo
	v_cmpx_eq_u32_e32 0, v2
	s_cbranch_execz .LBB171_10
; %bb.473:                              ;   in Loop: Header=BB171_12 Depth=1
	s_xor_b32 s104, s104, 1
	s_add_co_i32 s12, s101, -2
	s_cmp_eq_u32 s101, 0
	s_mov_b32 s101, s12
	s_cselect_b32 s10, -1, 0
	s_xor_b32 s11, exec_lo, -1
	s_or_not1_b32 s10, s10, exec_lo
	s_branch .LBB171_10
.LBB171_474:
	s_or_b32 exec_lo, exec_lo, s102
	s_xor_b32 s7, s62, -1
	s_xor_b32 s9, s60, -1
	;; [unrolled: 1-line block ×4, first 2 shown]
	s_xor_b32 s6, vcc_hi, -1
	s_mov_b32 s8, 0
	s_and_saveexec_b32 s12, s11
	s_delay_alu instid0(SALU_CYCLE_1)
	s_xor_b32 s16, exec_lo, s12
	s_cbranch_execnz .LBB171_479
; %bb.475:
	s_wait_xcnt 0x0
	s_and_not1_saveexec_b32 s0, s16
	s_cbranch_execnz .LBB171_498
.LBB171_476:
	s_or_b32 exec_lo, exec_lo, s0
	s_and_saveexec_b32 s0, s8
.LBB171_477:
	; divergent unreachable
.LBB171_478:
	s_endpgm
.LBB171_479:
	s_and_saveexec_b32 s11, s10
	s_delay_alu instid0(SALU_CYCLE_1)
	s_xor_b32 s17, exec_lo, s11
	s_cbranch_execz .LBB171_496
; %bb.480:
	s_and_saveexec_b32 s10, s9
	s_delay_alu instid0(SALU_CYCLE_1)
	s_xor_b32 s18, exec_lo, s10
	s_cbranch_execz .LBB171_494
; %bb.481:
	;; [unrolled: 5-line block ×3, first 2 shown]
	s_and_saveexec_b32 s7, s6
	s_delay_alu instid0(SALU_CYCLE_1)
	s_xor_b32 s6, exec_lo, s7
; %bb.483:
	v_xor_b32_e32 v35, 0xffff8000, v31
; %bb.484:
	s_or_b32 exec_lo, exec_lo, s6
	s_and_saveexec_b32 s6, s5
	s_load_b64 s[10:11], s[0:1], 0x1d8
; %bb.485:
	v_mov_b64_e32 v[2:3], 0
	v_mov_b32_e32 v4, 0
	ds_store_b64 v4, v[2:3] offset:5136
; %bb.486:
	s_or_b32 exec_lo, exec_lo, s6
	v_mov_b32_e32 v13, 0
	s_wait_dscnt 0x0
	s_barrier_signal -1
	s_barrier_wait -1
	s_and_saveexec_b32 s5, s3
	s_cbranch_execz .LBB171_488
; %bb.487:
	global_load_u16 v13, v[14:15], off
.LBB171_488:
	s_wait_xcnt 0x0
	s_or_b32 exec_lo, exec_lo, s5
	v_readlane_b32 s14, v46, 0
	v_readlane_b32 s15, v46, 1
	;; [unrolled: 1-line block ×6, first 2 shown]
	s_wait_kmcnt 0x0
	s_mul_u64 s[10:11], s[14:15], s[10:11]
	s_add_nc_u64 s[6:7], s[36:37], 31
	s_sub_nc_u64 s[12:13], s[50:51], s[10:11]
	s_mov_b64 s[8:9], 0xffffffffffffffe0
	s_mul_u64 s[12:13], s[12:13], s[22:23]
	s_mul_u64 s[14:15], s[14:15], s[20:21]
	v_readlane_b32 s20, v46, 2
	v_readlane_b32 s22, v46, 4
	v_readlane_b32 s23, v46, 5
	s_and_b64 s[6:7], s[6:7], s[8:9]
	s_clause 0x1
	s_load_b64 s[8:9], s[0:1], 0x368
	s_load_b64 s[10:11], s[0:1], 0x510
	s_wait_xcnt 0x0
	s_mul_u64 s[0:1], s[58:59], s[56:57]
	v_readlane_b32 s21, v46, 3
	s_sub_nc_u64 s[0:1], s[50:51], s[0:1]
	s_lshl_b64 s[14:15], s[14:15], 1
	s_mul_u64 s[0:1], s[0:1], s[22:23]
	v_readlane_b32 s22, v46, 12
	v_readlane_b32 s23, v46, 13
	s_mul_u64 s[20:21], s[58:59], s[20:21]
	v_cmp_gt_u64_e32 vcc_lo, s[6:7], v[0:1]
	s_lshl_b64 s[20:21], s[20:21], 3
	s_lshl_b64 s[12:13], s[12:13], 1
	s_add_nc_u64 s[14:15], s[22:23], s[14:15]
	v_readlane_b32 s22, v46, 6
	v_readlane_b32 s23, v46, 7
	s_lshl_b64 s[0:1], s[0:1], 3
	s_add_nc_u64 s[12:13], s[14:15], s[12:13]
	s_mov_b32 s5, 0
	s_add_nc_u64 s[20:21], s[22:23], s[20:21]
	s_delay_alu instid0(SALU_CYCLE_1)
	s_add_nc_u64 s[14:15], s[20:21], s[0:1]
	s_mov_b32 s0, -1
	s_mov_b32 s1, 0
	s_and_saveexec_b32 s20, vcc_lo
	s_cbranch_execnz .LBB171_499
; %bb.489:
	s_or_b32 exec_lo, exec_lo, s20
	s_and_saveexec_b32 s4, s0
	s_cbranch_execnz .LBB171_514
.LBB171_490:
	s_or_b32 exec_lo, exec_lo, s4
	s_and_saveexec_b32 s0, s1
	s_delay_alu instid0(SALU_CYCLE_1)
	s_xor_b32 s0, exec_lo, s0
	s_cbranch_execnz .LBB171_537
.LBB171_491:
	s_or_b32 exec_lo, exec_lo, s0
	s_wait_kmcnt 0x0
	s_and_b32 s8, s5, exec_lo
.LBB171_492:
	s_wait_xcnt 0x0
	s_and_not1_saveexec_b32 s0, s19
	s_cbranch_execnz .LBB171_539
.LBB171_493:
	s_or_b32 exec_lo, exec_lo, s0
	s_delay_alu instid0(SALU_CYCLE_1)
	s_and_b32 s8, s8, exec_lo
.LBB171_494:
	s_wait_xcnt 0x0
	s_and_not1_saveexec_b32 s0, s18
	s_cbranch_execnz .LBB171_538
.LBB171_495:
	s_or_b32 exec_lo, exec_lo, s0
	s_delay_alu instid0(SALU_CYCLE_1)
	s_and_b32 s8, s8, exec_lo
.LBB171_496:
	s_wait_xcnt 0x0
	s_and_not1_saveexec_b32 s0, s17
	s_cbranch_execnz .LBB171_533
.LBB171_497:
	s_or_b32 exec_lo, exec_lo, s0
	s_delay_alu instid0(SALU_CYCLE_1)
	s_and_b32 s8, s8, exec_lo
	s_and_not1_saveexec_b32 s0, s16
	s_cbranch_execz .LBB171_476
.LBB171_498:
	s_or_b32 s8, s8, exec_lo
	s_trap 2
	s_or_b32 exec_lo, exec_lo, s0
	s_and_saveexec_b32 s0, s8
	s_cbranch_execnz .LBB171_477
	s_branch .LBB171_478
.LBB171_499:
	v_bfe_i32 v2, v35, 0, 16
	v_mov_b64_e32 v[8:9], v[0:1]
	v_mov_b32_e32 v3, 0
	s_mov_b32 s21, 0
                                        ; implicit-def: $sgpr22
                                        ; implicit-def: $vgpr6_vgpr7
	s_delay_alu instid0(VALU_DEP_3)
	v_add_nc_u32_e32 v16, 0x8000, v2
	s_branch .LBB171_501
.LBB171_500:                            ;   in Loop: Header=BB171_501 Depth=1
	s_or_b32 exec_lo, exec_lo, s24
	s_xor_b32 s0, s23, -1
	s_and_b32 s1, exec_lo, s1
	v_mov_b64_e32 v[8:9], v[4:5]
	v_mov_b32_e32 v13, v17
	s_or_b32 s21, s1, s21
	s_and_not1_b32 s1, s22, exec_lo
	s_and_b32 s0, s0, exec_lo
	s_delay_alu instid0(SALU_CYCLE_1)
	s_or_b32 s22, s1, s0
	s_and_not1_b32 exec_lo, exec_lo, s21
	s_cbranch_execz .LBB171_513
.LBB171_501:                            ; =>This Inner Loop Header: Depth=1
	s_delay_alu instid0(VALU_DEP_3) | instskip(SKIP_2) | instid1(VALU_DEP_2)
	v_add_nc_u64_e32 v[4:5], s[48:49], v[8:9]
	v_mov_b32_e32 v17, 0
	s_mov_b32 s1, exec_lo
	v_cmpx_gt_u64_e64 s[36:37], v[4:5]
	s_cbranch_execz .LBB171_503
; %bb.502:                              ;   in Loop: Header=BB171_501 Depth=1
	v_mul_u64_e32 v[10:11], s[30:31], v[4:5]
	s_delay_alu instid0(VALU_DEP_1)
	v_lshl_add_u64 v[10:11], v[10:11], 1, s[34:35]
	global_load_u16 v17, v[10:11], off
.LBB171_503:                            ;   in Loop: Header=BB171_501 Depth=1
	s_wait_xcnt 0x0
	s_or_b32 exec_lo, exec_lo, s1
	s_wait_loadcnt 0x0
	v_bfe_i32 v2, v13, 0, 16
	s_delay_alu instid0(VALU_DEP_1) | instskip(NEXT) | instid1(VALU_DEP_1)
	v_add_nc_u32_e32 v2, 0x8000, v2
	v_cmp_gt_u32_e64 s0, v2, v16
	s_delay_alu instid0(VALU_DEP_1) | instskip(SKIP_1) | instid1(VALU_DEP_1)
	v_cndmask_b32_e64 v10, 0, 1, s0
	v_cmp_lt_u32_e64 s0, v2, v16
	v_cndmask_b32_e64 v2, 0, 1, s0
	v_cmp_gt_u64_e64 s0, s[36:37], v[8:9]
	s_delay_alu instid0(VALU_DEP_2) | instskip(NEXT) | instid1(VALU_DEP_1)
	v_cndmask_b32_e64 v2, v2, v10, s4
	v_and_b32_e32 v2, 1, v2
	s_delay_alu instid0(VALU_DEP_1) | instskip(SKIP_1) | instid1(SALU_CYCLE_1)
	v_cmp_eq_u32_e64 s1, 1, v2
	s_and_b32 s23, s0, s1
	v_cndmask_b32_e64 v2, 0, 1, s23
	s_delay_alu instid0(VALU_DEP_1) | instskip(SKIP_2) | instid1(SALU_CYCLE_1)
	v_cmp_ne_u32_e64 s0, 0, v2
	s_cmp_lg_u32 s0, 0
	s_cselect_b32 s1, -1, 0
	s_and_b32 s1, s2, s1
	s_delay_alu instid0(SALU_CYCLE_1)
	s_and_saveexec_b32 s24, s1
	s_cbranch_execz .LBB171_507
; %bb.504:                              ;   in Loop: Header=BB171_501 Depth=1
	s_mov_b32 s27, exec_lo
	s_bcnt1_i32_b32 s25, s0
	v_mbcnt_lo_u32_b32 v10, s27, 0
	s_mov_b32 s26, exec_lo
                                        ; implicit-def: $vgpr6_vgpr7
	s_delay_alu instid0(VALU_DEP_1)
	v_cmpx_eq_u32_e32 0, v10
	s_cbranch_execz .LBB171_506
; %bb.505:                              ;   in Loop: Header=BB171_501 Depth=1
	s_bcnt1_i32_b32 s1, s27
	s_delay_alu instid0(SALU_CYCLE_1) | instskip(NEXT) | instid1(SALU_CYCLE_1)
	s_mul_i32 s1, s25, s1
	v_mov_b32_e32 v2, s1
	s_wait_dscnt 0x0
	ds_add_rtn_u64 v[6:7], v3, v[2:3] offset:5136
.LBB171_506:                            ;   in Loop: Header=BB171_501 Depth=1
	s_or_b32 exec_lo, exec_lo, s26
	s_wait_dscnt 0x0
	v_readfirstlane_b32 s27, v7
	v_readfirstlane_b32 s26, v6
	s_delay_alu instid0(VALU_DEP_1)
	v_mad_nc_u64_u32 v[6:7], s25, v10, s[26:27]
.LBB171_507:                            ;   in Loop: Header=BB171_501 Depth=1
	s_or_b32 exec_lo, exec_lo, s24
	s_wait_dscnt 0x1
	ds_bpermute_b32 v6, v3, v6
	s_wait_dscnt 0x1
	ds_bpermute_b32 v7, v3, v7
	s_mov_b32 s1, -1
	s_mov_b32 s25, -1
	s_and_saveexec_b32 s24, s23
	s_cbranch_execz .LBB171_511
; %bb.508:                              ;   in Loop: Header=BB171_501 Depth=1
	v_and_b32_e32 v2, s0, v12
	s_mov_b32 s23, 0
	s_mov_b32 s25, exec_lo
	s_delay_alu instid0(VALU_DEP_1) | instskip(SKIP_1) | instid1(VALU_DEP_1)
	v_bcnt_u32_b32 v2, v2, 0
	s_wait_dscnt 0x0
	v_add_nc_u64_e32 v[10:11], v[6:7], v[2:3]
	s_delay_alu instid0(VALU_DEP_1)
	v_cmpx_gt_u64_e64 s[38:39], v[10:11]
	s_cbranch_execz .LBB171_510
; %bb.509:                              ;   in Loop: Header=BB171_501 Depth=1
	s_wait_kmcnt 0x0
	v_mul_u64_e32 v[18:19], s[8:9], v[10:11]
	v_mul_u64_e32 v[10:11], s[10:11], v[10:11]
	s_mov_b32 s23, exec_lo
	s_delay_alu instid0(VALU_DEP_2) | instskip(NEXT) | instid1(VALU_DEP_2)
	v_lshl_add_u64 v[18:19], v[18:19], 1, s[12:13]
	v_lshl_add_u64 v[10:11], v[10:11], 3, s[14:15]
	global_store_b16 v[18:19], v13, off
	global_store_b64 v[10:11], v[8:9], off
.LBB171_510:                            ;   in Loop: Header=BB171_501 Depth=1
	s_wait_xcnt 0x0
	s_or_b32 exec_lo, exec_lo, s25
	s_delay_alu instid0(SALU_CYCLE_1)
	s_or_not1_b32 s25, s23, exec_lo
.LBB171_511:                            ;   in Loop: Header=BB171_501 Depth=1
	s_or_b32 exec_lo, exec_lo, s24
	s_mov_b32 s23, -1
	s_and_saveexec_b32 s24, s25
	s_cbranch_execz .LBB171_500
; %bb.512:                              ;   in Loop: Header=BB171_501 Depth=1
	v_cmp_le_u64_e64 s0, s[6:7], v[4:5]
	s_xor_b32 s23, exec_lo, -1
	s_or_not1_b32 s1, s0, exec_lo
	s_branch .LBB171_500
.LBB171_513:
	s_or_b32 exec_lo, exec_lo, s21
	s_delay_alu instid0(SALU_CYCLE_1)
	s_mov_b32 s1, exec_lo
	s_or_not1_b32 s0, s22, exec_lo
	s_or_b32 exec_lo, exec_lo, s20
	s_and_saveexec_b32 s4, s0
	s_cbranch_execz .LBB171_490
.LBB171_514:
	v_mov_b32_e32 v2, 0
	s_wait_storecnt 0x0
	s_wait_loadcnt_dscnt 0x0
	s_barrier_signal -1
	s_barrier_wait -1
	s_and_saveexec_b32 s0, s3
	s_cbranch_execz .LBB171_516
; %bb.515:
	global_load_u16 v2, v[14:15], off
.LBB171_516:
	s_wait_xcnt 0x0
	s_or_b32 exec_lo, exec_lo, s0
	s_mov_b32 s0, 0
	s_and_saveexec_b32 s3, vcc_lo
	s_cbranch_execz .LBB171_536
; %bb.517:
	v_mov_b32_e32 v3, 0
	s_mov_b32 s5, 0
                                        ; implicit-def: $sgpr20
                                        ; implicit-def: $vgpr6_vgpr7
	s_branch .LBB171_520
.LBB171_518:                            ;   in Loop: Header=BB171_520 Depth=1
	s_or_b32 exec_lo, exec_lo, s21
	s_delay_alu instid0(SALU_CYCLE_1)
	s_or_not1_b32 s23, s23, exec_lo
	s_or_not1_b32 s22, s22, exec_lo
.LBB171_519:                            ;   in Loop: Header=BB171_520 Depth=1
	s_or_b32 exec_lo, exec_lo, s0
	s_xor_b32 s0, s23, -1
	s_and_b32 s21, exec_lo, s22
	v_mov_b64_e32 v[0:1], v[4:5]
	s_or_b32 s5, s21, s5
	v_mov_b32_e32 v2, v10
	s_and_not1_b32 s20, s20, exec_lo
	s_and_b32 s0, s0, exec_lo
	s_delay_alu instid0(SALU_CYCLE_1)
	s_or_b32 s20, s20, s0
	s_and_not1_b32 exec_lo, exec_lo, s5
	s_cbranch_execz .LBB171_534
.LBB171_520:                            ; =>This Inner Loop Header: Depth=1
	v_add_nc_u64_e32 v[4:5], s[48:49], v[0:1]
	v_mov_b32_e32 v10, 0
	s_mov_b32 s0, exec_lo
	s_delay_alu instid0(VALU_DEP_2)
	v_cmpx_gt_u64_e64 s[36:37], v[4:5]
	s_cbranch_execz .LBB171_522
; %bb.521:                              ;   in Loop: Header=BB171_520 Depth=1
	v_mul_u64_e32 v[8:9], s[30:31], v[4:5]
	s_delay_alu instid0(VALU_DEP_1)
	v_lshl_add_u64 v[8:9], v[8:9], 1, s[34:35]
	global_load_u16 v10, v[8:9], off
.LBB171_522:                            ;   in Loop: Header=BB171_520 Depth=1
	s_wait_xcnt 0x0
	s_or_b32 exec_lo, exec_lo, s0
	v_cmp_gt_u64_e32 vcc_lo, s[36:37], v[0:1]
	s_wait_loadcnt 0x0
	v_cmp_eq_u16_e64 s0, v2, v35
	s_and_b32 s21, vcc_lo, s0
	s_delay_alu instid0(SALU_CYCLE_1) | instskip(NEXT) | instid1(VALU_DEP_1)
	v_cndmask_b32_e64 v2, 0, 1, s21
	v_cmp_ne_u32_e32 vcc_lo, 0, v2
	s_cmp_lg_u32 vcc_lo, 0
	s_cselect_b32 s0, -1, 0
	s_delay_alu instid0(SALU_CYCLE_1) | instskip(NEXT) | instid1(SALU_CYCLE_1)
	s_and_b32 s0, s2, s0
	s_and_saveexec_b32 s22, s0
	s_cbranch_execz .LBB171_526
; %bb.523:                              ;   in Loop: Header=BB171_520 Depth=1
	s_mov_b32 s25, exec_lo
	s_bcnt1_i32_b32 s23, vcc_lo
	v_mbcnt_lo_u32_b32 v8, s25, 0
	s_mov_b32 s24, exec_lo
                                        ; implicit-def: $vgpr6_vgpr7
	s_delay_alu instid0(VALU_DEP_1)
	v_cmpx_eq_u32_e32 0, v8
; %bb.524:                              ;   in Loop: Header=BB171_520 Depth=1
	s_bcnt1_i32_b32 s0, s25
	s_delay_alu instid0(SALU_CYCLE_1) | instskip(NEXT) | instid1(SALU_CYCLE_1)
	s_mul_i32 s0, s23, s0
	v_mov_b32_e32 v2, s0
	ds_add_rtn_u64 v[6:7], v3, v[2:3] offset:5136
; %bb.525:                              ;   in Loop: Header=BB171_520 Depth=1
	s_or_b32 exec_lo, exec_lo, s24
	s_wait_dscnt 0x0
	v_readfirstlane_b32 s25, v7
	v_readfirstlane_b32 s24, v6
	s_delay_alu instid0(VALU_DEP_1)
	v_mad_nc_u64_u32 v[6:7], s23, v8, s[24:25]
.LBB171_526:                            ;   in Loop: Header=BB171_520 Depth=1
	s_or_b32 exec_lo, exec_lo, s22
	ds_bpermute_b32 v6, v3, v6
	ds_bpermute_b32 v7, v3, v7
	s_cmp_eq_u32 vcc_lo, 0
	s_mov_b32 s22, -1
	s_cselect_b32 s23, -1, 0
	s_wait_dscnt 0x0
	v_cmp_gt_u64_e64 s0, s[38:39], v[6:7]
	s_or_b32 s24, s23, s0
	s_mov_b32 s23, -1
	s_and_saveexec_b32 s0, s24
	s_cbranch_execz .LBB171_519
; %bb.527:                              ;   in Loop: Header=BB171_520 Depth=1
	v_and_b32_e32 v2, vcc_lo, v12
	v_sub_nc_u64_e32 v[8:9], s[38:39], v[6:7]
	s_mov_b32 s24, -1
	s_delay_alu instid0(VALU_DEP_2) | instskip(NEXT) | instid1(VALU_DEP_1)
	v_bcnt_u32_b32 v2, v2, 0
	v_bcnt_u32_b32 v2, 0, v2
	s_delay_alu instid0(VALU_DEP_1) | instskip(SKIP_1) | instid1(SALU_CYCLE_1)
	v_cmp_gt_u64_e32 vcc_lo, v[8:9], v[2:3]
	s_and_b32 s25, s21, vcc_lo
	s_and_saveexec_b32 s21, s25
	s_cbranch_execz .LBB171_531
; %bb.528:                              ;   in Loop: Header=BB171_520 Depth=1
	v_add_nc_u64_e32 v[8:9], v[6:7], v[2:3]
	s_mov_b32 s24, 0
	s_mov_b32 s23, exec_lo
	s_delay_alu instid0(VALU_DEP_1)
	v_cmpx_gt_u64_e64 s[38:39], v[8:9]
	s_cbranch_execz .LBB171_530
; %bb.529:                              ;   in Loop: Header=BB171_520 Depth=1
	s_wait_kmcnt 0x0
	v_mul_u64_e32 v[14:15], s[8:9], v[8:9]
	v_mul_u64_e32 v[8:9], s[10:11], v[8:9]
	s_mov_b32 s24, exec_lo
	s_delay_alu instid0(VALU_DEP_2) | instskip(NEXT) | instid1(VALU_DEP_2)
	v_lshl_add_u64 v[14:15], v[14:15], 1, s[12:13]
	v_lshl_add_u64 v[8:9], v[8:9], 3, s[14:15]
	global_store_b16 v[14:15], v35, off
	global_store_b64 v[8:9], v[0:1], off
.LBB171_530:                            ;   in Loop: Header=BB171_520 Depth=1
	s_wait_xcnt 0x0
	s_or_b32 exec_lo, exec_lo, s23
	s_delay_alu instid0(SALU_CYCLE_1)
	s_xor_b32 s23, exec_lo, -1
	s_or_not1_b32 s24, s24, exec_lo
.LBB171_531:                            ;   in Loop: Header=BB171_520 Depth=1
	s_or_b32 exec_lo, exec_lo, s21
	s_and_saveexec_b32 s21, s24
	s_cbranch_execz .LBB171_518
; %bb.532:                              ;   in Loop: Header=BB171_520 Depth=1
	v_cmp_le_u64_e32 vcc_lo, s[6:7], v[4:5]
	s_or_b32 s23, s23, exec_lo
	s_or_not1_b32 s22, vcc_lo, exec_lo
	s_branch .LBB171_518
.LBB171_533:
	s_or_b32 s8, s8, exec_lo
	s_trap 2
	s_branch .LBB171_497
.LBB171_534:
	s_or_b32 exec_lo, exec_lo, s5
	s_mov_b32 s0, 0
	s_and_saveexec_b32 s2, s20
	s_delay_alu instid0(SALU_CYCLE_1)
	s_xor_b32 s2, exec_lo, s2
	s_cbranch_execnz .LBB171_540
.LBB171_535:
	s_or_b32 exec_lo, exec_lo, s2
	s_delay_alu instid0(SALU_CYCLE_1)
	s_and_b32 s0, s0, exec_lo
.LBB171_536:
	s_or_b32 exec_lo, exec_lo, s3
	s_delay_alu instid0(SALU_CYCLE_1) | instskip(SKIP_3) | instid1(SALU_CYCLE_1)
	s_and_b32 s5, s0, exec_lo
	s_and_not1_b32 s1, s1, exec_lo
	s_or_b32 exec_lo, exec_lo, s4
	s_and_saveexec_b32 s0, s1
	s_xor_b32 s0, exec_lo, s0
	s_cbranch_execz .LBB171_491
.LBB171_537:
	s_or_b32 s5, s5, exec_lo
	s_trap 2
	s_branch .LBB171_491
.LBB171_538:
	s_or_b32 s8, s8, exec_lo
	s_trap 2
	s_branch .LBB171_495
.LBB171_539:
	s_or_b32 s8, s8, exec_lo
	s_trap 2
	s_branch .LBB171_493
.LBB171_540:
	s_mov_b32 s0, exec_lo
	s_trap 2
	s_branch .LBB171_535
	.section	.rodata,"a",@progbits
	.p2align	6, 0x0
	.amdhsa_kernel _ZN2at6native6sbtopk10gatherTopKIsmLi2ELb0EEEvNS_4cuda6detail10TensorInfoIKT_T0_EES8_S8_bS8_S8_NS5_IS6_S8_EES8_NS5_IlS8_EES8_PS6_
		.amdhsa_group_segment_fixed_size 5152
		.amdhsa_private_segment_fixed_size 0
		.amdhsa_kernarg_size 1568
		.amdhsa_user_sgpr_count 2
		.amdhsa_user_sgpr_dispatch_ptr 0
		.amdhsa_user_sgpr_queue_ptr 0
		.amdhsa_user_sgpr_kernarg_segment_ptr 1
		.amdhsa_user_sgpr_dispatch_id 0
		.amdhsa_user_sgpr_kernarg_preload_length 0
		.amdhsa_user_sgpr_kernarg_preload_offset 0
		.amdhsa_user_sgpr_private_segment_size 0
		.amdhsa_wavefront_size32 1
		.amdhsa_uses_dynamic_stack 0
		.amdhsa_enable_private_segment 0
		.amdhsa_system_sgpr_workgroup_id_x 1
		.amdhsa_system_sgpr_workgroup_id_y 1
		.amdhsa_system_sgpr_workgroup_id_z 1
		.amdhsa_system_sgpr_workgroup_info 0
		.amdhsa_system_vgpr_workitem_id 0
		.amdhsa_next_free_vgpr 47
		.amdhsa_next_free_sgpr 105
		.amdhsa_named_barrier_count 0
		.amdhsa_reserve_vcc 1
		.amdhsa_float_round_mode_32 0
		.amdhsa_float_round_mode_16_64 0
		.amdhsa_float_denorm_mode_32 3
		.amdhsa_float_denorm_mode_16_64 3
		.amdhsa_fp16_overflow 0
		.amdhsa_memory_ordered 1
		.amdhsa_forward_progress 1
		.amdhsa_inst_pref_size 199
		.amdhsa_round_robin_scheduling 0
		.amdhsa_exception_fp_ieee_invalid_op 0
		.amdhsa_exception_fp_denorm_src 0
		.amdhsa_exception_fp_ieee_div_zero 0
		.amdhsa_exception_fp_ieee_overflow 0
		.amdhsa_exception_fp_ieee_underflow 0
		.amdhsa_exception_fp_ieee_inexact 0
		.amdhsa_exception_int_div_zero 0
	.end_amdhsa_kernel
	.section	.text._ZN2at6native6sbtopk10gatherTopKIsmLi2ELb0EEEvNS_4cuda6detail10TensorInfoIKT_T0_EES8_S8_bS8_S8_NS5_IS6_S8_EES8_NS5_IlS8_EES8_PS6_,"axG",@progbits,_ZN2at6native6sbtopk10gatherTopKIsmLi2ELb0EEEvNS_4cuda6detail10TensorInfoIKT_T0_EES8_S8_bS8_S8_NS5_IS6_S8_EES8_NS5_IlS8_EES8_PS6_,comdat
.Lfunc_end171:
	.size	_ZN2at6native6sbtopk10gatherTopKIsmLi2ELb0EEEvNS_4cuda6detail10TensorInfoIKT_T0_EES8_S8_bS8_S8_NS5_IS6_S8_EES8_NS5_IlS8_EES8_PS6_, .Lfunc_end171-_ZN2at6native6sbtopk10gatherTopKIsmLi2ELb0EEEvNS_4cuda6detail10TensorInfoIKT_T0_EES8_S8_bS8_S8_NS5_IS6_S8_EES8_NS5_IlS8_EES8_PS6_
                                        ; -- End function
	.set _ZN2at6native6sbtopk10gatherTopKIsmLi2ELb0EEEvNS_4cuda6detail10TensorInfoIKT_T0_EES8_S8_bS8_S8_NS5_IS6_S8_EES8_NS5_IlS8_EES8_PS6_.num_vgpr, 47
	.set _ZN2at6native6sbtopk10gatherTopKIsmLi2ELb0EEEvNS_4cuda6detail10TensorInfoIKT_T0_EES8_S8_bS8_S8_NS5_IS6_S8_EES8_NS5_IlS8_EES8_PS6_.num_agpr, 0
	.set _ZN2at6native6sbtopk10gatherTopKIsmLi2ELb0EEEvNS_4cuda6detail10TensorInfoIKT_T0_EES8_S8_bS8_S8_NS5_IS6_S8_EES8_NS5_IlS8_EES8_PS6_.numbered_sgpr, 105
	.set _ZN2at6native6sbtopk10gatherTopKIsmLi2ELb0EEEvNS_4cuda6detail10TensorInfoIKT_T0_EES8_S8_bS8_S8_NS5_IS6_S8_EES8_NS5_IlS8_EES8_PS6_.num_named_barrier, 0
	.set _ZN2at6native6sbtopk10gatherTopKIsmLi2ELb0EEEvNS_4cuda6detail10TensorInfoIKT_T0_EES8_S8_bS8_S8_NS5_IS6_S8_EES8_NS5_IlS8_EES8_PS6_.private_seg_size, 0
	.set _ZN2at6native6sbtopk10gatherTopKIsmLi2ELb0EEEvNS_4cuda6detail10TensorInfoIKT_T0_EES8_S8_bS8_S8_NS5_IS6_S8_EES8_NS5_IlS8_EES8_PS6_.uses_vcc, 1
	.set _ZN2at6native6sbtopk10gatherTopKIsmLi2ELb0EEEvNS_4cuda6detail10TensorInfoIKT_T0_EES8_S8_bS8_S8_NS5_IS6_S8_EES8_NS5_IlS8_EES8_PS6_.uses_flat_scratch, 0
	.set _ZN2at6native6sbtopk10gatherTopKIsmLi2ELb0EEEvNS_4cuda6detail10TensorInfoIKT_T0_EES8_S8_bS8_S8_NS5_IS6_S8_EES8_NS5_IlS8_EES8_PS6_.has_dyn_sized_stack, 0
	.set _ZN2at6native6sbtopk10gatherTopKIsmLi2ELb0EEEvNS_4cuda6detail10TensorInfoIKT_T0_EES8_S8_bS8_S8_NS5_IS6_S8_EES8_NS5_IlS8_EES8_PS6_.has_recursion, 0
	.set _ZN2at6native6sbtopk10gatherTopKIsmLi2ELb0EEEvNS_4cuda6detail10TensorInfoIKT_T0_EES8_S8_bS8_S8_NS5_IS6_S8_EES8_NS5_IlS8_EES8_PS6_.has_indirect_call, 0
	.section	.AMDGPU.csdata,"",@progbits
; Kernel info:
; codeLenInByte = 25364
; TotalNumSgprs: 107
; NumVgprs: 47
; ScratchSize: 0
; MemoryBound: 0
; FloatMode: 240
; IeeeMode: 1
; LDSByteSize: 5152 bytes/workgroup (compile time only)
; SGPRBlocks: 0
; VGPRBlocks: 2
; NumSGPRsForWavesPerEU: 107
; NumVGPRsForWavesPerEU: 47
; NamedBarCnt: 0
; Occupancy: 16
; WaveLimiterHint : 1
; COMPUTE_PGM_RSRC2:SCRATCH_EN: 0
; COMPUTE_PGM_RSRC2:USER_SGPR: 2
; COMPUTE_PGM_RSRC2:TRAP_HANDLER: 0
; COMPUTE_PGM_RSRC2:TGID_X_EN: 1
; COMPUTE_PGM_RSRC2:TGID_Y_EN: 1
; COMPUTE_PGM_RSRC2:TGID_Z_EN: 1
; COMPUTE_PGM_RSRC2:TIDIG_COMP_CNT: 0
	.section	.text._ZN2at6native6mbtopk23computeBlockDigitCountsIsmjLi3EEEvNS_4cuda6detail10TensorInfoIKT_T0_EEjPjjS8_iijT1_PSB_Ps,"axG",@progbits,_ZN2at6native6mbtopk23computeBlockDigitCountsIsmjLi3EEEvNS_4cuda6detail10TensorInfoIKT_T0_EEjPjjS8_iijT1_PSB_Ps,comdat
	.protected	_ZN2at6native6mbtopk23computeBlockDigitCountsIsmjLi3EEEvNS_4cuda6detail10TensorInfoIKT_T0_EEjPjjS8_iijT1_PSB_Ps ; -- Begin function _ZN2at6native6mbtopk23computeBlockDigitCountsIsmjLi3EEEvNS_4cuda6detail10TensorInfoIKT_T0_EEjPjjS8_iijT1_PSB_Ps
	.globl	_ZN2at6native6mbtopk23computeBlockDigitCountsIsmjLi3EEEvNS_4cuda6detail10TensorInfoIKT_T0_EEjPjjS8_iijT1_PSB_Ps
	.p2align	8
	.type	_ZN2at6native6mbtopk23computeBlockDigitCountsIsmjLi3EEEvNS_4cuda6detail10TensorInfoIKT_T0_EEjPjjS8_iijT1_PSB_Ps,@function
_ZN2at6native6mbtopk23computeBlockDigitCountsIsmjLi3EEEvNS_4cuda6detail10TensorInfoIKT_T0_EEjPjjS8_iijT1_PSB_Ps: ; @_ZN2at6native6mbtopk23computeBlockDigitCountsIsmjLi3EEEvNS_4cuda6detail10TensorInfoIKT_T0_EEjPjjS8_iijT1_PSB_Ps
; %bb.0:
	s_load_b128 s[4:7], s[0:1], 0x1c0
	s_bfe_u32 s2, ttmp6, 0x40010
	s_and_b32 s8, ttmp7, 0xffff
	s_add_co_i32 s9, s2, 1
	s_bfe_u32 s10, ttmp6, 0x40004
	s_mul_i32 s9, s8, s9
	s_load_b64 s[2:3], s[0:1], 0x1e0
	s_add_co_i32 s10, s10, s9
	s_bfe_u32 s11, ttmp6, 0x4000c
	s_bfe_u32 s13, ttmp6, 0x40014
	s_add_co_i32 s11, s11, 1
	s_and_b32 s12, ttmp6, 15
	s_mul_i32 s11, ttmp9, s11
	s_add_co_i32 s13, s13, 1
	s_add_co_i32 s12, s12, s11
	s_getreg_b32 s14, hwreg(HW_REG_IB_STS2, 6, 4)
	s_wait_kmcnt 0x0
	s_cvt_f32_u32 s9, s6
	s_delay_alu instid0(SALU_CYCLE_3) | instskip(SKIP_1) | instid1(SALU_CYCLE_1)
	v_rcp_iflag_f32_e32 v1, s9
	s_lshr_b32 s9, ttmp7, 16
	s_mul_i32 s11, s9, s13
	s_bfe_u32 s13, ttmp6, 0x40008
	s_delay_alu instid0(SALU_CYCLE_1) | instskip(SKIP_1) | instid1(TRANS32_DEP_1)
	s_add_co_i32 s13, s13, s11
	v_nop
	v_readfirstlane_b32 s15, v1
	s_cmp_eq_u32 s14, 0
	s_cselect_b32 s9, s9, s13
	s_load_b32 s13, s[0:1], 0x1b0
	s_mul_f32 s11, s15, 0x4f7ffffe
	s_mul_i32 s3, s3, s9
	s_cselect_b32 s9, ttmp9, s12
	s_cselect_b32 s8, s8, s10
	s_cvt_u32_f32 s11, s11
	s_sub_co_i32 s10, 0, s6
	s_add_co_i32 s3, s3, s8
	s_delay_alu instid0(SALU_CYCLE_1) | instskip(SKIP_3) | instid1(SALU_CYCLE_1)
	s_mul_i32 s24, s3, s2
	s_mul_i32 s10, s10, s11
	s_add_co_i32 s24, s24, s9
	s_mul_hi_u32 s2, s11, s10
	s_add_co_i32 s11, s11, s2
	s_delay_alu instid0(SALU_CYCLE_1) | instskip(NEXT) | instid1(SALU_CYCLE_1)
	s_mul_hi_u32 s2, s24, s11
	s_mul_i32 s3, s2, s6
	s_add_co_i32 s8, s2, 1
	s_sub_co_i32 s3, s24, s3
	s_delay_alu instid0(SALU_CYCLE_1)
	s_sub_co_i32 s9, s3, s6
	s_cmp_ge_u32 s3, s6
	s_cselect_b32 s2, s8, s2
	s_cselect_b32 s3, s9, s3
	s_add_co_i32 s8, s2, 1
	s_cmp_ge_u32 s3, s6
	s_mov_b32 s3, 0
	s_cselect_b32 s2, s8, s2
	s_wait_kmcnt 0x0
	s_cmp_ge_u32 s2, s13
	s_cbranch_scc1 .LBB172_25
; %bb.1:
	s_load_b128 s[12:15], s[0:1], 0x10
	s_mov_b64 s[16:17], 0
	s_mov_b64 s[18:19], 0
	s_wait_kmcnt 0x0
	v_cmp_lt_u64_e64 s8, s[2:3], s[14:15]
	s_and_b32 vcc_lo, exec_lo, s8
	s_cbranch_vccz .LBB172_15
; %bb.2:
	v_cmp_lt_u64_e64 s8, s[18:19], s[12:13]
	s_and_b32 vcc_lo, exec_lo, s8
	s_cbranch_vccz .LBB172_16
.LBB172_3:
	v_cmp_gt_u32_e32 vcc_lo, 0x100, v0
	v_lshlrev_b32_e32 v1, 2, v0
	s_and_saveexec_b32 s8, vcc_lo
.LBB172_4:
	v_mov_b32_e32 v2, 0
	ds_store_b32 v1, v2
.LBB172_5:
	s_or_b32 exec_lo, exec_lo, s8
	s_clause 0x1
	s_load_b32 s25, s[0:1], 0x1a0
	s_load_b128 s[8:11], s[0:1], 0x1d0
	s_mul_i32 s20, s2, s6
	s_mov_b32 s23, 0
	s_sub_co_i32 s27, s24, s20
	s_wait_dscnt 0x0
	s_mul_i32 s20, s5, s27
	s_add_co_i32 s27, s27, 1
	s_lshl_b32 s26, s20, 8
	s_barrier_signal -1
	s_barrier_wait -1
	s_wait_kmcnt 0x0
	s_sub_co_i32 s22, s25, s26
	s_delay_alu instid0(SALU_CYCLE_1) | instskip(NEXT) | instid1(SALU_CYCLE_1)
	s_add_nc_u64 s[20:21], s[22:23], 0xff
	s_lshr_b64 s[20:21], s[20:21], 8
	s_cmp_lt_u32 s27, s6
	s_cselect_b32 s6, s5, s20
	s_delay_alu instid0(SALU_CYCLE_1)
	s_cmp_lt_i32 s6, 1
	s_cbranch_scc1 .LBB172_23
; %bb.6:
	s_clause 0x2
	s_load_b64 s[34:35], s[0:1], 0xe0
	s_load_b128 s[28:31], s[0:1], 0xd0
	s_load_b64 s[36:37], s[0:1], 0x0
	s_load_b32 s5, s[8:9], s2 offset:0x0 scale_offset
	s_load_b64 s[20:21], s[0:1], 0x1b8
	s_wait_xcnt 0x0
	s_mul_u64 s[0:1], s[18:19], s[14:15]
	s_mul_u64 s[8:9], s[16:17], s[12:13]
	s_sub_nc_u64 s[0:1], s[2:3], s[0:1]
	s_sub_nc_u64 s[2:3], s[18:19], s[8:9]
	v_add_nc_u32_e32 v6, s26, v0
	s_wait_kmcnt 0x0
	s_mul_u64 s[0:1], s[0:1], s[34:35]
	s_mul_u64 s[8:9], s[16:17], s[28:29]
	;; [unrolled: 1-line block ×3, first 2 shown]
	s_lshl_b64 s[8:9], s[8:9], 1
	s_lshl_b64 s[2:3], s[2:3], 1
	s_add_nc_u64 s[8:9], s[36:37], s[8:9]
	s_lshl_b64 s[12:13], s[0:1], 1
	s_add_nc_u64 s[2:3], s[8:9], s[2:3]
	s_and_b32 s1, s4, 0xff
	s_cmp_eq_u32 s6, 1
	s_add_nc_u64 s[2:3], s[2:3], s[12:13]
	s_cbranch_scc1 .LBB172_18
; %bb.7:
	v_dual_mov_b32 v3, 0 :: v_dual_mov_b32 v7, 1
	v_mov_b32_e32 v2, v6
	s_and_b32 s4, s6, 0x7ffffffe
	s_mov_b32 s8, 0
	s_branch .LBB172_9
.LBB172_8:                              ;   in Loop: Header=BB172_9 Depth=1
	s_or_b32 exec_lo, exec_lo, s9
	v_add_nc_u32_e32 v2, 0x200, v2
	s_add_co_i32 s8, s8, 2
	s_delay_alu instid0(SALU_CYCLE_1)
	s_cmp_eq_u32 s4, s8
	s_cbranch_scc1 .LBB172_17
.LBB172_9:                              ; =>This Inner Loop Header: Depth=1
	s_mov_b32 s9, exec_lo
	v_cmpx_gt_u32_e64 s25, v2
	s_cbranch_execz .LBB172_12
; %bb.10:                               ;   in Loop: Header=BB172_9 Depth=1
	v_mul_u64_e32 v[4:5], s[20:21], v[2:3]
	s_delay_alu instid0(VALU_DEP_1) | instskip(SKIP_4) | instid1(VALU_DEP_1)
	v_lshl_add_u64 v[4:5], v[4:5], 1, s[2:3]
	global_load_i16 v4, v[4:5], off
	s_wait_loadcnt 0x0
	s_wait_xcnt 0x0
	v_add_nc_u32_e32 v4, 0x8000, v4
	v_bitop3_b32 v5, v4, s7, s5 bitop3:0x48
	s_delay_alu instid0(VALU_DEP_1)
	v_cmp_eq_u32_e64 s0, 0, v5
	s_and_b32 exec_lo, exec_lo, s0
; %bb.11:                               ;   in Loop: Header=BB172_9 Depth=1
	v_bfe_u32 v4, v4, s1, 8
	s_delay_alu instid0(VALU_DEP_1)
	v_lshlrev_b32_e32 v4, 2, v4
	ds_add_u32 v4, v7
.LBB172_12:                             ;   in Loop: Header=BB172_9 Depth=1
	s_or_b32 exec_lo, exec_lo, s9
	v_add_nc_u32_e32 v4, 0x100, v2
	s_mov_b32 s9, exec_lo
	s_delay_alu instid0(VALU_DEP_1)
	v_cmpx_gt_u32_e64 s25, v4
	s_cbranch_execz .LBB172_8
; %bb.13:                               ;   in Loop: Header=BB172_9 Depth=1
	v_mov_b32_e32 v5, v3
	s_delay_alu instid0(VALU_DEP_1) | instskip(NEXT) | instid1(VALU_DEP_1)
	v_mul_u64_e32 v[4:5], s[20:21], v[4:5]
	v_lshl_add_u64 v[4:5], v[4:5], 1, s[2:3]
	global_load_i16 v4, v[4:5], off
	s_wait_loadcnt 0x0
	v_add_nc_u32_e32 v4, 0x8000, v4
	s_delay_alu instid0(VALU_DEP_1) | instskip(NEXT) | instid1(VALU_DEP_1)
	v_bitop3_b32 v5, v4, s7, s5 bitop3:0x48
	v_cmp_eq_u32_e64 s0, 0, v5
	s_and_b32 exec_lo, exec_lo, s0
	s_cbranch_execz .LBB172_8
; %bb.14:                               ;   in Loop: Header=BB172_9 Depth=1
	v_bfe_u32 v4, v4, s1, 8
	s_delay_alu instid0(VALU_DEP_1)
	v_lshlrev_b32_e32 v4, 2, v4
	ds_add_u32 v4, v7
	s_branch .LBB172_8
.LBB172_15:
	v_cvt_f32_u32_e32 v1, s14
	s_sub_co_i32 s9, 0, s14
	s_mov_b32 s19, 0
	s_delay_alu instid0(VALU_DEP_1) | instskip(SKIP_1) | instid1(TRANS32_DEP_1)
	v_rcp_iflag_f32_e32 v1, v1
	v_nop
	v_mul_f32_e32 v1, 0x4f7ffffe, v1
	s_delay_alu instid0(VALU_DEP_1) | instskip(NEXT) | instid1(VALU_DEP_1)
	v_cvt_u32_f32_e32 v1, v1
	v_readfirstlane_b32 s8, v1
	s_mul_i32 s9, s9, s8
	s_delay_alu instid0(SALU_CYCLE_1) | instskip(NEXT) | instid1(SALU_CYCLE_1)
	s_mul_hi_u32 s9, s8, s9
	s_add_co_i32 s8, s8, s9
	s_delay_alu instid0(SALU_CYCLE_1) | instskip(NEXT) | instid1(SALU_CYCLE_1)
	s_mul_hi_u32 s8, s2, s8
	s_mul_i32 s9, s8, s14
	s_add_co_i32 s10, s8, 1
	s_sub_co_i32 s9, s2, s9
	s_delay_alu instid0(SALU_CYCLE_1)
	s_sub_co_i32 s11, s9, s14
	s_cmp_ge_u32 s9, s14
	s_cselect_b32 s8, s10, s8
	s_cselect_b32 s9, s11, s9
	s_add_co_i32 s10, s8, 1
	s_cmp_ge_u32 s9, s14
	s_cselect_b32 s18, s10, s8
	s_delay_alu instid0(SALU_CYCLE_1)
	v_cmp_lt_u64_e64 s8, s[18:19], s[12:13]
	s_and_b32 vcc_lo, exec_lo, s8
	s_cbranch_vccnz .LBB172_3
.LBB172_16:
	v_cvt_f32_u32_e32 v1, s12
	s_sub_co_i32 s9, 0, s12
	s_mov_b32 s17, 0
	s_delay_alu instid0(VALU_DEP_1) | instskip(SKIP_1) | instid1(TRANS32_DEP_1)
	v_rcp_iflag_f32_e32 v1, v1
	v_nop
	v_mul_f32_e32 v1, 0x4f7ffffe, v1
	s_delay_alu instid0(VALU_DEP_1) | instskip(NEXT) | instid1(VALU_DEP_1)
	v_cvt_u32_f32_e32 v1, v1
	v_readfirstlane_b32 s8, v1
	s_mul_i32 s9, s9, s8
	s_delay_alu instid0(SALU_CYCLE_1) | instskip(NEXT) | instid1(SALU_CYCLE_1)
	s_mul_hi_u32 s9, s8, s9
	s_add_co_i32 s8, s8, s9
	s_delay_alu instid0(SALU_CYCLE_1) | instskip(NEXT) | instid1(SALU_CYCLE_1)
	s_mul_hi_u32 s8, s18, s8
	s_mul_i32 s9, s8, s12
	s_add_co_i32 s10, s8, 1
	s_sub_co_i32 s9, s18, s9
	s_delay_alu instid0(SALU_CYCLE_1)
	s_sub_co_i32 s11, s9, s12
	s_cmp_ge_u32 s9, s12
	s_cselect_b32 s8, s10, s8
	s_cselect_b32 s9, s11, s9
	s_add_co_i32 s10, s8, 1
	s_cmp_ge_u32 s9, s12
	s_cselect_b32 s16, s10, s8
	v_cmp_gt_u32_e32 vcc_lo, 0x100, v0
	v_lshlrev_b32_e32 v1, 2, v0
	s_and_saveexec_b32 s8, vcc_lo
	s_cbranch_execnz .LBB172_4
	s_branch .LBB172_5
.LBB172_17:
	s_lshl_b32 s23, s4, 8
.LBB172_18:
	s_bitcmp0_b32 s6, 0
	s_cbranch_scc1 .LBB172_23
; %bb.19:
	v_add_nc_u32_e32 v2, s23, v6
	s_mov_b32 s4, exec_lo
	s_delay_alu instid0(VALU_DEP_1)
	v_cmpx_gt_u32_e64 s25, v2
	s_cbranch_execz .LBB172_22
; %bb.20:
	v_mov_b32_e32 v3, 0
	s_delay_alu instid0(VALU_DEP_1) | instskip(NEXT) | instid1(VALU_DEP_1)
	v_mul_u64_e32 v[2:3], s[20:21], v[2:3]
	v_lshl_add_u64 v[2:3], v[2:3], 1, s[2:3]
	global_load_i16 v2, v[2:3], off
	s_wait_loadcnt 0x0
	v_add_nc_u32_e32 v2, 0x8000, v2
	s_delay_alu instid0(VALU_DEP_1) | instskip(NEXT) | instid1(VALU_DEP_1)
	v_bitop3_b32 v3, v2, s7, s5 bitop3:0x48
	v_cmp_eq_u32_e64 s0, 0, v3
	s_and_b32 exec_lo, exec_lo, s0
; %bb.21:
	v_bfe_u32 v2, v2, s1, 8
	s_delay_alu instid0(VALU_DEP_1)
	v_dual_mov_b32 v3, 1 :: v_dual_lshlrev_b32 v2, 2, v2
	ds_add_u32 v2, v3
.LBB172_22:
	s_or_b32 exec_lo, exec_lo, s4
.LBB172_23:
	s_wait_dscnt 0x0
	s_barrier_signal -1
	s_barrier_wait -1
	s_and_saveexec_b32 s0, vcc_lo
	s_cbranch_execz .LBB172_25
; %bb.24:
	ds_load_b32 v1, v1
	v_lshl_or_b32 v0, s24, 8, v0
	s_wait_dscnt 0x0
	global_store_b16 v0, v1, s[10:11] scale_offset
.LBB172_25:
	s_endpgm
	.section	.rodata,"a",@progbits
	.p2align	6, 0x0
	.amdhsa_kernel _ZN2at6native6mbtopk23computeBlockDigitCountsIsmjLi3EEEvNS_4cuda6detail10TensorInfoIKT_T0_EEjPjjS8_iijT1_PSB_Ps
		.amdhsa_group_segment_fixed_size 1024
		.amdhsa_private_segment_fixed_size 0
		.amdhsa_kernarg_size 736
		.amdhsa_user_sgpr_count 2
		.amdhsa_user_sgpr_dispatch_ptr 0
		.amdhsa_user_sgpr_queue_ptr 0
		.amdhsa_user_sgpr_kernarg_segment_ptr 1
		.amdhsa_user_sgpr_dispatch_id 0
		.amdhsa_user_sgpr_kernarg_preload_length 0
		.amdhsa_user_sgpr_kernarg_preload_offset 0
		.amdhsa_user_sgpr_private_segment_size 0
		.amdhsa_wavefront_size32 1
		.amdhsa_uses_dynamic_stack 0
		.amdhsa_enable_private_segment 0
		.amdhsa_system_sgpr_workgroup_id_x 1
		.amdhsa_system_sgpr_workgroup_id_y 1
		.amdhsa_system_sgpr_workgroup_id_z 1
		.amdhsa_system_sgpr_workgroup_info 0
		.amdhsa_system_vgpr_workitem_id 0
		.amdhsa_next_free_vgpr 8
		.amdhsa_next_free_sgpr 38
		.amdhsa_named_barrier_count 0
		.amdhsa_reserve_vcc 1
		.amdhsa_float_round_mode_32 0
		.amdhsa_float_round_mode_16_64 0
		.amdhsa_float_denorm_mode_32 3
		.amdhsa_float_denorm_mode_16_64 3
		.amdhsa_fp16_overflow 0
		.amdhsa_memory_ordered 1
		.amdhsa_forward_progress 1
		.amdhsa_inst_pref_size 11
		.amdhsa_round_robin_scheduling 0
		.amdhsa_exception_fp_ieee_invalid_op 0
		.amdhsa_exception_fp_denorm_src 0
		.amdhsa_exception_fp_ieee_div_zero 0
		.amdhsa_exception_fp_ieee_overflow 0
		.amdhsa_exception_fp_ieee_underflow 0
		.amdhsa_exception_fp_ieee_inexact 0
		.amdhsa_exception_int_div_zero 0
	.end_amdhsa_kernel
	.section	.text._ZN2at6native6mbtopk23computeBlockDigitCountsIsmjLi3EEEvNS_4cuda6detail10TensorInfoIKT_T0_EEjPjjS8_iijT1_PSB_Ps,"axG",@progbits,_ZN2at6native6mbtopk23computeBlockDigitCountsIsmjLi3EEEvNS_4cuda6detail10TensorInfoIKT_T0_EEjPjjS8_iijT1_PSB_Ps,comdat
.Lfunc_end172:
	.size	_ZN2at6native6mbtopk23computeBlockDigitCountsIsmjLi3EEEvNS_4cuda6detail10TensorInfoIKT_T0_EEjPjjS8_iijT1_PSB_Ps, .Lfunc_end172-_ZN2at6native6mbtopk23computeBlockDigitCountsIsmjLi3EEEvNS_4cuda6detail10TensorInfoIKT_T0_EEjPjjS8_iijT1_PSB_Ps
                                        ; -- End function
	.set _ZN2at6native6mbtopk23computeBlockDigitCountsIsmjLi3EEEvNS_4cuda6detail10TensorInfoIKT_T0_EEjPjjS8_iijT1_PSB_Ps.num_vgpr, 8
	.set _ZN2at6native6mbtopk23computeBlockDigitCountsIsmjLi3EEEvNS_4cuda6detail10TensorInfoIKT_T0_EEjPjjS8_iijT1_PSB_Ps.num_agpr, 0
	.set _ZN2at6native6mbtopk23computeBlockDigitCountsIsmjLi3EEEvNS_4cuda6detail10TensorInfoIKT_T0_EEjPjjS8_iijT1_PSB_Ps.numbered_sgpr, 38
	.set _ZN2at6native6mbtopk23computeBlockDigitCountsIsmjLi3EEEvNS_4cuda6detail10TensorInfoIKT_T0_EEjPjjS8_iijT1_PSB_Ps.num_named_barrier, 0
	.set _ZN2at6native6mbtopk23computeBlockDigitCountsIsmjLi3EEEvNS_4cuda6detail10TensorInfoIKT_T0_EEjPjjS8_iijT1_PSB_Ps.private_seg_size, 0
	.set _ZN2at6native6mbtopk23computeBlockDigitCountsIsmjLi3EEEvNS_4cuda6detail10TensorInfoIKT_T0_EEjPjjS8_iijT1_PSB_Ps.uses_vcc, 1
	.set _ZN2at6native6mbtopk23computeBlockDigitCountsIsmjLi3EEEvNS_4cuda6detail10TensorInfoIKT_T0_EEjPjjS8_iijT1_PSB_Ps.uses_flat_scratch, 0
	.set _ZN2at6native6mbtopk23computeBlockDigitCountsIsmjLi3EEEvNS_4cuda6detail10TensorInfoIKT_T0_EEjPjjS8_iijT1_PSB_Ps.has_dyn_sized_stack, 0
	.set _ZN2at6native6mbtopk23computeBlockDigitCountsIsmjLi3EEEvNS_4cuda6detail10TensorInfoIKT_T0_EEjPjjS8_iijT1_PSB_Ps.has_recursion, 0
	.set _ZN2at6native6mbtopk23computeBlockDigitCountsIsmjLi3EEEvNS_4cuda6detail10TensorInfoIKT_T0_EEjPjjS8_iijT1_PSB_Ps.has_indirect_call, 0
	.section	.AMDGPU.csdata,"",@progbits
; Kernel info:
; codeLenInByte = 1348
; TotalNumSgprs: 40
; NumVgprs: 8
; ScratchSize: 0
; MemoryBound: 0
; FloatMode: 240
; IeeeMode: 1
; LDSByteSize: 1024 bytes/workgroup (compile time only)
; SGPRBlocks: 0
; VGPRBlocks: 0
; NumSGPRsForWavesPerEU: 40
; NumVGPRsForWavesPerEU: 8
; NamedBarCnt: 0
; Occupancy: 16
; WaveLimiterHint : 1
; COMPUTE_PGM_RSRC2:SCRATCH_EN: 0
; COMPUTE_PGM_RSRC2:USER_SGPR: 2
; COMPUTE_PGM_RSRC2:TRAP_HANDLER: 0
; COMPUTE_PGM_RSRC2:TGID_X_EN: 1
; COMPUTE_PGM_RSRC2:TGID_Y_EN: 1
; COMPUTE_PGM_RSRC2:TGID_Z_EN: 1
; COMPUTE_PGM_RSRC2:TIDIG_COMP_CNT: 0
	.section	.text._ZN2at6native6mbtopk10gatherTopKIsmLi3EEEvNS_4cuda6detail10TensorInfoIKT_T0_EES8_S8_bjS8_NS5_IS6_S8_EES8_NS5_IlS8_EES8_jjPS6_PjSD_j,"axG",@progbits,_ZN2at6native6mbtopk10gatherTopKIsmLi3EEEvNS_4cuda6detail10TensorInfoIKT_T0_EES8_S8_bjS8_NS5_IS6_S8_EES8_NS5_IlS8_EES8_jjPS6_PjSD_j,comdat
	.protected	_ZN2at6native6mbtopk10gatherTopKIsmLi3EEEvNS_4cuda6detail10TensorInfoIKT_T0_EES8_S8_bjS8_NS5_IS6_S8_EES8_NS5_IlS8_EES8_jjPS6_PjSD_j ; -- Begin function _ZN2at6native6mbtopk10gatherTopKIsmLi3EEEvNS_4cuda6detail10TensorInfoIKT_T0_EES8_S8_bjS8_NS5_IS6_S8_EES8_NS5_IlS8_EES8_jjPS6_PjSD_j
	.globl	_ZN2at6native6mbtopk10gatherTopKIsmLi3EEEvNS_4cuda6detail10TensorInfoIKT_T0_EES8_S8_bjS8_NS5_IS6_S8_EES8_NS5_IlS8_EES8_jjPS6_PjSD_j
	.p2align	8
	.type	_ZN2at6native6mbtopk10gatherTopKIsmLi3EEEvNS_4cuda6detail10TensorInfoIKT_T0_EES8_S8_bjS8_NS5_IS6_S8_EES8_NS5_IlS8_EES8_jjPS6_PjSD_j,@function
_ZN2at6native6mbtopk10gatherTopKIsmLi3EEEvNS_4cuda6detail10TensorInfoIKT_T0_EES8_S8_bjS8_NS5_IS6_S8_EES8_NS5_IlS8_EES8_jjPS6_PjSD_j: ; @_ZN2at6native6mbtopk10gatherTopKIsmLi3EEEvNS_4cuda6detail10TensorInfoIKT_T0_EES8_S8_bjS8_NS5_IS6_S8_EES8_NS5_IlS8_EES8_jjPS6_PjSD_j
; %bb.0:
	s_bfe_u32 s2, ttmp6, 0x40010
	s_and_b32 s4, ttmp7, 0xffff
	s_add_co_i32 s5, s2, 1
	s_clause 0x1
	s_load_b32 s6, s[0:1], 0x530
	s_load_b64 s[2:3], s[0:1], 0x538
	s_bfe_u32 s8, ttmp6, 0x4000c
	s_mul_i32 s5, s4, s5
	s_bfe_u32 s7, ttmp6, 0x40004
	s_add_co_i32 s8, s8, 1
	s_bfe_u32 s9, ttmp6, 0x40014
	s_add_co_i32 s7, s7, s5
	s_and_b32 s5, ttmp6, 15
	s_mul_i32 s8, ttmp9, s8
	s_lshr_b32 s10, ttmp7, 16
	s_add_co_i32 s9, s9, 1
	s_add_co_i32 s5, s5, s8
	s_mul_i32 s8, s10, s9
	s_bfe_u32 s9, ttmp6, 0x40008
	s_getreg_b32 s11, hwreg(HW_REG_IB_STS2, 6, 4)
	s_add_co_i32 s9, s9, s8
	s_cmp_eq_u32 s11, 0
	s_cselect_b32 s8, s10, s9
	s_cselect_b32 s4, s4, s7
	s_wait_kmcnt 0x0
	s_mul_i32 s3, s3, s8
	s_cselect_b32 s5, ttmp9, s5
	s_add_co_i32 s3, s3, s4
	s_delay_alu instid0(SALU_CYCLE_1) | instskip(NEXT) | instid1(SALU_CYCLE_1)
	s_mul_i32 s2, s3, s2
	s_add_co_i32 s2, s2, s5
	s_delay_alu instid0(SALU_CYCLE_1)
	s_cmp_ge_u32 s2, s6
	s_cbranch_scc1 .LBB173_54
; %bb.1:
	s_load_b64 s[34:35], s[0:1], 0x510
	s_wait_kmcnt 0x0
	s_cvt_f32_u32 s3, s35
	s_sub_co_i32 s4, 0, s35
	s_lshl_b32 s33, s34, 8
	s_delay_alu instid0(SALU_CYCLE_1) | instskip(SKIP_1) | instid1(TRANS32_DEP_1)
	v_rcp_iflag_f32_e32 v1, s3
	v_nop
	v_readfirstlane_b32 s3, v1
	s_mul_f32 s3, s3, 0x4f7ffffe
	s_delay_alu instid0(SALU_CYCLE_3) | instskip(NEXT) | instid1(SALU_CYCLE_3)
	s_cvt_u32_f32 s3, s3
	s_mul_i32 s4, s4, s3
	s_delay_alu instid0(SALU_CYCLE_1) | instskip(NEXT) | instid1(SALU_CYCLE_1)
	s_mul_hi_u32 s4, s3, s4
	s_add_co_i32 s3, s3, s4
	s_clause 0x1
	s_load_b128 s[4:7], s[0:1], 0x1a0
	s_load_b128 s[8:11], s[0:1], 0x10
	s_mul_hi_u32 s3, s2, s3
	s_delay_alu instid0(SALU_CYCLE_1) | instskip(SKIP_2) | instid1(SALU_CYCLE_1)
	s_mul_i32 s12, s3, s35
	s_add_co_i32 s13, s3, 1
	s_sub_co_i32 s12, s2, s12
	s_sub_co_i32 s14, s12, s35
	s_cmp_ge_u32 s12, s35
	s_cselect_b32 s3, s13, s3
	s_cselect_b32 s12, s14, s12
	s_add_co_i32 s13, s3, 1
	s_cmp_ge_u32 s12, s35
	s_cselect_b32 s44, s13, s3
	s_delay_alu instid0(SALU_CYCLE_1) | instskip(NEXT) | instid1(SALU_CYCLE_1)
	s_mul_i32 s50, s44, s35
	s_sub_co_i32 s72, s2, s50
	s_delay_alu instid0(SALU_CYCLE_1) | instskip(NEXT) | instid1(SALU_CYCLE_1)
	s_add_co_i32 s2, s72, 1
	s_cmp_lt_u32 s2, s35
	s_cbranch_scc1 .LBB173_3
; %bb.2:
	s_mul_i32 s2, s72, s33
	s_mov_b32 s3, 0
	s_wait_kmcnt 0x0
	s_sub_nc_u64 s[12:13], s[4:5], s[2:3]
	s_delay_alu instid0(SALU_CYCLE_1) | instskip(NEXT) | instid1(SALU_CYCLE_1)
	s_add_nc_u64 s[12:13], s[12:13], 0xff
	s_ashr_i32 s2, s13, 31
	s_delay_alu instid0(SALU_CYCLE_1) | instskip(NEXT) | instid1(SALU_CYCLE_1)
	s_lshr_b32 s2, s2, 24
	s_add_nc_u64 s[2:3], s[12:13], s[2:3]
	s_delay_alu instid0(SALU_CYCLE_1) | instskip(NEXT) | instid1(SALU_CYCLE_1)
	s_lshr_b64 s[2:3], s[2:3], 8
	s_mov_b32 s34, s2
.LBB173_3:
	s_mov_b32 s45, 0
	s_mov_b64 s[46:47], 0
	s_wait_kmcnt 0x0
	v_cmp_lt_u64_e64 s2, s[44:45], s[10:11]
	s_mov_b64 s[48:49], 0
	s_and_b32 vcc_lo, exec_lo, s2
	s_cbranch_vccnz .LBB173_5
; %bb.4:
	v_cvt_f32_u32_e32 v1, s10
	s_sub_co_i32 s3, 0, s10
	s_mov_b32 s49, s45
	s_delay_alu instid0(VALU_DEP_1) | instskip(SKIP_1) | instid1(TRANS32_DEP_1)
	v_rcp_iflag_f32_e32 v1, v1
	v_nop
	v_mul_f32_e32 v1, 0x4f7ffffe, v1
	s_delay_alu instid0(VALU_DEP_1) | instskip(NEXT) | instid1(VALU_DEP_1)
	v_cvt_u32_f32_e32 v1, v1
	v_readfirstlane_b32 s2, v1
	s_mul_i32 s3, s3, s2
	s_delay_alu instid0(SALU_CYCLE_1) | instskip(NEXT) | instid1(SALU_CYCLE_1)
	s_mul_hi_u32 s3, s2, s3
	s_add_co_i32 s2, s2, s3
	s_delay_alu instid0(SALU_CYCLE_1) | instskip(NEXT) | instid1(SALU_CYCLE_1)
	s_mul_hi_u32 s2, s44, s2
	s_mul_i32 s3, s2, s10
	s_add_co_i32 s12, s2, 1
	s_sub_co_i32 s3, s44, s3
	s_delay_alu instid0(SALU_CYCLE_1)
	s_sub_co_i32 s13, s3, s10
	s_cmp_ge_u32 s3, s10
	s_cselect_b32 s2, s12, s2
	s_cselect_b32 s3, s13, s3
	s_add_co_i32 s12, s2, 1
	s_cmp_ge_u32 s3, s10
	s_cselect_b32 s48, s12, s2
.LBB173_5:
	s_load_b128 s[20:23], s[0:1], 0x1d0
	v_cmp_lt_u64_e64 s2, s[48:49], s[8:9]
	s_and_b32 vcc_lo, exec_lo, s2
	s_cbranch_vccnz .LBB173_7
; %bb.6:
	v_cvt_f32_u32_e32 v1, s8
	s_sub_co_i32 s3, 0, s8
	s_mov_b32 s47, 0
	s_delay_alu instid0(VALU_DEP_1) | instskip(SKIP_1) | instid1(TRANS32_DEP_1)
	v_rcp_iflag_f32_e32 v1, v1
	v_nop
	v_mul_f32_e32 v1, 0x4f7ffffe, v1
	s_delay_alu instid0(VALU_DEP_1) | instskip(NEXT) | instid1(VALU_DEP_1)
	v_cvt_u32_f32_e32 v1, v1
	v_readfirstlane_b32 s2, v1
	s_mul_i32 s3, s3, s2
	s_delay_alu instid0(SALU_CYCLE_1) | instskip(NEXT) | instid1(SALU_CYCLE_1)
	s_mul_hi_u32 s3, s2, s3
	s_add_co_i32 s2, s2, s3
	s_delay_alu instid0(SALU_CYCLE_1) | instskip(NEXT) | instid1(SALU_CYCLE_1)
	s_mul_hi_u32 s2, s48, s2
	s_mul_i32 s3, s2, s8
	s_add_co_i32 s12, s2, 1
	s_sub_co_i32 s3, s48, s3
	s_delay_alu instid0(SALU_CYCLE_1)
	s_sub_co_i32 s13, s3, s8
	s_cmp_ge_u32 s3, s8
	s_cselect_b32 s2, s12, s2
	s_cselect_b32 s3, s13, s3
	s_add_co_i32 s12, s2, 1
	s_cmp_ge_u32 s3, s8
	s_cselect_b32 s46, s12, s2
.LBB173_7:
	s_wait_kmcnt 0x0
	v_cmp_lt_u64_e64 s2, s[44:45], s[22:23]
	s_mov_b64 s[54:55], 0
	s_mov_b64 s[52:53], 0
	s_and_b32 vcc_lo, exec_lo, s2
	s_cbranch_vccnz .LBB173_9
; %bb.8:
	v_cvt_f32_u32_e32 v1, s22
	s_sub_co_i32 s3, 0, s22
	s_mov_b32 s53, 0
	s_delay_alu instid0(VALU_DEP_1) | instskip(SKIP_1) | instid1(TRANS32_DEP_1)
	v_rcp_iflag_f32_e32 v1, v1
	v_nop
	v_mul_f32_e32 v1, 0x4f7ffffe, v1
	s_delay_alu instid0(VALU_DEP_1) | instskip(NEXT) | instid1(VALU_DEP_1)
	v_cvt_u32_f32_e32 v1, v1
	v_readfirstlane_b32 s2, v1
	s_mul_i32 s3, s3, s2
	s_delay_alu instid0(SALU_CYCLE_1) | instskip(NEXT) | instid1(SALU_CYCLE_1)
	s_mul_hi_u32 s3, s2, s3
	s_add_co_i32 s2, s2, s3
	s_delay_alu instid0(SALU_CYCLE_1) | instskip(NEXT) | instid1(SALU_CYCLE_1)
	s_mul_hi_u32 s2, s44, s2
	s_mul_i32 s3, s2, s22
	s_add_co_i32 s12, s2, 1
	s_sub_co_i32 s3, s44, s3
	s_delay_alu instid0(SALU_CYCLE_1)
	s_sub_co_i32 s13, s3, s22
	s_cmp_ge_u32 s3, s22
	s_cselect_b32 s2, s12, s2
	s_cselect_b32 s3, s13, s3
	s_add_co_i32 s12, s2, 1
	s_cmp_ge_u32 s3, s22
	s_cselect_b32 s52, s12, s2
.LBB173_9:
	s_load_b128 s[24:27], s[0:1], 0x378
	v_cmp_lt_u64_e64 s2, s[52:53], s[20:21]
	s_and_b32 vcc_lo, exec_lo, s2
	s_cbranch_vccnz .LBB173_11
; %bb.10:
	v_cvt_f32_u32_e32 v1, s20
	s_sub_co_i32 s3, 0, s20
	s_mov_b32 s55, 0
	s_delay_alu instid0(VALU_DEP_1) | instskip(SKIP_1) | instid1(TRANS32_DEP_1)
	v_rcp_iflag_f32_e32 v1, v1
	v_nop
	v_mul_f32_e32 v1, 0x4f7ffffe, v1
	s_delay_alu instid0(VALU_DEP_1) | instskip(NEXT) | instid1(VALU_DEP_1)
	v_cvt_u32_f32_e32 v1, v1
	v_readfirstlane_b32 s2, v1
	s_mul_i32 s3, s3, s2
	s_delay_alu instid0(SALU_CYCLE_1) | instskip(NEXT) | instid1(SALU_CYCLE_1)
	s_mul_hi_u32 s3, s2, s3
	s_add_co_i32 s2, s2, s3
	s_delay_alu instid0(SALU_CYCLE_1) | instskip(NEXT) | instid1(SALU_CYCLE_1)
	s_mul_hi_u32 s2, s52, s2
	s_mul_i32 s3, s2, s20
	s_add_co_i32 s12, s2, 1
	s_sub_co_i32 s3, s52, s3
	s_delay_alu instid0(SALU_CYCLE_1)
	s_sub_co_i32 s13, s3, s20
	s_cmp_ge_u32 s3, s20
	s_cselect_b32 s2, s12, s2
	s_cselect_b32 s3, s13, s3
	s_add_co_i32 s12, s2, 1
	s_cmp_ge_u32 s3, s20
	s_cselect_b32 s54, s12, s2
.LBB173_11:
	s_wait_kmcnt 0x0
	v_cmp_lt_u64_e64 s2, s[44:45], s[26:27]
	s_mov_b64 s[56:57], 0
	s_mov_b64 s[58:59], 0
	s_and_b32 vcc_lo, exec_lo, s2
	s_cbranch_vccnz .LBB173_13
; %bb.12:
	v_cvt_f32_u32_e32 v1, s26
	s_sub_co_i32 s3, 0, s26
	s_mov_b32 s59, 0
	s_delay_alu instid0(VALU_DEP_1) | instskip(SKIP_1) | instid1(TRANS32_DEP_1)
	v_rcp_iflag_f32_e32 v1, v1
	v_nop
	v_mul_f32_e32 v1, 0x4f7ffffe, v1
	s_delay_alu instid0(VALU_DEP_1) | instskip(NEXT) | instid1(VALU_DEP_1)
	v_cvt_u32_f32_e32 v1, v1
	v_readfirstlane_b32 s2, v1
	s_mul_i32 s3, s3, s2
	s_delay_alu instid0(SALU_CYCLE_1) | instskip(NEXT) | instid1(SALU_CYCLE_1)
	s_mul_hi_u32 s3, s2, s3
	s_add_co_i32 s2, s2, s3
	s_delay_alu instid0(SALU_CYCLE_1) | instskip(NEXT) | instid1(SALU_CYCLE_1)
	s_mul_hi_u32 s2, s44, s2
	s_mul_i32 s3, s2, s26
	s_add_co_i32 s12, s2, 1
	s_sub_co_i32 s3, s44, s3
	s_delay_alu instid0(SALU_CYCLE_1)
	s_sub_co_i32 s13, s3, s26
	s_cmp_ge_u32 s3, s26
	s_cselect_b32 s2, s12, s2
	s_cselect_b32 s3, s13, s3
	s_add_co_i32 s12, s2, 1
	s_cmp_ge_u32 s3, s26
	s_cselect_b32 s58, s12, s2
.LBB173_13:
	s_clause 0x5
	s_load_b64 s[60:61], s[0:1], 0xe0
	s_load_b128 s[36:39], s[0:1], 0xd0
	s_load_b64 s[62:63], s[0:1], 0x2a0
	s_load_b128 s[40:43], s[0:1], 0x290
	;; [unrolled: 2-line block ×3, first 2 shown]
	v_cmp_lt_u64_e64 s2, s[58:59], s[24:25]
	s_and_b32 vcc_lo, exec_lo, s2
	s_cbranch_vccnz .LBB173_15
; %bb.14:
	v_cvt_f32_u32_e32 v1, s24
	s_sub_co_i32 s3, 0, s24
	s_mov_b32 s57, 0
	s_delay_alu instid0(VALU_DEP_1) | instskip(SKIP_1) | instid1(TRANS32_DEP_1)
	v_rcp_iflag_f32_e32 v1, v1
	v_nop
	v_mul_f32_e32 v1, 0x4f7ffffe, v1
	s_delay_alu instid0(VALU_DEP_1) | instskip(NEXT) | instid1(VALU_DEP_1)
	v_cvt_u32_f32_e32 v1, v1
	v_readfirstlane_b32 s2, v1
	s_mul_i32 s3, s3, s2
	s_delay_alu instid0(SALU_CYCLE_1) | instskip(NEXT) | instid1(SALU_CYCLE_1)
	s_mul_hi_u32 s3, s2, s3
	s_add_co_i32 s2, s2, s3
	s_delay_alu instid0(SALU_CYCLE_1) | instskip(NEXT) | instid1(SALU_CYCLE_1)
	s_mul_hi_u32 s2, s58, s2
	s_mul_i32 s3, s2, s24
	s_add_co_i32 s12, s2, 1
	s_sub_co_i32 s3, s58, s3
	s_delay_alu instid0(SALU_CYCLE_1)
	s_sub_co_i32 s13, s3, s24
	s_cmp_ge_u32 s3, s24
	s_cselect_b32 s2, s12, s2
	s_cselect_b32 s3, s13, s3
	s_add_co_i32 s12, s2, 1
	s_cmp_ge_u32 s3, s24
	s_cselect_b32 s56, s12, s2
.LBB173_15:
	s_load_b128 s[12:15], s[0:1], 0x518
	v_mov_b32_e32 v1, 0
	s_lshl_b64 s[2:3], s[44:45], 1
	s_mov_b32 s51, 0
	s_wait_kmcnt 0x0
	s_add_nc_u64 s[2:3], s[12:13], s[2:3]
	global_load_u16 v5, v1, s[2:3]
	s_wait_xcnt 0x0
	v_cmp_ne_u32_e64 s2, 0, v0
	v_cmp_eq_u32_e64 s3, 0, v0
	s_and_saveexec_b32 s73, s3
	s_cbranch_execz .LBB173_31
; %bb.16:
	s_load_b64 s[66:67], s[0:1], 0x528
	s_lshl_b64 s[68:69], s[50:51], 2
	s_cmp_lt_u32 s35, 4
	s_cbranch_scc1 .LBB173_28
; %bb.17:
	s_mov_b64 s[12:13], 0
	s_mov_b32 s50, 0
.LBB173_18:                             ; =>This Inner Loop Header: Depth=1
	s_add_nc_u64 s[70:71], s[14:15], s[68:69]
	s_cmp_ge_u32 s50, s72
	s_load_b128 s[16:19], s[70:71], 0x0
	s_wait_kmcnt 0x0
	s_add_nc_u64 s[70:71], s[66:67], s[68:69]
	s_cbranch_scc0 .LBB173_25
; %bb.19:                               ;   in Loop: Header=BB173_18 Depth=1
	s_add_co_i32 s74, s50, 1
	s_delay_alu instid0(SALU_CYCLE_1)
	s_cmp_ge_u32 s74, s72
	s_cbranch_scc0 .LBB173_26
.LBB173_20:                             ;   in Loop: Header=BB173_18 Depth=1
	s_add_co_i32 s74, s74, 1
	s_delay_alu instid0(SALU_CYCLE_1)
	s_cmp_ge_u32 s74, s72
	s_cbranch_scc0 .LBB173_27
.LBB173_21:                             ;   in Loop: Header=BB173_18 Depth=1
	s_add_co_i32 s74, s74, 1
	s_delay_alu instid0(SALU_CYCLE_1)
	s_cmp_ge_u32 s74, s72
	s_cbranch_scc1 .LBB173_23
.LBB173_22:                             ;   in Loop: Header=BB173_18 Depth=1
	s_load_b32 s70, s[70:71], 0xc
	s_add_co_i32 s13, s19, s13
	s_wait_kmcnt 0x0
	s_add_co_i32 s12, s70, s12
.LBB173_23:                             ;   in Loop: Header=BB173_18 Depth=1
	s_add_co_i32 s16, s16, s51
	s_add_nc_u64 s[14:15], s[14:15], 16
	s_add_co_i32 s16, s16, s17
	s_add_co_i32 s17, s74, 4
	;; [unrolled: 1-line block ×3, first 2 shown]
	s_add_nc_u64 s[66:67], s[66:67], 16
	s_add_co_i32 s51, s16, s19
	s_add_co_i32 s16, s74, 1
	s_cmp_ge_u32 s17, s35
	s_cbranch_scc1 .LBB173_29
; %bb.24:                               ;   in Loop: Header=BB173_18 Depth=1
	s_mov_b32 s50, s16
	s_branch .LBB173_18
.LBB173_25:                             ;   in Loop: Header=BB173_18 Depth=1
	s_load_b32 s74, s[70:71], 0x0
	s_add_co_i32 s13, s16, s13
	s_wait_kmcnt 0x0
	s_add_co_i32 s12, s74, s12
	s_add_co_i32 s74, s50, 1
	s_delay_alu instid0(SALU_CYCLE_1)
	s_cmp_ge_u32 s74, s72
	s_cbranch_scc1 .LBB173_20
.LBB173_26:                             ;   in Loop: Header=BB173_18 Depth=1
	s_load_b32 s75, s[70:71], 0x4
	s_add_co_i32 s13, s17, s13
	s_wait_kmcnt 0x0
	s_add_co_i32 s12, s75, s12
	s_add_co_i32 s74, s74, 1
	s_delay_alu instid0(SALU_CYCLE_1)
	s_cmp_ge_u32 s74, s72
	s_cbranch_scc1 .LBB173_21
.LBB173_27:                             ;   in Loop: Header=BB173_18 Depth=1
	s_load_b32 s75, s[70:71], 0x8
	s_add_co_i32 s13, s18, s13
	s_wait_kmcnt 0x0
	s_add_co_i32 s12, s75, s12
	s_add_co_i32 s74, s74, 1
	s_delay_alu instid0(SALU_CYCLE_1)
	s_cmp_ge_u32 s74, s72
	s_cbranch_scc0 .LBB173_22
	s_branch .LBB173_23
.LBB173_28:
	s_mov_b64 s[12:13], 0
	s_add_nc_u64 s[14:15], s[14:15], s[68:69]
	s_wait_kmcnt 0x0
	s_add_nc_u64 s[16:17], s[66:67], s[68:69]
	s_mov_b32 s18, 0
	s_delay_alu instid0(SALU_CYCLE_1)
	s_cmp_ge_u32 s18, s35
	s_cbranch_scc0 .LBB173_52
	s_branch .LBB173_30
.LBB173_29:
	s_add_co_i32 s18, s50, 4
	s_add_nc_u64 s[16:17], s[66:67], s[68:69]
	s_add_nc_u64 s[14:15], s[14:15], s[68:69]
	s_cmp_ge_u32 s18, s35
	s_cbranch_scc0 .LBB173_52
.LBB173_30:
	v_dual_mov_b32 v2, s12 :: v_dual_mov_b32 v3, s51
	v_dual_mov_b32 v4, s13 :: v_dual_mov_b32 v1, 0
	ds_store_b96 v1, v[2:4] offset:1056
.LBB173_31:
	s_or_b32 exec_lo, exec_lo, s73
	s_clause 0x2
	s_load_b128 s[12:15], s[0:1], 0x360
	s_load_b128 s[16:19], s[0:1], 0x1b8
	s_load_b64 s[50:51], s[0:1], 0x0
	s_cmp_eq_u32 s34, 0
	s_wait_loadcnt_dscnt 0x0
	s_barrier_signal -1
	s_barrier_wait -1
	s_cbranch_scc1 .LBB173_54
; %bb.32:
	s_mul_u64 s[8:9], s[46:47], s[8:9]
	v_dual_mov_b32 v7, 0 :: v_dual_lshrrev_b32 v1, 3, v0
	s_sub_nc_u64 s[8:9], s[48:49], s[8:9]
	s_mul_u64 s[36:37], s[46:47], s[36:37]
	s_mul_u64 s[24:25], s[56:57], s[24:25]
	;; [unrolled: 1-line block ×5, first 2 shown]
	s_sub_nc_u64 s[24:25], s[58:59], s[24:25]
	s_lshl_b64 s[36:37], s[36:37], 1
	s_sub_nc_u64 s[20:21], s[52:53], s[20:21]
	s_mul_u64 s[40:41], s[54:55], s[40:41]
	s_mul_u64 s[22:23], s[52:53], s[22:23]
	s_sub_nc_u64 s[10:11], s[44:45], s[10:11]
	s_mul_u64 s[24:25], s[24:25], s[30:31]
	s_wait_kmcnt 0x0
	s_add_nc_u64 s[30:31], s[50:51], s[36:37]
	s_lshl_b64 s[8:9], s[8:9], 1
	ds_load_b96 v[2:4], v7 offset:1056
	s_mul_u64 s[20:21], s[20:21], s[42:43]
	s_sub_nc_u64 s[22:23], s[44:45], s[22:23]
	s_mul_u64 s[10:11], s[10:11], s[60:61]
	s_add_nc_u64 s[8:9], s[30:31], s[8:9]
	s_lshl_b64 s[30:31], s[40:41], 1
	s_mul_u64 s[22:23], s[22:23], s[62:63]
	s_mul_u64 s[28:29], s[56:57], s[28:29]
	s_lshl_b64 s[10:11], s[10:11], 1
	s_add_nc_u64 s[18:19], s[18:19], s[30:31]
	s_lshl_b64 s[20:21], s[20:21], 1
	s_add_nc_u64 s[8:9], s[8:9], s[10:11]
	s_add_nc_u64 s[10:11], s[18:19], s[20:21]
	s_lshl_b64 s[18:19], s[28:29], 3
	s_lshl_b64 s[20:21], s[22:23], 1
	s_load_b32 s22, s[0:1], 0x1b0
	s_add_nc_u64 s[14:15], s[14:15], s[18:19]
	s_lshl_b64 s[18:19], s[24:25], 3
	v_dual_add_nc_u32 v11, -1, v0 :: v_dual_bitop2_b32 v1, 28, v1 bitop3:0x40
	s_add_nc_u64 s[18:19], s[14:15], s[18:19]
	s_load_b64 s[14:15], s[0:1], 0x508
	v_bfe_i32 v6, v5, 0, 16
	s_delay_alu instid0(VALU_DEP_2) | instskip(SKIP_2) | instid1(VALU_DEP_3)
	v_dual_lshrrev_b32 v10, 3, v11 :: v_dual_lshlrev_b32 v12, 5, v0
	s_mul_u64 s[26:27], s[58:59], s[26:27]
	v_lshl_add_u32 v9, v0, 2, v1
	v_add_nc_u32_e32 v8, 0x8000, v6
	v_mad_u32 v6, s72, s33, v0
	v_and_b32_e32 v1, 0xfc, v0
	s_wait_dscnt 0x0
	v_add_nc_u32_e32 v2, v2, v3
	v_and_b32_e32 v3, 0x1ffffffc, v10
	v_mbcnt_lo_u32_b32 v10, -1, 0
	s_sub_nc_u64 s[26:27], s[44:45], s[26:27]
	s_add_nc_u64 s[10:11], s[10:11], s[20:21]
	s_mul_u64 s[26:27], s[26:27], s[64:65]
	s_wait_xcnt 0x0
	v_cmp_gt_u32_e64 s0, 32, v0
	s_lshl_b64 s[20:21], s[26:27], 3
	v_lshl_add_u32 v11, v11, 2, v3
	v_dual_add_nc_u32 v12, v1, v12 :: v_dual_bitop2_b32 v13, 15, v10 bitop3:0x40
	v_add_nc_u32_e32 v15, -1, v10
	v_bfe_i32 v14, v10, 4, 1
	s_wait_kmcnt 0x0
	s_bitcmp1_b32 s22, 0
	s_add_nc_u64 s[18:19], s[18:19], s[20:21]
	s_cselect_b32 s1, -1, 0
                                        ; implicit-def: $vgpr16
	s_branch .LBB173_35
.LBB173_33:                             ;   in Loop: Header=BB173_35 Depth=1
	s_wait_xcnt 0x0
	s_or_b32 exec_lo, exec_lo, s20
	v_add_nc_u32_e32 v2, v3, v2
.LBB173_34:                             ;   in Loop: Header=BB173_35 Depth=1
	v_add_nc_u32_e32 v4, v17, v4
	v_add_nc_u32_e32 v6, 0x100, v6
	s_add_co_i32 s34, s34, -1
	s_delay_alu instid0(SALU_CYCLE_1)
	s_cmp_lg_u32 s34, 0
	s_cbranch_scc0 .LBB173_54
.LBB173_35:                             ; =>This Inner Loop Header: Depth=1
	v_dual_mov_b32 v1, v7 :: v_dual_mov_b32 v0, v7
	s_mov_b32 s20, exec_lo
	v_cmpx_gt_u64_e64 s[4:5], v[6:7]
	s_cbranch_execz .LBB173_37
; %bb.36:                               ;   in Loop: Header=BB173_35 Depth=1
	v_mul_u64_e32 v[0:1], s[16:17], v[6:7]
	s_delay_alu instid0(VALU_DEP_1) | instskip(SKIP_4) | instid1(VALU_DEP_1)
	v_lshl_add_u64 v[0:1], v[0:1], 1, s[8:9]
	global_load_u16 v16, v[0:1], off
	s_wait_loadcnt 0x0
	s_wait_xcnt 0x0
	v_bfe_i32 v0, v16, 0, 16
	v_add_nc_u32_e32 v0, 0x8000, v0
	s_delay_alu instid0(VALU_DEP_1) | instskip(SKIP_4) | instid1(VALU_DEP_2)
	v_cmp_gt_u32_e32 vcc_lo, v0, v8
	v_cndmask_b32_e64 v1, 0, 1, vcc_lo
	v_cmp_lt_u32_e32 vcc_lo, v0, v8
	v_cndmask_b32_e64 v0, 0, 1, vcc_lo
	v_cmp_eq_u16_e32 vcc_lo, v16, v5
	v_cndmask_b32_e64 v0, v0, v1, s1
	s_delay_alu instid0(VALU_DEP_1)
	v_and_b32_e32 v1, 1, v0
	v_cndmask_b32_e64 v0, 0, 1, vcc_lo
.LBB173_37:                             ;   in Loop: Header=BB173_35 Depth=1
	s_or_b32 exec_lo, exec_lo, s20
	ds_store_b32 v9, v1
	s_wait_dscnt 0x0
	s_barrier_signal -1
	s_barrier_wait -1
	s_and_saveexec_b32 s20, s0
	s_cbranch_execz .LBB173_39
; %bb.38:                               ;   in Loop: Header=BB173_35 Depth=1
	ds_load_2addr_b32 v[18:19], v12 offset1:1
	ds_load_2addr_b32 v[20:21], v12 offset0:2 offset1:3
	ds_load_2addr_b32 v[22:23], v12 offset0:4 offset1:5
	;; [unrolled: 1-line block ×3, first 2 shown]
	v_cmp_ne_u32_e32 vcc_lo, 0, v13
	; wave barrier
	s_wait_dscnt 0x3
	v_add_nc_u32_e32 v3, v19, v18
	s_wait_dscnt 0x2
	s_delay_alu instid0(VALU_DEP_1) | instskip(SKIP_1) | instid1(VALU_DEP_1)
	v_add3_u32 v3, v3, v20, v21
	s_wait_dscnt 0x1
	v_add3_u32 v3, v3, v22, v23
	s_wait_dscnt 0x0
	s_delay_alu instid0(VALU_DEP_1) | instskip(NEXT) | instid1(VALU_DEP_1)
	v_add3_u32 v3, v3, v24, v25
	v_mov_b32_dpp v17, v3 row_shr:1 row_mask:0xf bank_mask:0xf
	s_delay_alu instid0(VALU_DEP_1) | instskip(SKIP_1) | instid1(VALU_DEP_2)
	v_cndmask_b32_e32 v17, 0, v17, vcc_lo
	v_cmp_lt_u32_e32 vcc_lo, 1, v13
	v_add_nc_u32_e32 v3, v17, v3
	s_delay_alu instid0(VALU_DEP_1) | instskip(NEXT) | instid1(VALU_DEP_1)
	v_mov_b32_dpp v17, v3 row_shr:2 row_mask:0xf bank_mask:0xf
	v_cndmask_b32_e32 v17, 0, v17, vcc_lo
	v_cmp_lt_u32_e32 vcc_lo, 3, v13
	s_delay_alu instid0(VALU_DEP_2) | instskip(NEXT) | instid1(VALU_DEP_1)
	v_add_nc_u32_e32 v3, v3, v17
	v_mov_b32_dpp v17, v3 row_shr:4 row_mask:0xf bank_mask:0xf
	s_delay_alu instid0(VALU_DEP_1) | instskip(SKIP_1) | instid1(VALU_DEP_2)
	v_cndmask_b32_e32 v17, 0, v17, vcc_lo
	v_cmp_lt_u32_e32 vcc_lo, 7, v13
	v_add_nc_u32_e32 v3, v3, v17
	s_delay_alu instid0(VALU_DEP_1) | instskip(NEXT) | instid1(VALU_DEP_1)
	v_mov_b32_dpp v17, v3 row_shr:8 row_mask:0xf bank_mask:0xf
	v_cndmask_b32_e32 v17, 0, v17, vcc_lo
	v_cmp_gt_i32_e32 vcc_lo, 0, v15
	s_delay_alu instid0(VALU_DEP_2) | instskip(SKIP_4) | instid1(VALU_DEP_1)
	v_add_nc_u32_e32 v3, v3, v17
	v_cndmask_b32_e32 v19, v15, v10, vcc_lo
	ds_swizzle_b32 v17, v3 offset:swizzle(BROADCAST,32,15)
	s_wait_dscnt 0x0
	v_dual_lshlrev_b32 v19, 2, v19 :: v_dual_bitop2_b32 v17, v14, v17 bitop3:0x40
	v_add_nc_u32_e32 v3, v3, v17
	ds_bpermute_b32 v3, v19, v3
	s_wait_dscnt 0x0
	v_add_nc_u32_e32 v3, v3, v18
	s_delay_alu instid0(VALU_DEP_1)
	v_cndmask_b32_e64 v3, v3, v1, s3
	ds_store_b32 v12, v3
	; wave barrier
	ds_load_2addr_b32 v[18:19], v12 offset0:1 offset1:2
	ds_load_2addr_b32 v[20:21], v12 offset0:3 offset1:4
	;; [unrolled: 1-line block ×3, first 2 shown]
	ds_load_b32 v17, v12 offset:28
	s_wait_dscnt 0x3
	v_add_nc_u32_e32 v3, v18, v3
	s_delay_alu instid0(VALU_DEP_1) | instskip(SKIP_1) | instid1(VALU_DEP_1)
	v_add_nc_u32_e32 v18, v19, v3
	s_wait_dscnt 0x2
	v_add_nc_u32_e32 v19, v20, v18
	s_delay_alu instid0(VALU_DEP_1) | instskip(SKIP_1) | instid1(VALU_DEP_1)
	v_add_nc_u32_e32 v20, v21, v19
	;; [unrolled: 4-line block ×3, first 2 shown]
	s_wait_dscnt 0x0
	v_add_nc_u32_e32 v17, v17, v22
	ds_store_2addr_b32 v12, v3, v18 offset0:1 offset1:2
	ds_store_2addr_b32 v12, v19, v20 offset0:3 offset1:4
	;; [unrolled: 1-line block ×3, first 2 shown]
	ds_store_b32 v12, v17 offset:28
.LBB173_39:                             ;   in Loop: Header=BB173_35 Depth=1
	s_or_b32 exec_lo, exec_lo, s20
	v_mov_b32_e32 v3, 0
	s_wait_dscnt 0x0
	s_barrier_signal -1
	s_barrier_wait -1
	s_and_saveexec_b32 s20, s2
; %bb.40:                               ;   in Loop: Header=BB173_35 Depth=1
	ds_load_b32 v3, v11
; %bb.41:                               ;   in Loop: Header=BB173_35 Depth=1
	s_or_b32 exec_lo, exec_lo, s20
	ds_load_b32 v17, v7 offset:1048
	s_mov_b32 s20, exec_lo
	s_wait_dscnt 0x0
	s_barrier_signal -1
	s_barrier_wait -1
	v_cmpx_ne_u32_e32 0, v1
	s_cbranch_execz .LBB173_43
; %bb.42:                               ;   in Loop: Header=BB173_35 Depth=1
	v_add_nc_u32_e32 v18, v3, v4
	v_mov_b32_e32 v19, v7
	s_delay_alu instid0(VALU_DEP_1) | instskip(SKIP_1) | instid1(VALU_DEP_2)
	v_mul_u64_e32 v[20:21], s[12:13], v[18:19]
	v_mul_u64_e32 v[18:19], s[14:15], v[18:19]
	v_lshl_add_u64 v[20:21], v[20:21], 1, s[10:11]
	s_delay_alu instid0(VALU_DEP_2)
	v_lshl_add_u64 v[18:19], v[18:19], 3, s[18:19]
	global_store_b16 v[20:21], v16, off
	global_store_b64 v[18:19], v[6:7], off
.LBB173_43:                             ;   in Loop: Header=BB173_35 Depth=1
	s_wait_xcnt 0x0
	s_or_b32 exec_lo, exec_lo, s20
	v_mov_b32_e32 v3, v7
	s_delay_alu instid0(VALU_DEP_1)
	v_cmp_le_u64_e32 vcc_lo, s[6:7], v[2:3]
	s_cbranch_vccnz .LBB173_34
; %bb.44:                               ;   in Loop: Header=BB173_35 Depth=1
	ds_store_b32 v9, v0
	s_wait_storecnt_dscnt 0x0
	s_barrier_signal -1
	s_barrier_wait -1
	s_and_saveexec_b32 s20, s0
	s_cbranch_execz .LBB173_46
; %bb.45:                               ;   in Loop: Header=BB173_35 Depth=1
	ds_load_2addr_b32 v[18:19], v12 offset1:1
	ds_load_2addr_b32 v[20:21], v12 offset0:2 offset1:3
	ds_load_2addr_b32 v[22:23], v12 offset0:4 offset1:5
	;; [unrolled: 1-line block ×3, first 2 shown]
	v_cmp_ne_u32_e32 vcc_lo, 0, v13
	; wave barrier
	s_wait_dscnt 0x3
	v_add_nc_u32_e32 v1, v19, v18
	s_wait_dscnt 0x2
	s_delay_alu instid0(VALU_DEP_1) | instskip(SKIP_1) | instid1(VALU_DEP_1)
	v_add3_u32 v1, v1, v20, v21
	s_wait_dscnt 0x1
	v_add3_u32 v1, v1, v22, v23
	s_wait_dscnt 0x0
	s_delay_alu instid0(VALU_DEP_1) | instskip(NEXT) | instid1(VALU_DEP_1)
	v_add3_u32 v1, v1, v24, v25
	v_mov_b32_dpp v3, v1 row_shr:1 row_mask:0xf bank_mask:0xf
	s_delay_alu instid0(VALU_DEP_1) | instskip(SKIP_1) | instid1(VALU_DEP_2)
	v_cndmask_b32_e32 v3, 0, v3, vcc_lo
	v_cmp_lt_u32_e32 vcc_lo, 1, v13
	v_add_nc_u32_e32 v1, v3, v1
	s_delay_alu instid0(VALU_DEP_1) | instskip(NEXT) | instid1(VALU_DEP_1)
	v_mov_b32_dpp v3, v1 row_shr:2 row_mask:0xf bank_mask:0xf
	v_cndmask_b32_e32 v3, 0, v3, vcc_lo
	v_cmp_lt_u32_e32 vcc_lo, 3, v13
	s_delay_alu instid0(VALU_DEP_2) | instskip(NEXT) | instid1(VALU_DEP_1)
	v_add_nc_u32_e32 v1, v1, v3
	v_mov_b32_dpp v3, v1 row_shr:4 row_mask:0xf bank_mask:0xf
	s_delay_alu instid0(VALU_DEP_1) | instskip(SKIP_1) | instid1(VALU_DEP_2)
	v_cndmask_b32_e32 v3, 0, v3, vcc_lo
	v_cmp_lt_u32_e32 vcc_lo, 7, v13
	v_add_nc_u32_e32 v1, v1, v3
	s_delay_alu instid0(VALU_DEP_1) | instskip(NEXT) | instid1(VALU_DEP_1)
	v_mov_b32_dpp v3, v1 row_shr:8 row_mask:0xf bank_mask:0xf
	v_cndmask_b32_e32 v3, 0, v3, vcc_lo
	v_cmp_gt_i32_e32 vcc_lo, 0, v15
	s_delay_alu instid0(VALU_DEP_2) | instskip(SKIP_4) | instid1(VALU_DEP_1)
	v_dual_add_nc_u32 v1, v1, v3 :: v_dual_cndmask_b32 v19, v15, v10, vcc_lo
	ds_swizzle_b32 v3, v1 offset:swizzle(BROADCAST,32,15)
	v_lshlrev_b32_e32 v19, 2, v19
	s_wait_dscnt 0x0
	v_and_b32_e32 v3, v14, v3
	v_add_nc_u32_e32 v1, v1, v3
	ds_bpermute_b32 v1, v19, v1
	s_wait_dscnt 0x0
	v_add_nc_u32_e32 v1, v1, v18
	s_delay_alu instid0(VALU_DEP_1)
	v_cndmask_b32_e64 v1, v1, v0, s3
	ds_store_b32 v12, v1
	; wave barrier
	ds_load_2addr_b32 v[18:19], v12 offset0:1 offset1:2
	ds_load_2addr_b32 v[20:21], v12 offset0:3 offset1:4
	;; [unrolled: 1-line block ×3, first 2 shown]
	ds_load_b32 v3, v12 offset:28
	s_wait_dscnt 0x3
	v_add_nc_u32_e32 v1, v18, v1
	s_delay_alu instid0(VALU_DEP_1) | instskip(SKIP_1) | instid1(VALU_DEP_1)
	v_add_nc_u32_e32 v18, v19, v1
	s_wait_dscnt 0x2
	v_add_nc_u32_e32 v19, v20, v18
	s_delay_alu instid0(VALU_DEP_1) | instskip(SKIP_1) | instid1(VALU_DEP_1)
	v_add_nc_u32_e32 v20, v21, v19
	s_wait_dscnt 0x1
	v_add_nc_u32_e32 v21, v22, v20
	s_delay_alu instid0(VALU_DEP_1) | instskip(SKIP_1) | instid1(VALU_DEP_1)
	v_add_nc_u32_e32 v22, v23, v21
	s_wait_dscnt 0x0
	v_add_nc_u32_e32 v3, v3, v22
	ds_store_2addr_b32 v12, v1, v18 offset0:1 offset1:2
	ds_store_2addr_b32 v12, v19, v20 offset0:3 offset1:4
	;; [unrolled: 1-line block ×3, first 2 shown]
	ds_store_b32 v12, v3 offset:28
.LBB173_46:                             ;   in Loop: Header=BB173_35 Depth=1
	s_or_b32 exec_lo, exec_lo, s20
	v_mov_b32_e32 v1, 0
	s_wait_dscnt 0x0
	s_barrier_signal -1
	s_barrier_wait -1
	s_and_saveexec_b32 s20, s2
; %bb.47:                               ;   in Loop: Header=BB173_35 Depth=1
	ds_load_b32 v1, v11
; %bb.48:                               ;   in Loop: Header=BB173_35 Depth=1
	s_or_b32 exec_lo, exec_lo, s20
	ds_load_b32 v3, v7 offset:1048
	s_mov_b32 s20, exec_lo
	s_wait_dscnt 0x0
	s_barrier_signal -1
	s_barrier_wait -1
	v_cmpx_ne_u32_e32 0, v0
	s_cbranch_execz .LBB173_33
; %bb.49:                               ;   in Loop: Header=BB173_35 Depth=1
	v_dual_mov_b32 v1, v7 :: v_dual_add_nc_u32 v0, v1, v2
	s_delay_alu instid0(VALU_DEP_1)
	v_cmp_gt_u64_e32 vcc_lo, s[6:7], v[0:1]
	s_and_b32 exec_lo, exec_lo, vcc_lo
	s_cbranch_execz .LBB173_33
; %bb.50:                               ;   in Loop: Header=BB173_35 Depth=1
	v_mul_u64_e32 v[18:19], s[12:13], v[0:1]
	v_mul_u64_e32 v[0:1], s[14:15], v[0:1]
	s_delay_alu instid0(VALU_DEP_2) | instskip(NEXT) | instid1(VALU_DEP_2)
	v_lshl_add_u64 v[18:19], v[18:19], 1, s[10:11]
	v_lshl_add_u64 v[0:1], v[0:1], 3, s[18:19]
	global_store_b16 v[18:19], v16, off
	global_store_b64 v[0:1], v[6:7], off
	s_branch .LBB173_33
.LBB173_51:                             ;   in Loop: Header=BB173_52 Depth=1
	s_add_co_i32 s18, s18, 1
	s_wait_kmcnt 0x0
	s_add_co_i32 s51, s19, s51
	s_add_nc_u64 s[14:15], s[14:15], 4
	s_cmp_lt_u32 s18, s35
	s_add_nc_u64 s[16:17], s[16:17], 4
	s_cbranch_scc0 .LBB173_30
.LBB173_52:                             ; =>This Inner Loop Header: Depth=1
	s_load_b32 s19, s[14:15], 0x0
	s_cmp_ge_u32 s18, s72
	s_cbranch_scc1 .LBB173_51
; %bb.53:                               ;   in Loop: Header=BB173_52 Depth=1
	s_load_b32 s50, s[16:17], 0x0
	s_wait_kmcnt 0x0
	s_add_co_i32 s13, s19, s13
	s_add_co_i32 s12, s50, s12
	s_branch .LBB173_51
.LBB173_54:
	s_endpgm
	.section	.rodata,"a",@progbits
	.p2align	6, 0x0
	.amdhsa_kernel _ZN2at6native6mbtopk10gatherTopKIsmLi3EEEvNS_4cuda6detail10TensorInfoIKT_T0_EES8_S8_bjS8_NS5_IS6_S8_EES8_NS5_IlS8_EES8_jjPS6_PjSD_j
		.amdhsa_group_segment_fixed_size 1068
		.amdhsa_private_segment_fixed_size 0
		.amdhsa_kernarg_size 1592
		.amdhsa_user_sgpr_count 2
		.amdhsa_user_sgpr_dispatch_ptr 0
		.amdhsa_user_sgpr_queue_ptr 0
		.amdhsa_user_sgpr_kernarg_segment_ptr 1
		.amdhsa_user_sgpr_dispatch_id 0
		.amdhsa_user_sgpr_kernarg_preload_length 0
		.amdhsa_user_sgpr_kernarg_preload_offset 0
		.amdhsa_user_sgpr_private_segment_size 0
		.amdhsa_wavefront_size32 1
		.amdhsa_uses_dynamic_stack 0
		.amdhsa_enable_private_segment 0
		.amdhsa_system_sgpr_workgroup_id_x 1
		.amdhsa_system_sgpr_workgroup_id_y 1
		.amdhsa_system_sgpr_workgroup_id_z 1
		.amdhsa_system_sgpr_workgroup_info 0
		.amdhsa_system_vgpr_workitem_id 0
		.amdhsa_next_free_vgpr 26
		.amdhsa_next_free_sgpr 76
		.amdhsa_named_barrier_count 0
		.amdhsa_reserve_vcc 1
		.amdhsa_float_round_mode_32 0
		.amdhsa_float_round_mode_16_64 0
		.amdhsa_float_denorm_mode_32 3
		.amdhsa_float_denorm_mode_16_64 3
		.amdhsa_fp16_overflow 0
		.amdhsa_memory_ordered 1
		.amdhsa_forward_progress 1
		.amdhsa_inst_pref_size 28
		.amdhsa_round_robin_scheduling 0
		.amdhsa_exception_fp_ieee_invalid_op 0
		.amdhsa_exception_fp_denorm_src 0
		.amdhsa_exception_fp_ieee_div_zero 0
		.amdhsa_exception_fp_ieee_overflow 0
		.amdhsa_exception_fp_ieee_underflow 0
		.amdhsa_exception_fp_ieee_inexact 0
		.amdhsa_exception_int_div_zero 0
	.end_amdhsa_kernel
	.section	.text._ZN2at6native6mbtopk10gatherTopKIsmLi3EEEvNS_4cuda6detail10TensorInfoIKT_T0_EES8_S8_bjS8_NS5_IS6_S8_EES8_NS5_IlS8_EES8_jjPS6_PjSD_j,"axG",@progbits,_ZN2at6native6mbtopk10gatherTopKIsmLi3EEEvNS_4cuda6detail10TensorInfoIKT_T0_EES8_S8_bjS8_NS5_IS6_S8_EES8_NS5_IlS8_EES8_jjPS6_PjSD_j,comdat
.Lfunc_end173:
	.size	_ZN2at6native6mbtopk10gatherTopKIsmLi3EEEvNS_4cuda6detail10TensorInfoIKT_T0_EES8_S8_bjS8_NS5_IS6_S8_EES8_NS5_IlS8_EES8_jjPS6_PjSD_j, .Lfunc_end173-_ZN2at6native6mbtopk10gatherTopKIsmLi3EEEvNS_4cuda6detail10TensorInfoIKT_T0_EES8_S8_bjS8_NS5_IS6_S8_EES8_NS5_IlS8_EES8_jjPS6_PjSD_j
                                        ; -- End function
	.set _ZN2at6native6mbtopk10gatherTopKIsmLi3EEEvNS_4cuda6detail10TensorInfoIKT_T0_EES8_S8_bjS8_NS5_IS6_S8_EES8_NS5_IlS8_EES8_jjPS6_PjSD_j.num_vgpr, 26
	.set _ZN2at6native6mbtopk10gatherTopKIsmLi3EEEvNS_4cuda6detail10TensorInfoIKT_T0_EES8_S8_bjS8_NS5_IS6_S8_EES8_NS5_IlS8_EES8_jjPS6_PjSD_j.num_agpr, 0
	.set _ZN2at6native6mbtopk10gatherTopKIsmLi3EEEvNS_4cuda6detail10TensorInfoIKT_T0_EES8_S8_bjS8_NS5_IS6_S8_EES8_NS5_IlS8_EES8_jjPS6_PjSD_j.numbered_sgpr, 76
	.set _ZN2at6native6mbtopk10gatherTopKIsmLi3EEEvNS_4cuda6detail10TensorInfoIKT_T0_EES8_S8_bjS8_NS5_IS6_S8_EES8_NS5_IlS8_EES8_jjPS6_PjSD_j.num_named_barrier, 0
	.set _ZN2at6native6mbtopk10gatherTopKIsmLi3EEEvNS_4cuda6detail10TensorInfoIKT_T0_EES8_S8_bjS8_NS5_IS6_S8_EES8_NS5_IlS8_EES8_jjPS6_PjSD_j.private_seg_size, 0
	.set _ZN2at6native6mbtopk10gatherTopKIsmLi3EEEvNS_4cuda6detail10TensorInfoIKT_T0_EES8_S8_bjS8_NS5_IS6_S8_EES8_NS5_IlS8_EES8_jjPS6_PjSD_j.uses_vcc, 1
	.set _ZN2at6native6mbtopk10gatherTopKIsmLi3EEEvNS_4cuda6detail10TensorInfoIKT_T0_EES8_S8_bjS8_NS5_IS6_S8_EES8_NS5_IlS8_EES8_jjPS6_PjSD_j.uses_flat_scratch, 0
	.set _ZN2at6native6mbtopk10gatherTopKIsmLi3EEEvNS_4cuda6detail10TensorInfoIKT_T0_EES8_S8_bjS8_NS5_IS6_S8_EES8_NS5_IlS8_EES8_jjPS6_PjSD_j.has_dyn_sized_stack, 0
	.set _ZN2at6native6mbtopk10gatherTopKIsmLi3EEEvNS_4cuda6detail10TensorInfoIKT_T0_EES8_S8_bjS8_NS5_IS6_S8_EES8_NS5_IlS8_EES8_jjPS6_PjSD_j.has_recursion, 0
	.set _ZN2at6native6mbtopk10gatherTopKIsmLi3EEEvNS_4cuda6detail10TensorInfoIKT_T0_EES8_S8_bjS8_NS5_IS6_S8_EES8_NS5_IlS8_EES8_jjPS6_PjSD_j.has_indirect_call, 0
	.section	.AMDGPU.csdata,"",@progbits
; Kernel info:
; codeLenInByte = 3468
; TotalNumSgprs: 78
; NumVgprs: 26
; ScratchSize: 0
; MemoryBound: 0
; FloatMode: 240
; IeeeMode: 1
; LDSByteSize: 1068 bytes/workgroup (compile time only)
; SGPRBlocks: 0
; VGPRBlocks: 1
; NumSGPRsForWavesPerEU: 78
; NumVGPRsForWavesPerEU: 26
; NamedBarCnt: 0
; Occupancy: 16
; WaveLimiterHint : 1
; COMPUTE_PGM_RSRC2:SCRATCH_EN: 0
; COMPUTE_PGM_RSRC2:USER_SGPR: 2
; COMPUTE_PGM_RSRC2:TRAP_HANDLER: 0
; COMPUTE_PGM_RSRC2:TGID_X_EN: 1
; COMPUTE_PGM_RSRC2:TGID_Y_EN: 1
; COMPUTE_PGM_RSRC2:TGID_Z_EN: 1
; COMPUTE_PGM_RSRC2:TIDIG_COMP_CNT: 0
	.section	.text._ZN2at6native6sbtopk10gatherTopKIsmLi3ELb0EEEvNS_4cuda6detail10TensorInfoIKT_T0_EES8_S8_bS8_S8_NS5_IS6_S8_EES8_NS5_IlS8_EES8_PS6_,"axG",@progbits,_ZN2at6native6sbtopk10gatherTopKIsmLi3ELb0EEEvNS_4cuda6detail10TensorInfoIKT_T0_EES8_S8_bS8_S8_NS5_IS6_S8_EES8_NS5_IlS8_EES8_PS6_,comdat
	.protected	_ZN2at6native6sbtopk10gatherTopKIsmLi3ELb0EEEvNS_4cuda6detail10TensorInfoIKT_T0_EES8_S8_bS8_S8_NS5_IS6_S8_EES8_NS5_IlS8_EES8_PS6_ ; -- Begin function _ZN2at6native6sbtopk10gatherTopKIsmLi3ELb0EEEvNS_4cuda6detail10TensorInfoIKT_T0_EES8_S8_bS8_S8_NS5_IS6_S8_EES8_NS5_IlS8_EES8_PS6_
	.globl	_ZN2at6native6sbtopk10gatherTopKIsmLi3ELb0EEEvNS_4cuda6detail10TensorInfoIKT_T0_EES8_S8_bS8_S8_NS5_IS6_S8_EES8_NS5_IlS8_EES8_PS6_
	.p2align	8
	.type	_ZN2at6native6sbtopk10gatherTopKIsmLi3ELb0EEEvNS_4cuda6detail10TensorInfoIKT_T0_EES8_S8_bS8_S8_NS5_IS6_S8_EES8_NS5_IlS8_EES8_PS6_,@function
_ZN2at6native6sbtopk10gatherTopKIsmLi3ELb0EEEvNS_4cuda6detail10TensorInfoIKT_T0_EES8_S8_bS8_S8_NS5_IS6_S8_EES8_NS5_IlS8_EES8_PS6_: ; @_ZN2at6native6sbtopk10gatherTopKIsmLi3ELb0EEEvNS_4cuda6detail10TensorInfoIKT_T0_EES8_S8_bS8_S8_NS5_IS6_S8_EES8_NS5_IlS8_EES8_PS6_
; %bb.0:
	s_clause 0x1
	s_load_b128 s[28:31], s[0:1], 0x1b8
	s_load_b64 s[16:17], s[0:1], 0x520
	s_bfe_u32 s2, ttmp6, 0x40010
	s_and_b32 s3, ttmp7, 0xffff
	s_add_co_i32 s2, s2, 1
	s_bfe_u32 s5, ttmp6, 0x4000c
	s_mul_i32 s2, s3, s2
	s_bfe_u32 s4, ttmp6, 0x40004
	s_add_co_i32 s5, s5, 1
	s_bfe_u32 s6, ttmp6, 0x40014
	s_add_co_i32 s4, s4, s2
	s_and_b32 s2, ttmp6, 15
	s_mul_i32 s5, ttmp9, s5
	s_lshr_b32 s7, ttmp7, 16
	s_add_co_i32 s6, s6, 1
	s_add_co_i32 s2, s2, s5
	s_mul_i32 s5, s7, s6
	s_bfe_u32 s6, ttmp6, 0x40008
	s_getreg_b32 s8, hwreg(HW_REG_IB_STS2, 6, 4)
	s_add_co_i32 s6, s6, s5
	s_cmp_eq_u32 s8, 0
	s_mov_b32 s59, 0
	s_cselect_b32 s5, s7, s6
	s_cselect_b32 s3, s3, s4
	s_wait_kmcnt 0x0
	s_mul_i32 s5, s17, s5
	s_cselect_b32 s17, ttmp9, s2
	s_add_co_i32 s2, s5, s3
	s_delay_alu instid0(SALU_CYCLE_1) | instskip(NEXT) | instid1(SALU_CYCLE_1)
	s_mul_i32 s2, s2, s16
	s_add_co_i32 s58, s2, s17
	s_delay_alu instid0(SALU_CYCLE_1)
	v_cmp_le_u64_e64 s2, s[28:29], s[58:59]
	s_and_b32 vcc_lo, exec_lo, s2
	s_cbranch_vccnz .LBB174_484
; %bb.1:
	s_load_b128 s[8:11], s[0:1], 0x10
	s_mov_b64 s[6:7], 0
	s_wait_kmcnt 0x0
	v_cmp_lt_u64_e64 s2, s[58:59], s[10:11]
	s_and_b32 vcc_lo, exec_lo, s2
	s_mov_b64 s[2:3], 0
	s_cbranch_vccnz .LBB174_3
; %bb.2:
	v_cvt_f32_u32_e32 v1, s10
	s_sub_co_i32 s3, 0, s10
	s_delay_alu instid0(VALU_DEP_1) | instskip(SKIP_1) | instid1(TRANS32_DEP_1)
	v_rcp_iflag_f32_e32 v1, v1
	v_nop
	v_mul_f32_e32 v1, 0x4f7ffffe, v1
	s_delay_alu instid0(VALU_DEP_1) | instskip(NEXT) | instid1(VALU_DEP_1)
	v_cvt_u32_f32_e32 v1, v1
	v_readfirstlane_b32 s2, v1
	s_mul_i32 s3, s3, s2
	s_delay_alu instid0(SALU_CYCLE_1) | instskip(NEXT) | instid1(SALU_CYCLE_1)
	s_mul_hi_u32 s3, s2, s3
	s_add_co_i32 s2, s2, s3
	s_delay_alu instid0(SALU_CYCLE_1) | instskip(NEXT) | instid1(SALU_CYCLE_1)
	s_mul_hi_u32 s2, s58, s2
	s_mul_i32 s3, s2, s10
	s_add_co_i32 s4, s2, 1
	s_sub_co_i32 s3, s58, s3
	s_delay_alu instid0(SALU_CYCLE_1)
	s_sub_co_i32 s5, s3, s10
	s_cmp_ge_u32 s3, s10
	s_cselect_b32 s2, s4, s2
	s_cselect_b32 s3, s5, s3
	s_add_co_i32 s4, s2, 1
	s_cmp_ge_u32 s3, s10
	s_mov_b32 s3, 0
	s_cselect_b32 s2, s4, s2
.LBB174_3:
	s_load_b128 s[20:23], s[0:1], 0x1d8
	v_cmp_lt_u64_e64 s4, s[2:3], s[8:9]
	s_and_b32 vcc_lo, exec_lo, s4
	s_cbranch_vccnz .LBB174_5
; %bb.4:
	v_cvt_f32_u32_e32 v1, s8
	s_sub_co_i32 s5, 0, s8
	s_delay_alu instid0(VALU_DEP_1) | instskip(SKIP_1) | instid1(TRANS32_DEP_1)
	v_rcp_iflag_f32_e32 v1, v1
	v_nop
	v_mul_f32_e32 v1, 0x4f7ffffe, v1
	s_delay_alu instid0(VALU_DEP_1) | instskip(NEXT) | instid1(VALU_DEP_1)
	v_cvt_u32_f32_e32 v1, v1
	v_readfirstlane_b32 s4, v1
	s_mul_i32 s5, s5, s4
	s_delay_alu instid0(SALU_CYCLE_1) | instskip(NEXT) | instid1(SALU_CYCLE_1)
	s_mul_hi_u32 s5, s4, s5
	s_add_co_i32 s4, s4, s5
	s_delay_alu instid0(SALU_CYCLE_1) | instskip(NEXT) | instid1(SALU_CYCLE_1)
	s_mul_hi_u32 s4, s2, s4
	s_mul_i32 s5, s4, s8
	s_add_co_i32 s6, s4, 1
	s_sub_co_i32 s5, s2, s5
	s_delay_alu instid0(SALU_CYCLE_1)
	s_sub_co_i32 s7, s5, s8
	s_cmp_ge_u32 s5, s8
	s_cselect_b32 s4, s6, s4
	s_cselect_b32 s5, s7, s5
	s_add_co_i32 s6, s4, 1
	s_cmp_ge_u32 s5, s8
	s_mov_b32 s7, 0
	s_cselect_b32 s6, s6, s4
.LBB174_5:
	s_wait_kmcnt 0x0
	v_cmp_lt_u64_e64 s4, s[58:59], s[22:23]
	s_mov_b64 s[14:15], 0
	s_mov_b64 s[60:61], 0
	s_and_b32 vcc_lo, exec_lo, s4
	s_cbranch_vccnz .LBB174_7
; %bb.6:
	v_cvt_f32_u32_e32 v1, s22
	s_sub_co_i32 s5, 0, s22
	s_mov_b32 s61, 0
	s_delay_alu instid0(VALU_DEP_1) | instskip(SKIP_1) | instid1(TRANS32_DEP_1)
	v_rcp_iflag_f32_e32 v1, v1
	v_nop
	v_mul_f32_e32 v1, 0x4f7ffffe, v1
	s_delay_alu instid0(VALU_DEP_1) | instskip(NEXT) | instid1(VALU_DEP_1)
	v_cvt_u32_f32_e32 v1, v1
	v_readfirstlane_b32 s4, v1
	s_mul_i32 s5, s5, s4
	s_delay_alu instid0(SALU_CYCLE_1) | instskip(NEXT) | instid1(SALU_CYCLE_1)
	s_mul_hi_u32 s5, s4, s5
	s_add_co_i32 s4, s4, s5
	s_delay_alu instid0(SALU_CYCLE_1) | instskip(NEXT) | instid1(SALU_CYCLE_1)
	s_mul_hi_u32 s4, s58, s4
	s_mul_i32 s5, s4, s22
	s_add_co_i32 s12, s4, 1
	s_sub_co_i32 s5, s58, s5
	s_delay_alu instid0(SALU_CYCLE_1)
	s_sub_co_i32 s13, s5, s22
	s_cmp_ge_u32 s5, s22
	s_cselect_b32 s4, s12, s4
	s_cselect_b32 s5, s13, s5
	s_add_co_i32 s12, s4, 1
	s_cmp_ge_u32 s5, s22
	s_cselect_b32 s60, s12, s4
.LBB174_7:
	s_load_b128 s[24:27], s[0:1], 0x380
	v_cmp_lt_u64_e64 s4, s[60:61], s[20:21]
	s_and_b32 vcc_lo, exec_lo, s4
	s_cbranch_vccnz .LBB174_9
; %bb.8:
	v_cvt_f32_u32_e32 v1, s20
	s_sub_co_i32 s5, 0, s20
	s_mov_b32 s15, 0
	s_delay_alu instid0(VALU_DEP_1) | instskip(SKIP_1) | instid1(TRANS32_DEP_1)
	v_rcp_iflag_f32_e32 v1, v1
	v_nop
	v_mul_f32_e32 v1, 0x4f7ffffe, v1
	s_delay_alu instid0(VALU_DEP_1) | instskip(NEXT) | instid1(VALU_DEP_1)
	v_cvt_u32_f32_e32 v1, v1
	v_readfirstlane_b32 s4, v1
	s_mul_i32 s5, s5, s4
	s_delay_alu instid0(SALU_CYCLE_1) | instskip(NEXT) | instid1(SALU_CYCLE_1)
	s_mul_hi_u32 s5, s4, s5
	s_add_co_i32 s4, s4, s5
	s_delay_alu instid0(SALU_CYCLE_1) | instskip(NEXT) | instid1(SALU_CYCLE_1)
	s_mul_hi_u32 s4, s60, s4
	s_mul_i32 s5, s4, s20
	s_add_co_i32 s12, s4, 1
	s_sub_co_i32 s5, s60, s5
	s_delay_alu instid0(SALU_CYCLE_1)
	s_sub_co_i32 s13, s5, s20
	s_cmp_ge_u32 s5, s20
	s_cselect_b32 s4, s12, s4
	s_cselect_b32 s5, s13, s5
	s_add_co_i32 s12, s4, 1
	s_cmp_ge_u32 s5, s20
	s_cselect_b32 s14, s12, s4
.LBB174_9:
                                        ; implicit-def: $vgpr46 : SGPR spill to VGPR lane
	s_wait_kmcnt 0x0
	v_cmp_lt_u64_e64 s4, s[58:59], s[26:27]
	v_writelane_b32 v46, s14, 0
	s_mov_b64 s[22:23], 0
	s_mov_b64 s[66:67], 0
	v_writelane_b32 v46, s15, 1
	s_clause 0x1
	s_load_b64 s[18:19], s[0:1], 0xe0
	s_load_b128 s[12:15], s[0:1], 0xd0
	s_and_b32 vcc_lo, exec_lo, s4
	s_cbranch_vccnz .LBB174_11
; %bb.10:
	v_cvt_f32_u32_e32 v1, s26
	s_sub_co_i32 s5, 0, s26
	s_mov_b32 s67, 0
	s_delay_alu instid0(VALU_DEP_1) | instskip(SKIP_1) | instid1(TRANS32_DEP_1)
	v_rcp_iflag_f32_e32 v1, v1
	v_nop
	v_mul_f32_e32 v1, 0x4f7ffffe, v1
	s_delay_alu instid0(VALU_DEP_1) | instskip(NEXT) | instid1(VALU_DEP_1)
	v_cvt_u32_f32_e32 v1, v1
	v_readfirstlane_b32 s4, v1
	s_mul_i32 s5, s5, s4
	s_delay_alu instid0(SALU_CYCLE_1) | instskip(NEXT) | instid1(SALU_CYCLE_1)
	s_mul_hi_u32 s5, s4, s5
	s_add_co_i32 s4, s4, s5
	s_delay_alu instid0(SALU_CYCLE_1) | instskip(NEXT) | instid1(SALU_CYCLE_1)
	s_mul_hi_u32 s4, s58, s4
	s_mul_i32 s5, s4, s26
	s_add_co_i32 s20, s4, 1
	s_sub_co_i32 s5, s58, s5
	s_delay_alu instid0(SALU_CYCLE_1)
	s_sub_co_i32 s21, s5, s26
	s_cmp_ge_u32 s5, s26
	s_cselect_b32 s4, s20, s4
	s_cselect_b32 s5, s21, s5
	s_add_co_i32 s20, s4, 1
	s_cmp_ge_u32 s5, s26
	s_cselect_b32 s66, s20, s4
.LBB174_11:
	s_load_b128 s[36:39], s[0:1], 0x440
	v_cmp_lt_u64_e64 s4, s[66:67], s[24:25]
	s_and_b32 vcc_lo, exec_lo, s4
	s_wait_kmcnt 0x0
	v_writelane_b32 v46, s36, 2
	v_writelane_b32 v46, s37, 3
	;; [unrolled: 1-line block ×4, first 2 shown]
	s_cbranch_vccnz .LBB174_13
; %bb.12:
	v_cvt_f32_u32_e32 v1, s24
	s_sub_co_i32 s5, 0, s24
	s_mov_b32 s23, 0
	s_delay_alu instid0(VALU_DEP_1) | instskip(SKIP_1) | instid1(TRANS32_DEP_1)
	v_rcp_iflag_f32_e32 v1, v1
	v_nop
	v_mul_f32_e32 v1, 0x4f7ffffe, v1
	s_delay_alu instid0(VALU_DEP_1) | instskip(NEXT) | instid1(VALU_DEP_1)
	v_cvt_u32_f32_e32 v1, v1
	v_readfirstlane_b32 s4, v1
	s_mul_i32 s5, s5, s4
	s_delay_alu instid0(SALU_CYCLE_1) | instskip(NEXT) | instid1(SALU_CYCLE_1)
	s_mul_hi_u32 s5, s4, s5
	s_add_co_i32 s4, s4, s5
	s_delay_alu instid0(SALU_CYCLE_1) | instskip(NEXT) | instid1(SALU_CYCLE_1)
	s_mul_hi_u32 s4, s66, s4
	s_mul_i32 s5, s4, s24
	s_add_co_i32 s20, s4, 1
	s_sub_co_i32 s5, s66, s5
	s_delay_alu instid0(SALU_CYCLE_1)
	s_sub_co_i32 s21, s5, s24
	s_cmp_ge_u32 s5, s24
	s_cselect_b32 s4, s20, s4
	s_cselect_b32 s5, s21, s5
	s_add_co_i32 s20, s4, 1
	s_cmp_ge_u32 s5, s24
	s_cselect_b32 s22, s20, s4
.LBB174_13:
	s_delay_alu instid0(SALU_CYCLE_1)
	v_writelane_b32 v46, s22, 6
	v_cmp_eq_u32_e64 s5, 0, v0
	s_add_nc_u64 s[20:21], s[0:1], 0x520
	s_mov_b32 s29, 0
	v_writelane_b32 v46, s23, 7
	s_clause 0x1
	s_load_b64 s[22:23], s[0:1], 0x0
	s_load_b128 s[36:39], s[0:1], 0x1a0
	s_and_saveexec_b32 s4, s5
	s_cbranch_execz .LBB174_15
; %bb.14:
	s_wait_kmcnt 0x0
	v_dual_mov_b32 v2, 0 :: v_dual_mov_b32 v4, s36
	s_delay_alu instid0(VALU_DEP_1)
	v_dual_mov_b32 v5, s37 :: v_dual_mov_b32 v3, v2
	ds_store_b32 v2, v2 offset:5144
	ds_store_b128 v2, v[2:5] offset:5120
.LBB174_15:
	s_or_b32 exec_lo, exec_lo, s4
	s_mul_u64 s[8:9], s[6:7], s[8:9]
	s_mul_u64 s[12:13], s[6:7], s[12:13]
	s_load_b64 s[6:7], s[0:1], 0x370
	v_dual_mov_b32 v3, 0 :: v_dual_add_nc_u32 v2, 2, v0
	v_lshlrev_b32_e32 v16, 2, v0
	s_wait_dscnt 0x0
	s_barrier_signal -1
	s_delay_alu instid0(VALU_DEP_2)
	v_mov_b32_e32 v1, v3
	s_wait_kmcnt 0x0
	v_max_u64 v[6:7], s[36:37], v[2:3]
	s_barrier_wait -1
	s_load_b32 s24, s[20:21], 0xc
	v_mul_u64_e32 v[4:5], s[30:31], v[0:1]
	s_mul_u64 s[10:11], s[2:3], s[10:11]
	s_sub_nc_u64 s[2:3], s[2:3], s[8:9]
	s_sub_nc_u64 s[8:9], s[58:59], s[10:11]
	s_lshl_b64 s[10:11], s[12:13], 1
	s_mul_u64 s[12:13], s[2:3], s[14:15]
	s_mul_u64 s[8:9], s[8:9], s[18:19]
	s_add_nc_u64 s[10:11], s[22:23], s[10:11]
	s_lshl_b64 s[12:13], s[12:13], 1
	v_writelane_b32 v46, s6, 8
	v_mbcnt_lo_u32_b32 v13, -1, 0
	v_dual_mov_b32 v9, -1 :: v_dual_lshlrev_b32 v28, 1, v0
	s_load_b32 s4, s[0:1], 0x1b0
	v_writelane_b32 v46, s7, 9
	s_load_b64 s[6:7], s[0:1], 0x1c8
	v_not_b32_e32 v8, v0
	s_lshl_b64 s[8:9], s[8:9], 1
	s_add_nc_u64 s[10:11], s[10:11], s[12:13]
	v_cmp_gt_u32_e32 vcc_lo, 32, v0
	s_add_nc_u64 s[34:35], s[10:11], s[8:9]
	v_lshlrev_b64_e64 v[10:11], v13, -1
	v_cmp_lt_u64_e64 s33, 0x600, s[36:37]
	v_cmp_gt_u64_e64 s3, s[36:37], v[0:1]
	v_mov_b64_e32 v[22:23], s[38:39]
	s_mov_b32 s57, s29
	v_cmp_eq_u32_e64 s2, 0, v13
	v_dual_mov_b32 v34, 0 :: v_dual_add_nc_u32 v29, 0xc00, v28
	v_not_b32_e32 v12, v10
	v_lshl_or_b32 v33, v13, 3, 0xc00
	v_dual_mov_b32 v35, 0 :: v_dual_mov_b32 v31, 0
	v_lshl_add_u64 v[14:15], v[4:5], 1, s[34:35]
	v_add_nc_u64_e32 v[4:5], v[6:7], v[8:9]
	s_wait_kmcnt 0x0
	v_writelane_b32 v46, s6, 10
	s_bitcmp1_b32 s4, 0
	v_mov_b32_e32 v17, v3
	s_cselect_b32 s4, -1, 0
	s_and_b32 s56, s24, 0xffff
	v_writelane_b32 v46, s7, 11
	v_cmp_gt_i32_e64 s7, 4, v13
	s_xor_b32 s101, s4, -1
	v_dual_mov_b32 v19, v5 :: v_dual_bitop2_b32 v18, -4, v4 bitop3:0x40
	v_lshlrev_b32_e32 v32, 3, v0
	s_and_b32 s100, vcc_lo, s7
	s_movk_i32 s7, 0x3e0
	v_writelane_b32 v46, s4, 12
	v_and_or_b32 v30, v0, s7, 0xc00
	v_cmp_lt_u64_e64 s7, 3, v[4:5]
	s_bfe_u32 s4, s24, 0xb0005
	s_cmp_gt_u32 s56, 31
	v_add_nc_u64_e32 v[20:21], v[18:19], v[0:1]
	s_cselect_b32 s102, -1, 0
	s_cmp_lt_u32 s17, s16
	v_cmp_gt_u32_e64 s6, 2, v0
	s_cselect_b32 s28, 12, 18
	v_writelane_b32 v46, s7, 13
	s_add_co_i32 s7, s4, -1
	s_bfe_u32 s103, s56, 0x30005
	s_and_b32 s7, s7, 0xffff
	s_add_nc_u64 s[72:73], s[56:57], -1
	s_cmp_gt_u32 s7, 6
	s_add_nc_u64 s[74:75], s[72:73], s[36:37]
	s_cselect_b32 s104, -1, 0
	s_and_b32 vcc_hi, s4, 0x7f8
	v_cmp_ne_u64_e64 s4, v[4:5], v[18:19]
	s_cmp_lg_u32 s103, 0
	s_mov_b32 s76, s30
	s_mov_b32 s77, s31
	;; [unrolled: 1-line block ×6, first 2 shown]
	s_cselect_b32 s68, -1, 0
	s_lshl_b32 s69, s56, 1
	s_mov_b32 s71, 14
	s_and_b64 s[82:83], s[36:37], 0xffffffff00000000
	s_mov_b32 s70, 0x4f800000
	s_add_nc_u64 s[84:85], s[20:21], s[28:29]
	s_mov_b32 s48, 0
	s_mov_b32 s50, 0
	v_writelane_b32 v46, s4, 14
                                        ; implicit-def: $sgpr49
                                        ; implicit-def: $sgpr53
                                        ; implicit-def: $sgpr52
                                        ; implicit-def: $sgpr54
                                        ; implicit-def: $sgpr51
                                        ; implicit-def: $sgpr62
                                        ; implicit-def: $sgpr63
                                        ; implicit-def: $sgpr55
                                        ; implicit-def: $sgpr7
                                        ; implicit-def: $sgpr8
	s_branch .LBB174_18
.LBB174_16:                             ;   in Loop: Header=BB174_18 Depth=1
	s_or_b32 exec_lo, exec_lo, s11
	v_mov_b64_e32 v[22:23], v[4:5]
	s_and_not1_b32 s8, s8, exec_lo
	s_and_b32 s10, s10, exec_lo
	s_and_not1_b32 s7, s7, exec_lo
	s_or_b32 s8, s8, s10
	s_and_not1_b32 s55, s55, exec_lo
	s_and_not1_b32 s63, s63, exec_lo
	s_and_not1_b32 s62, s62, exec_lo
	s_or_not1_b32 s9, s9, exec_lo
.LBB174_17:                             ;   in Loop: Header=BB174_18 Depth=1
	s_or_b32 exec_lo, exec_lo, s4
	s_delay_alu instid0(SALU_CYCLE_1) | instskip(NEXT) | instid1(SALU_CYCLE_1)
	s_and_b32 s4, exec_lo, s9
	s_or_b32 s48, s4, s48
	s_and_not1_b32 s4, s51, exec_lo
	s_and_b32 s9, s8, exec_lo
	s_and_not1_b32 s10, s54, exec_lo
	s_or_b32 s51, s4, s9
	s_and_b32 s4, s7, exec_lo
	s_and_not1_b32 s9, s52, exec_lo
	s_and_b32 s11, s55, exec_lo
	s_or_b32 s54, s10, s4
	s_or_b32 s52, s9, s11
	s_and_not1_b32 s4, s53, exec_lo
	s_and_b32 s9, s63, exec_lo
	s_and_not1_b32 s10, s49, exec_lo
	s_and_b32 s11, s62, exec_lo
	s_or_b32 s53, s4, s9
	s_or_b32 s49, s10, s11
	s_and_not1_b32 exec_lo, exec_lo, s48
	s_cbranch_execz .LBB174_480
.LBB174_18:                             ; =>This Loop Header: Depth=1
                                        ;     Child Loop BB174_23 Depth 2
                                        ;     Child Loop BB174_37 Depth 2
	;; [unrolled: 1-line block ×25, first 2 shown]
	ds_load_b128 v[4:7], v3 offset:5120
	s_wait_dscnt 0x0
	v_readfirstlane_b32 s87, v5
	v_readfirstlane_b32 s86, v4
	s_cmp_lg_u64 s[86:87], 0
	s_cbranch_scc1 .LBB174_50
; %bb.19:                               ;   in Loop: Header=BB174_18 Depth=1
	s_and_b32 vcc_lo, exec_lo, s33
	s_cbranch_vccz .LBB174_31
; %bb.20:                               ;   in Loop: Header=BB174_18 Depth=1
	v_cmp_gt_u64_e32 vcc_lo, 0x601, v[6:7]
	s_mov_b32 s4, 0
	s_mov_b32 s9, 0
	s_cbranch_vccz .LBB174_32
; %bb.21:                               ;   in Loop: Header=BB174_18 Depth=1
	global_load_u16 v2, v3, s[84:85]
	global_load_u16 v6, v[14:15], off
	v_mov_b64_e32 v[4:5], v[0:1]
	s_mov_b32 s11, 0
	s_wait_loadcnt 0x1
	v_and_b32_e32 v2, 0xffff, v2
	s_branch .LBB174_23
.LBB174_22:                             ;   in Loop: Header=BB174_23 Depth=2
	s_or_b32 exec_lo, exec_lo, s10
	v_mov_b32_e32 v6, v7
	s_and_not1_b32 exec_lo, exec_lo, s11
	s_cbranch_execz .LBB174_104
.LBB174_23:                             ;   Parent Loop BB174_18 Depth=1
                                        ; =>  This Inner Loop Header: Depth=2
	s_delay_alu instid0(VALU_DEP_1) | instskip(SKIP_3) | instid1(VALU_DEP_2)
	v_add_nc_u64_e32 v[4:5], v[4:5], v[2:3]
	s_wait_dscnt 0x0
	v_dual_mov_b32 v8, 0 :: v_dual_mov_b32 v7, 0
	s_mov_b32 s10, exec_lo
	v_cmp_le_u64_e32 vcc_lo, s[36:37], v[4:5]
	s_wait_xcnt 0x0
	v_cmpx_gt_u64_e64 s[36:37], v[4:5]
	s_cbranch_execz .LBB174_25
; %bb.24:                               ;   in Loop: Header=BB174_23 Depth=2
	v_mul_u64_e32 v[10:11], s[30:31], v[4:5]
	s_delay_alu instid0(VALU_DEP_1)
	v_lshl_add_u64 v[10:11], v[10:11], 1, s[34:35]
	global_load_u16 v7, v[10:11], off
.LBB174_25:                             ;   in Loop: Header=BB174_23 Depth=2
	s_wait_xcnt 0x0
	s_or_b32 exec_lo, exec_lo, s10
	s_wait_loadcnt 0x0
	v_bfe_i32 v9, v6, 0, 16
	s_delay_alu instid0(VALU_DEP_1) | instskip(NEXT) | instid1(VALU_DEP_1)
	v_add_nc_u32_e32 v9, 0x8000, v9
	v_and_b32_e32 v9, v9, v34
	s_delay_alu instid0(VALU_DEP_1) | instskip(SKIP_2) | instid1(SALU_CYCLE_1)
	v_cmp_eq_u32_e64 s9, v9, v31
	s_cmp_lg_u32 s9, 0
	s_cselect_b32 s10, -1, 0
	s_and_b32 s10, s2, s10
	s_delay_alu instid0(SALU_CYCLE_1)
	s_and_saveexec_b32 s12, s10
	s_cbranch_execz .LBB174_29
; %bb.26:                               ;   in Loop: Header=BB174_23 Depth=2
	s_mov_b32 s15, exec_lo
	s_bcnt1_i32_b32 s13, s9
	v_mbcnt_lo_u32_b32 v8, s15, 0
	s_mov_b32 s14, exec_lo
                                        ; implicit-def: $vgpr9
	s_delay_alu instid0(VALU_DEP_1)
	v_cmpx_eq_u32_e32 0, v8
; %bb.27:                               ;   in Loop: Header=BB174_23 Depth=2
	s_bcnt1_i32_b32 s10, s15
	s_delay_alu instid0(SALU_CYCLE_1) | instskip(NEXT) | instid1(SALU_CYCLE_1)
	s_mul_i32 s10, s13, s10
	v_mov_b32_e32 v9, s10
	ds_add_rtn_u32 v9, v3, v9 offset:5144
; %bb.28:                               ;   in Loop: Header=BB174_23 Depth=2
	s_or_b32 exec_lo, exec_lo, s14
	s_wait_dscnt 0x0
	v_readfirstlane_b32 s10, v9
	s_delay_alu instid0(VALU_DEP_1)
	v_mad_u32_u24 v8, s13, v8, s10
.LBB174_29:                             ;   in Loop: Header=BB174_23 Depth=2
	s_or_b32 exec_lo, exec_lo, s12
	ds_bpermute_b32 v8, v3, v8
	s_and_b32 s10, exec_lo, vcc_lo
	s_delay_alu instid0(SALU_CYCLE_1)
	s_or_b32 s11, s10, s11
	s_and_saveexec_b32 s10, s9
	s_cbranch_execz .LBB174_22
; %bb.30:                               ;   in Loop: Header=BB174_23 Depth=2
	v_and_b32_e32 v9, s9, v12
	s_delay_alu instid0(VALU_DEP_1) | instskip(NEXT) | instid1(VALU_DEP_1)
	v_bcnt_u32_b32 v9, v9, 0
	v_lshlrev_b32_e32 v9, 1, v9
	s_wait_dscnt 0x0
	s_delay_alu instid0(VALU_DEP_1)
	v_lshl_add_u32 v8, v8, 1, v9
	ds_store_b16 v8, v6
	s_branch .LBB174_22
.LBB174_31:                             ;   in Loop: Header=BB174_18 Depth=1
	s_mov_b32 s4, -1
	s_mov_b32 s9, 0
.LBB174_32:                             ;   in Loop: Header=BB174_18 Depth=1
	s_and_b32 vcc_lo, exec_lo, s4
	s_cbranch_vccz .LBB174_48
.LBB174_33:                             ;   in Loop: Header=BB174_18 Depth=1
	s_and_saveexec_b32 s4, s3
	s_cbranch_execz .LBB174_45
; %bb.34:                               ;   in Loop: Header=BB174_18 Depth=1
	global_load_u16 v4, v3, s[84:85]
	global_load_u16 v26, v[14:15], off
	s_mov_b32 s9, exec_lo
	v_mov_b32_e32 v8, v0
	s_wait_loadcnt 0x1
	v_and_b32_e32 v2, 0xffff, v4
	v_readfirstlane_b32 s10, v4
	s_delay_alu instid0(VALU_DEP_2) | instskip(SKIP_1) | instid1(VALU_DEP_1)
	v_add_nc_u32_e32 v2, v2, v0
	s_wait_xcnt 0x0
	v_cmpx_gt_u64_e64 s[36:37], v[2:3]
	s_cbranch_execz .LBB174_44
; %bb.35:                               ;   in Loop: Header=BB174_18 Depth=1
	s_and_b32 s28, s10, 0xffff
	v_mov_b64_e32 v[6:7], v[0:1]
	v_mov_b64_e32 v[4:5], v[2:3]
	v_readlane_b32 s11, v46, 13
	s_cmp_eq_u32 s28, 1
                                        ; implicit-def: $vgpr8_vgpr9
	s_cselect_b32 s10, -1, 0
	s_delay_alu instid0(SALU_CYCLE_1)
	s_and_b32 s12, s11, s10
	s_mov_b32 s11, -1
	s_and_saveexec_b32 s10, s12
	s_cbranch_execz .LBB174_39
; %bb.36:                               ;   in Loop: Header=BB174_18 Depth=1
	v_add_nc_u64_e32 v[8:9], 3, v[2:3]
	v_add_nc_u64_e32 v[6:7], 2, v[2:3]
	;; [unrolled: 1-line block ×3, first 2 shown]
	v_mov_b64_e32 v[24:25], v[18:19]
	s_wait_loadcnt 0x0
	v_dual_mov_b32 v27, v28 :: v_dual_lshlrev_b32 v36, 16, v26
	s_mov_b32 s11, 0
	v_mov_b64_e32 v[10:11], v[8:9]
	v_mov_b64_e32 v[8:9], v[6:7]
	;; [unrolled: 1-line block ×4, first 2 shown]
.LBB174_37:                             ;   Parent Loop BB174_18 Depth=1
                                        ; =>  This Inner Loop Header: Depth=2
	s_delay_alu instid0(VALU_DEP_2) | instskip(NEXT) | instid1(VALU_DEP_4)
	v_mul_u64_e32 v[38:39], s[30:31], v[6:7]
	v_mul_u64_e32 v[40:41], s[78:79], v[8:9]
	;; [unrolled: 1-line block ×3, first 2 shown]
	s_delay_alu instid0(VALU_DEP_4)
	v_mul_u64_e32 v[44:45], s[76:77], v[4:5]
	v_add_nc_u64_e32 v[24:25], -4, v[24:25]
	v_add_nc_u64_e32 v[10:11], 4, v[10:11]
	v_add_nc_u64_e32 v[8:9], 4, v[8:9]
	v_add_nc_u64_e32 v[6:7], 4, v[6:7]
	v_add_nc_u64_e32 v[4:5], 4, v[4:5]
	v_cmp_eq_u64_e32 vcc_lo, 0, v[24:25]
	s_or_b32 s11, vcc_lo, s11
	v_lshl_add_u64 v[38:39], v[38:39], 1, s[34:35]
	v_lshl_add_u64 v[40:41], v[40:41], 1, s[34:35]
	;; [unrolled: 1-line block ×4, first 2 shown]
	s_clause 0x3
	global_load_u16 v37, v[38:39], off
	global_load_u16 v38, v[40:41], off
	;; [unrolled: 1-line block ×4, first 2 shown]
	s_wait_loadcnt 0x2
	v_perm_b32 v37, v38, v37, 0x5040100
	s_wait_loadcnt 0x1
	v_perm_b32 v38, v26, v38, 0x5040100
	s_wait_loadcnt 0x0
	v_alignbit_b32 v36, v39, v36, 16
	ds_store_b64 v27, v[36:37]
	v_dual_mov_b32 v36, v38 :: v_dual_add_nc_u32 v27, 8, v27
	s_wait_xcnt 0x0
	s_and_not1_b32 exec_lo, exec_lo, s11
	s_cbranch_execnz .LBB174_37
; %bb.38:                               ;   in Loop: Header=BB174_18 Depth=1
	s_or_b32 exec_lo, exec_lo, s11
	v_add_nc_u64_e32 v[4:5], v[2:3], v[18:19]
	v_mov_b64_e32 v[6:7], v[20:21]
	v_readlane_b32 s11, v46, 14
	s_or_not1_b32 s11, s11, exec_lo
	v_add_nc_u64_e32 v[8:9], -1, v[4:5]
.LBB174_39:                             ;   in Loop: Header=BB174_18 Depth=1
	s_or_b32 exec_lo, exec_lo, s10
	s_and_saveexec_b32 s12, s11
	s_cbranch_execz .LBB174_43
; %bb.40:                               ;   in Loop: Header=BB174_18 Depth=1
	s_sub_nc_u64 s[10:11], 0, s[28:29]
	s_mov_b32 s13, 0
.LBB174_41:                             ;   Parent Loop BB174_18 Depth=1
                                        ; =>  This Inner Loop Header: Depth=2
	v_mov_b64_e32 v[8:9], v[4:5]
	s_delay_alu instid0(VALU_DEP_1) | instskip(NEXT) | instid1(VALU_DEP_1)
	v_mul_u64_e32 v[4:5], s[30:31], v[8:9]
	v_lshl_add_u64 v[4:5], v[4:5], 1, s[34:35]
	global_load_u16 v2, v[4:5], off
	s_wait_xcnt 0x0
	v_add_nc_u64_e32 v[4:5], s[28:29], v[8:9]
	v_lshlrev_b32_e32 v6, 1, v6
	s_wait_loadcnt 0x1
	ds_store_b16 v6, v26
	v_cmp_le_u64_e32 vcc_lo, s[36:37], v[4:5]
	v_mov_b64_e32 v[6:7], v[8:9]
	s_or_b32 s13, vcc_lo, s13
	s_wait_loadcnt 0x0
	v_mov_b32_e32 v26, v2
	s_and_not1_b32 exec_lo, exec_lo, s13
	s_cbranch_execnz .LBB174_41
; %bb.42:                               ;   in Loop: Header=BB174_18 Depth=1
	s_or_b32 exec_lo, exec_lo, s13
	v_add_nc_u64_e32 v[8:9], s[10:11], v[4:5]
	v_mov_b32_e32 v26, v2
.LBB174_43:                             ;   in Loop: Header=BB174_18 Depth=1
	s_or_b32 exec_lo, exec_lo, s12
.LBB174_44:                             ;   in Loop: Header=BB174_18 Depth=1
	s_delay_alu instid0(SALU_CYCLE_1) | instskip(NEXT) | instid1(VALU_DEP_1)
	s_or_b32 exec_lo, exec_lo, s9
	v_lshlrev_b32_e32 v2, 1, v8
	s_wait_loadcnt 0x0
	ds_store_b16 v2, v26
.LBB174_45:                             ;   in Loop: Header=BB174_18 Depth=1
	s_or_b32 exec_lo, exec_lo, s4
	s_wait_dscnt 0x0
	s_barrier_signal -1
	s_barrier_wait -1
	s_and_saveexec_b32 s4, s5
; %bb.46:                               ;   in Loop: Header=BB174_18 Depth=1
	v_mov_b64_e32 v[4:5], s[36:37]
	ds_store_b64 v3, v[4:5] offset:5120
; %bb.47:                               ;   in Loop: Header=BB174_18 Depth=1
	s_or_b32 exec_lo, exec_lo, s4
	s_mov_b32 s9, -1
	s_wait_dscnt 0x0
	s_barrier_signal -1
	s_barrier_wait -1
.LBB174_48:                             ;   in Loop: Header=BB174_18 Depth=1
	s_and_b32 vcc_lo, exec_lo, s9
	s_mov_b64 s[86:87], 0
	s_cbranch_vccz .LBB174_50
; %bb.49:                               ;   in Loop: Header=BB174_18 Depth=1
	ds_load_b64 v[4:5], v3 offset:5120
	s_wait_dscnt 0x0
	v_readfirstlane_b32 s86, v4
	v_readfirstlane_b32 s87, v5
.LBB174_50:                             ;   in Loop: Header=BB174_18 Depth=1
	s_delay_alu instid0(VALU_DEP_2)
	s_cmp_lt_i32 s86, 1
	s_mov_b32 s4, -1
                                        ; implicit-def: $vgpr4_vgpr5
                                        ; implicit-def: $vgpr8_vgpr9
	s_cbranch_scc1 .LBB174_60
; %bb.51:                               ;   in Loop: Header=BB174_18 Depth=1
	s_and_b32 vcc_lo, exec_lo, s4
	s_cbranch_vccnz .LBB174_74
.LBB174_52:                             ;   in Loop: Header=BB174_18 Depth=1
	s_lshl_b32 s4, s50, 7
	s_and_saveexec_b32 s9, s2
	s_cbranch_execz .LBB174_54
.LBB174_53:                             ;   in Loop: Header=BB174_18 Depth=1
	v_lshl_add_u32 v2, s4, 3, v30
	ds_store_b128 v2, v[4:7]
	ds_store_b128 v2, v[8:11] offset:16
.LBB174_54:                             ;   in Loop: Header=BB174_18 Depth=1
	s_or_b32 exec_lo, exec_lo, s9
	s_wait_dscnt 0x0
	s_barrier_signal -1
	s_barrier_wait -1
	s_and_saveexec_b32 s9, s100
	s_cbranch_execz .LBB174_88
; %bb.55:                               ;   in Loop: Header=BB174_18 Depth=1
	v_mov_b64_e32 v[4:5], 0
	s_and_not1_b32 vcc_lo, exec_lo, s102
	s_cbranch_vccnz .LBB174_87
; %bb.56:                               ;   in Loop: Header=BB174_18 Depth=1
	v_mov_b64_e32 v[4:5], 0
	s_and_not1_b32 vcc_lo, exec_lo, s104
	s_cbranch_vccnz .LBB174_84
; %bb.57:                               ;   in Loop: Header=BB174_18 Depth=1
	v_lshl_add_u32 v2, s50, 10, v33
	s_mov_b32 s10, 0
.LBB174_58:                             ;   Parent Loop BB174_18 Depth=1
                                        ; =>  This Inner Loop Header: Depth=2
	ds_load_2addr_b64 v[6:9], v2 offset1:4
	ds_load_2addr_b64 v[24:27], v2 offset0:8 offset1:12
	s_add_co_i32 s10, s10, 8
	s_delay_alu instid0(SALU_CYCLE_1) | instskip(SKIP_2) | instid1(VALU_DEP_1)
	s_cmp_eq_u32 vcc_hi, s10
	s_wait_dscnt 0x1
	v_add_nc_u64_e32 v[4:5], v[6:7], v[4:5]
	v_add_nc_u64_e32 v[8:9], v[8:9], v[4:5]
	ds_load_2addr_b64 v[4:7], v2 offset0:16 offset1:20
	s_wait_dscnt 0x1
	v_add_nc_u64_e32 v[8:9], v[24:25], v[8:9]
	s_delay_alu instid0(VALU_DEP_1) | instskip(SKIP_4) | instid1(VALU_DEP_1)
	v_add_nc_u64_e32 v[24:25], v[26:27], v[8:9]
	ds_load_2addr_b64 v[8:11], v2 offset0:24 offset1:28
	v_add_nc_u32_e32 v2, 0x100, v2
	s_wait_dscnt 0x1
	v_add_nc_u64_e32 v[4:5], v[4:5], v[24:25]
	v_add_nc_u64_e32 v[4:5], v[6:7], v[4:5]
	s_wait_dscnt 0x0
	s_delay_alu instid0(VALU_DEP_1) | instskip(NEXT) | instid1(VALU_DEP_1)
	v_add_nc_u64_e32 v[4:5], v[8:9], v[4:5]
	v_add_nc_u64_e32 v[4:5], v[10:11], v[4:5]
	s_cbranch_scc0 .LBB174_58
; %bb.59:                               ;   in Loop: Header=BB174_18 Depth=1
	s_mov_b32 s10, vcc_hi
	s_and_not1_b32 vcc_lo, exec_lo, s68
	s_cbranch_vccz .LBB174_85
	s_branch .LBB174_87
.LBB174_60:                             ;   in Loop: Header=BB174_18 Depth=1
	global_load_u16 v2, v3, s[84:85]
	s_mov_b32 s19, s29
	s_wait_loadcnt 0x0
	v_readfirstlane_b32 s4, v2
	s_and_b32 s4, 0xffff, s4
	s_delay_alu instid0(SALU_CYCLE_1)
	s_lshl_b32 s18, s4, 2
	s_cmp_lg_u64 s[82:83], 0
	s_cbranch_scc0 .LBB174_83
; %bb.61:                               ;   in Loop: Header=BB174_18 Depth=1
	s_cvt_f32_u32 s4, s18
	s_sub_nc_u64 s[12:13], 0, s[18:19]
	s_delay_alu instid0(SALU_CYCLE_2) | instskip(NEXT) | instid1(SALU_CYCLE_3)
	s_fmamk_f32 s4, s70, 0x0, s4
	v_s_rcp_f32 s4, s4
	s_delay_alu instid0(TRANS32_DEP_1) | instskip(NEXT) | instid1(SALU_CYCLE_3)
	s_mul_f32 s4, s4, 0x5f7ffffc
	s_mul_f32 s9, s4, 0x2f800000
	s_delay_alu instid0(SALU_CYCLE_3) | instskip(NEXT) | instid1(SALU_CYCLE_3)
	s_trunc_f32 s9, s9
	s_fmamk_f32 s4, s9, 0xcf800000, s4
	s_cvt_u32_f32 s11, s9
	s_delay_alu instid0(SALU_CYCLE_2) | instskip(NEXT) | instid1(SALU_CYCLE_3)
	s_cvt_u32_f32 s10, s4
	s_mul_u64 s[14:15], s[12:13], s[10:11]
	s_delay_alu instid0(SALU_CYCLE_1)
	s_mul_hi_u32 s17, s10, s15
	s_mul_i32 s16, s10, s15
	s_mul_hi_u32 s28, s10, s14
	s_mul_i32 s9, s11, s14
	s_add_nc_u64 s[16:17], s[28:29], s[16:17]
	s_mul_hi_u32 s4, s11, s14
	s_mul_hi_u32 s20, s11, s15
	s_add_co_u32 s9, s16, s9
	s_add_co_ci_u32 s28, s17, s4
	s_mul_i32 s14, s11, s15
	s_add_co_ci_u32 s15, s20, 0
	s_delay_alu instid0(SALU_CYCLE_1) | instskip(NEXT) | instid1(SALU_CYCLE_1)
	s_add_nc_u64 s[14:15], s[28:29], s[14:15]
	s_add_co_u32 s10, s10, s14
	s_cselect_b32 s4, -1, 0
	s_delay_alu instid0(SALU_CYCLE_1) | instskip(SKIP_1) | instid1(SALU_CYCLE_1)
	s_cmp_lg_u32 s4, 0
	s_add_co_ci_u32 s11, s11, s15
	s_mul_u64 s[12:13], s[12:13], s[10:11]
	s_delay_alu instid0(SALU_CYCLE_1)
	s_mul_hi_u32 s15, s10, s13
	s_mul_i32 s14, s10, s13
	s_mul_hi_u32 s28, s10, s12
	s_mul_i32 s9, s11, s12
	s_add_nc_u64 s[14:15], s[28:29], s[14:15]
	s_mul_hi_u32 s4, s11, s12
	s_mul_hi_u32 s16, s11, s13
	s_add_co_u32 s9, s14, s9
	s_add_co_ci_u32 s28, s15, s4
	s_mul_i32 s12, s11, s13
	s_add_co_ci_u32 s13, s16, 0
	s_delay_alu instid0(SALU_CYCLE_1) | instskip(NEXT) | instid1(SALU_CYCLE_1)
	s_add_nc_u64 s[12:13], s[28:29], s[12:13]
	s_add_co_u32 s4, s10, s12
	s_cselect_b32 s9, -1, 0
	s_mul_hi_u32 s28, s36, s4
	s_cmp_lg_u32 s9, 0
	s_mul_hi_u32 s9, s37, s4
	s_add_co_ci_u32 s12, s11, s13
	s_mul_i32 s4, s37, s4
	s_mul_hi_u32 s11, s36, s12
	s_mul_i32 s10, s36, s12
	s_mul_hi_u32 s13, s37, s12
	s_add_nc_u64 s[10:11], s[28:29], s[10:11]
	s_mul_i32 s12, s37, s12
	s_add_co_u32 s4, s10, s4
	s_add_co_ci_u32 s28, s11, s9
	s_add_co_ci_u32 s13, s13, 0
	s_delay_alu instid0(SALU_CYCLE_1) | instskip(NEXT) | instid1(SALU_CYCLE_1)
	s_add_nc_u64 s[10:11], s[28:29], s[12:13]
	s_and_b64 s[12:13], s[10:11], 0xffffffff00000000
	s_delay_alu instid0(SALU_CYCLE_1) | instskip(NEXT) | instid1(SALU_CYCLE_1)
	s_or_b32 s12, s12, s10
	s_mul_u64 s[10:11], s[18:19], s[12:13]
	s_delay_alu instid0(SALU_CYCLE_1) | instskip(SKIP_1) | instid1(SALU_CYCLE_1)
	s_sub_co_u32 s4, s36, s10
	s_cselect_b32 s9, -1, 0
	s_cmp_lg_u32 s9, 0
	s_sub_co_ci_u32 s9, s37, s11
	s_sub_co_u32 s10, s4, s18
	s_cselect_b32 s11, -1, 0
	s_delay_alu instid0(SALU_CYCLE_1) | instskip(SKIP_3) | instid1(SALU_CYCLE_1)
	s_cmp_lg_u32 s11, 0
	s_sub_co_ci_u32 s11, s9, 0
	s_sub_co_u32 s12, s10, s18
	s_cselect_b32 s13, -1, 0
	s_cmp_lg_u32 s13, 0
	s_sub_co_ci_u32 s13, s11, 0
	s_cmp_ge_u32 s10, s18
	s_cselect_b32 s14, -1, 0
	s_cmp_eq_u32 s11, 0
	s_cselect_b32 s14, s14, -1
	s_delay_alu instid0(SALU_CYCLE_1)
	s_cmp_lg_u32 s14, 0
	s_cselect_b32 s11, s13, s11
	s_cselect_b32 s10, s12, s10
	s_cmp_ge_u32 s4, s18
	s_cselect_b32 s12, -1, 0
	s_cmp_eq_u32 s9, 0
	s_cselect_b32 s12, s12, -1
	s_delay_alu instid0(SALU_CYCLE_1)
	s_cmp_lg_u32 s12, 0
	s_cselect_b32 s11, s11, s9
	s_cselect_b32 s10, s10, s4
	s_cbranch_execnz .LBB174_63
.LBB174_62:                             ;   in Loop: Header=BB174_18 Depth=1
	v_cvt_f32_u32_e32 v4, s18
	s_sub_co_i32 s9, 0, s18
	s_delay_alu instid0(VALU_DEP_1) | instskip(SKIP_1) | instid1(TRANS32_DEP_1)
	v_rcp_iflag_f32_e32 v4, v4
	v_nop
	v_mul_f32_e32 v4, 0x4f7ffffe, v4
	s_delay_alu instid0(VALU_DEP_1) | instskip(NEXT) | instid1(VALU_DEP_1)
	v_cvt_u32_f32_e32 v4, v4
	v_readfirstlane_b32 s4, v4
	s_mul_i32 s9, s9, s4
	s_delay_alu instid0(SALU_CYCLE_1) | instskip(NEXT) | instid1(SALU_CYCLE_1)
	s_mul_hi_u32 s9, s4, s9
	s_add_co_i32 s4, s4, s9
	s_delay_alu instid0(SALU_CYCLE_1) | instskip(NEXT) | instid1(SALU_CYCLE_1)
	s_mul_hi_u32 s4, s36, s4
	s_mul_i32 s4, s4, s18
	s_delay_alu instid0(SALU_CYCLE_1) | instskip(NEXT) | instid1(SALU_CYCLE_1)
	s_sub_co_i32 s4, s36, s4
	s_sub_co_i32 s9, s4, s18
	s_cmp_ge_u32 s4, s18
	s_cselect_b32 s4, s9, s4
	s_delay_alu instid0(SALU_CYCLE_1) | instskip(SKIP_2) | instid1(SALU_CYCLE_1)
	s_sub_co_i32 s9, s4, s18
	s_cmp_ge_u32 s4, s18
	s_cselect_b32 s28, s9, s4
	s_mov_b64 s[10:11], s[28:29]
.LBB174_63:                             ;   in Loop: Header=BB174_18 Depth=1
	v_mov_b64_e32 v[4:5], 0
	v_mov_b64_e32 v[6:7], 0
	;; [unrolled: 1-line block ×4, first 2 shown]
	s_sub_nc_u64 s[20:21], s[36:37], s[10:11]
	s_mov_b32 s64, exec_lo
	v_cmpx_gt_u64_e64 s[20:21], v[16:17]
	s_cbranch_execz .LBB174_67
; %bb.64:                               ;   in Loop: Header=BB174_18 Depth=1
	v_mov_b64_e32 v[24:25], v[16:17]
	s_mov_b64 s[22:23], 0
	s_mov_b32 s65, 0
	s_mov_b64 s[24:25], 0
	s_mov_b64 s[26:27], 0
	;; [unrolled: 1-line block ×3, first 2 shown]
.LBB174_65:                             ;   Parent Loop BB174_18 Depth=1
                                        ; =>  This Inner Loop Header: Depth=2
	s_delay_alu instid0(VALU_DEP_1) | instskip(SKIP_2) | instid1(VALU_DEP_1)
	v_mul_u64_e32 v[4:5], s[30:31], v[24:25]
	s_lshl_b64 s[10:11], s[30:31], 1
	v_add_nc_u64_e32 v[24:25], s[18:19], v[24:25]
	v_cmp_le_u64_e32 vcc_lo, s[20:21], v[24:25]
	s_delay_alu instid0(VALU_DEP_3)
	v_lshl_add_u64 v[4:5], v[4:5], 1, s[34:35]
	global_load_i16 v6, v[4:5], off
	s_wait_xcnt 0x0
	v_add_nc_u64_e32 v[4:5], s[10:11], v[4:5]
	global_load_i16 v7, v[4:5], off
	s_wait_xcnt 0x0
	v_add_nc_u64_e32 v[4:5], s[10:11], v[4:5]
	;; [unrolled: 3-line block ×3, first 2 shown]
	global_load_i16 v4, v[4:5], off
	s_wait_loadcnt 0x3
	s_wait_xcnt 0x0
	v_add_nc_u32_e32 v5, 0x8000, v6
	s_delay_alu instid0(VALU_DEP_1) | instskip(SKIP_3) | instid1(VALU_DEP_3)
	v_and_b32_e32 v6, v5, v34
	v_bfe_u32 v5, v5, s71, 2
	s_wait_loadcnt 0x2
	v_add_nc_u32_e32 v7, 0x8000, v7
	v_cmp_eq_u32_e64 s9, v6, v31
	s_delay_alu instid0(VALU_DEP_3)
	v_cmp_eq_u32_e64 s10, 0, v5
	v_cmp_eq_u32_e64 s11, 1, v5
	v_cmp_eq_u32_e64 s12, 2, v5
	v_cmp_eq_u32_e64 s13, 3, v5
	v_and_b32_e32 v5, v7, v34
	s_and_b32 s4, s9, s10
	v_bfe_u32 v6, v7, s71, 2
	s_wait_loadcnt 0x1
	v_add_nc_u32_e32 v7, 0x8000, v8
	v_cndmask_b32_e64 v8, 0, 1, s4
	s_and_b32 s4, s9, s11
	s_delay_alu instid0(SALU_CYCLE_1)
	v_cndmask_b32_e64 v9, 0, 1, s4
	s_and_b32 s4, s9, s12
	v_cmp_eq_u32_e64 s10, 0, v6
	v_cndmask_b32_e64 v10, 0, 1, s4
	s_and_b32 s4, s9, s13
	v_cmp_eq_u32_e64 s9, v5, v31
	v_cmp_eq_u32_e64 s11, 1, v6
	;; [unrolled: 1-line block ×3, first 2 shown]
	v_cndmask_b32_e64 v11, 0, 1, s4
	v_cmp_eq_u32_e64 s13, 3, v6
	s_and_b32 s4, s9, s10
	v_and_b32_e32 v5, v7, v34
	v_bfe_u32 v6, v7, s71, 2
	v_cndmask_b32_e64 v7, 0, 1, s4
	s_and_b32 s4, s9, s11
	v_cmp_ne_u32_e64 s14, 0, v8
	v_cndmask_b32_e64 v8, 0, 1, s4
	s_and_b32 s4, s9, s12
	v_cmp_ne_u32_e64 s15, 0, v9
	v_cndmask_b32_e64 v9, 0, 1, s4
	s_and_b32 s4, s9, s13
	v_cmp_eq_u32_e64 s9, v5, v31
	v_cmp_eq_u32_e64 s10, 0, v6
	s_wait_loadcnt 0x0
	v_add_nc_u32_e32 v4, 0x8000, v4
	v_cmp_eq_u32_e64 s11, 1, v6
	v_cmp_eq_u32_e64 s12, 2, v6
	;; [unrolled: 1-line block ×3, first 2 shown]
	s_and_b32 s10, s9, s10
	v_cmp_ne_u32_e64 s16, 0, v10
	v_and_b32_e32 v5, v4, v34
	v_bfe_u32 v4, v4, s71, 2
	v_cndmask_b32_e64 v6, 0, 1, s10
	s_and_b32 s10, s9, s11
	v_cndmask_b32_e64 v10, 0, 1, s4
	s_bcnt1_i32_b32 s4, s14
	v_cmp_ne_u32_e64 s14, 0, v7
	v_cndmask_b32_e64 v7, 0, 1, s10
	s_and_b32 s10, s9, s12
	s_and_b32 s9, s9, s13
	s_bcnt1_i32_b32 s28, s15
	s_bcnt1_i32_b32 s40, s16
	v_cmp_ne_u32_e64 s15, 0, v8
	v_cmp_ne_u32_e64 s16, 0, v9
	v_cndmask_b32_e64 v8, 0, 1, s10
	v_cndmask_b32_e64 v9, 0, 1, s9
	v_cmp_eq_u32_e64 s9, v5, v31
	v_cmp_eq_u32_e64 s10, 0, v4
	;; [unrolled: 1-line block ×5, first 2 shown]
	s_bcnt1_i32_b32 s14, s14
	v_cmp_ne_u32_e64 s17, 0, v11
	s_and_b32 s10, s9, s10
	s_bcnt1_i32_b32 s15, s15
	s_add_co_i32 s4, s14, s4
	v_cmp_ne_u32_e64 s14, 0, v6
	v_cndmask_b32_e64 v4, 0, 1, s10
	s_and_b32 s10, s9, s11
	s_bcnt1_i32_b32 s16, s16
	s_add_co_i32 s28, s15, s28
	v_cmp_ne_u32_e64 s15, 0, v7
	v_cndmask_b32_e64 v5, 0, 1, s10
	s_and_b32 s10, s9, s12
	s_and_b32 s9, s9, s13
	s_bcnt1_i32_b32 s41, s17
	v_cmp_ne_u32_e64 s17, 0, v10
	s_add_co_i32 s40, s16, s40
	v_cmp_ne_u32_e64 s16, 0, v8
	v_cndmask_b32_e64 v7, 0, 1, s9
	s_bcnt1_i32_b32 s9, s14
	v_cndmask_b32_e64 v6, 0, 1, s10
	s_bcnt1_i32_b32 s10, s15
	s_add_co_i32 s4, s4, s9
	v_cmp_ne_u32_e64 s9, 0, v4
	s_bcnt1_i32_b32 s17, s17
	s_bcnt1_i32_b32 s11, s16
	s_add_co_i32 s14, s28, s10
	v_cmp_ne_u32_e64 s10, 0, v5
	s_add_co_i32 s41, s17, s41
	v_cmp_ne_u32_e64 s17, 0, v9
	;; [unrolled: 2-line block ×3, first 2 shown]
	s_bcnt1_i32_b32 s9, s9
	v_cmp_ne_u32_e64 s12, 0, v7
	s_bcnt1_i32_b32 s10, s10
	s_add_co_i32 s28, s4, s9
	s_bcnt1_i32_b32 s13, s17
	s_bcnt1_i32_b32 s11, s11
	s_add_nc_u64 s[88:89], s[88:89], s[28:29]
	s_add_co_i32 s28, s14, s10
	s_add_co_i32 s13, s41, s13
	s_bcnt1_i32_b32 s12, s12
	s_add_nc_u64 s[26:27], s[26:27], s[28:29]
	s_add_co_i32 s28, s15, s11
	v_mov_b64_e32 v[4:5], s[88:89]
	s_add_nc_u64 s[24:25], s[24:25], s[28:29]
	s_add_co_i32 s28, s13, s12
	v_mov_b64_e32 v[6:7], s[26:27]
	s_add_nc_u64 s[22:23], s[22:23], s[28:29]
	v_mov_b64_e32 v[8:9], s[24:25]
	v_mov_b64_e32 v[10:11], s[22:23]
	s_or_b32 s65, vcc_lo, s65
	s_delay_alu instid0(SALU_CYCLE_1)
	s_and_not1_b32 exec_lo, exec_lo, s65
	s_cbranch_execnz .LBB174_65
; %bb.66:                               ;   in Loop: Header=BB174_18 Depth=1
	s_or_b32 exec_lo, exec_lo, s65
.LBB174_67:                             ;   in Loop: Header=BB174_18 Depth=1
	s_delay_alu instid0(SALU_CYCLE_1) | instskip(SKIP_3) | instid1(VALU_DEP_2)
	s_or_b32 exec_lo, exec_lo, s64
	v_add_nc_u64_e32 v[24:25], s[20:21], v[0:1]
	v_and_b32_e32 v2, 0xffff, v2
	s_mov_b32 s4, exec_lo
	v_cmpx_gt_u64_e64 s[36:37], v[24:25]
	s_cbranch_execz .LBB174_73
; %bb.68:                               ;   in Loop: Header=BB174_18 Depth=1
	v_mul_u64_e32 v[26:27], s[30:31], v[24:25]
	s_mov_b32 s12, 0
	s_delay_alu instid0(VALU_DEP_1)
	v_lshl_add_u64 v[26:27], v[26:27], 1, s[34:35]
	global_load_u16 v27, v[26:27], off
	s_branch .LBB174_70
.LBB174_69:                             ;   in Loop: Header=BB174_70 Depth=2
	s_wait_xcnt 0x0
	s_or_b32 exec_lo, exec_lo, s10
	s_wait_loadcnt 0x0
	v_bfe_i32 v27, v27, 0, 16
	s_and_b32 s11, exec_lo, vcc_lo
	s_delay_alu instid0(SALU_CYCLE_1) | instskip(NEXT) | instid1(VALU_DEP_1)
	s_or_b32 s12, s11, s12
	v_add_nc_u32_e32 v27, 0x8000, v27
	s_delay_alu instid0(VALU_DEP_1) | instskip(SKIP_1) | instid1(VALU_DEP_2)
	v_and_b32_e32 v36, v27, v34
	v_bfe_u32 v27, v27, s71, 2
	v_cmp_eq_u32_e64 s9, v36, v31
	s_delay_alu instid0(VALU_DEP_2)
	v_cmp_eq_u32_e64 s10, 0, v27
	v_cmp_eq_u32_e32 vcc_lo, 1, v27
	s_and_b32 s10, s9, s10
	s_and_b32 s11, s9, vcc_lo
	v_cndmask_b32_e64 v36, 0, 1, s10
	v_cmp_eq_u32_e64 s10, 2, v27
	v_cmp_eq_u32_e32 vcc_lo, 3, v27
	v_cndmask_b32_e64 v37, 0, 1, s11
	s_delay_alu instid0(VALU_DEP_4)
	v_cmp_ne_u32_e64 s11, 0, v36
	s_and_b32 s10, s9, s10
	s_and_b32 s9, s9, vcc_lo
	v_cndmask_b32_e64 v27, 0, 1, s10
	v_cndmask_b32_e64 v36, 0, 1, s9
	v_cmp_ne_u32_e64 s10, 0, v37
	s_bcnt1_i32_b32 s28, s11
	v_cmp_ne_u32_e32 vcc_lo, 0, v27
	v_cmp_ne_u32_e64 s9, 0, v36
	v_add_nc_u64_e32 v[4:5], s[28:29], v[4:5]
	s_bcnt1_i32_b32 s28, s10
	v_mov_b32_e32 v27, v26
	v_add_nc_u64_e32 v[6:7], s[28:29], v[6:7]
	s_bcnt1_i32_b32 s28, vcc_lo
	s_delay_alu instid0(SALU_CYCLE_1) | instskip(SKIP_1) | instid1(SALU_CYCLE_1)
	v_add_nc_u64_e32 v[8:9], s[28:29], v[8:9]
	s_bcnt1_i32_b32 s28, s9
	v_add_nc_u64_e32 v[10:11], s[28:29], v[10:11]
	s_and_not1_b32 exec_lo, exec_lo, s12
	s_cbranch_execz .LBB174_72
.LBB174_70:                             ;   Parent Loop BB174_18 Depth=1
                                        ; =>  This Inner Loop Header: Depth=2
	v_add_nc_u64_e32 v[24:25], v[24:25], v[2:3]
	s_wait_xcnt 0x0
	v_mov_b32_e32 v26, 0
	s_mov_b32 s10, exec_lo
	s_delay_alu instid0(VALU_DEP_2)
	v_cmp_le_u64_e32 vcc_lo, s[36:37], v[24:25]
	v_cmpx_gt_u64_e64 s[36:37], v[24:25]
	s_cbranch_execz .LBB174_69
; %bb.71:                               ;   in Loop: Header=BB174_70 Depth=2
	v_mul_u64_e32 v[36:37], s[30:31], v[24:25]
	s_delay_alu instid0(VALU_DEP_1)
	v_lshl_add_u64 v[36:37], v[36:37], 1, s[34:35]
	global_load_u16 v26, v[36:37], off
	s_branch .LBB174_69
.LBB174_72:                             ;   in Loop: Header=BB174_18 Depth=1
	s_or_b32 exec_lo, exec_lo, s12
.LBB174_73:                             ;   in Loop: Header=BB174_18 Depth=1
	s_delay_alu instid0(SALU_CYCLE_1)
	s_or_b32 exec_lo, exec_lo, s4
	s_branch .LBB174_52
.LBB174_74:                             ;   in Loop: Header=BB174_18 Depth=1
	global_load_u16 v2, v3, s[84:85]
	s_mov_b32 s89, s29
	v_mov_b64_e32 v[6:7], 0
	v_mov_b64_e32 v[8:9], 0
	;; [unrolled: 1-line block ×3, first 2 shown]
	s_mov_b32 s65, exec_lo
	s_wait_loadcnt 0x0
	v_readfirstlane_b32 s4, v2
	v_and_b32_e32 v2, 0xffff, v2
	s_and_b32 s64, 0xffff, s4
	s_delay_alu instid0(SALU_CYCLE_1) | instskip(NEXT) | instid1(SALU_CYCLE_1)
	s_lshl_b32 s90, s64, 2
	s_cvt_f32_u32 s4, s90
	s_sub_co_i32 s9, 0, s90
	s_delay_alu instid0(SALU_CYCLE_2) | instskip(SKIP_1) | instid1(TRANS32_DEP_1)
	v_rcp_iflag_f32_e32 v4, s4
	v_nop
	v_readfirstlane_b32 s4, v4
	s_mul_f32 s4, s4, 0x4f7ffffe
	s_delay_alu instid0(SALU_CYCLE_3) | instskip(NEXT) | instid1(SALU_CYCLE_3)
	s_cvt_u32_f32 s4, s4
	s_mul_i32 s9, s9, s4
	s_delay_alu instid0(SALU_CYCLE_1) | instskip(NEXT) | instid1(SALU_CYCLE_1)
	s_mul_hi_u32 s9, s4, s9
	s_add_co_i32 s4, s4, s9
	s_delay_alu instid0(SALU_CYCLE_1) | instskip(NEXT) | instid1(SALU_CYCLE_1)
	s_mul_hi_u32 s4, s86, s4
	s_mul_i32 s9, s4, s90
	s_add_co_i32 s10, s4, 1
	s_sub_co_i32 s9, s86, s9
	s_delay_alu instid0(SALU_CYCLE_1)
	s_sub_co_i32 s11, s9, s90
	s_cmp_ge_u32 s9, s90
	s_cselect_b32 s4, s10, s4
	s_cselect_b32 s9, s11, s9
	s_add_co_i32 s10, s4, 1
	s_cmp_ge_u32 s9, s90
	s_cselect_b32 s88, s10, s4
	s_delay_alu instid0(SALU_CYCLE_1) | instskip(NEXT) | instid1(VALU_DEP_1)
	v_mul_u64_e32 v[4:5], s[88:89], v[2:3]
	v_lshlrev_b64_e32 v[24:25], 2, v[4:5]
	v_mov_b64_e32 v[4:5], 0
	s_delay_alu instid0(VALU_DEP_2)
	v_cmpx_gt_u64_e64 v[24:25], v[16:17]
	s_cbranch_execz .LBB174_78
; %bb.75:                               ;   in Loop: Header=BB174_18 Depth=1
	v_mov_b64_e32 v[26:27], v[16:17]
	v_mov_b32_e32 v36, v32
	s_mov_b32 s91, s29
	s_lshl_b32 s89, s64, 3
	s_mov_b64 s[92:93], 0
	s_mov_b32 s4, 0
	s_mov_b64 s[94:95], 0
	s_mov_b64 s[96:97], 0
	;; [unrolled: 1-line block ×3, first 2 shown]
.LBB174_76:                             ;   Parent Loop BB174_18 Depth=1
                                        ; =>  This Inner Loop Header: Depth=2
	ds_load_b64 v[4:5], v36
	v_add_nc_u32_e32 v36, s89, v36
	v_add_nc_u64_e32 v[26:27], s[90:91], v[26:27]
	s_delay_alu instid0(VALU_DEP_1) | instskip(SKIP_4) | instid1(VALU_DEP_3)
	v_cmp_ge_u64_e32 vcc_lo, v[26:27], v[24:25]
	s_wait_dscnt 0x0
	v_bfe_i32 v6, v4, 0, 16
	v_bfe_i32 v7, v5, 0, 16
	v_ashrrev_i32_e32 v5, 16, v5
	v_add_nc_u32_e32 v6, 0x8000, v6
	v_ashrrev_i32_e32 v4, 16, v4
	s_delay_alu instid0(VALU_DEP_4) | instskip(NEXT) | instid1(VALU_DEP_4)
	v_add_nc_u32_e32 v7, 0x8000, v7
	v_add_nc_u32_e32 v5, 0x8000, v5
	s_delay_alu instid0(VALU_DEP_4) | instskip(NEXT) | instid1(VALU_DEP_4)
	v_and_b32_e32 v8, v6, v34
	v_add_nc_u32_e32 v4, 0x8000, v4
	v_bfe_u32 v6, v6, s71, 2
	v_and_b32_e32 v10, v7, v34
	v_bfe_u32 v7, v7, s71, 2
	v_cmp_eq_u32_e64 s9, v8, v31
	v_and_b32_e32 v9, v4, v34
	v_bfe_u32 v4, v4, s71, 2
	v_cmp_eq_u32_e64 s13, 0, v6
	;; [unrolled: 3-line block ×3, first 2 shown]
	v_cmp_eq_u32_e64 s14, 0, v4
	v_cmp_eq_u32_e64 s11, v10, v31
	;; [unrolled: 1-line block ×3, first 2 shown]
	s_and_b32 s13, s9, s13
	v_cmp_eq_u32_e64 s12, v11, v31
	v_cmp_eq_u32_e64 s16, 0, v5
	;; [unrolled: 1-line block ×5, first 2 shown]
	v_cndmask_b32_e64 v4, 0, 1, s13
	s_and_b32 s13, s10, s14
	v_cmp_eq_u32_e64 s17, 1, v6
	v_cmp_eq_u32_e64 s20, 1, v5
	;; [unrolled: 1-line block ×4, first 2 shown]
	v_cndmask_b32_e64 v5, 0, 1, s13
	s_and_b32 s13, s11, s15
	v_cmp_eq_u32_e64 s21, 2, v6
	v_cmp_eq_u32_e64 s25, 3, v6
	v_cndmask_b32_e64 v6, 0, 1, s13
	s_and_b32 s13, s12, s16
	v_cmp_eq_u32_e64 s19, 1, v7
	v_cmp_eq_u32_e64 s23, 2, v7
	;; [unrolled: 1-line block ×3, first 2 shown]
	v_cndmask_b32_e64 v7, 0, 1, s13
	s_and_b32 s13, s9, s17
	s_delay_alu instid0(SALU_CYCLE_1) | instskip(SKIP_1) | instid1(SALU_CYCLE_1)
	v_cndmask_b32_e64 v8, 0, 1, s13
	s_and_b32 s13, s10, s18
	v_cndmask_b32_e64 v9, 0, 1, s13
	s_and_b32 s13, s11, s19
	s_delay_alu instid0(SALU_CYCLE_1) | instskip(SKIP_1) | instid1(VALU_DEP_2)
	v_cndmask_b32_e64 v10, 0, 1, s13
	s_and_b32 s13, s12, s20
	v_cmp_ne_u32_e64 s14, 0, v9
	v_cndmask_b32_e64 v11, 0, 1, s13
	s_and_b32 s13, s9, s21
	s_and_b32 s9, s9, s25
	v_cndmask_b32_e64 v37, 0, 1, s13
	v_cndmask_b32_e64 v41, 0, 1, s9
	s_and_b32 s9, s10, s26
	s_and_b32 s13, s10, s22
	v_cndmask_b32_e64 v42, 0, 1, s9
	s_and_b32 s9, s11, s27
	v_cndmask_b32_e64 v38, 0, 1, s13
	;; [unrolled: 2-line block ×5, first 2 shown]
	v_cmp_ne_u32_e64 s9, 0, v4
	v_cmp_ne_u32_e64 s10, 0, v5
	v_cndmask_b32_e64 v40, 0, 1, s13
	v_cmp_ne_u32_e64 s11, 0, v6
	v_cmp_ne_u32_e64 s13, 0, v8
	;; [unrolled: 1-line block ×6, first 2 shown]
	s_bcnt1_i32_b32 s9, s9
	s_bcnt1_i32_b32 s10, s10
	v_cmp_ne_u32_e64 s16, 0, v11
	v_cmp_ne_u32_e64 s19, 0, v39
	;; [unrolled: 1-line block ×4, first 2 shown]
	s_bcnt1_i32_b32 s11, s11
	s_bcnt1_i32_b32 s13, s13
	;; [unrolled: 1-line block ×3, first 2 shown]
	s_add_co_i32 s9, s10, s9
	v_cmp_ne_u32_e64 s20, 0, v40
	v_cmp_ne_u32_e64 s23, 0, v43
	s_bcnt1_i32_b32 s12, s12
	s_bcnt1_i32_b32 s15, s15
	;; [unrolled: 1-line block ×4, first 2 shown]
	s_add_co_i32 s10, s14, s13
	s_add_co_i32 s9, s9, s11
	v_cmp_ne_u32_e64 s24, 0, v44
	s_bcnt1_i32_b32 s16, s16
	s_bcnt1_i32_b32 s19, s19
	;; [unrolled: 1-line block ×4, first 2 shown]
	s_add_co_i32 s13, s18, s17
	s_add_co_i32 s10, s10, s15
	;; [unrolled: 1-line block ×3, first 2 shown]
	s_bcnt1_i32_b32 s20, s20
	s_bcnt1_i32_b32 s23, s23
	s_add_co_i32 s14, s22, s21
	s_add_co_i32 s11, s13, s19
	s_add_nc_u64 s[98:99], s[98:99], s[28:29]
	s_add_co_i32 s28, s10, s16
	s_bcnt1_i32_b32 s24, s24
	s_add_co_i32 s13, s14, s23
	s_add_nc_u64 s[96:97], s[96:97], s[28:29]
	s_add_co_i32 s28, s11, s20
	v_mov_b64_e32 v[4:5], s[98:99]
	s_add_nc_u64 s[94:95], s[94:95], s[28:29]
	s_add_co_i32 s28, s13, s24
	v_mov_b64_e32 v[6:7], s[96:97]
	s_add_nc_u64 s[92:93], s[92:93], s[28:29]
	v_mov_b64_e32 v[8:9], s[94:95]
	v_mov_b64_e32 v[10:11], s[92:93]
	s_or_b32 s4, vcc_lo, s4
	s_delay_alu instid0(SALU_CYCLE_1)
	s_and_not1_b32 exec_lo, exec_lo, s4
	s_cbranch_execnz .LBB174_76
; %bb.77:                               ;   in Loop: Header=BB174_18 Depth=1
	s_or_b32 exec_lo, exec_lo, s4
.LBB174_78:                             ;   in Loop: Header=BB174_18 Depth=1
	s_delay_alu instid0(SALU_CYCLE_1) | instskip(SKIP_3) | instid1(VALU_DEP_1)
	s_or_b32 exec_lo, exec_lo, s65
	v_add_nc_u64_e32 v[24:25], v[24:25], v[0:1]
	s_and_b64 s[14:15], s[86:87], 0x7fffffff
	s_mov_b32 s4, exec_lo
	v_cmpx_gt_u64_e64 s[14:15], v[24:25]
	s_cbranch_execz .LBB174_82
; %bb.79:                               ;   in Loop: Header=BB174_18 Depth=1
	s_mul_i32 s9, s88, s64
	s_lshl_b32 s17, s64, 1
	v_lshl_add_u32 v26, s9, 3, v28
	s_mov_b32 s16, 0
.LBB174_80:                             ;   Parent Loop BB174_18 Depth=1
                                        ; =>  This Inner Loop Header: Depth=2
	ds_load_i16 v27, v26
	v_add_nc_u64_e32 v[24:25], v[24:25], v[2:3]
	v_add_nc_u32_e32 v26, s17, v26
	s_delay_alu instid0(VALU_DEP_2) | instskip(SKIP_2) | instid1(VALU_DEP_1)
	v_cmp_le_u64_e32 vcc_lo, s[14:15], v[24:25]
	s_wait_dscnt 0x0
	v_add_nc_u32_e32 v27, 0x8000, v27
	v_and_b32_e32 v36, v27, v34
	v_bfe_u32 v27, v27, s71, 2
	s_delay_alu instid0(VALU_DEP_2) | instskip(NEXT) | instid1(VALU_DEP_2)
	v_cmp_eq_u32_e64 s9, v36, v31
	v_cmp_eq_u32_e64 s10, 0, v27
	;; [unrolled: 1-line block ×5, first 2 shown]
	s_and_b32 s10, s9, s10
	s_delay_alu instid0(SALU_CYCLE_1) | instskip(SKIP_1) | instid1(SALU_CYCLE_1)
	v_cndmask_b32_e64 v27, 0, 1, s10
	s_and_b32 s10, s9, s11
	v_cndmask_b32_e64 v36, 0, 1, s10
	s_and_b32 s10, s9, s12
	s_and_b32 s9, s9, s13
	v_cndmask_b32_e64 v37, 0, 1, s10
	v_cndmask_b32_e64 v38, 0, 1, s9
	v_cmp_ne_u32_e64 s9, 0, v27
	v_cmp_ne_u32_e64 s10, 0, v36
	s_delay_alu instid0(VALU_DEP_4) | instskip(NEXT) | instid1(VALU_DEP_4)
	v_cmp_ne_u32_e64 s11, 0, v37
	v_cmp_ne_u32_e64 s12, 0, v38
	s_bcnt1_i32_b32 s28, s9
	s_delay_alu instid0(SALU_CYCLE_1) | instskip(SKIP_1) | instid1(SALU_CYCLE_1)
	v_add_nc_u64_e32 v[4:5], s[28:29], v[4:5]
	s_bcnt1_i32_b32 s28, s10
	v_add_nc_u64_e32 v[6:7], s[28:29], v[6:7]
	s_bcnt1_i32_b32 s28, s11
	s_delay_alu instid0(SALU_CYCLE_1)
	v_add_nc_u64_e32 v[8:9], s[28:29], v[8:9]
	s_bcnt1_i32_b32 s28, s12
	s_or_b32 s16, vcc_lo, s16
	v_add_nc_u64_e32 v[10:11], s[28:29], v[10:11]
	s_and_not1_b32 exec_lo, exec_lo, s16
	s_cbranch_execnz .LBB174_80
; %bb.81:                               ;   in Loop: Header=BB174_18 Depth=1
	s_or_b32 exec_lo, exec_lo, s16
.LBB174_82:                             ;   in Loop: Header=BB174_18 Depth=1
	s_delay_alu instid0(SALU_CYCLE_1)
	s_or_b32 exec_lo, exec_lo, s4
	s_lshl_b32 s4, s50, 7
	s_and_saveexec_b32 s9, s2
	s_cbranch_execnz .LBB174_53
	s_branch .LBB174_54
.LBB174_83:                             ;   in Loop: Header=BB174_18 Depth=1
                                        ; implicit-def: $sgpr10_sgpr11
	s_branch .LBB174_62
.LBB174_84:                             ;   in Loop: Header=BB174_18 Depth=1
	s_mov_b32 s10, 0
	s_and_not1_b32 vcc_lo, exec_lo, s68
	s_cbranch_vccnz .LBB174_87
.LBB174_85:                             ;   in Loop: Header=BB174_18 Depth=1
	s_lshl_b32 s11, s50, 10
	s_lshl_b32 s10, s10, 5
	s_delay_alu instid0(SALU_CYCLE_1)
	v_add3_u32 v2, s11, s10, v33
	s_mov_b32 s10, s103
.LBB174_86:                             ;   Parent Loop BB174_18 Depth=1
                                        ; =>  This Inner Loop Header: Depth=2
	ds_load_b64 v[6:7], v2
	v_add_nc_u32_e32 v2, 32, v2
	s_add_co_i32 s10, s10, -1
	s_delay_alu instid0(SALU_CYCLE_1)
	s_cmp_lg_u32 s10, 0
	s_wait_dscnt 0x0
	v_add_nc_u64_e32 v[4:5], v[6:7], v[4:5]
	s_cbranch_scc1 .LBB174_86
.LBB174_87:                             ;   in Loop: Header=BB174_18 Depth=1
	v_add_lshl_u32 v2, s4, v13, 3
	ds_store_b64 v2, v[4:5] offset:3072
.LBB174_88:                             ;   in Loop: Header=BB174_18 Depth=1
	s_or_b32 exec_lo, exec_lo, s9
	s_lshl_b32 s4, s4, 3
	s_wait_dscnt 0x0
	v_mov_b32_e32 v2, s4
	s_barrier_signal -1
	s_barrier_wait -1
	v_cmp_eq_u64_e64 s9, 1, v[22:23]
	ds_load_b128 v[4:7], v2 offset:3072
	ds_load_b128 v[8:11], v2 offset:3088
	s_lshl_b32 s24, 3, s71
	s_mov_b32 s89, -1
	s_not_b32 s26, s24
	s_mov_b32 s25, 0
	s_and_not1_b32 vcc_lo, exec_lo, s101
	s_mov_b32 s86, 0
	s_mov_b32 s27, 0
                                        ; implicit-def: $sgpr87
                                        ; implicit-def: $sgpr88
                                        ; implicit-def: $vgpr2
	s_wait_dscnt 0x1
	v_readfirstlane_b32 s13, v5
	v_readfirstlane_b32 s12, v4
	;; [unrolled: 1-line block ×4, first 2 shown]
	s_wait_dscnt 0x0
	v_readfirstlane_b32 s17, v9
	v_readfirstlane_b32 s16, v8
	;; [unrolled: 1-line block ×4, first 2 shown]
                                        ; implicit-def: $vgpr4_vgpr5
                                        ; implicit-def: $vgpr8
                                        ; implicit-def: $vgpr9
                                        ; implicit-def: $vgpr10
	s_cbranch_vccnz .LBB174_283
; %bb.89:                               ;   in Loop: Header=BB174_18 Depth=1
	s_cmp_eq_u64 s[12:13], 1
	v_dual_mov_b32 v8, v31 :: v_dual_mov_b32 v9, v34
	v_mov_b32_e32 v10, v35
	s_cselect_b32 s4, -1, 0
                                        ; implicit-def: $sgpr88
                                        ; implicit-def: $sgpr87
	s_delay_alu instid0(SALU_CYCLE_1)
	s_and_b32 s91, s4, s9
	s_mov_b32 s4, -1
	s_and_saveexec_b32 s27, s91
	s_cbranch_execz .LBB174_124
; %bb.90:                               ;   in Loop: Header=BB174_18 Depth=1
	ds_load_b64 v[4:5], v3 offset:5120
	s_wait_dscnt 0x0
	s_barrier_signal -1
	s_barrier_wait -1
	v_readfirstlane_b32 s10, v4
	v_readfirstlane_b32 s11, v5
	s_and_saveexec_b32 s4, s6
; %bb.91:                               ;   in Loop: Header=BB174_18 Depth=1
	ds_store_b16 v29, v3
; %bb.92:                               ;   in Loop: Header=BB174_18 Depth=1
	s_or_b32 exec_lo, exec_lo, s4
	v_and_b32_e32 v8, s26, v31
	v_or_b32_e32 v9, s24, v34
	s_mov_b32 s87, -1
	s_mov_b32 s88, 0
	s_cmp_eq_u64 s[10:11], 0
	s_mov_b32 s22, 0
	s_mov_b32 s4, -1
	s_wait_dscnt 0x0
	s_barrier_signal -1
	s_barrier_wait -1
                                        ; implicit-def: $vgpr10
	s_cbranch_scc1 .LBB174_109
; %bb.93:                               ;   in Loop: Header=BB174_18 Depth=1
	s_add_nc_u64 s[20:21], s[10:11], s[72:73]
	s_delay_alu instid0(SALU_CYCLE_1) | instskip(NEXT) | instid1(SALU_CYCLE_1)
	s_and_b64 s[22:23], s[20:21], 0xffffffff00000000
	s_cmp_lg_u64 s[22:23], 0
	s_cbranch_scc0 .LBB174_150
; %bb.94:                               ;   in Loop: Header=BB174_18 Depth=1
	s_cvt_f32_u32 s4, s56
	s_sub_nc_u64 s[40:41], 0, s[56:57]
	s_delay_alu instid0(SALU_CYCLE_2) | instskip(NEXT) | instid1(SALU_CYCLE_3)
	s_fmamk_f32 s4, s70, 0x0, s4
	v_s_rcp_f32 s4, s4
	s_delay_alu instid0(TRANS32_DEP_1) | instskip(NEXT) | instid1(SALU_CYCLE_3)
	s_mul_f32 s4, s4, 0x5f7ffffc
	s_mul_f32 s22, s4, 0x2f800000
	s_delay_alu instid0(SALU_CYCLE_3) | instskip(NEXT) | instid1(SALU_CYCLE_3)
	s_trunc_f32 s22, s22
	s_fmamk_f32 s4, s22, 0xcf800000, s4
	s_cvt_u32_f32 s23, s22
	s_delay_alu instid0(SALU_CYCLE_2) | instskip(NEXT) | instid1(SALU_CYCLE_3)
	s_cvt_u32_f32 s22, s4
	s_mul_u64 s[42:43], s[40:41], s[22:23]
	s_delay_alu instid0(SALU_CYCLE_1)
	s_mul_hi_u32 s45, s22, s43
	s_mul_i32 s44, s22, s43
	s_mul_hi_u32 s28, s22, s42
	s_mul_i32 s46, s23, s42
	s_add_nc_u64 s[44:45], s[28:29], s[44:45]
	s_mul_hi_u32 s4, s23, s42
	s_mul_hi_u32 s47, s23, s43
	s_add_co_u32 s28, s44, s46
	s_add_co_ci_u32 s28, s45, s4
	s_mul_i32 s42, s23, s43
	s_add_co_ci_u32 s43, s47, 0
	s_delay_alu instid0(SALU_CYCLE_1) | instskip(NEXT) | instid1(SALU_CYCLE_1)
	s_add_nc_u64 s[42:43], s[28:29], s[42:43]
	s_add_co_u32 s22, s22, s42
	s_cselect_b32 s4, -1, 0
	s_delay_alu instid0(SALU_CYCLE_1) | instskip(SKIP_1) | instid1(SALU_CYCLE_1)
	s_cmp_lg_u32 s4, 0
	s_add_co_ci_u32 s23, s23, s43
	s_mul_u64 s[40:41], s[40:41], s[22:23]
	s_delay_alu instid0(SALU_CYCLE_1)
	s_mul_hi_u32 s43, s22, s41
	s_mul_i32 s42, s22, s41
	s_mul_hi_u32 s28, s22, s40
	s_mul_i32 s44, s23, s40
	s_add_nc_u64 s[42:43], s[28:29], s[42:43]
	s_mul_hi_u32 s4, s23, s40
	s_mul_hi_u32 s45, s23, s41
	s_add_co_u32 s28, s42, s44
	s_add_co_ci_u32 s28, s43, s4
	s_mul_i32 s40, s23, s41
	s_add_co_ci_u32 s41, s45, 0
	s_delay_alu instid0(SALU_CYCLE_1) | instskip(NEXT) | instid1(SALU_CYCLE_1)
	s_add_nc_u64 s[40:41], s[28:29], s[40:41]
	s_add_co_u32 s4, s22, s40
	s_cselect_b32 s22, -1, 0
	s_mul_hi_u32 s28, s20, s4
	s_cmp_lg_u32 s22, 0
	s_mul_hi_u32 s42, s21, s4
	s_add_co_ci_u32 s40, s23, s41
	s_mul_i32 s4, s21, s4
	s_mul_hi_u32 s23, s20, s40
	s_mul_i32 s22, s20, s40
	s_mul_hi_u32 s41, s21, s40
	s_add_nc_u64 s[22:23], s[28:29], s[22:23]
	s_mul_i32 s40, s21, s40
	s_add_co_u32 s4, s22, s4
	s_add_co_ci_u32 s28, s23, s42
	s_add_co_ci_u32 s41, s41, 0
	s_delay_alu instid0(SALU_CYCLE_1) | instskip(NEXT) | instid1(SALU_CYCLE_1)
	s_add_nc_u64 s[22:23], s[28:29], s[40:41]
	s_and_b64 s[40:41], s[22:23], 0xffffffff00000000
	s_delay_alu instid0(SALU_CYCLE_1) | instskip(NEXT) | instid1(SALU_CYCLE_1)
	s_or_b32 s40, s40, s22
	s_mul_u64 s[22:23], s[56:57], s[40:41]
	s_delay_alu instid0(SALU_CYCLE_1) | instskip(SKIP_1) | instid1(SALU_CYCLE_1)
	s_sub_co_u32 s4, s20, s22
	s_cselect_b32 s22, -1, 0
	s_cmp_lg_u32 s22, 0
	s_sub_co_ci_u32 s22, s21, s23
	s_sub_co_u32 s23, s4, s56
	s_cselect_b32 s28, -1, 0
	s_delay_alu instid0(SALU_CYCLE_1) | instskip(SKIP_3) | instid1(SALU_CYCLE_1)
	s_cmp_lg_u32 s28, 0
	s_sub_co_ci_u32 s28, s22, 0
	s_sub_co_u32 s40, s23, s56
	s_cselect_b32 s41, -1, 0
	s_cmp_lg_u32 s41, 0
	s_sub_co_ci_u32 s41, s28, 0
	s_cmp_ge_u32 s23, s56
	s_cselect_b32 s42, -1, 0
	s_cmp_eq_u32 s28, 0
	s_cselect_b32 s42, s42, -1
	s_delay_alu instid0(SALU_CYCLE_1)
	s_cmp_lg_u32 s42, 0
	s_cselect_b32 s28, s41, s28
	s_cselect_b32 s40, s40, s23
	s_cmp_ge_u32 s4, s56
	s_cselect_b32 s23, -1, 0
	s_cmp_eq_u32 s22, 0
	s_cselect_b32 s23, s23, -1
	s_delay_alu instid0(SALU_CYCLE_1)
	s_cmp_lg_u32 s23, 0
	s_cselect_b32 s23, s28, s22
	s_cselect_b32 s22, s40, s4
	s_cbranch_execnz .LBB174_96
.LBB174_95:                             ;   in Loop: Header=BB174_18 Depth=1
	v_cvt_f32_u32_e32 v2, s56
	s_sub_co_i32 s22, 0, s56
	s_delay_alu instid0(VALU_DEP_1) | instskip(SKIP_1) | instid1(TRANS32_DEP_1)
	v_rcp_iflag_f32_e32 v2, v2
	v_nop
	v_mul_f32_e32 v2, 0x4f7ffffe, v2
	s_delay_alu instid0(VALU_DEP_1) | instskip(NEXT) | instid1(VALU_DEP_1)
	v_cvt_u32_f32_e32 v2, v2
	v_readfirstlane_b32 s4, v2
	s_mul_i32 s22, s22, s4
	s_delay_alu instid0(SALU_CYCLE_1) | instskip(NEXT) | instid1(SALU_CYCLE_1)
	s_mul_hi_u32 s22, s4, s22
	s_add_co_i32 s4, s4, s22
	s_delay_alu instid0(SALU_CYCLE_1) | instskip(NEXT) | instid1(SALU_CYCLE_1)
	s_mul_hi_u32 s4, s20, s4
	s_mul_i32 s4, s4, s56
	s_delay_alu instid0(SALU_CYCLE_1) | instskip(NEXT) | instid1(SALU_CYCLE_1)
	s_sub_co_i32 s4, s20, s4
	s_sub_co_i32 s22, s4, s56
	s_cmp_ge_u32 s4, s56
	s_cselect_b32 s4, s22, s4
	s_delay_alu instid0(SALU_CYCLE_1) | instskip(SKIP_2) | instid1(SALU_CYCLE_1)
	s_sub_co_i32 s22, s4, s56
	s_cmp_ge_u32 s4, s56
	s_cselect_b32 s28, s22, s4
	s_mov_b64 s[22:23], s[28:29]
.LBB174_96:                             ;   in Loop: Header=BB174_18 Depth=1
	s_delay_alu instid0(SALU_CYCLE_1)
	s_sub_nc_u64 s[20:21], s[20:21], s[22:23]
	s_mov_b32 s4, 0
	s_mov_b32 s22, 0
	s_mov_b32 s23, exec_lo
                                        ; implicit-def: $vgpr10
	v_cmpx_gt_u64_e64 s[20:21], v[0:1]
	s_cbranch_execz .LBB174_108
; %bb.97:                               ;   in Loop: Header=BB174_18 Depth=1
	v_mov_b64_e32 v[4:5], v[0:1]
	v_mov_b32_e32 v2, v28
                                        ; implicit-def: $sgpr28
	s_branch .LBB174_100
.LBB174_98:                             ;   in Loop: Header=BB174_100 Depth=2
	s_or_b32 exec_lo, exec_lo, s40
	s_wait_dscnt 0x0
	s_barrier_signal -1
	s_barrier_wait -1
	ds_load_b32 v6, v3 offset:3072
	s_mov_b32 s40, -1
	s_mov_b32 s41, -1
	s_wait_dscnt 0x0
	s_barrier_signal -1
	s_barrier_wait -1
	v_and_b32_e32 v7, 0xffff, v6
	s_delay_alu instid0(VALU_DEP_1)
	v_cmp_ne_u32_e32 vcc_lo, 0, v7
	s_cbranch_vccz .LBB174_103
.LBB174_99:                             ;   in Loop: Header=BB174_100 Depth=2
	s_and_b32 s40, exec_lo, s40
	s_delay_alu instid0(SALU_CYCLE_1) | instskip(SKIP_2) | instid1(SALU_CYCLE_1)
	s_or_b32 s22, s40, s22
	s_and_not1_b32 s28, s28, exec_lo
	s_and_b32 s40, s41, exec_lo
	s_or_b32 s28, s28, s40
	s_and_not1_b32 exec_lo, exec_lo, s22
	s_cbranch_execz .LBB174_107
.LBB174_100:                            ;   Parent Loop BB174_18 Depth=1
                                        ; =>  This Inner Loop Header: Depth=2
	s_mov_b32 s40, exec_lo
	s_delay_alu instid0(VALU_DEP_2)
	v_cmpx_gt_u64_e64 s[10:11], v[4:5]
	s_cbranch_execz .LBB174_98
; %bb.101:                              ;   in Loop: Header=BB174_100 Depth=2
	ds_load_u16 v6, v2
	s_wait_dscnt 0x0
	v_bfe_i32 v7, v6, 0, 16
	s_delay_alu instid0(VALU_DEP_1) | instskip(NEXT) | instid1(VALU_DEP_1)
	v_add_nc_u32_e32 v7, 0x8000, v7
	v_and_b32_e32 v7, v7, v9
	s_delay_alu instid0(VALU_DEP_1)
	v_cmp_eq_u32_e32 vcc_lo, v7, v8
	s_and_b32 exec_lo, exec_lo, vcc_lo
	s_cbranch_execz .LBB174_98
; %bb.102:                              ;   in Loop: Header=BB174_100 Depth=2
	v_perm_b32 v6, v6, 1, 0x5040100
	ds_store_b32 v3, v6 offset:3072
	s_branch .LBB174_98
.LBB174_103:                            ;   in Loop: Header=BB174_100 Depth=2
	v_add_nc_u64_e32 v[4:5], s[56:57], v[4:5]
	v_add_nc_u32_e32 v2, s69, v2
	s_mov_b32 s41, 0
	s_delay_alu instid0(VALU_DEP_2)
	v_cmp_le_u64_e32 vcc_lo, s[20:21], v[4:5]
	s_or_not1_b32 s40, vcc_lo, exec_lo
	s_branch .LBB174_99
.LBB174_104:                            ;   in Loop: Header=BB174_18 Depth=1
	s_or_b32 exec_lo, exec_lo, s11
	s_wait_dscnt 0x0
	s_barrier_signal -1
	s_barrier_wait -1
	s_and_saveexec_b32 s9, s5
	s_cbranch_execz .LBB174_106
; %bb.105:                              ;   in Loop: Header=BB174_18 Depth=1
	ds_load_b32 v4, v3 offset:5144
	s_wait_dscnt 0x0
	v_ashrrev_i32_e32 v5, 31, v4
	ds_store_b64 v3, v[4:5] offset:5120
.LBB174_106:                            ;   in Loop: Header=BB174_18 Depth=1
	s_or_b32 exec_lo, exec_lo, s9
	s_wait_dscnt 0x0
	s_barrier_signal -1
	s_mov_b32 s9, -1
	s_barrier_wait -1
	s_and_b32 vcc_lo, exec_lo, s4
	s_cbranch_vccnz .LBB174_33
	s_branch .LBB174_48
.LBB174_107:                            ;   in Loop: Header=BB174_18 Depth=1
	s_or_b32 exec_lo, exec_lo, s22
	v_lshrrev_b32_e32 v10, 16, v6
	s_and_b32 s22, s28, exec_lo
.LBB174_108:                            ;   in Loop: Header=BB174_18 Depth=1
	s_or_b32 exec_lo, exec_lo, s23
.LBB174_109:                            ;   in Loop: Header=BB174_18 Depth=1
	s_delay_alu instid0(SALU_CYCLE_1)
	s_and_b32 vcc_lo, exec_lo, s4
	s_cbranch_vccz .LBB174_123
; %bb.110:                              ;   in Loop: Header=BB174_18 Depth=1
	s_and_b64 s[10:11], s[74:75], 0xffffffff00000000
	s_delay_alu instid0(SALU_CYCLE_1)
	s_cmp_lg_u64 s[10:11], 0
	s_cbranch_scc0 .LBB174_151
; %bb.111:                              ;   in Loop: Header=BB174_18 Depth=1
	s_cvt_f32_u32 s4, s56
	s_sub_nc_u64 s[20:21], 0, s[56:57]
	s_delay_alu instid0(SALU_CYCLE_2) | instskip(NEXT) | instid1(SALU_CYCLE_3)
	s_fmamk_f32 s4, s70, 0x0, s4
	v_s_rcp_f32 s4, s4
	s_delay_alu instid0(TRANS32_DEP_1) | instskip(NEXT) | instid1(SALU_CYCLE_3)
	s_mul_f32 s4, s4, 0x5f7ffffc
	s_mul_f32 s10, s4, 0x2f800000
	s_delay_alu instid0(SALU_CYCLE_3) | instskip(NEXT) | instid1(SALU_CYCLE_3)
	s_trunc_f32 s10, s10
	s_fmamk_f32 s4, s10, 0xcf800000, s4
	s_cvt_u32_f32 s11, s10
	s_delay_alu instid0(SALU_CYCLE_2) | instskip(NEXT) | instid1(SALU_CYCLE_3)
	s_cvt_u32_f32 s10, s4
	s_mul_u64 s[40:41], s[20:21], s[10:11]
	s_delay_alu instid0(SALU_CYCLE_1)
	s_mul_hi_u32 s43, s10, s41
	s_mul_i32 s42, s10, s41
	s_mul_hi_u32 s28, s10, s40
	s_mul_i32 s23, s11, s40
	s_add_nc_u64 s[42:43], s[28:29], s[42:43]
	s_mul_hi_u32 s4, s11, s40
	s_mul_hi_u32 s44, s11, s41
	s_add_co_u32 s23, s42, s23
	s_add_co_ci_u32 s28, s43, s4
	s_mul_i32 s40, s11, s41
	s_add_co_ci_u32 s41, s44, 0
	s_delay_alu instid0(SALU_CYCLE_1) | instskip(NEXT) | instid1(SALU_CYCLE_1)
	s_add_nc_u64 s[40:41], s[28:29], s[40:41]
	s_add_co_u32 s10, s10, s40
	s_cselect_b32 s4, -1, 0
	s_delay_alu instid0(SALU_CYCLE_1) | instskip(SKIP_1) | instid1(SALU_CYCLE_1)
	s_cmp_lg_u32 s4, 0
	s_add_co_ci_u32 s11, s11, s41
	s_mul_u64 s[20:21], s[20:21], s[10:11]
	s_delay_alu instid0(SALU_CYCLE_1)
	s_mul_hi_u32 s41, s10, s21
	s_mul_i32 s40, s10, s21
	s_mul_hi_u32 s28, s10, s20
	s_mul_i32 s23, s11, s20
	s_add_nc_u64 s[40:41], s[28:29], s[40:41]
	s_mul_hi_u32 s4, s11, s20
	s_mul_hi_u32 s42, s11, s21
	s_mul_i32 s20, s11, s21
	s_add_co_u32 s21, s40, s23
	s_add_co_ci_u32 s28, s41, s4
	s_add_co_ci_u32 s21, s42, 0
	s_delay_alu instid0(SALU_CYCLE_1) | instskip(NEXT) | instid1(SALU_CYCLE_1)
	s_add_nc_u64 s[20:21], s[28:29], s[20:21]
	s_add_co_u32 s4, s10, s20
	s_cselect_b32 s10, -1, 0
	s_mul_hi_u32 s28, s74, s4
	s_cmp_lg_u32 s10, 0
	s_mul_hi_u32 s23, s75, s4
	s_add_co_ci_u32 s20, s11, s21
	s_mul_i32 s4, s75, s4
	s_mul_hi_u32 s11, s74, s20
	s_mul_i32 s10, s74, s20
	s_mul_hi_u32 s21, s75, s20
	s_add_nc_u64 s[10:11], s[28:29], s[10:11]
	s_mul_i32 s20, s75, s20
	s_add_co_u32 s4, s10, s4
	s_add_co_ci_u32 s28, s11, s23
	s_add_co_ci_u32 s21, s21, 0
	s_delay_alu instid0(SALU_CYCLE_1) | instskip(NEXT) | instid1(SALU_CYCLE_1)
	s_add_nc_u64 s[10:11], s[28:29], s[20:21]
	s_and_b64 s[20:21], s[10:11], 0xffffffff00000000
	s_delay_alu instid0(SALU_CYCLE_1) | instskip(NEXT) | instid1(SALU_CYCLE_1)
	s_or_b32 s20, s20, s10
	s_mul_u64 s[10:11], s[56:57], s[20:21]
	s_delay_alu instid0(SALU_CYCLE_1) | instskip(SKIP_1) | instid1(SALU_CYCLE_1)
	s_sub_co_u32 s4, s74, s10
	s_cselect_b32 s10, -1, 0
	s_cmp_lg_u32 s10, 0
	s_sub_co_ci_u32 s10, s75, s11
	s_sub_co_u32 s11, s4, s56
	s_cselect_b32 s20, -1, 0
	s_delay_alu instid0(SALU_CYCLE_1) | instskip(SKIP_3) | instid1(SALU_CYCLE_1)
	s_cmp_lg_u32 s20, 0
	s_sub_co_ci_u32 s20, s10, 0
	s_sub_co_u32 s21, s11, s56
	s_cselect_b32 s23, -1, 0
	s_cmp_lg_u32 s23, 0
	s_sub_co_ci_u32 s23, s20, 0
	s_cmp_ge_u32 s11, s56
	s_cselect_b32 s28, -1, 0
	s_cmp_eq_u32 s20, 0
	s_cselect_b32 s28, s28, -1
	s_delay_alu instid0(SALU_CYCLE_1)
	s_cmp_lg_u32 s28, 0
	s_cselect_b32 s20, s23, s20
	s_cselect_b32 s21, s21, s11
	s_cmp_ge_u32 s4, s56
	s_cselect_b32 s11, -1, 0
	s_cmp_eq_u32 s10, 0
	s_cselect_b32 s11, s11, -1
	s_delay_alu instid0(SALU_CYCLE_1)
	s_cmp_lg_u32 s11, 0
	s_cselect_b32 s11, s20, s10
	s_cselect_b32 s10, s21, s4
	s_cbranch_execnz .LBB174_113
.LBB174_112:                            ;   in Loop: Header=BB174_18 Depth=1
	v_cvt_f32_u32_e32 v2, s56
	s_sub_co_i32 s10, 0, s56
	s_delay_alu instid0(VALU_DEP_1) | instskip(SKIP_1) | instid1(TRANS32_DEP_1)
	v_rcp_iflag_f32_e32 v2, v2
	v_nop
	v_mul_f32_e32 v2, 0x4f7ffffe, v2
	s_delay_alu instid0(VALU_DEP_1) | instskip(NEXT) | instid1(VALU_DEP_1)
	v_cvt_u32_f32_e32 v2, v2
	v_readfirstlane_b32 s4, v2
	s_mul_i32 s10, s10, s4
	s_delay_alu instid0(SALU_CYCLE_1) | instskip(NEXT) | instid1(SALU_CYCLE_1)
	s_mul_hi_u32 s10, s4, s10
	s_add_co_i32 s4, s4, s10
	s_delay_alu instid0(SALU_CYCLE_1) | instskip(NEXT) | instid1(SALU_CYCLE_1)
	s_mul_hi_u32 s4, s74, s4
	s_mul_i32 s4, s4, s56
	s_delay_alu instid0(SALU_CYCLE_1) | instskip(NEXT) | instid1(SALU_CYCLE_1)
	s_sub_co_i32 s4, s74, s4
	s_sub_co_i32 s10, s4, s56
	s_cmp_ge_u32 s4, s56
	s_cselect_b32 s4, s10, s4
	s_delay_alu instid0(SALU_CYCLE_1) | instskip(SKIP_2) | instid1(SALU_CYCLE_1)
	s_sub_co_i32 s10, s4, s56
	s_cmp_ge_u32 s4, s56
	s_cselect_b32 s28, s10, s4
	s_mov_b64 s[10:11], s[28:29]
.LBB174_113:                            ;   in Loop: Header=BB174_18 Depth=1
	s_delay_alu instid0(SALU_CYCLE_1)
	s_sub_nc_u64 s[10:11], s[74:75], s[10:11]
	s_mov_b32 s4, exec_lo
                                        ; implicit-def: $vgpr10
	v_cmpx_gt_u64_e64 s[10:11], v[0:1]
	s_cbranch_execz .LBB174_122
; %bb.114:                              ;   in Loop: Header=BB174_18 Depth=1
	v_mov_b64_e32 v[4:5], v[0:1]
	s_mov_b32 s20, 0
                                        ; implicit-def: $sgpr21
	s_branch .LBB174_117
.LBB174_115:                            ;   in Loop: Header=BB174_117 Depth=2
	s_or_b32 exec_lo, exec_lo, s23
	s_wait_dscnt 0x0
	s_barrier_signal -1
	s_barrier_wait -1
	ds_load_b32 v2, v3 offset:3072
	s_mov_b32 s28, -1
	s_mov_b32 s23, -1
	s_wait_dscnt 0x0
	s_barrier_signal -1
	s_barrier_wait -1
	v_and_b32_e32 v6, 0xffff, v2
	s_delay_alu instid0(VALU_DEP_1)
	v_cmp_ne_u32_e32 vcc_lo, 0, v6
	s_cbranch_vccz .LBB174_120
.LBB174_116:                            ;   in Loop: Header=BB174_117 Depth=2
	s_and_b32 s28, exec_lo, s28
	s_delay_alu instid0(SALU_CYCLE_1) | instskip(SKIP_2) | instid1(SALU_CYCLE_1)
	s_or_b32 s20, s28, s20
	s_and_not1_b32 s21, s21, exec_lo
	s_and_b32 s23, s23, exec_lo
	s_or_b32 s21, s21, s23
	s_and_not1_b32 exec_lo, exec_lo, s20
	s_cbranch_execz .LBB174_121
.LBB174_117:                            ;   Parent Loop BB174_18 Depth=1
                                        ; =>  This Inner Loop Header: Depth=2
	s_mov_b32 s23, exec_lo
	s_delay_alu instid0(VALU_DEP_1)
	v_cmpx_gt_u64_e64 s[36:37], v[4:5]
	s_cbranch_execz .LBB174_115
; %bb.118:                              ;   in Loop: Header=BB174_117 Depth=2
	v_mul_u64_e32 v[6:7], s[30:31], v[4:5]
	s_delay_alu instid0(VALU_DEP_1) | instskip(SKIP_3) | instid1(VALU_DEP_1)
	v_lshl_add_u64 v[6:7], v[6:7], 1, s[34:35]
	global_load_u16 v2, v[6:7], off
	s_wait_loadcnt 0x0
	v_bfe_i32 v6, v2, 0, 16
	v_add_nc_u32_e32 v6, 0x8000, v6
	s_delay_alu instid0(VALU_DEP_1) | instskip(NEXT) | instid1(VALU_DEP_1)
	v_and_b32_e32 v6, v6, v9
	v_cmp_eq_u32_e32 vcc_lo, v6, v8
	s_and_b32 exec_lo, exec_lo, vcc_lo
	s_cbranch_execz .LBB174_115
; %bb.119:                              ;   in Loop: Header=BB174_117 Depth=2
	v_perm_b32 v2, v2, 1, 0x5040100
	ds_store_b32 v3, v2 offset:3072
	s_branch .LBB174_115
.LBB174_120:                            ;   in Loop: Header=BB174_117 Depth=2
	v_add_nc_u64_e32 v[4:5], s[56:57], v[4:5]
	s_mov_b32 s23, 0
	s_delay_alu instid0(VALU_DEP_1)
	v_cmp_le_u64_e32 vcc_lo, s[10:11], v[4:5]
	s_or_not1_b32 s28, vcc_lo, exec_lo
	s_branch .LBB174_116
.LBB174_121:                            ;   in Loop: Header=BB174_18 Depth=1
	s_or_b32 exec_lo, exec_lo, s20
	v_lshrrev_b32_e32 v10, 16, v2
	s_and_not1_b32 s10, s22, exec_lo
	s_and_b32 s11, s21, exec_lo
	s_delay_alu instid0(SALU_CYCLE_1)
	s_or_b32 s22, s10, s11
.LBB174_122:                            ;   in Loop: Header=BB174_18 Depth=1
	s_or_b32 exec_lo, exec_lo, s4
	s_mov_b32 s87, 0
	s_mov_b32 s88, -1
.LBB174_123:                            ;   in Loop: Header=BB174_18 Depth=1
	s_or_not1_b32 s4, s22, exec_lo
.LBB174_124:                            ;   in Loop: Header=BB174_18 Depth=1
	s_or_b32 exec_lo, exec_lo, s27
	s_mov_b32 s89, 0
	s_mov_b32 s86, 0
	;; [unrolled: 1-line block ×3, first 2 shown]
                                        ; implicit-def: $vgpr4_vgpr5
                                        ; implicit-def: $vgpr2
	s_and_saveexec_b32 s90, s4
	s_cbranch_execz .LBB174_282
; %bb.125:                              ;   in Loop: Header=BB174_18 Depth=1
	v_mov_b64_e32 v[4:5], 1
	v_mov_b32_e32 v2, 1
	s_xor_b32 s11, s91, -1
	s_mov_b32 s10, 0
	s_and_saveexec_b32 s4, s11
	s_cbranch_execz .LBB174_134
; %bb.126:                              ;   in Loop: Header=BB174_18 Depth=1
	s_mov_b32 s10, exec_lo
	v_cmpx_ge_u64_e64 s[12:13], v[22:23]
	s_xor_b32 s10, exec_lo, s10
	s_cbranch_execz .LBB174_131
; %bb.127:                              ;   in Loop: Header=BB174_18 Depth=1
	ds_load_b64 v[4:5], v3 offset:5120
	v_and_b32_e32 v8, s26, v8
	v_or_b32_e32 v9, s24, v9
	s_wait_dscnt 0x0
	v_cmp_ne_u64_e32 vcc_lo, 0, v[4:5]
	s_cbranch_vccnz .LBB174_131
; %bb.128:                              ;   in Loop: Header=BB174_18 Depth=1
	s_and_saveexec_b32 s11, s5
; %bb.129:                              ;   in Loop: Header=BB174_18 Depth=1
	v_mov_b64_e32 v[4:5], s[12:13]
	ds_store_b64 v3, v[4:5] offset:5128
; %bb.130:                              ;   in Loop: Header=BB174_18 Depth=1
	s_or_b32 exec_lo, exec_lo, s11
	s_wait_dscnt 0x0
	s_barrier_signal -1
	s_barrier_wait -1
.LBB174_131:                            ;   in Loop: Header=BB174_18 Depth=1
	s_or_saveexec_b32 s10, s10
	v_mov_b64_e32 v[4:5], v[22:23]
	v_mov_b32_e32 v2, 8
	s_mov_b32 s11, 0
	s_xor_b32 exec_lo, exec_lo, s10
; %bb.132:                              ;   in Loop: Header=BB174_18 Depth=1
	v_sub_nc_u64_e64 v[4:5], v[22:23], s[12:13]
	v_mov_b32_e32 v2, 0
	s_mov_b32 s11, exec_lo
; %bb.133:                              ;   in Loop: Header=BB174_18 Depth=1
	s_or_b32 exec_lo, exec_lo, s10
	s_delay_alu instid0(SALU_CYCLE_1)
	s_and_b32 s10, s11, exec_lo
.LBB174_134:                            ;   in Loop: Header=BB174_18 Depth=1
	s_or_b32 exec_lo, exec_lo, s4
	s_mov_b32 s4, -1
                                        ; implicit-def: $sgpr86
                                        ; implicit-def: $sgpr91
	s_and_saveexec_b32 s11, s10
	s_delay_alu instid0(SALU_CYCLE_1)
	s_xor_b32 s27, exec_lo, s11
	s_cbranch_execz .LBB174_279
; %bb.135:                              ;   in Loop: Header=BB174_18 Depth=1
	v_cmp_eq_u64_e32 vcc_lo, 1, v[4:5]
	s_cmp_eq_u64 s[14:15], 1
                                        ; implicit-def: $sgpr91
                                        ; implicit-def: $sgpr86
	s_cselect_b32 s4, -1, 0
	s_delay_alu instid0(SALU_CYCLE_1)
	s_and_b32 s93, s4, vcc_lo
	s_mov_b32 s4, -1
	s_and_saveexec_b32 s92, s93
	s_cbranch_execz .LBB174_169
; %bb.136:                              ;   in Loop: Header=BB174_18 Depth=1
	ds_load_b64 v[6:7], v3 offset:5120
	s_wait_dscnt 0x0
	s_barrier_signal -1
	s_barrier_wait -1
	v_readfirstlane_b32 s10, v6
	v_readfirstlane_b32 s11, v7
	s_and_saveexec_b32 s4, s6
; %bb.137:                              ;   in Loop: Header=BB174_18 Depth=1
	ds_store_b16 v29, v3
; %bb.138:                              ;   in Loop: Header=BB174_18 Depth=1
	s_or_b32 exec_lo, exec_lo, s4
	s_lshl_b32 s4, 1, s71
	v_or_b32_e32 v9, s24, v9
	v_and_or_b32 v8, v8, s26, s4
	s_mov_b32 s86, -1
	s_mov_b32 s91, 0
	s_cmp_eq_u64 s[10:11], 0
	s_mov_b32 s22, 0
	s_mov_b32 s4, -1
	s_wait_dscnt 0x0
	s_barrier_signal -1
	s_barrier_wait -1
                                        ; implicit-def: $vgpr10
	s_cbranch_scc1 .LBB174_154
; %bb.139:                              ;   in Loop: Header=BB174_18 Depth=1
	s_add_nc_u64 s[20:21], s[10:11], s[72:73]
	s_delay_alu instid0(SALU_CYCLE_1) | instskip(NEXT) | instid1(SALU_CYCLE_1)
	s_and_b64 s[22:23], s[20:21], 0xffffffff00000000
	s_cmp_lg_u64 s[22:23], 0
	s_cbranch_scc0 .LBB174_195
; %bb.140:                              ;   in Loop: Header=BB174_18 Depth=1
	s_cvt_f32_u32 s4, s56
	s_sub_nc_u64 s[40:41], 0, s[56:57]
	s_delay_alu instid0(SALU_CYCLE_2) | instskip(NEXT) | instid1(SALU_CYCLE_3)
	s_fmamk_f32 s4, s70, 0x0, s4
	v_s_rcp_f32 s4, s4
	s_delay_alu instid0(TRANS32_DEP_1) | instskip(NEXT) | instid1(SALU_CYCLE_3)
	s_mul_f32 s4, s4, 0x5f7ffffc
	s_mul_f32 s22, s4, 0x2f800000
	s_delay_alu instid0(SALU_CYCLE_3) | instskip(NEXT) | instid1(SALU_CYCLE_3)
	s_trunc_f32 s22, s22
	s_fmamk_f32 s4, s22, 0xcf800000, s4
	s_cvt_u32_f32 s23, s22
	s_delay_alu instid0(SALU_CYCLE_2) | instskip(NEXT) | instid1(SALU_CYCLE_3)
	s_cvt_u32_f32 s22, s4
	s_mul_u64 s[42:43], s[40:41], s[22:23]
	s_delay_alu instid0(SALU_CYCLE_1)
	s_mul_hi_u32 s65, s22, s43
	s_mul_i32 s64, s22, s43
	s_mul_hi_u32 s28, s22, s42
	s_mul_i32 s44, s23, s42
	s_add_nc_u64 s[64:65], s[28:29], s[64:65]
	s_mul_hi_u32 s4, s23, s42
	s_mul_hi_u32 s45, s23, s43
	s_add_co_u32 s28, s64, s44
	s_add_co_ci_u32 s28, s65, s4
	s_mul_i32 s42, s23, s43
	s_add_co_ci_u32 s43, s45, 0
	s_delay_alu instid0(SALU_CYCLE_1) | instskip(NEXT) | instid1(SALU_CYCLE_1)
	s_add_nc_u64 s[42:43], s[28:29], s[42:43]
	s_add_co_u32 s22, s22, s42
	s_cselect_b32 s4, -1, 0
	s_delay_alu instid0(SALU_CYCLE_1) | instskip(SKIP_1) | instid1(SALU_CYCLE_1)
	s_cmp_lg_u32 s4, 0
	s_add_co_ci_u32 s23, s23, s43
	s_mul_u64 s[40:41], s[40:41], s[22:23]
	s_delay_alu instid0(SALU_CYCLE_1)
	s_mul_hi_u32 s43, s22, s41
	s_mul_i32 s42, s22, s41
	s_mul_hi_u32 s28, s22, s40
	s_mul_i32 s44, s23, s40
	s_add_nc_u64 s[42:43], s[28:29], s[42:43]
	s_mul_hi_u32 s4, s23, s40
	s_mul_hi_u32 s45, s23, s41
	s_add_co_u32 s28, s42, s44
	s_add_co_ci_u32 s28, s43, s4
	s_mul_i32 s40, s23, s41
	s_add_co_ci_u32 s41, s45, 0
	s_delay_alu instid0(SALU_CYCLE_1) | instskip(NEXT) | instid1(SALU_CYCLE_1)
	s_add_nc_u64 s[40:41], s[28:29], s[40:41]
	s_add_co_u32 s4, s22, s40
	s_cselect_b32 s22, -1, 0
	s_mul_hi_u32 s28, s20, s4
	s_cmp_lg_u32 s22, 0
	s_mul_hi_u32 s42, s21, s4
	s_add_co_ci_u32 s40, s23, s41
	s_mul_i32 s4, s21, s4
	s_mul_hi_u32 s23, s20, s40
	s_mul_i32 s22, s20, s40
	s_mul_hi_u32 s41, s21, s40
	s_add_nc_u64 s[22:23], s[28:29], s[22:23]
	s_mul_i32 s40, s21, s40
	s_add_co_u32 s4, s22, s4
	s_add_co_ci_u32 s28, s23, s42
	s_add_co_ci_u32 s41, s41, 0
	s_delay_alu instid0(SALU_CYCLE_1) | instskip(NEXT) | instid1(SALU_CYCLE_1)
	s_add_nc_u64 s[22:23], s[28:29], s[40:41]
	s_and_b64 s[40:41], s[22:23], 0xffffffff00000000
	s_delay_alu instid0(SALU_CYCLE_1) | instskip(NEXT) | instid1(SALU_CYCLE_1)
	s_or_b32 s40, s40, s22
	s_mul_u64 s[22:23], s[56:57], s[40:41]
	s_delay_alu instid0(SALU_CYCLE_1) | instskip(SKIP_1) | instid1(SALU_CYCLE_1)
	s_sub_co_u32 s4, s20, s22
	s_cselect_b32 s22, -1, 0
	s_cmp_lg_u32 s22, 0
	s_sub_co_ci_u32 s22, s21, s23
	s_sub_co_u32 s23, s4, s56
	s_cselect_b32 s28, -1, 0
	s_delay_alu instid0(SALU_CYCLE_1) | instskip(SKIP_3) | instid1(SALU_CYCLE_1)
	s_cmp_lg_u32 s28, 0
	s_sub_co_ci_u32 s28, s22, 0
	s_sub_co_u32 s40, s23, s56
	s_cselect_b32 s41, -1, 0
	s_cmp_lg_u32 s41, 0
	s_sub_co_ci_u32 s41, s28, 0
	s_cmp_ge_u32 s23, s56
	s_cselect_b32 s42, -1, 0
	s_cmp_eq_u32 s28, 0
	s_cselect_b32 s42, s42, -1
	s_delay_alu instid0(SALU_CYCLE_1)
	s_cmp_lg_u32 s42, 0
	s_cselect_b32 s28, s41, s28
	s_cselect_b32 s40, s40, s23
	s_cmp_ge_u32 s4, s56
	s_cselect_b32 s23, -1, 0
	s_cmp_eq_u32 s22, 0
	s_cselect_b32 s23, s23, -1
	s_delay_alu instid0(SALU_CYCLE_1)
	s_cmp_lg_u32 s23, 0
	s_cselect_b32 s23, s28, s22
	s_cselect_b32 s22, s40, s4
	s_cbranch_execnz .LBB174_142
.LBB174_141:                            ;   in Loop: Header=BB174_18 Depth=1
	v_cvt_f32_u32_e32 v6, s56
	s_sub_co_i32 s22, 0, s56
	s_delay_alu instid0(VALU_DEP_1) | instskip(SKIP_1) | instid1(TRANS32_DEP_1)
	v_rcp_iflag_f32_e32 v6, v6
	v_nop
	v_mul_f32_e32 v6, 0x4f7ffffe, v6
	s_delay_alu instid0(VALU_DEP_1) | instskip(NEXT) | instid1(VALU_DEP_1)
	v_cvt_u32_f32_e32 v6, v6
	v_readfirstlane_b32 s4, v6
	s_mul_i32 s22, s22, s4
	s_delay_alu instid0(SALU_CYCLE_1) | instskip(NEXT) | instid1(SALU_CYCLE_1)
	s_mul_hi_u32 s22, s4, s22
	s_add_co_i32 s4, s4, s22
	s_delay_alu instid0(SALU_CYCLE_1) | instskip(NEXT) | instid1(SALU_CYCLE_1)
	s_mul_hi_u32 s4, s20, s4
	s_mul_i32 s4, s4, s56
	s_delay_alu instid0(SALU_CYCLE_1) | instskip(NEXT) | instid1(SALU_CYCLE_1)
	s_sub_co_i32 s4, s20, s4
	s_sub_co_i32 s22, s4, s56
	s_cmp_ge_u32 s4, s56
	s_cselect_b32 s4, s22, s4
	s_delay_alu instid0(SALU_CYCLE_1) | instskip(SKIP_2) | instid1(SALU_CYCLE_1)
	s_sub_co_i32 s22, s4, s56
	s_cmp_ge_u32 s4, s56
	s_cselect_b32 s28, s22, s4
	s_mov_b64 s[22:23], s[28:29]
.LBB174_142:                            ;   in Loop: Header=BB174_18 Depth=1
	s_delay_alu instid0(SALU_CYCLE_1)
	s_sub_nc_u64 s[20:21], s[20:21], s[22:23]
	s_mov_b32 s4, 0
	s_mov_b32 s22, 0
	s_mov_b32 s23, exec_lo
                                        ; implicit-def: $vgpr10
	v_cmpx_gt_u64_e64 s[20:21], v[0:1]
	s_cbranch_execz .LBB174_153
; %bb.143:                              ;   in Loop: Header=BB174_18 Depth=1
	v_mov_b64_e32 v[6:7], v[0:1]
	v_mov_b32_e32 v10, v28
                                        ; implicit-def: $sgpr28
	s_branch .LBB174_146
.LBB174_144:                            ;   in Loop: Header=BB174_146 Depth=2
	s_or_b32 exec_lo, exec_lo, s64
	s_wait_dscnt 0x0
	s_barrier_signal -1
	s_barrier_wait -1
	ds_load_b32 v11, v3 offset:3072
	s_mov_b32 s40, -1
	s_mov_b32 s41, -1
	s_wait_dscnt 0x0
	s_barrier_signal -1
	s_barrier_wait -1
	v_and_b32_e32 v24, 0xffff, v11
	s_delay_alu instid0(VALU_DEP_1)
	v_cmp_ne_u32_e32 vcc_lo, 0, v24
	s_cbranch_vccz .LBB174_149
.LBB174_145:                            ;   in Loop: Header=BB174_146 Depth=2
	s_and_b32 s40, exec_lo, s40
	s_delay_alu instid0(SALU_CYCLE_1) | instskip(SKIP_2) | instid1(SALU_CYCLE_1)
	s_or_b32 s22, s40, s22
	s_and_not1_b32 s28, s28, exec_lo
	s_and_b32 s40, s41, exec_lo
	s_or_b32 s28, s28, s40
	s_and_not1_b32 exec_lo, exec_lo, s22
	s_cbranch_execz .LBB174_152
.LBB174_146:                            ;   Parent Loop BB174_18 Depth=1
                                        ; =>  This Inner Loop Header: Depth=2
	s_mov_b32 s64, exec_lo
	s_delay_alu instid0(VALU_DEP_2)
	v_cmpx_gt_u64_e64 s[10:11], v[6:7]
	s_cbranch_execz .LBB174_144
; %bb.147:                              ;   in Loop: Header=BB174_146 Depth=2
	ds_load_u16 v11, v10
	s_wait_dscnt 0x0
	v_bfe_i32 v24, v11, 0, 16
	s_delay_alu instid0(VALU_DEP_1) | instskip(NEXT) | instid1(VALU_DEP_1)
	v_add_nc_u32_e32 v24, 0x8000, v24
	v_and_b32_e32 v24, v24, v9
	s_delay_alu instid0(VALU_DEP_1)
	v_cmp_eq_u32_e32 vcc_lo, v24, v8
	s_and_b32 exec_lo, exec_lo, vcc_lo
	s_cbranch_execz .LBB174_144
; %bb.148:                              ;   in Loop: Header=BB174_146 Depth=2
	v_perm_b32 v11, v11, 1, 0x5040100
	ds_store_b32 v3, v11 offset:3072
	s_branch .LBB174_144
.LBB174_149:                            ;   in Loop: Header=BB174_146 Depth=2
	v_add_nc_u64_e32 v[6:7], s[56:57], v[6:7]
	v_add_nc_u32_e32 v10, s69, v10
	s_mov_b32 s41, 0
	s_delay_alu instid0(VALU_DEP_2)
	v_cmp_le_u64_e32 vcc_lo, s[20:21], v[6:7]
	s_or_not1_b32 s40, vcc_lo, exec_lo
	s_branch .LBB174_145
.LBB174_150:                            ;   in Loop: Header=BB174_18 Depth=1
                                        ; implicit-def: $sgpr22_sgpr23
	s_and_not1_b32 vcc_lo, exec_lo, s4
	s_cbranch_vccz .LBB174_95
	s_branch .LBB174_96
.LBB174_151:                            ;   in Loop: Header=BB174_18 Depth=1
                                        ; implicit-def: $sgpr10_sgpr11
	s_branch .LBB174_112
.LBB174_152:                            ;   in Loop: Header=BB174_18 Depth=1
	s_or_b32 exec_lo, exec_lo, s22
	v_lshrrev_b32_e32 v10, 16, v11
	s_and_b32 s22, s28, exec_lo
.LBB174_153:                            ;   in Loop: Header=BB174_18 Depth=1
	s_or_b32 exec_lo, exec_lo, s23
.LBB174_154:                            ;   in Loop: Header=BB174_18 Depth=1
	s_delay_alu instid0(SALU_CYCLE_1)
	s_and_b32 vcc_lo, exec_lo, s4
	s_cbranch_vccz .LBB174_168
; %bb.155:                              ;   in Loop: Header=BB174_18 Depth=1
	s_and_b64 s[10:11], s[74:75], 0xffffffff00000000
	s_delay_alu instid0(SALU_CYCLE_1)
	s_cmp_lg_u64 s[10:11], 0
	s_cbranch_scc0 .LBB174_196
; %bb.156:                              ;   in Loop: Header=BB174_18 Depth=1
	s_cvt_f32_u32 s4, s56
	s_sub_nc_u64 s[20:21], 0, s[56:57]
	s_delay_alu instid0(SALU_CYCLE_2) | instskip(NEXT) | instid1(SALU_CYCLE_3)
	s_fmamk_f32 s4, s70, 0x0, s4
	v_s_rcp_f32 s4, s4
	s_delay_alu instid0(TRANS32_DEP_1) | instskip(NEXT) | instid1(SALU_CYCLE_3)
	s_mul_f32 s4, s4, 0x5f7ffffc
	s_mul_f32 s10, s4, 0x2f800000
	s_delay_alu instid0(SALU_CYCLE_3) | instskip(NEXT) | instid1(SALU_CYCLE_3)
	s_trunc_f32 s10, s10
	s_fmamk_f32 s4, s10, 0xcf800000, s4
	s_cvt_u32_f32 s11, s10
	s_delay_alu instid0(SALU_CYCLE_2) | instskip(NEXT) | instid1(SALU_CYCLE_3)
	s_cvt_u32_f32 s10, s4
	s_mul_u64 s[40:41], s[20:21], s[10:11]
	s_delay_alu instid0(SALU_CYCLE_1)
	s_mul_hi_u32 s43, s10, s41
	s_mul_i32 s42, s10, s41
	s_mul_hi_u32 s28, s10, s40
	s_mul_i32 s23, s11, s40
	s_add_nc_u64 s[42:43], s[28:29], s[42:43]
	s_mul_hi_u32 s4, s11, s40
	s_mul_hi_u32 s44, s11, s41
	s_add_co_u32 s23, s42, s23
	s_add_co_ci_u32 s28, s43, s4
	s_mul_i32 s40, s11, s41
	s_add_co_ci_u32 s41, s44, 0
	s_delay_alu instid0(SALU_CYCLE_1) | instskip(NEXT) | instid1(SALU_CYCLE_1)
	s_add_nc_u64 s[40:41], s[28:29], s[40:41]
	s_add_co_u32 s10, s10, s40
	s_cselect_b32 s4, -1, 0
	s_delay_alu instid0(SALU_CYCLE_1) | instskip(SKIP_1) | instid1(SALU_CYCLE_1)
	s_cmp_lg_u32 s4, 0
	s_add_co_ci_u32 s11, s11, s41
	s_mul_u64 s[20:21], s[20:21], s[10:11]
	s_delay_alu instid0(SALU_CYCLE_1)
	s_mul_hi_u32 s41, s10, s21
	s_mul_i32 s40, s10, s21
	s_mul_hi_u32 s28, s10, s20
	s_mul_i32 s23, s11, s20
	s_add_nc_u64 s[40:41], s[28:29], s[40:41]
	s_mul_hi_u32 s4, s11, s20
	s_mul_hi_u32 s42, s11, s21
	s_mul_i32 s20, s11, s21
	s_add_co_u32 s21, s40, s23
	s_add_co_ci_u32 s28, s41, s4
	s_add_co_ci_u32 s21, s42, 0
	s_delay_alu instid0(SALU_CYCLE_1) | instskip(NEXT) | instid1(SALU_CYCLE_1)
	s_add_nc_u64 s[20:21], s[28:29], s[20:21]
	s_add_co_u32 s4, s10, s20
	s_cselect_b32 s10, -1, 0
	s_mul_hi_u32 s28, s74, s4
	s_cmp_lg_u32 s10, 0
	s_mul_hi_u32 s23, s75, s4
	s_add_co_ci_u32 s20, s11, s21
	s_mul_i32 s4, s75, s4
	s_mul_hi_u32 s11, s74, s20
	s_mul_i32 s10, s74, s20
	s_mul_hi_u32 s21, s75, s20
	s_add_nc_u64 s[10:11], s[28:29], s[10:11]
	s_mul_i32 s20, s75, s20
	s_add_co_u32 s4, s10, s4
	s_add_co_ci_u32 s28, s11, s23
	s_add_co_ci_u32 s21, s21, 0
	s_delay_alu instid0(SALU_CYCLE_1) | instskip(NEXT) | instid1(SALU_CYCLE_1)
	s_add_nc_u64 s[10:11], s[28:29], s[20:21]
	s_and_b64 s[20:21], s[10:11], 0xffffffff00000000
	s_delay_alu instid0(SALU_CYCLE_1) | instskip(NEXT) | instid1(SALU_CYCLE_1)
	s_or_b32 s20, s20, s10
	s_mul_u64 s[10:11], s[56:57], s[20:21]
	s_delay_alu instid0(SALU_CYCLE_1) | instskip(SKIP_1) | instid1(SALU_CYCLE_1)
	s_sub_co_u32 s4, s74, s10
	s_cselect_b32 s10, -1, 0
	s_cmp_lg_u32 s10, 0
	s_sub_co_ci_u32 s10, s75, s11
	s_sub_co_u32 s11, s4, s56
	s_cselect_b32 s20, -1, 0
	s_delay_alu instid0(SALU_CYCLE_1) | instskip(SKIP_3) | instid1(SALU_CYCLE_1)
	s_cmp_lg_u32 s20, 0
	s_sub_co_ci_u32 s20, s10, 0
	s_sub_co_u32 s21, s11, s56
	s_cselect_b32 s23, -1, 0
	s_cmp_lg_u32 s23, 0
	s_sub_co_ci_u32 s23, s20, 0
	s_cmp_ge_u32 s11, s56
	s_cselect_b32 s28, -1, 0
	s_cmp_eq_u32 s20, 0
	s_cselect_b32 s28, s28, -1
	s_delay_alu instid0(SALU_CYCLE_1)
	s_cmp_lg_u32 s28, 0
	s_cselect_b32 s20, s23, s20
	s_cselect_b32 s21, s21, s11
	s_cmp_ge_u32 s4, s56
	s_cselect_b32 s11, -1, 0
	s_cmp_eq_u32 s10, 0
	s_cselect_b32 s11, s11, -1
	s_delay_alu instid0(SALU_CYCLE_1)
	s_cmp_lg_u32 s11, 0
	s_cselect_b32 s11, s20, s10
	s_cselect_b32 s10, s21, s4
	s_cbranch_execnz .LBB174_158
.LBB174_157:                            ;   in Loop: Header=BB174_18 Depth=1
	v_cvt_f32_u32_e32 v6, s56
	s_sub_co_i32 s10, 0, s56
	s_delay_alu instid0(VALU_DEP_1) | instskip(SKIP_1) | instid1(TRANS32_DEP_1)
	v_rcp_iflag_f32_e32 v6, v6
	v_nop
	v_mul_f32_e32 v6, 0x4f7ffffe, v6
	s_delay_alu instid0(VALU_DEP_1) | instskip(NEXT) | instid1(VALU_DEP_1)
	v_cvt_u32_f32_e32 v6, v6
	v_readfirstlane_b32 s4, v6
	s_mul_i32 s10, s10, s4
	s_delay_alu instid0(SALU_CYCLE_1) | instskip(NEXT) | instid1(SALU_CYCLE_1)
	s_mul_hi_u32 s10, s4, s10
	s_add_co_i32 s4, s4, s10
	s_delay_alu instid0(SALU_CYCLE_1) | instskip(NEXT) | instid1(SALU_CYCLE_1)
	s_mul_hi_u32 s4, s74, s4
	s_mul_i32 s4, s4, s56
	s_delay_alu instid0(SALU_CYCLE_1) | instskip(NEXT) | instid1(SALU_CYCLE_1)
	s_sub_co_i32 s4, s74, s4
	s_sub_co_i32 s10, s4, s56
	s_cmp_ge_u32 s4, s56
	s_cselect_b32 s4, s10, s4
	s_delay_alu instid0(SALU_CYCLE_1) | instskip(SKIP_2) | instid1(SALU_CYCLE_1)
	s_sub_co_i32 s10, s4, s56
	s_cmp_ge_u32 s4, s56
	s_cselect_b32 s28, s10, s4
	s_mov_b64 s[10:11], s[28:29]
.LBB174_158:                            ;   in Loop: Header=BB174_18 Depth=1
	s_delay_alu instid0(SALU_CYCLE_1)
	s_sub_nc_u64 s[10:11], s[74:75], s[10:11]
	s_mov_b32 s4, exec_lo
                                        ; implicit-def: $vgpr10
	v_cmpx_gt_u64_e64 s[10:11], v[0:1]
	s_cbranch_execz .LBB174_167
; %bb.159:                              ;   in Loop: Header=BB174_18 Depth=1
	v_mov_b64_e32 v[6:7], v[0:1]
	s_mov_b32 s20, 0
                                        ; implicit-def: $sgpr21
	s_branch .LBB174_162
.LBB174_160:                            ;   in Loop: Header=BB174_162 Depth=2
	s_or_b32 exec_lo, exec_lo, s23
	s_wait_dscnt 0x0
	s_barrier_signal -1
	s_barrier_wait -1
	ds_load_b32 v10, v3 offset:3072
	s_mov_b32 s28, -1
	s_mov_b32 s23, -1
	s_wait_dscnt 0x0
	s_barrier_signal -1
	s_barrier_wait -1
	v_and_b32_e32 v11, 0xffff, v10
	s_delay_alu instid0(VALU_DEP_1)
	v_cmp_eq_u32_e32 vcc_lo, 0, v11
	s_cbranch_vccnz .LBB174_165
.LBB174_161:                            ;   in Loop: Header=BB174_162 Depth=2
	s_and_b32 s28, exec_lo, s28
	s_delay_alu instid0(SALU_CYCLE_1) | instskip(SKIP_2) | instid1(SALU_CYCLE_1)
	s_or_b32 s20, s28, s20
	s_and_not1_b32 s21, s21, exec_lo
	s_and_b32 s23, s23, exec_lo
	s_or_b32 s21, s21, s23
	s_and_not1_b32 exec_lo, exec_lo, s20
	s_cbranch_execz .LBB174_166
.LBB174_162:                            ;   Parent Loop BB174_18 Depth=1
                                        ; =>  This Inner Loop Header: Depth=2
	s_mov_b32 s23, exec_lo
	s_delay_alu instid0(VALU_DEP_1)
	v_cmpx_gt_u64_e64 s[36:37], v[6:7]
	s_cbranch_execz .LBB174_160
; %bb.163:                              ;   in Loop: Header=BB174_162 Depth=2
	v_mul_u64_e32 v[10:11], s[30:31], v[6:7]
	s_delay_alu instid0(VALU_DEP_1) | instskip(SKIP_3) | instid1(VALU_DEP_1)
	v_lshl_add_u64 v[10:11], v[10:11], 1, s[34:35]
	global_load_u16 v10, v[10:11], off
	s_wait_loadcnt 0x0
	v_bfe_i32 v11, v10, 0, 16
	v_add_nc_u32_e32 v11, 0x8000, v11
	s_delay_alu instid0(VALU_DEP_1) | instskip(NEXT) | instid1(VALU_DEP_1)
	v_and_b32_e32 v11, v11, v9
	v_cmp_eq_u32_e32 vcc_lo, v11, v8
	s_and_b32 exec_lo, exec_lo, vcc_lo
	s_cbranch_execz .LBB174_160
; %bb.164:                              ;   in Loop: Header=BB174_162 Depth=2
	v_perm_b32 v10, v10, 1, 0x5040100
	ds_store_b32 v3, v10 offset:3072
	s_branch .LBB174_160
.LBB174_165:                            ;   in Loop: Header=BB174_162 Depth=2
	v_add_nc_u64_e32 v[6:7], s[56:57], v[6:7]
	s_mov_b32 s23, 0
	s_delay_alu instid0(VALU_DEP_1)
	v_cmp_le_u64_e32 vcc_lo, s[10:11], v[6:7]
	s_or_not1_b32 s28, vcc_lo, exec_lo
	s_branch .LBB174_161
.LBB174_166:                            ;   in Loop: Header=BB174_18 Depth=1
	s_or_b32 exec_lo, exec_lo, s20
	v_lshrrev_b32_e32 v10, 16, v10
	s_and_not1_b32 s10, s22, exec_lo
	s_and_b32 s11, s21, exec_lo
	s_delay_alu instid0(SALU_CYCLE_1)
	s_or_b32 s22, s10, s11
.LBB174_167:                            ;   in Loop: Header=BB174_18 Depth=1
	s_or_b32 exec_lo, exec_lo, s4
	s_mov_b32 s86, 0
	s_mov_b32 s91, -1
.LBB174_168:                            ;   in Loop: Header=BB174_18 Depth=1
	s_or_not1_b32 s4, s22, exec_lo
.LBB174_169:                            ;   in Loop: Header=BB174_18 Depth=1
	s_or_b32 exec_lo, exec_lo, s92
	s_mov_b32 s10, 0
	s_and_saveexec_b32 s92, s4
	s_cbranch_execz .LBB174_278
; %bb.170:                              ;   in Loop: Header=BB174_18 Depth=1
	v_mov_b64_e32 v[6:7], 1
	v_mov_b32_e32 v2, 1
	s_xor_b32 s11, s93, -1
	s_delay_alu instid0(SALU_CYCLE_1)
	s_and_saveexec_b32 s4, s11
	s_cbranch_execz .LBB174_179
; %bb.171:                              ;   in Loop: Header=BB174_18 Depth=1
	s_mov_b32 s10, exec_lo
	v_cmpx_ge_u64_e64 s[14:15], v[4:5]
	s_xor_b32 s10, exec_lo, s10
	s_cbranch_execz .LBB174_176
; %bb.172:                              ;   in Loop: Header=BB174_18 Depth=1
	ds_load_b64 v[6:7], v3 offset:5120
	s_lshl_b32 s11, 1, s71
	v_or_b32_e32 v9, s24, v9
	v_and_or_b32 v8, v8, s26, s11
	s_wait_dscnt 0x0
	v_cmp_ne_u64_e32 vcc_lo, 0, v[6:7]
	s_cbranch_vccnz .LBB174_176
; %bb.173:                              ;   in Loop: Header=BB174_18 Depth=1
	s_and_saveexec_b32 s11, s5
; %bb.174:                              ;   in Loop: Header=BB174_18 Depth=1
	v_mov_b64_e32 v[6:7], s[14:15]
	ds_store_b64 v3, v[6:7] offset:5128
; %bb.175:                              ;   in Loop: Header=BB174_18 Depth=1
	s_or_b32 exec_lo, exec_lo, s11
	s_wait_dscnt 0x0
	s_barrier_signal -1
	s_barrier_wait -1
.LBB174_176:                            ;   in Loop: Header=BB174_18 Depth=1
	s_or_saveexec_b32 s10, s10
	v_mov_b32_e32 v2, 8
	s_mov_b32 s11, 0
	s_xor_b32 exec_lo, exec_lo, s10
; %bb.177:                              ;   in Loop: Header=BB174_18 Depth=1
	v_sub_nc_u64_e64 v[4:5], v[4:5], s[14:15]
	v_mov_b32_e32 v2, 0
	s_mov_b32 s11, exec_lo
; %bb.178:                              ;   in Loop: Header=BB174_18 Depth=1
	s_or_b32 exec_lo, exec_lo, s10
	s_delay_alu instid0(VALU_DEP_2)
	v_mov_b64_e32 v[6:7], v[4:5]
	s_and_b32 s10, s11, exec_lo
.LBB174_179:                            ;   in Loop: Header=BB174_18 Depth=1
	s_or_b32 exec_lo, exec_lo, s4
	s_mov_b32 s4, -1
                                        ; implicit-def: $sgpr94
                                        ; implicit-def: $sgpr95
	s_and_saveexec_b32 s93, s10
	s_cbranch_execz .LBB174_277
; %bb.180:                              ;   in Loop: Header=BB174_18 Depth=1
	s_delay_alu instid0(VALU_DEP_1) | instskip(SKIP_2) | instid1(SALU_CYCLE_1)
	v_cmp_eq_u64_e32 vcc_lo, 1, v[6:7]
	s_cmp_eq_u64 s[16:17], 1
                                        ; implicit-def: $sgpr95
                                        ; implicit-def: $sgpr94
	s_cselect_b32 s4, -1, 0
	s_and_b32 s97, s4, vcc_lo
	s_mov_b32 s4, -1
	s_and_saveexec_b32 s96, s97
	s_cbranch_execz .LBB174_214
; %bb.181:                              ;   in Loop: Header=BB174_18 Depth=1
	ds_load_b64 v[4:5], v3 offset:5120
	s_wait_dscnt 0x0
	s_barrier_signal -1
	s_barrier_wait -1
	v_readfirstlane_b32 s10, v4
	v_readfirstlane_b32 s11, v5
	s_and_saveexec_b32 s4, s6
; %bb.182:                              ;   in Loop: Header=BB174_18 Depth=1
	ds_store_b16 v29, v3
; %bb.183:                              ;   in Loop: Header=BB174_18 Depth=1
	s_or_b32 exec_lo, exec_lo, s4
	s_lshl_b32 s4, 2, s71
	v_or_b32_e32 v9, s24, v9
	v_and_or_b32 v8, v8, s26, s4
	s_mov_b32 s94, -1
	s_mov_b32 s95, 0
	s_cmp_eq_u64 s[10:11], 0
	s_mov_b32 s22, 0
	s_mov_b32 s4, -1
	s_wait_dscnt 0x0
	s_barrier_signal -1
	s_barrier_wait -1
                                        ; implicit-def: $vgpr10
	s_cbranch_scc1 .LBB174_199
; %bb.184:                              ;   in Loop: Header=BB174_18 Depth=1
	s_add_nc_u64 s[20:21], s[10:11], s[72:73]
	s_delay_alu instid0(SALU_CYCLE_1) | instskip(NEXT) | instid1(SALU_CYCLE_1)
	s_and_b64 s[22:23], s[20:21], 0xffffffff00000000
	s_cmp_lg_u64 s[22:23], 0
	s_cbranch_scc0 .LBB174_231
; %bb.185:                              ;   in Loop: Header=BB174_18 Depth=1
	s_cvt_f32_u32 s4, s56
	s_sub_nc_u64 s[40:41], 0, s[56:57]
	s_delay_alu instid0(SALU_CYCLE_2) | instskip(NEXT) | instid1(SALU_CYCLE_3)
	s_fmamk_f32 s4, s70, 0x0, s4
	v_s_rcp_f32 s4, s4
	s_delay_alu instid0(TRANS32_DEP_1) | instskip(NEXT) | instid1(SALU_CYCLE_3)
	s_mul_f32 s4, s4, 0x5f7ffffc
	s_mul_f32 s22, s4, 0x2f800000
	s_delay_alu instid0(SALU_CYCLE_3) | instskip(NEXT) | instid1(SALU_CYCLE_3)
	s_trunc_f32 s22, s22
	s_fmamk_f32 s4, s22, 0xcf800000, s4
	s_cvt_u32_f32 s23, s22
	s_delay_alu instid0(SALU_CYCLE_2) | instskip(NEXT) | instid1(SALU_CYCLE_3)
	s_cvt_u32_f32 s22, s4
	s_mul_u64 s[42:43], s[40:41], s[22:23]
	s_delay_alu instid0(SALU_CYCLE_1)
	s_mul_hi_u32 s65, s22, s43
	s_mul_i32 s64, s22, s43
	s_mul_hi_u32 s28, s22, s42
	s_mul_i32 s44, s23, s42
	s_add_nc_u64 s[64:65], s[28:29], s[64:65]
	s_mul_hi_u32 s4, s23, s42
	s_mul_hi_u32 s45, s23, s43
	s_add_co_u32 s28, s64, s44
	s_add_co_ci_u32 s28, s65, s4
	s_mul_i32 s42, s23, s43
	s_add_co_ci_u32 s43, s45, 0
	s_delay_alu instid0(SALU_CYCLE_1) | instskip(NEXT) | instid1(SALU_CYCLE_1)
	s_add_nc_u64 s[42:43], s[28:29], s[42:43]
	s_add_co_u32 s22, s22, s42
	s_cselect_b32 s4, -1, 0
	s_delay_alu instid0(SALU_CYCLE_1) | instskip(SKIP_1) | instid1(SALU_CYCLE_1)
	s_cmp_lg_u32 s4, 0
	s_add_co_ci_u32 s23, s23, s43
	s_mul_u64 s[40:41], s[40:41], s[22:23]
	s_delay_alu instid0(SALU_CYCLE_1)
	s_mul_hi_u32 s43, s22, s41
	s_mul_i32 s42, s22, s41
	s_mul_hi_u32 s28, s22, s40
	s_mul_i32 s44, s23, s40
	s_add_nc_u64 s[42:43], s[28:29], s[42:43]
	s_mul_hi_u32 s4, s23, s40
	s_mul_hi_u32 s45, s23, s41
	s_add_co_u32 s28, s42, s44
	s_add_co_ci_u32 s28, s43, s4
	s_mul_i32 s40, s23, s41
	s_add_co_ci_u32 s41, s45, 0
	s_delay_alu instid0(SALU_CYCLE_1) | instskip(NEXT) | instid1(SALU_CYCLE_1)
	s_add_nc_u64 s[40:41], s[28:29], s[40:41]
	s_add_co_u32 s4, s22, s40
	s_cselect_b32 s22, -1, 0
	s_mul_hi_u32 s28, s20, s4
	s_cmp_lg_u32 s22, 0
	s_mul_hi_u32 s42, s21, s4
	s_add_co_ci_u32 s40, s23, s41
	s_mul_i32 s4, s21, s4
	s_mul_hi_u32 s23, s20, s40
	s_mul_i32 s22, s20, s40
	s_mul_hi_u32 s41, s21, s40
	s_add_nc_u64 s[22:23], s[28:29], s[22:23]
	s_mul_i32 s40, s21, s40
	s_add_co_u32 s4, s22, s4
	s_add_co_ci_u32 s28, s23, s42
	s_add_co_ci_u32 s41, s41, 0
	s_delay_alu instid0(SALU_CYCLE_1) | instskip(NEXT) | instid1(SALU_CYCLE_1)
	s_add_nc_u64 s[22:23], s[28:29], s[40:41]
	s_and_b64 s[40:41], s[22:23], 0xffffffff00000000
	s_delay_alu instid0(SALU_CYCLE_1) | instskip(NEXT) | instid1(SALU_CYCLE_1)
	s_or_b32 s40, s40, s22
	s_mul_u64 s[22:23], s[56:57], s[40:41]
	s_delay_alu instid0(SALU_CYCLE_1) | instskip(SKIP_1) | instid1(SALU_CYCLE_1)
	s_sub_co_u32 s4, s20, s22
	s_cselect_b32 s22, -1, 0
	s_cmp_lg_u32 s22, 0
	s_sub_co_ci_u32 s22, s21, s23
	s_sub_co_u32 s23, s4, s56
	s_cselect_b32 s28, -1, 0
	s_delay_alu instid0(SALU_CYCLE_1) | instskip(SKIP_3) | instid1(SALU_CYCLE_1)
	s_cmp_lg_u32 s28, 0
	s_sub_co_ci_u32 s28, s22, 0
	s_sub_co_u32 s40, s23, s56
	s_cselect_b32 s41, -1, 0
	s_cmp_lg_u32 s41, 0
	s_sub_co_ci_u32 s41, s28, 0
	s_cmp_ge_u32 s23, s56
	s_cselect_b32 s42, -1, 0
	s_cmp_eq_u32 s28, 0
	s_cselect_b32 s42, s42, -1
	s_delay_alu instid0(SALU_CYCLE_1)
	s_cmp_lg_u32 s42, 0
	s_cselect_b32 s28, s41, s28
	s_cselect_b32 s40, s40, s23
	s_cmp_ge_u32 s4, s56
	s_cselect_b32 s23, -1, 0
	s_cmp_eq_u32 s22, 0
	s_cselect_b32 s23, s23, -1
	s_delay_alu instid0(SALU_CYCLE_1)
	s_cmp_lg_u32 s23, 0
	s_cselect_b32 s23, s28, s22
	s_cselect_b32 s22, s40, s4
	s_cbranch_execnz .LBB174_187
.LBB174_186:                            ;   in Loop: Header=BB174_18 Depth=1
	v_cvt_f32_u32_e32 v4, s56
	s_sub_co_i32 s22, 0, s56
	s_delay_alu instid0(VALU_DEP_1) | instskip(SKIP_1) | instid1(TRANS32_DEP_1)
	v_rcp_iflag_f32_e32 v4, v4
	v_nop
	v_mul_f32_e32 v4, 0x4f7ffffe, v4
	s_delay_alu instid0(VALU_DEP_1) | instskip(NEXT) | instid1(VALU_DEP_1)
	v_cvt_u32_f32_e32 v4, v4
	v_readfirstlane_b32 s4, v4
	s_mul_i32 s22, s22, s4
	s_delay_alu instid0(SALU_CYCLE_1) | instskip(NEXT) | instid1(SALU_CYCLE_1)
	s_mul_hi_u32 s22, s4, s22
	s_add_co_i32 s4, s4, s22
	s_delay_alu instid0(SALU_CYCLE_1) | instskip(NEXT) | instid1(SALU_CYCLE_1)
	s_mul_hi_u32 s4, s20, s4
	s_mul_i32 s4, s4, s56
	s_delay_alu instid0(SALU_CYCLE_1) | instskip(NEXT) | instid1(SALU_CYCLE_1)
	s_sub_co_i32 s4, s20, s4
	s_sub_co_i32 s22, s4, s56
	s_cmp_ge_u32 s4, s56
	s_cselect_b32 s4, s22, s4
	s_delay_alu instid0(SALU_CYCLE_1) | instskip(SKIP_2) | instid1(SALU_CYCLE_1)
	s_sub_co_i32 s22, s4, s56
	s_cmp_ge_u32 s4, s56
	s_cselect_b32 s28, s22, s4
	s_mov_b64 s[22:23], s[28:29]
.LBB174_187:                            ;   in Loop: Header=BB174_18 Depth=1
	s_delay_alu instid0(SALU_CYCLE_1)
	s_sub_nc_u64 s[20:21], s[20:21], s[22:23]
	s_mov_b32 s4, 0
	s_mov_b32 s22, 0
	s_mov_b32 s23, exec_lo
                                        ; implicit-def: $vgpr10
	v_cmpx_gt_u64_e64 s[20:21], v[0:1]
	s_cbranch_execz .LBB174_198
; %bb.188:                              ;   in Loop: Header=BB174_18 Depth=1
	v_mov_b64_e32 v[4:5], v[0:1]
	v_mov_b32_e32 v10, v28
                                        ; implicit-def: $sgpr28
	s_branch .LBB174_191
.LBB174_189:                            ;   in Loop: Header=BB174_191 Depth=2
	s_or_b32 exec_lo, exec_lo, s64
	s_wait_dscnt 0x0
	s_barrier_signal -1
	s_barrier_wait -1
	ds_load_b32 v11, v3 offset:3072
	s_mov_b32 s40, -1
	s_mov_b32 s41, -1
	s_wait_dscnt 0x0
	s_barrier_signal -1
	s_barrier_wait -1
	v_and_b32_e32 v24, 0xffff, v11
	s_delay_alu instid0(VALU_DEP_1)
	v_cmp_ne_u32_e32 vcc_lo, 0, v24
	s_cbranch_vccz .LBB174_194
.LBB174_190:                            ;   in Loop: Header=BB174_191 Depth=2
	s_and_b32 s40, exec_lo, s40
	s_delay_alu instid0(SALU_CYCLE_1) | instskip(SKIP_2) | instid1(SALU_CYCLE_1)
	s_or_b32 s22, s40, s22
	s_and_not1_b32 s28, s28, exec_lo
	s_and_b32 s40, s41, exec_lo
	s_or_b32 s28, s28, s40
	s_and_not1_b32 exec_lo, exec_lo, s22
	s_cbranch_execz .LBB174_197
.LBB174_191:                            ;   Parent Loop BB174_18 Depth=1
                                        ; =>  This Inner Loop Header: Depth=2
	s_mov_b32 s64, exec_lo
	s_delay_alu instid0(VALU_DEP_2)
	v_cmpx_gt_u64_e64 s[10:11], v[4:5]
	s_cbranch_execz .LBB174_189
; %bb.192:                              ;   in Loop: Header=BB174_191 Depth=2
	ds_load_u16 v11, v10
	s_wait_dscnt 0x0
	v_bfe_i32 v24, v11, 0, 16
	s_delay_alu instid0(VALU_DEP_1) | instskip(NEXT) | instid1(VALU_DEP_1)
	v_add_nc_u32_e32 v24, 0x8000, v24
	v_and_b32_e32 v24, v24, v9
	s_delay_alu instid0(VALU_DEP_1)
	v_cmp_eq_u32_e32 vcc_lo, v24, v8
	s_and_b32 exec_lo, exec_lo, vcc_lo
	s_cbranch_execz .LBB174_189
; %bb.193:                              ;   in Loop: Header=BB174_191 Depth=2
	v_perm_b32 v11, v11, 1, 0x5040100
	ds_store_b32 v3, v11 offset:3072
	s_branch .LBB174_189
.LBB174_194:                            ;   in Loop: Header=BB174_191 Depth=2
	v_add_nc_u64_e32 v[4:5], s[56:57], v[4:5]
	v_add_nc_u32_e32 v10, s69, v10
	s_mov_b32 s41, 0
	s_delay_alu instid0(VALU_DEP_2)
	v_cmp_le_u64_e32 vcc_lo, s[20:21], v[4:5]
	s_or_not1_b32 s40, vcc_lo, exec_lo
	s_branch .LBB174_190
.LBB174_195:                            ;   in Loop: Header=BB174_18 Depth=1
                                        ; implicit-def: $sgpr22_sgpr23
	s_and_not1_b32 vcc_lo, exec_lo, s4
	s_cbranch_vccz .LBB174_141
	s_branch .LBB174_142
.LBB174_196:                            ;   in Loop: Header=BB174_18 Depth=1
                                        ; implicit-def: $sgpr10_sgpr11
	s_branch .LBB174_157
.LBB174_197:                            ;   in Loop: Header=BB174_18 Depth=1
	s_or_b32 exec_lo, exec_lo, s22
	v_lshrrev_b32_e32 v10, 16, v11
	s_and_b32 s22, s28, exec_lo
.LBB174_198:                            ;   in Loop: Header=BB174_18 Depth=1
	s_or_b32 exec_lo, exec_lo, s23
.LBB174_199:                            ;   in Loop: Header=BB174_18 Depth=1
	s_delay_alu instid0(SALU_CYCLE_1)
	s_and_b32 vcc_lo, exec_lo, s4
	s_cbranch_vccz .LBB174_213
; %bb.200:                              ;   in Loop: Header=BB174_18 Depth=1
	s_and_b64 s[10:11], s[74:75], 0xffffffff00000000
	s_delay_alu instid0(SALU_CYCLE_1)
	s_cmp_lg_u64 s[10:11], 0
	s_cbranch_scc0 .LBB174_232
; %bb.201:                              ;   in Loop: Header=BB174_18 Depth=1
	s_cvt_f32_u32 s4, s56
	s_sub_nc_u64 s[20:21], 0, s[56:57]
	s_delay_alu instid0(SALU_CYCLE_2) | instskip(NEXT) | instid1(SALU_CYCLE_3)
	s_fmamk_f32 s4, s70, 0x0, s4
	v_s_rcp_f32 s4, s4
	s_delay_alu instid0(TRANS32_DEP_1) | instskip(NEXT) | instid1(SALU_CYCLE_3)
	s_mul_f32 s4, s4, 0x5f7ffffc
	s_mul_f32 s10, s4, 0x2f800000
	s_delay_alu instid0(SALU_CYCLE_3) | instskip(NEXT) | instid1(SALU_CYCLE_3)
	s_trunc_f32 s10, s10
	s_fmamk_f32 s4, s10, 0xcf800000, s4
	s_cvt_u32_f32 s11, s10
	s_delay_alu instid0(SALU_CYCLE_2) | instskip(NEXT) | instid1(SALU_CYCLE_3)
	s_cvt_u32_f32 s10, s4
	s_mul_u64 s[40:41], s[20:21], s[10:11]
	s_delay_alu instid0(SALU_CYCLE_1)
	s_mul_hi_u32 s43, s10, s41
	s_mul_i32 s42, s10, s41
	s_mul_hi_u32 s28, s10, s40
	s_mul_i32 s23, s11, s40
	s_add_nc_u64 s[42:43], s[28:29], s[42:43]
	s_mul_hi_u32 s4, s11, s40
	s_mul_hi_u32 s44, s11, s41
	s_add_co_u32 s23, s42, s23
	s_add_co_ci_u32 s28, s43, s4
	s_mul_i32 s40, s11, s41
	s_add_co_ci_u32 s41, s44, 0
	s_delay_alu instid0(SALU_CYCLE_1) | instskip(NEXT) | instid1(SALU_CYCLE_1)
	s_add_nc_u64 s[40:41], s[28:29], s[40:41]
	s_add_co_u32 s10, s10, s40
	s_cselect_b32 s4, -1, 0
	s_delay_alu instid0(SALU_CYCLE_1) | instskip(SKIP_1) | instid1(SALU_CYCLE_1)
	s_cmp_lg_u32 s4, 0
	s_add_co_ci_u32 s11, s11, s41
	s_mul_u64 s[20:21], s[20:21], s[10:11]
	s_delay_alu instid0(SALU_CYCLE_1)
	s_mul_hi_u32 s41, s10, s21
	s_mul_i32 s40, s10, s21
	s_mul_hi_u32 s28, s10, s20
	s_mul_i32 s23, s11, s20
	s_add_nc_u64 s[40:41], s[28:29], s[40:41]
	s_mul_hi_u32 s4, s11, s20
	s_mul_hi_u32 s42, s11, s21
	s_mul_i32 s20, s11, s21
	s_add_co_u32 s21, s40, s23
	s_add_co_ci_u32 s28, s41, s4
	s_add_co_ci_u32 s21, s42, 0
	s_delay_alu instid0(SALU_CYCLE_1) | instskip(NEXT) | instid1(SALU_CYCLE_1)
	s_add_nc_u64 s[20:21], s[28:29], s[20:21]
	s_add_co_u32 s4, s10, s20
	s_cselect_b32 s10, -1, 0
	s_mul_hi_u32 s28, s74, s4
	s_cmp_lg_u32 s10, 0
	s_mul_hi_u32 s23, s75, s4
	s_add_co_ci_u32 s20, s11, s21
	s_mul_i32 s4, s75, s4
	s_mul_hi_u32 s11, s74, s20
	s_mul_i32 s10, s74, s20
	s_mul_hi_u32 s21, s75, s20
	s_add_nc_u64 s[10:11], s[28:29], s[10:11]
	s_mul_i32 s20, s75, s20
	s_add_co_u32 s4, s10, s4
	s_add_co_ci_u32 s28, s11, s23
	s_add_co_ci_u32 s21, s21, 0
	s_delay_alu instid0(SALU_CYCLE_1) | instskip(NEXT) | instid1(SALU_CYCLE_1)
	s_add_nc_u64 s[10:11], s[28:29], s[20:21]
	s_and_b64 s[20:21], s[10:11], 0xffffffff00000000
	s_delay_alu instid0(SALU_CYCLE_1) | instskip(NEXT) | instid1(SALU_CYCLE_1)
	s_or_b32 s20, s20, s10
	s_mul_u64 s[10:11], s[56:57], s[20:21]
	s_delay_alu instid0(SALU_CYCLE_1) | instskip(SKIP_1) | instid1(SALU_CYCLE_1)
	s_sub_co_u32 s4, s74, s10
	s_cselect_b32 s10, -1, 0
	s_cmp_lg_u32 s10, 0
	s_sub_co_ci_u32 s10, s75, s11
	s_sub_co_u32 s11, s4, s56
	s_cselect_b32 s20, -1, 0
	s_delay_alu instid0(SALU_CYCLE_1) | instskip(SKIP_3) | instid1(SALU_CYCLE_1)
	s_cmp_lg_u32 s20, 0
	s_sub_co_ci_u32 s20, s10, 0
	s_sub_co_u32 s21, s11, s56
	s_cselect_b32 s23, -1, 0
	s_cmp_lg_u32 s23, 0
	s_sub_co_ci_u32 s23, s20, 0
	s_cmp_ge_u32 s11, s56
	s_cselect_b32 s28, -1, 0
	s_cmp_eq_u32 s20, 0
	s_cselect_b32 s28, s28, -1
	s_delay_alu instid0(SALU_CYCLE_1)
	s_cmp_lg_u32 s28, 0
	s_cselect_b32 s20, s23, s20
	s_cselect_b32 s21, s21, s11
	s_cmp_ge_u32 s4, s56
	s_cselect_b32 s11, -1, 0
	s_cmp_eq_u32 s10, 0
	s_cselect_b32 s11, s11, -1
	s_delay_alu instid0(SALU_CYCLE_1)
	s_cmp_lg_u32 s11, 0
	s_cselect_b32 s11, s20, s10
	s_cselect_b32 s10, s21, s4
	s_cbranch_execnz .LBB174_203
.LBB174_202:                            ;   in Loop: Header=BB174_18 Depth=1
	v_cvt_f32_u32_e32 v4, s56
	s_sub_co_i32 s10, 0, s56
	s_delay_alu instid0(VALU_DEP_1) | instskip(SKIP_1) | instid1(TRANS32_DEP_1)
	v_rcp_iflag_f32_e32 v4, v4
	v_nop
	v_mul_f32_e32 v4, 0x4f7ffffe, v4
	s_delay_alu instid0(VALU_DEP_1) | instskip(NEXT) | instid1(VALU_DEP_1)
	v_cvt_u32_f32_e32 v4, v4
	v_readfirstlane_b32 s4, v4
	s_mul_i32 s10, s10, s4
	s_delay_alu instid0(SALU_CYCLE_1) | instskip(NEXT) | instid1(SALU_CYCLE_1)
	s_mul_hi_u32 s10, s4, s10
	s_add_co_i32 s4, s4, s10
	s_delay_alu instid0(SALU_CYCLE_1) | instskip(NEXT) | instid1(SALU_CYCLE_1)
	s_mul_hi_u32 s4, s74, s4
	s_mul_i32 s4, s4, s56
	s_delay_alu instid0(SALU_CYCLE_1) | instskip(NEXT) | instid1(SALU_CYCLE_1)
	s_sub_co_i32 s4, s74, s4
	s_sub_co_i32 s10, s4, s56
	s_cmp_ge_u32 s4, s56
	s_cselect_b32 s4, s10, s4
	s_delay_alu instid0(SALU_CYCLE_1) | instskip(SKIP_2) | instid1(SALU_CYCLE_1)
	s_sub_co_i32 s10, s4, s56
	s_cmp_ge_u32 s4, s56
	s_cselect_b32 s28, s10, s4
	s_mov_b64 s[10:11], s[28:29]
.LBB174_203:                            ;   in Loop: Header=BB174_18 Depth=1
	s_delay_alu instid0(SALU_CYCLE_1)
	s_sub_nc_u64 s[10:11], s[74:75], s[10:11]
	s_mov_b32 s4, exec_lo
                                        ; implicit-def: $vgpr10
	v_cmpx_gt_u64_e64 s[10:11], v[0:1]
	s_cbranch_execz .LBB174_212
; %bb.204:                              ;   in Loop: Header=BB174_18 Depth=1
	v_mov_b64_e32 v[4:5], v[0:1]
	s_mov_b32 s20, 0
                                        ; implicit-def: $sgpr21
	s_branch .LBB174_207
.LBB174_205:                            ;   in Loop: Header=BB174_207 Depth=2
	s_or_b32 exec_lo, exec_lo, s23
	s_wait_dscnt 0x0
	s_barrier_signal -1
	s_barrier_wait -1
	ds_load_b32 v10, v3 offset:3072
	s_mov_b32 s28, -1
	s_mov_b32 s23, -1
	s_wait_dscnt 0x0
	s_barrier_signal -1
	s_barrier_wait -1
	v_and_b32_e32 v11, 0xffff, v10
	s_delay_alu instid0(VALU_DEP_1)
	v_cmp_eq_u32_e32 vcc_lo, 0, v11
	s_cbranch_vccnz .LBB174_210
.LBB174_206:                            ;   in Loop: Header=BB174_207 Depth=2
	s_and_b32 s28, exec_lo, s28
	s_delay_alu instid0(SALU_CYCLE_1) | instskip(SKIP_2) | instid1(SALU_CYCLE_1)
	s_or_b32 s20, s28, s20
	s_and_not1_b32 s21, s21, exec_lo
	s_and_b32 s23, s23, exec_lo
	s_or_b32 s21, s21, s23
	s_and_not1_b32 exec_lo, exec_lo, s20
	s_cbranch_execz .LBB174_211
.LBB174_207:                            ;   Parent Loop BB174_18 Depth=1
                                        ; =>  This Inner Loop Header: Depth=2
	s_mov_b32 s23, exec_lo
	s_delay_alu instid0(VALU_DEP_1)
	v_cmpx_gt_u64_e64 s[36:37], v[4:5]
	s_cbranch_execz .LBB174_205
; %bb.208:                              ;   in Loop: Header=BB174_207 Depth=2
	v_mul_u64_e32 v[10:11], s[30:31], v[4:5]
	s_delay_alu instid0(VALU_DEP_1) | instskip(SKIP_3) | instid1(VALU_DEP_1)
	v_lshl_add_u64 v[10:11], v[10:11], 1, s[34:35]
	global_load_u16 v10, v[10:11], off
	s_wait_loadcnt 0x0
	v_bfe_i32 v11, v10, 0, 16
	v_add_nc_u32_e32 v11, 0x8000, v11
	s_delay_alu instid0(VALU_DEP_1) | instskip(NEXT) | instid1(VALU_DEP_1)
	v_and_b32_e32 v11, v11, v9
	v_cmp_eq_u32_e32 vcc_lo, v11, v8
	s_and_b32 exec_lo, exec_lo, vcc_lo
	s_cbranch_execz .LBB174_205
; %bb.209:                              ;   in Loop: Header=BB174_207 Depth=2
	v_perm_b32 v10, v10, 1, 0x5040100
	ds_store_b32 v3, v10 offset:3072
	s_branch .LBB174_205
.LBB174_210:                            ;   in Loop: Header=BB174_207 Depth=2
	v_add_nc_u64_e32 v[4:5], s[56:57], v[4:5]
	s_mov_b32 s23, 0
	s_delay_alu instid0(VALU_DEP_1)
	v_cmp_le_u64_e32 vcc_lo, s[10:11], v[4:5]
	s_or_not1_b32 s28, vcc_lo, exec_lo
	s_branch .LBB174_206
.LBB174_211:                            ;   in Loop: Header=BB174_18 Depth=1
	s_or_b32 exec_lo, exec_lo, s20
	v_lshrrev_b32_e32 v10, 16, v10
	s_and_not1_b32 s10, s22, exec_lo
	s_and_b32 s11, s21, exec_lo
	s_delay_alu instid0(SALU_CYCLE_1)
	s_or_b32 s22, s10, s11
.LBB174_212:                            ;   in Loop: Header=BB174_18 Depth=1
	s_or_b32 exec_lo, exec_lo, s4
	s_mov_b32 s94, 0
	s_mov_b32 s95, -1
.LBB174_213:                            ;   in Loop: Header=BB174_18 Depth=1
	s_or_not1_b32 s4, s22, exec_lo
.LBB174_214:                            ;   in Loop: Header=BB174_18 Depth=1
	s_or_b32 exec_lo, exec_lo, s96
	s_mov_b32 s10, 0
	s_and_saveexec_b32 s96, s4
	s_cbranch_execz .LBB174_276
; %bb.215:                              ;   in Loop: Header=BB174_18 Depth=1
	v_mov_b64_e32 v[4:5], 1
	v_mov_b32_e32 v2, 1
	s_xor_b32 s11, s97, -1
	s_delay_alu instid0(SALU_CYCLE_1)
	s_and_saveexec_b32 s4, s11
	s_cbranch_execz .LBB174_224
; %bb.216:                              ;   in Loop: Header=BB174_18 Depth=1
	s_mov_b32 s10, exec_lo
	v_cmpx_ge_u64_e64 s[16:17], v[6:7]
	s_xor_b32 s10, exec_lo, s10
	s_cbranch_execz .LBB174_221
; %bb.217:                              ;   in Loop: Header=BB174_18 Depth=1
	ds_load_b64 v[4:5], v3 offset:5120
	s_lshl_b32 s11, 2, s71
	v_or_b32_e32 v9, s24, v9
	v_and_or_b32 v8, v8, s26, s11
	s_wait_dscnt 0x0
	v_cmp_ne_u64_e32 vcc_lo, 0, v[4:5]
	s_cbranch_vccnz .LBB174_221
; %bb.218:                              ;   in Loop: Header=BB174_18 Depth=1
	s_and_saveexec_b32 s11, s5
; %bb.219:                              ;   in Loop: Header=BB174_18 Depth=1
	v_mov_b64_e32 v[4:5], s[16:17]
	ds_store_b64 v3, v[4:5] offset:5128
; %bb.220:                              ;   in Loop: Header=BB174_18 Depth=1
	s_or_b32 exec_lo, exec_lo, s11
	s_wait_dscnt 0x0
	s_barrier_signal -1
	s_barrier_wait -1
.LBB174_221:                            ;   in Loop: Header=BB174_18 Depth=1
	s_or_saveexec_b32 s10, s10
	v_mov_b32_e32 v2, 8
	s_mov_b32 s11, 0
	s_xor_b32 exec_lo, exec_lo, s10
; %bb.222:                              ;   in Loop: Header=BB174_18 Depth=1
	v_sub_nc_u64_e64 v[6:7], v[6:7], s[16:17]
	v_mov_b32_e32 v2, 0
	s_mov_b32 s11, exec_lo
; %bb.223:                              ;   in Loop: Header=BB174_18 Depth=1
	s_or_b32 exec_lo, exec_lo, s10
	s_delay_alu instid0(VALU_DEP_2)
	v_mov_b64_e32 v[4:5], v[6:7]
	s_and_b32 s10, s11, exec_lo
.LBB174_224:                            ;   in Loop: Header=BB174_18 Depth=1
	s_or_b32 exec_lo, exec_lo, s4
	s_mov_b32 s4, -1
                                        ; implicit-def: $sgpr65
                                        ; implicit-def: $sgpr64
	s_and_saveexec_b32 s97, s10
	s_cbranch_execz .LBB174_275
; %bb.225:                              ;   in Loop: Header=BB174_18 Depth=1
	s_delay_alu instid0(VALU_DEP_1) | instskip(SKIP_3) | instid1(SALU_CYCLE_1)
	v_cmp_eq_u64_e32 vcc_lo, 1, v[4:5]
	s_cmp_eq_u64 s[18:19], 1
	s_mov_b32 s10, -1
	s_cselect_b32 s4, -1, 0
                                        ; implicit-def: $sgpr65
                                        ; implicit-def: $sgpr64
	s_and_b32 s98, s4, vcc_lo
	s_delay_alu instid0(SALU_CYCLE_1)
	s_and_saveexec_b32 s99, s98
	s_cbranch_execz .LBB174_263
; %bb.226:                              ;   in Loop: Header=BB174_18 Depth=1
	ds_load_b64 v[6:7], v3 offset:5120
	s_wait_dscnt 0x0
	s_barrier_signal -1
	s_barrier_wait -1
	v_readfirstlane_b32 s10, v6
	v_readfirstlane_b32 s11, v7
	s_and_saveexec_b32 s4, s6
; %bb.227:                              ;   in Loop: Header=BB174_18 Depth=1
	ds_store_b16 v29, v3
; %bb.228:                              ;   in Loop: Header=BB174_18 Depth=1
	s_or_b32 exec_lo, exec_lo, s4
	v_or_b32_e32 v8, s24, v8
	v_or_b32_e32 v9, s24, v9
	s_mov_b32 s64, -1
	s_mov_b32 s65, 0
	s_cmp_eq_u64 s[10:11], 0
	s_mov_b32 s22, 0
	s_mov_b32 s4, -1
	s_wait_dscnt 0x0
	s_barrier_signal -1
	s_barrier_wait -1
                                        ; implicit-def: $vgpr10
	s_cbranch_scc1 .LBB174_246
; %bb.229:                              ;   in Loop: Header=BB174_18 Depth=1
	s_add_nc_u64 s[20:21], s[10:11], s[72:73]
	s_delay_alu instid0(SALU_CYCLE_1) | instskip(NEXT) | instid1(SALU_CYCLE_1)
	s_and_b64 s[22:23], s[20:21], 0xffffffff00000000
	s_cmp_lg_u64 s[22:23], 0
	s_cbranch_scc0 .LBB174_233
; %bb.230:                              ;   in Loop: Header=BB174_18 Depth=1
	s_cvt_f32_u32 s4, s56
	s_sub_nc_u64 s[40:41], 0, s[56:57]
	s_delay_alu instid0(SALU_CYCLE_2) | instskip(NEXT) | instid1(SALU_CYCLE_3)
	s_fmamk_f32 s4, s70, 0x0, s4
	v_s_rcp_f32 s4, s4
	s_delay_alu instid0(TRANS32_DEP_1) | instskip(NEXT) | instid1(SALU_CYCLE_3)
	s_mul_f32 s4, s4, 0x5f7ffffc
	s_mul_f32 s22, s4, 0x2f800000
	s_delay_alu instid0(SALU_CYCLE_3) | instskip(NEXT) | instid1(SALU_CYCLE_3)
	s_trunc_f32 s22, s22
	s_fmamk_f32 s4, s22, 0xcf800000, s4
	s_cvt_u32_f32 s23, s22
	s_delay_alu instid0(SALU_CYCLE_2) | instskip(NEXT) | instid1(SALU_CYCLE_3)
	s_cvt_u32_f32 s22, s4
	s_mul_u64 s[42:43], s[40:41], s[22:23]
	s_delay_alu instid0(SALU_CYCLE_1)
	s_mul_hi_u32 s45, s22, s43
	s_mul_i32 s44, s22, s43
	s_mul_hi_u32 s28, s22, s42
	s_mul_i32 s46, s23, s42
	s_add_nc_u64 s[44:45], s[28:29], s[44:45]
	s_mul_hi_u32 s4, s23, s42
	s_mul_hi_u32 s47, s23, s43
	s_add_co_u32 s28, s44, s46
	s_add_co_ci_u32 s28, s45, s4
	s_mul_i32 s42, s23, s43
	s_add_co_ci_u32 s43, s47, 0
	s_delay_alu instid0(SALU_CYCLE_1) | instskip(NEXT) | instid1(SALU_CYCLE_1)
	s_add_nc_u64 s[42:43], s[28:29], s[42:43]
	s_add_co_u32 s22, s22, s42
	s_cselect_b32 s4, -1, 0
	s_delay_alu instid0(SALU_CYCLE_1) | instskip(SKIP_1) | instid1(SALU_CYCLE_1)
	s_cmp_lg_u32 s4, 0
	s_add_co_ci_u32 s23, s23, s43
	s_mul_u64 s[40:41], s[40:41], s[22:23]
	s_delay_alu instid0(SALU_CYCLE_1)
	s_mul_hi_u32 s43, s22, s41
	s_mul_i32 s42, s22, s41
	s_mul_hi_u32 s28, s22, s40
	s_mul_i32 s44, s23, s40
	s_add_nc_u64 s[42:43], s[28:29], s[42:43]
	s_mul_hi_u32 s4, s23, s40
	s_mul_hi_u32 s45, s23, s41
	s_add_co_u32 s28, s42, s44
	s_add_co_ci_u32 s28, s43, s4
	s_mul_i32 s40, s23, s41
	s_add_co_ci_u32 s41, s45, 0
	s_delay_alu instid0(SALU_CYCLE_1) | instskip(NEXT) | instid1(SALU_CYCLE_1)
	s_add_nc_u64 s[40:41], s[28:29], s[40:41]
	s_add_co_u32 s4, s22, s40
	s_cselect_b32 s22, -1, 0
	s_mul_hi_u32 s28, s20, s4
	s_cmp_lg_u32 s22, 0
	s_mul_hi_u32 s42, s21, s4
	s_add_co_ci_u32 s40, s23, s41
	s_mul_i32 s4, s21, s4
	s_mul_hi_u32 s23, s20, s40
	s_mul_i32 s22, s20, s40
	s_mul_hi_u32 s41, s21, s40
	s_add_nc_u64 s[22:23], s[28:29], s[22:23]
	s_mul_i32 s40, s21, s40
	s_add_co_u32 s4, s22, s4
	s_add_co_ci_u32 s28, s23, s42
	s_add_co_ci_u32 s41, s41, 0
	s_delay_alu instid0(SALU_CYCLE_1) | instskip(NEXT) | instid1(SALU_CYCLE_1)
	s_add_nc_u64 s[22:23], s[28:29], s[40:41]
	s_and_b64 s[40:41], s[22:23], 0xffffffff00000000
	s_delay_alu instid0(SALU_CYCLE_1) | instskip(NEXT) | instid1(SALU_CYCLE_1)
	s_or_b32 s40, s40, s22
	s_mul_u64 s[22:23], s[56:57], s[40:41]
	s_delay_alu instid0(SALU_CYCLE_1) | instskip(SKIP_1) | instid1(SALU_CYCLE_1)
	s_sub_co_u32 s4, s20, s22
	s_cselect_b32 s22, -1, 0
	s_cmp_lg_u32 s22, 0
	s_sub_co_ci_u32 s22, s21, s23
	s_sub_co_u32 s23, s4, s56
	s_cselect_b32 s28, -1, 0
	s_delay_alu instid0(SALU_CYCLE_1) | instskip(SKIP_3) | instid1(SALU_CYCLE_1)
	s_cmp_lg_u32 s28, 0
	s_sub_co_ci_u32 s28, s22, 0
	s_sub_co_u32 s40, s23, s56
	s_cselect_b32 s41, -1, 0
	s_cmp_lg_u32 s41, 0
	s_sub_co_ci_u32 s41, s28, 0
	s_cmp_ge_u32 s23, s56
	s_cselect_b32 s42, -1, 0
	s_cmp_eq_u32 s28, 0
	s_cselect_b32 s42, s42, -1
	s_delay_alu instid0(SALU_CYCLE_1)
	s_cmp_lg_u32 s42, 0
	s_cselect_b32 s28, s41, s28
	s_cselect_b32 s40, s40, s23
	s_cmp_ge_u32 s4, s56
	s_cselect_b32 s23, -1, 0
	s_cmp_eq_u32 s22, 0
	s_cselect_b32 s23, s23, -1
	s_delay_alu instid0(SALU_CYCLE_1)
	s_cmp_lg_u32 s23, 0
	s_cselect_b32 s23, s28, s22
	s_cselect_b32 s22, s40, s4
	s_mov_b32 s4, 0
	s_branch .LBB174_234
.LBB174_231:                            ;   in Loop: Header=BB174_18 Depth=1
                                        ; implicit-def: $sgpr22_sgpr23
	s_and_not1_b32 vcc_lo, exec_lo, s4
	s_cbranch_vccz .LBB174_186
	s_branch .LBB174_187
.LBB174_232:                            ;   in Loop: Header=BB174_18 Depth=1
                                        ; implicit-def: $sgpr10_sgpr11
	s_branch .LBB174_202
.LBB174_233:                            ;   in Loop: Header=BB174_18 Depth=1
                                        ; implicit-def: $sgpr22_sgpr23
.LBB174_234:                            ;   in Loop: Header=BB174_18 Depth=1
	s_and_not1_b32 vcc_lo, exec_lo, s4
	s_cbranch_vccnz .LBB174_236
; %bb.235:                              ;   in Loop: Header=BB174_18 Depth=1
	v_cvt_f32_u32_e32 v6, s56
	s_sub_co_i32 s22, 0, s56
	s_delay_alu instid0(VALU_DEP_1) | instskip(SKIP_1) | instid1(TRANS32_DEP_1)
	v_rcp_iflag_f32_e32 v6, v6
	v_nop
	v_mul_f32_e32 v6, 0x4f7ffffe, v6
	s_delay_alu instid0(VALU_DEP_1) | instskip(NEXT) | instid1(VALU_DEP_1)
	v_cvt_u32_f32_e32 v6, v6
	v_readfirstlane_b32 s4, v6
	s_mul_i32 s22, s22, s4
	s_delay_alu instid0(SALU_CYCLE_1) | instskip(NEXT) | instid1(SALU_CYCLE_1)
	s_mul_hi_u32 s22, s4, s22
	s_add_co_i32 s4, s4, s22
	s_delay_alu instid0(SALU_CYCLE_1) | instskip(NEXT) | instid1(SALU_CYCLE_1)
	s_mul_hi_u32 s4, s20, s4
	s_mul_i32 s4, s4, s56
	s_delay_alu instid0(SALU_CYCLE_1) | instskip(NEXT) | instid1(SALU_CYCLE_1)
	s_sub_co_i32 s4, s20, s4
	s_sub_co_i32 s22, s4, s56
	s_cmp_ge_u32 s4, s56
	s_cselect_b32 s4, s22, s4
	s_delay_alu instid0(SALU_CYCLE_1) | instskip(SKIP_2) | instid1(SALU_CYCLE_1)
	s_sub_co_i32 s22, s4, s56
	s_cmp_ge_u32 s4, s56
	s_cselect_b32 s28, s22, s4
	s_mov_b64 s[22:23], s[28:29]
.LBB174_236:                            ;   in Loop: Header=BB174_18 Depth=1
	s_delay_alu instid0(SALU_CYCLE_1)
	s_sub_nc_u64 s[20:21], s[20:21], s[22:23]
	s_mov_b32 s4, 0
	s_mov_b32 s22, 0
	s_mov_b32 s23, exec_lo
                                        ; implicit-def: $vgpr10
	v_cmpx_gt_u64_e64 s[20:21], v[0:1]
	s_cbranch_execz .LBB174_245
; %bb.237:                              ;   in Loop: Header=BB174_18 Depth=1
	v_mov_b64_e32 v[6:7], v[0:1]
	v_mov_b32_e32 v10, v28
                                        ; implicit-def: $sgpr28
	s_branch .LBB174_240
.LBB174_238:                            ;   in Loop: Header=BB174_240 Depth=2
	s_or_b32 exec_lo, exec_lo, s40
	s_wait_dscnt 0x0
	s_barrier_signal -1
	s_barrier_wait -1
	ds_load_b32 v11, v3 offset:3072
	s_mov_b32 s40, -1
	s_mov_b32 s41, -1
	s_wait_dscnt 0x0
	s_barrier_signal -1
	s_barrier_wait -1
	v_and_b32_e32 v24, 0xffff, v11
	s_delay_alu instid0(VALU_DEP_1)
	v_cmp_ne_u32_e32 vcc_lo, 0, v24
	s_cbranch_vccz .LBB174_243
.LBB174_239:                            ;   in Loop: Header=BB174_240 Depth=2
	s_and_b32 s40, exec_lo, s40
	s_delay_alu instid0(SALU_CYCLE_1) | instskip(SKIP_2) | instid1(SALU_CYCLE_1)
	s_or_b32 s22, s40, s22
	s_and_not1_b32 s28, s28, exec_lo
	s_and_b32 s40, s41, exec_lo
	s_or_b32 s28, s28, s40
	s_and_not1_b32 exec_lo, exec_lo, s22
	s_cbranch_execz .LBB174_244
.LBB174_240:                            ;   Parent Loop BB174_18 Depth=1
                                        ; =>  This Inner Loop Header: Depth=2
	s_mov_b32 s40, exec_lo
	s_delay_alu instid0(VALU_DEP_2)
	v_cmpx_gt_u64_e64 s[10:11], v[6:7]
	s_cbranch_execz .LBB174_238
; %bb.241:                              ;   in Loop: Header=BB174_240 Depth=2
	ds_load_u16 v11, v10
	s_wait_dscnt 0x0
	v_bfe_i32 v24, v11, 0, 16
	s_delay_alu instid0(VALU_DEP_1) | instskip(NEXT) | instid1(VALU_DEP_1)
	v_add_nc_u32_e32 v24, 0x8000, v24
	v_and_b32_e32 v24, v24, v9
	s_delay_alu instid0(VALU_DEP_1)
	v_cmp_eq_u32_e32 vcc_lo, v24, v8
	s_and_b32 exec_lo, exec_lo, vcc_lo
	s_cbranch_execz .LBB174_238
; %bb.242:                              ;   in Loop: Header=BB174_240 Depth=2
	v_perm_b32 v11, v11, 1, 0x5040100
	ds_store_b32 v3, v11 offset:3072
	s_branch .LBB174_238
.LBB174_243:                            ;   in Loop: Header=BB174_240 Depth=2
	v_add_nc_u64_e32 v[6:7], s[56:57], v[6:7]
	v_add_nc_u32_e32 v10, s69, v10
	s_mov_b32 s41, 0
	s_delay_alu instid0(VALU_DEP_2)
	v_cmp_le_u64_e32 vcc_lo, s[20:21], v[6:7]
	s_or_not1_b32 s40, vcc_lo, exec_lo
	s_branch .LBB174_239
.LBB174_244:                            ;   in Loop: Header=BB174_18 Depth=1
	s_or_b32 exec_lo, exec_lo, s22
	v_lshrrev_b32_e32 v10, 16, v11
	s_and_b32 s22, s28, exec_lo
.LBB174_245:                            ;   in Loop: Header=BB174_18 Depth=1
	s_or_b32 exec_lo, exec_lo, s23
.LBB174_246:                            ;   in Loop: Header=BB174_18 Depth=1
	s_delay_alu instid0(SALU_CYCLE_1)
	s_and_b32 vcc_lo, exec_lo, s4
	s_cbranch_vccz .LBB174_262
; %bb.247:                              ;   in Loop: Header=BB174_18 Depth=1
	s_and_b64 s[10:11], s[74:75], 0xffffffff00000000
	s_delay_alu instid0(SALU_CYCLE_1)
	s_cmp_lg_u64 s[10:11], 0
	s_cbranch_scc0 .LBB174_249
; %bb.248:                              ;   in Loop: Header=BB174_18 Depth=1
	s_cvt_f32_u32 s4, s56
	s_sub_nc_u64 s[20:21], 0, s[56:57]
	s_delay_alu instid0(SALU_CYCLE_2) | instskip(NEXT) | instid1(SALU_CYCLE_3)
	s_fmamk_f32 s4, s70, 0x0, s4
	v_s_rcp_f32 s4, s4
	s_delay_alu instid0(TRANS32_DEP_1) | instskip(NEXT) | instid1(SALU_CYCLE_3)
	s_mul_f32 s4, s4, 0x5f7ffffc
	s_mul_f32 s10, s4, 0x2f800000
	s_delay_alu instid0(SALU_CYCLE_3) | instskip(NEXT) | instid1(SALU_CYCLE_3)
	s_trunc_f32 s10, s10
	s_fmamk_f32 s4, s10, 0xcf800000, s4
	s_cvt_u32_f32 s11, s10
	s_delay_alu instid0(SALU_CYCLE_2) | instskip(NEXT) | instid1(SALU_CYCLE_3)
	s_cvt_u32_f32 s10, s4
	s_mul_u64 s[40:41], s[20:21], s[10:11]
	s_delay_alu instid0(SALU_CYCLE_1)
	s_mul_hi_u32 s43, s10, s41
	s_mul_i32 s42, s10, s41
	s_mul_hi_u32 s28, s10, s40
	s_mul_i32 s23, s11, s40
	s_add_nc_u64 s[42:43], s[28:29], s[42:43]
	s_mul_hi_u32 s4, s11, s40
	s_mul_hi_u32 s44, s11, s41
	s_add_co_u32 s23, s42, s23
	s_add_co_ci_u32 s28, s43, s4
	s_mul_i32 s40, s11, s41
	s_add_co_ci_u32 s41, s44, 0
	s_delay_alu instid0(SALU_CYCLE_1) | instskip(NEXT) | instid1(SALU_CYCLE_1)
	s_add_nc_u64 s[40:41], s[28:29], s[40:41]
	s_add_co_u32 s10, s10, s40
	s_cselect_b32 s4, -1, 0
	s_delay_alu instid0(SALU_CYCLE_1) | instskip(SKIP_1) | instid1(SALU_CYCLE_1)
	s_cmp_lg_u32 s4, 0
	s_add_co_ci_u32 s11, s11, s41
	s_mul_u64 s[20:21], s[20:21], s[10:11]
	s_delay_alu instid0(SALU_CYCLE_1)
	s_mul_hi_u32 s41, s10, s21
	s_mul_i32 s40, s10, s21
	s_mul_hi_u32 s28, s10, s20
	s_mul_i32 s23, s11, s20
	s_add_nc_u64 s[40:41], s[28:29], s[40:41]
	s_mul_hi_u32 s4, s11, s20
	s_mul_hi_u32 s42, s11, s21
	s_mul_i32 s20, s11, s21
	s_add_co_u32 s21, s40, s23
	s_add_co_ci_u32 s28, s41, s4
	s_add_co_ci_u32 s21, s42, 0
	s_delay_alu instid0(SALU_CYCLE_1) | instskip(NEXT) | instid1(SALU_CYCLE_1)
	s_add_nc_u64 s[20:21], s[28:29], s[20:21]
	s_add_co_u32 s4, s10, s20
	s_cselect_b32 s10, -1, 0
	s_mul_hi_u32 s28, s74, s4
	s_cmp_lg_u32 s10, 0
	s_mul_hi_u32 s23, s75, s4
	s_add_co_ci_u32 s20, s11, s21
	s_mul_i32 s4, s75, s4
	s_mul_hi_u32 s11, s74, s20
	s_mul_i32 s10, s74, s20
	s_mul_hi_u32 s21, s75, s20
	s_add_nc_u64 s[10:11], s[28:29], s[10:11]
	s_mul_i32 s20, s75, s20
	s_add_co_u32 s4, s10, s4
	s_add_co_ci_u32 s28, s11, s23
	s_add_co_ci_u32 s21, s21, 0
	s_delay_alu instid0(SALU_CYCLE_1) | instskip(NEXT) | instid1(SALU_CYCLE_1)
	s_add_nc_u64 s[10:11], s[28:29], s[20:21]
	s_and_b64 s[20:21], s[10:11], 0xffffffff00000000
	s_delay_alu instid0(SALU_CYCLE_1) | instskip(NEXT) | instid1(SALU_CYCLE_1)
	s_or_b32 s20, s20, s10
	s_mul_u64 s[10:11], s[56:57], s[20:21]
	s_delay_alu instid0(SALU_CYCLE_1) | instskip(SKIP_1) | instid1(SALU_CYCLE_1)
	s_sub_co_u32 s4, s74, s10
	s_cselect_b32 s10, -1, 0
	s_cmp_lg_u32 s10, 0
	s_sub_co_ci_u32 s10, s75, s11
	s_sub_co_u32 s11, s4, s56
	s_cselect_b32 s20, -1, 0
	s_delay_alu instid0(SALU_CYCLE_1) | instskip(SKIP_3) | instid1(SALU_CYCLE_1)
	s_cmp_lg_u32 s20, 0
	s_sub_co_ci_u32 s20, s10, 0
	s_sub_co_u32 s21, s11, s56
	s_cselect_b32 s23, -1, 0
	s_cmp_lg_u32 s23, 0
	s_sub_co_ci_u32 s23, s20, 0
	s_cmp_ge_u32 s11, s56
	s_cselect_b32 s28, -1, 0
	s_cmp_eq_u32 s20, 0
	s_cselect_b32 s28, s28, -1
	s_delay_alu instid0(SALU_CYCLE_1)
	s_cmp_lg_u32 s28, 0
	s_cselect_b32 s20, s23, s20
	s_cselect_b32 s21, s21, s11
	s_cmp_ge_u32 s4, s56
	s_cselect_b32 s11, -1, 0
	s_cmp_eq_u32 s10, 0
	s_cselect_b32 s11, s11, -1
	s_delay_alu instid0(SALU_CYCLE_1)
	s_cmp_lg_u32 s11, 0
	s_cselect_b32 s11, s20, s10
	s_cselect_b32 s10, s21, s4
	s_mov_b32 s4, 0
	s_branch .LBB174_250
.LBB174_249:                            ;   in Loop: Header=BB174_18 Depth=1
	s_mov_b32 s4, -1
                                        ; implicit-def: $sgpr10_sgpr11
.LBB174_250:                            ;   in Loop: Header=BB174_18 Depth=1
	s_delay_alu instid0(SALU_CYCLE_1)
	s_and_not1_b32 vcc_lo, exec_lo, s4
	s_cbranch_vccnz .LBB174_252
; %bb.251:                              ;   in Loop: Header=BB174_18 Depth=1
	v_cvt_f32_u32_e32 v6, s56
	s_sub_co_i32 s10, 0, s56
	s_delay_alu instid0(VALU_DEP_1) | instskip(SKIP_1) | instid1(TRANS32_DEP_1)
	v_rcp_iflag_f32_e32 v6, v6
	v_nop
	v_mul_f32_e32 v6, 0x4f7ffffe, v6
	s_delay_alu instid0(VALU_DEP_1) | instskip(NEXT) | instid1(VALU_DEP_1)
	v_cvt_u32_f32_e32 v6, v6
	v_readfirstlane_b32 s4, v6
	s_mul_i32 s10, s10, s4
	s_delay_alu instid0(SALU_CYCLE_1) | instskip(NEXT) | instid1(SALU_CYCLE_1)
	s_mul_hi_u32 s10, s4, s10
	s_add_co_i32 s4, s4, s10
	s_delay_alu instid0(SALU_CYCLE_1) | instskip(NEXT) | instid1(SALU_CYCLE_1)
	s_mul_hi_u32 s4, s74, s4
	s_mul_i32 s4, s4, s56
	s_delay_alu instid0(SALU_CYCLE_1) | instskip(NEXT) | instid1(SALU_CYCLE_1)
	s_sub_co_i32 s4, s74, s4
	s_sub_co_i32 s10, s4, s56
	s_cmp_ge_u32 s4, s56
	s_cselect_b32 s4, s10, s4
	s_delay_alu instid0(SALU_CYCLE_1) | instskip(SKIP_2) | instid1(SALU_CYCLE_1)
	s_sub_co_i32 s10, s4, s56
	s_cmp_ge_u32 s4, s56
	s_cselect_b32 s28, s10, s4
	s_mov_b64 s[10:11], s[28:29]
.LBB174_252:                            ;   in Loop: Header=BB174_18 Depth=1
	s_delay_alu instid0(SALU_CYCLE_1)
	s_sub_nc_u64 s[10:11], s[74:75], s[10:11]
	s_mov_b32 s4, exec_lo
                                        ; implicit-def: $vgpr10
	v_cmpx_gt_u64_e64 s[10:11], v[0:1]
	s_cbranch_execz .LBB174_261
; %bb.253:                              ;   in Loop: Header=BB174_18 Depth=1
	v_mov_b64_e32 v[6:7], v[0:1]
	s_mov_b32 s20, 0
                                        ; implicit-def: $sgpr21
	s_branch .LBB174_256
.LBB174_254:                            ;   in Loop: Header=BB174_256 Depth=2
	s_or_b32 exec_lo, exec_lo, s23
	s_wait_dscnt 0x0
	s_barrier_signal -1
	s_barrier_wait -1
	ds_load_b32 v10, v3 offset:3072
	s_mov_b32 s28, -1
	s_mov_b32 s23, -1
	s_wait_dscnt 0x0
	s_barrier_signal -1
	s_barrier_wait -1
	v_and_b32_e32 v11, 0xffff, v10
	s_delay_alu instid0(VALU_DEP_1)
	v_cmp_eq_u32_e32 vcc_lo, 0, v11
	s_cbranch_vccnz .LBB174_259
.LBB174_255:                            ;   in Loop: Header=BB174_256 Depth=2
	s_and_b32 s28, exec_lo, s28
	s_delay_alu instid0(SALU_CYCLE_1) | instskip(SKIP_2) | instid1(SALU_CYCLE_1)
	s_or_b32 s20, s28, s20
	s_and_not1_b32 s21, s21, exec_lo
	s_and_b32 s23, s23, exec_lo
	s_or_b32 s21, s21, s23
	s_and_not1_b32 exec_lo, exec_lo, s20
	s_cbranch_execz .LBB174_260
.LBB174_256:                            ;   Parent Loop BB174_18 Depth=1
                                        ; =>  This Inner Loop Header: Depth=2
	s_mov_b32 s23, exec_lo
	s_delay_alu instid0(VALU_DEP_1)
	v_cmpx_gt_u64_e64 s[36:37], v[6:7]
	s_cbranch_execz .LBB174_254
; %bb.257:                              ;   in Loop: Header=BB174_256 Depth=2
	v_mul_u64_e32 v[10:11], s[30:31], v[6:7]
	s_delay_alu instid0(VALU_DEP_1) | instskip(SKIP_3) | instid1(VALU_DEP_1)
	v_lshl_add_u64 v[10:11], v[10:11], 1, s[34:35]
	global_load_u16 v10, v[10:11], off
	s_wait_loadcnt 0x0
	v_bfe_i32 v11, v10, 0, 16
	v_add_nc_u32_e32 v11, 0x8000, v11
	s_delay_alu instid0(VALU_DEP_1) | instskip(NEXT) | instid1(VALU_DEP_1)
	v_and_b32_e32 v11, v11, v9
	v_cmp_eq_u32_e32 vcc_lo, v11, v8
	s_and_b32 exec_lo, exec_lo, vcc_lo
	s_cbranch_execz .LBB174_254
; %bb.258:                              ;   in Loop: Header=BB174_256 Depth=2
	v_perm_b32 v10, v10, 1, 0x5040100
	ds_store_b32 v3, v10 offset:3072
	s_branch .LBB174_254
.LBB174_259:                            ;   in Loop: Header=BB174_256 Depth=2
	v_add_nc_u64_e32 v[6:7], s[56:57], v[6:7]
	s_mov_b32 s23, 0
	s_delay_alu instid0(VALU_DEP_1)
	v_cmp_le_u64_e32 vcc_lo, s[10:11], v[6:7]
	s_or_not1_b32 s28, vcc_lo, exec_lo
	s_branch .LBB174_255
.LBB174_260:                            ;   in Loop: Header=BB174_18 Depth=1
	s_or_b32 exec_lo, exec_lo, s20
	v_lshrrev_b32_e32 v10, 16, v10
	s_and_not1_b32 s10, s22, exec_lo
	s_and_b32 s11, s21, exec_lo
	s_delay_alu instid0(SALU_CYCLE_1)
	s_or_b32 s22, s10, s11
.LBB174_261:                            ;   in Loop: Header=BB174_18 Depth=1
	s_or_b32 exec_lo, exec_lo, s4
	s_mov_b32 s64, 0
	s_mov_b32 s65, -1
.LBB174_262:                            ;   in Loop: Header=BB174_18 Depth=1
	s_or_not1_b32 s10, s22, exec_lo
.LBB174_263:                            ;   in Loop: Header=BB174_18 Depth=1
	s_or_b32 exec_lo, exec_lo, s99
	s_mov_b32 s11, 0
	s_and_saveexec_b32 s4, s10
	s_cbranch_execz .LBB174_274
; %bb.264:                              ;   in Loop: Header=BB174_18 Depth=1
	v_mov_b64_e32 v[6:7], 1
	v_mov_b32_e32 v2, 1
	s_xor_b32 s11, s98, -1
	s_delay_alu instid0(SALU_CYCLE_1)
	s_and_saveexec_b32 s10, s11
	s_cbranch_execz .LBB174_273
; %bb.265:                              ;   in Loop: Header=BB174_18 Depth=1
	s_mov_b32 s11, exec_lo
	v_cmpx_ge_u64_e64 s[18:19], v[4:5]
	s_xor_b32 s11, exec_lo, s11
	s_cbranch_execz .LBB174_270
; %bb.266:                              ;   in Loop: Header=BB174_18 Depth=1
	ds_load_b64 v[6:7], v3 offset:5120
	v_or_b32_e32 v8, s24, v8
	v_or_b32_e32 v9, s24, v9
	s_wait_dscnt 0x0
	v_cmp_ne_u64_e32 vcc_lo, 0, v[6:7]
	s_cbranch_vccnz .LBB174_270
; %bb.267:                              ;   in Loop: Header=BB174_18 Depth=1
	s_and_saveexec_b32 s20, s5
; %bb.268:                              ;   in Loop: Header=BB174_18 Depth=1
	v_mov_b64_e32 v[6:7], s[18:19]
	ds_store_b64 v3, v[6:7] offset:5128
; %bb.269:                              ;   in Loop: Header=BB174_18 Depth=1
	s_or_b32 exec_lo, exec_lo, s20
	s_wait_dscnt 0x0
	s_barrier_signal -1
	s_barrier_wait -1
.LBB174_270:                            ;   in Loop: Header=BB174_18 Depth=1
	s_and_not1_saveexec_b32 s11, s11
; %bb.271:                              ;   in Loop: Header=BB174_18 Depth=1
	v_sub_nc_u64_e64 v[4:5], v[4:5], s[18:19]
; %bb.272:                              ;   in Loop: Header=BB174_18 Depth=1
	s_or_b32 exec_lo, exec_lo, s11
	s_delay_alu instid0(VALU_DEP_1)
	v_mov_b64_e32 v[6:7], v[4:5]
	v_mov_b32_e32 v2, 8
.LBB174_273:                            ;   in Loop: Header=BB174_18 Depth=1
	s_or_b32 exec_lo, exec_lo, s10
	s_delay_alu instid0(VALU_DEP_2)
	v_mov_b64_e32 v[4:5], v[6:7]
	s_mov_b32 s11, exec_lo
.LBB174_274:                            ;   in Loop: Header=BB174_18 Depth=1
	s_or_b32 exec_lo, exec_lo, s4
	s_delay_alu instid0(SALU_CYCLE_1)
	s_or_not1_b32 s4, s11, exec_lo
.LBB174_275:                            ;   in Loop: Header=BB174_18 Depth=1
	s_or_b32 exec_lo, exec_lo, s97
	s_delay_alu instid0(VALU_DEP_1)
	v_mov_b64_e32 v[6:7], v[4:5]
	s_and_not1_b32 s10, s95, exec_lo
	s_and_b32 s11, s65, exec_lo
	s_and_not1_b32 s20, s94, exec_lo
	s_and_b32 s21, s64, exec_lo
	s_or_b32 s95, s10, s11
	s_or_b32 s94, s20, s21
	s_and_b32 s10, s4, exec_lo
.LBB174_276:                            ;   in Loop: Header=BB174_18 Depth=1
	s_or_b32 exec_lo, exec_lo, s96
	s_delay_alu instid0(SALU_CYCLE_1)
	s_or_not1_b32 s4, s10, exec_lo
.LBB174_277:                            ;   in Loop: Header=BB174_18 Depth=1
	s_or_b32 exec_lo, exec_lo, s93
	v_mov_b64_e32 v[4:5], v[6:7]
	s_and_not1_b32 s10, s91, exec_lo
	s_and_b32 s11, s95, exec_lo
	s_and_not1_b32 s20, s86, exec_lo
	s_and_b32 s21, s94, exec_lo
	s_or_b32 s91, s10, s11
	s_or_b32 s86, s20, s21
	s_and_b32 s10, s4, exec_lo
.LBB174_278:                            ;   in Loop: Header=BB174_18 Depth=1
	s_or_b32 exec_lo, exec_lo, s92
	s_delay_alu instid0(SALU_CYCLE_1)
	s_or_not1_b32 s4, s10, exec_lo
.LBB174_279:                            ;   in Loop: Header=BB174_18 Depth=1
	s_or_b32 exec_lo, exec_lo, s27
	s_mov_b32 s10, 0
	s_mov_b32 s11, 0
	s_and_saveexec_b32 s20, s4
	s_delay_alu instid0(SALU_CYCLE_1)
	s_xor_b32 s4, exec_lo, s20
; %bb.280:                              ;   in Loop: Header=BB174_18 Depth=1
	v_cmp_ne_u32_e32 vcc_lo, 8, v2
	v_cmp_eq_u32_e64 s10, 8, v2
	s_and_b32 s11, vcc_lo, exec_lo
	s_and_b32 s10, s10, exec_lo
; %bb.281:                              ;   in Loop: Header=BB174_18 Depth=1
	s_or_b32 exec_lo, exec_lo, s4
	s_delay_alu instid0(SALU_CYCLE_1)
	s_and_not1_b32 s4, s88, exec_lo
	s_and_b32 s20, s91, exec_lo
	s_and_not1_b32 s21, s87, exec_lo
	s_and_b32 s22, s86, exec_lo
	s_or_b32 s88, s4, s20
	s_or_b32 s87, s21, s22
	s_and_b32 s27, s11, exec_lo
	s_and_b32 s86, s10, exec_lo
.LBB174_282:                            ;   in Loop: Header=BB174_18 Depth=1
	s_or_b32 exec_lo, exec_lo, s90
.LBB174_283:                            ;   in Loop: Header=BB174_18 Depth=1
	s_delay_alu instid0(SALU_CYCLE_1)
	s_and_b32 vcc_lo, exec_lo, s89
	s_cbranch_vccz .LBB174_299
; %bb.284:                              ;   in Loop: Header=BB174_18 Depth=1
	s_cmp_eq_u64 s[18:19], 1
                                        ; implicit-def: $sgpr89
                                        ; implicit-def: $sgpr25
	s_cselect_b32 s4, -1, 0
	s_delay_alu instid0(SALU_CYCLE_1)
	s_and_b32 s9, s4, s9
	s_mov_b32 s4, -1
	s_and_saveexec_b32 s87, s9
	s_cbranch_execz .LBB174_317
; %bb.285:                              ;   in Loop: Header=BB174_18 Depth=1
	ds_load_b64 v[4:5], v3 offset:5120
	s_wait_dscnt 0x0
	s_barrier_signal -1
	s_barrier_wait -1
	v_readfirstlane_b32 s10, v4
	v_readfirstlane_b32 s11, v5
	s_and_saveexec_b32 s4, s6
; %bb.286:                              ;   in Loop: Header=BB174_18 Depth=1
	ds_store_b16 v29, v3
; %bb.287:                              ;   in Loop: Header=BB174_18 Depth=1
	s_or_b32 exec_lo, exec_lo, s4
	v_or_b32_e32 v31, s24, v31
	v_or_b32_e32 v34, s24, v34
	s_mov_b32 s25, -1
	s_mov_b32 s89, 0
	s_cmp_eq_u64 s[10:11], 0
	s_mov_b32 s22, 0
	s_mov_b32 s4, -1
	s_wait_dscnt 0x0
	s_barrier_signal -1
	s_barrier_wait -1
                                        ; implicit-def: $vgpr35
	s_cbranch_scc1 .LBB174_302
; %bb.288:                              ;   in Loop: Header=BB174_18 Depth=1
	s_add_nc_u64 s[20:21], s[10:11], s[72:73]
	s_delay_alu instid0(SALU_CYCLE_1) | instskip(NEXT) | instid1(SALU_CYCLE_1)
	s_and_b64 s[22:23], s[20:21], 0xffffffff00000000
	s_cmp_lg_u64 s[22:23], 0
	s_cbranch_scc0 .LBB174_343
; %bb.289:                              ;   in Loop: Header=BB174_18 Depth=1
	s_cvt_f32_u32 s4, s56
	s_sub_nc_u64 s[40:41], 0, s[56:57]
	s_delay_alu instid0(SALU_CYCLE_2) | instskip(NEXT) | instid1(SALU_CYCLE_3)
	s_fmamk_f32 s4, s70, 0x0, s4
	v_s_rcp_f32 s4, s4
	s_delay_alu instid0(TRANS32_DEP_1) | instskip(NEXT) | instid1(SALU_CYCLE_3)
	s_mul_f32 s4, s4, 0x5f7ffffc
	s_mul_f32 s22, s4, 0x2f800000
	s_delay_alu instid0(SALU_CYCLE_3) | instskip(NEXT) | instid1(SALU_CYCLE_3)
	s_trunc_f32 s22, s22
	s_fmamk_f32 s4, s22, 0xcf800000, s4
	s_cvt_u32_f32 s23, s22
	s_delay_alu instid0(SALU_CYCLE_2) | instskip(NEXT) | instid1(SALU_CYCLE_3)
	s_cvt_u32_f32 s22, s4
	s_mul_u64 s[42:43], s[40:41], s[22:23]
	s_delay_alu instid0(SALU_CYCLE_1)
	s_mul_hi_u32 s65, s22, s43
	s_mul_i32 s64, s22, s43
	s_mul_hi_u32 s28, s22, s42
	s_mul_i32 s44, s23, s42
	s_add_nc_u64 s[64:65], s[28:29], s[64:65]
	s_mul_hi_u32 s4, s23, s42
	s_mul_hi_u32 s45, s23, s43
	s_add_co_u32 s28, s64, s44
	s_add_co_ci_u32 s28, s65, s4
	s_mul_i32 s42, s23, s43
	s_add_co_ci_u32 s43, s45, 0
	s_delay_alu instid0(SALU_CYCLE_1) | instskip(NEXT) | instid1(SALU_CYCLE_1)
	s_add_nc_u64 s[42:43], s[28:29], s[42:43]
	s_add_co_u32 s22, s22, s42
	s_cselect_b32 s4, -1, 0
	s_delay_alu instid0(SALU_CYCLE_1) | instskip(SKIP_1) | instid1(SALU_CYCLE_1)
	s_cmp_lg_u32 s4, 0
	s_add_co_ci_u32 s23, s23, s43
	s_mul_u64 s[40:41], s[40:41], s[22:23]
	s_delay_alu instid0(SALU_CYCLE_1)
	s_mul_hi_u32 s43, s22, s41
	s_mul_i32 s42, s22, s41
	s_mul_hi_u32 s28, s22, s40
	s_mul_i32 s44, s23, s40
	s_add_nc_u64 s[42:43], s[28:29], s[42:43]
	s_mul_hi_u32 s4, s23, s40
	s_mul_hi_u32 s45, s23, s41
	s_add_co_u32 s28, s42, s44
	s_add_co_ci_u32 s28, s43, s4
	s_mul_i32 s40, s23, s41
	s_add_co_ci_u32 s41, s45, 0
	s_delay_alu instid0(SALU_CYCLE_1) | instskip(NEXT) | instid1(SALU_CYCLE_1)
	s_add_nc_u64 s[40:41], s[28:29], s[40:41]
	s_add_co_u32 s4, s22, s40
	s_cselect_b32 s22, -1, 0
	s_mul_hi_u32 s28, s20, s4
	s_cmp_lg_u32 s22, 0
	s_mul_hi_u32 s42, s21, s4
	s_add_co_ci_u32 s40, s23, s41
	s_mul_i32 s4, s21, s4
	s_mul_hi_u32 s23, s20, s40
	s_mul_i32 s22, s20, s40
	s_mul_hi_u32 s41, s21, s40
	s_add_nc_u64 s[22:23], s[28:29], s[22:23]
	s_mul_i32 s40, s21, s40
	s_add_co_u32 s4, s22, s4
	s_add_co_ci_u32 s28, s23, s42
	s_add_co_ci_u32 s41, s41, 0
	s_delay_alu instid0(SALU_CYCLE_1) | instskip(NEXT) | instid1(SALU_CYCLE_1)
	s_add_nc_u64 s[22:23], s[28:29], s[40:41]
	s_and_b64 s[40:41], s[22:23], 0xffffffff00000000
	s_delay_alu instid0(SALU_CYCLE_1) | instskip(NEXT) | instid1(SALU_CYCLE_1)
	s_or_b32 s40, s40, s22
	s_mul_u64 s[22:23], s[56:57], s[40:41]
	s_delay_alu instid0(SALU_CYCLE_1) | instskip(SKIP_1) | instid1(SALU_CYCLE_1)
	s_sub_co_u32 s4, s20, s22
	s_cselect_b32 s22, -1, 0
	s_cmp_lg_u32 s22, 0
	s_sub_co_ci_u32 s22, s21, s23
	s_sub_co_u32 s23, s4, s56
	s_cselect_b32 s28, -1, 0
	s_delay_alu instid0(SALU_CYCLE_1) | instskip(SKIP_3) | instid1(SALU_CYCLE_1)
	s_cmp_lg_u32 s28, 0
	s_sub_co_ci_u32 s28, s22, 0
	s_sub_co_u32 s40, s23, s56
	s_cselect_b32 s41, -1, 0
	s_cmp_lg_u32 s41, 0
	s_sub_co_ci_u32 s41, s28, 0
	s_cmp_ge_u32 s23, s56
	s_cselect_b32 s42, -1, 0
	s_cmp_eq_u32 s28, 0
	s_cselect_b32 s42, s42, -1
	s_delay_alu instid0(SALU_CYCLE_1)
	s_cmp_lg_u32 s42, 0
	s_cselect_b32 s28, s41, s28
	s_cselect_b32 s40, s40, s23
	s_cmp_ge_u32 s4, s56
	s_cselect_b32 s23, -1, 0
	s_cmp_eq_u32 s22, 0
	s_cselect_b32 s23, s23, -1
	s_delay_alu instid0(SALU_CYCLE_1)
	s_cmp_lg_u32 s23, 0
	s_cselect_b32 s23, s28, s22
	s_cselect_b32 s22, s40, s4
	s_cbranch_execnz .LBB174_291
.LBB174_290:                            ;   in Loop: Header=BB174_18 Depth=1
	v_cvt_f32_u32_e32 v2, s56
	s_sub_co_i32 s22, 0, s56
	s_delay_alu instid0(VALU_DEP_1) | instskip(SKIP_1) | instid1(TRANS32_DEP_1)
	v_rcp_iflag_f32_e32 v2, v2
	v_nop
	v_mul_f32_e32 v2, 0x4f7ffffe, v2
	s_delay_alu instid0(VALU_DEP_1) | instskip(NEXT) | instid1(VALU_DEP_1)
	v_cvt_u32_f32_e32 v2, v2
	v_readfirstlane_b32 s4, v2
	s_mul_i32 s22, s22, s4
	s_delay_alu instid0(SALU_CYCLE_1) | instskip(NEXT) | instid1(SALU_CYCLE_1)
	s_mul_hi_u32 s22, s4, s22
	s_add_co_i32 s4, s4, s22
	s_delay_alu instid0(SALU_CYCLE_1) | instskip(NEXT) | instid1(SALU_CYCLE_1)
	s_mul_hi_u32 s4, s20, s4
	s_mul_i32 s4, s4, s56
	s_delay_alu instid0(SALU_CYCLE_1) | instskip(NEXT) | instid1(SALU_CYCLE_1)
	s_sub_co_i32 s4, s20, s4
	s_sub_co_i32 s22, s4, s56
	s_cmp_ge_u32 s4, s56
	s_cselect_b32 s4, s22, s4
	s_delay_alu instid0(SALU_CYCLE_1) | instskip(SKIP_2) | instid1(SALU_CYCLE_1)
	s_sub_co_i32 s22, s4, s56
	s_cmp_ge_u32 s4, s56
	s_cselect_b32 s28, s22, s4
	s_mov_b64 s[22:23], s[28:29]
.LBB174_291:                            ;   in Loop: Header=BB174_18 Depth=1
	s_delay_alu instid0(SALU_CYCLE_1)
	s_sub_nc_u64 s[20:21], s[20:21], s[22:23]
	s_mov_b32 s4, 0
	s_mov_b32 s22, 0
	s_mov_b32 s23, exec_lo
                                        ; implicit-def: $vgpr35
	v_cmpx_gt_u64_e64 s[20:21], v[0:1]
	s_cbranch_execz .LBB174_301
; %bb.292:                              ;   in Loop: Header=BB174_18 Depth=1
	v_mov_b64_e32 v[4:5], v[0:1]
	v_mov_b32_e32 v2, v28
                                        ; implicit-def: $sgpr28
	s_branch .LBB174_295
.LBB174_293:                            ;   in Loop: Header=BB174_295 Depth=2
	s_or_b32 exec_lo, exec_lo, s64
	s_wait_dscnt 0x0
	s_barrier_signal -1
	s_barrier_wait -1
	ds_load_b32 v6, v3 offset:3072
	s_mov_b32 s40, -1
	s_mov_b32 s41, -1
	s_wait_dscnt 0x0
	s_barrier_signal -1
	s_barrier_wait -1
	v_and_b32_e32 v7, 0xffff, v6
	s_delay_alu instid0(VALU_DEP_1)
	v_cmp_ne_u32_e32 vcc_lo, 0, v7
	s_cbranch_vccz .LBB174_298
.LBB174_294:                            ;   in Loop: Header=BB174_295 Depth=2
	s_and_b32 s40, exec_lo, s40
	s_delay_alu instid0(SALU_CYCLE_1) | instskip(SKIP_2) | instid1(SALU_CYCLE_1)
	s_or_b32 s22, s40, s22
	s_and_not1_b32 s28, s28, exec_lo
	s_and_b32 s40, s41, exec_lo
	s_or_b32 s28, s28, s40
	s_and_not1_b32 exec_lo, exec_lo, s22
	s_cbranch_execz .LBB174_300
.LBB174_295:                            ;   Parent Loop BB174_18 Depth=1
                                        ; =>  This Inner Loop Header: Depth=2
	s_mov_b32 s64, exec_lo
	s_delay_alu instid0(VALU_DEP_2)
	v_cmpx_gt_u64_e64 s[10:11], v[4:5]
	s_cbranch_execz .LBB174_293
; %bb.296:                              ;   in Loop: Header=BB174_295 Depth=2
	ds_load_u16 v6, v2
	s_wait_dscnt 0x0
	v_bfe_i32 v7, v6, 0, 16
	s_delay_alu instid0(VALU_DEP_1) | instskip(NEXT) | instid1(VALU_DEP_1)
	v_add_nc_u32_e32 v7, 0x8000, v7
	v_and_b32_e32 v7, v7, v34
	s_delay_alu instid0(VALU_DEP_1)
	v_cmp_eq_u32_e32 vcc_lo, v7, v31
	s_and_b32 exec_lo, exec_lo, vcc_lo
	s_cbranch_execz .LBB174_293
; %bb.297:                              ;   in Loop: Header=BB174_295 Depth=2
	v_perm_b32 v6, v6, 1, 0x5040100
	ds_store_b32 v3, v6 offset:3072
	s_branch .LBB174_293
.LBB174_298:                            ;   in Loop: Header=BB174_295 Depth=2
	v_add_nc_u64_e32 v[4:5], s[56:57], v[4:5]
	v_add_nc_u32_e32 v2, s69, v2
	s_mov_b32 s41, 0
	s_delay_alu instid0(VALU_DEP_2)
	v_cmp_le_u64_e32 vcc_lo, s[20:21], v[4:5]
	s_or_not1_b32 s40, vcc_lo, exec_lo
	s_branch .LBB174_294
.LBB174_299:                            ;   in Loop: Header=BB174_18 Depth=1
	v_dual_mov_b32 v31, v8 :: v_dual_mov_b32 v34, v9
	v_mov_b32_e32 v35, v10
	s_mov_b32 s89, 0
	s_and_saveexec_b32 s4, s86
	s_cbranch_execnz .LBB174_476
	s_branch .LBB174_477
.LBB174_300:                            ;   in Loop: Header=BB174_18 Depth=1
	s_or_b32 exec_lo, exec_lo, s22
	v_lshrrev_b32_e32 v35, 16, v6
	s_and_b32 s22, s28, exec_lo
.LBB174_301:                            ;   in Loop: Header=BB174_18 Depth=1
	s_or_b32 exec_lo, exec_lo, s23
.LBB174_302:                            ;   in Loop: Header=BB174_18 Depth=1
	s_delay_alu instid0(SALU_CYCLE_1)
	s_and_b32 vcc_lo, exec_lo, s4
	s_cbranch_vccz .LBB174_316
; %bb.303:                              ;   in Loop: Header=BB174_18 Depth=1
	s_and_b64 s[10:11], s[74:75], 0xffffffff00000000
	s_delay_alu instid0(SALU_CYCLE_1)
	s_cmp_lg_u64 s[10:11], 0
	s_cbranch_scc0 .LBB174_344
; %bb.304:                              ;   in Loop: Header=BB174_18 Depth=1
	s_cvt_f32_u32 s4, s56
	s_sub_nc_u64 s[20:21], 0, s[56:57]
	s_delay_alu instid0(SALU_CYCLE_2) | instskip(NEXT) | instid1(SALU_CYCLE_3)
	s_fmamk_f32 s4, s70, 0x0, s4
	v_s_rcp_f32 s4, s4
	s_delay_alu instid0(TRANS32_DEP_1) | instskip(NEXT) | instid1(SALU_CYCLE_3)
	s_mul_f32 s4, s4, 0x5f7ffffc
	s_mul_f32 s10, s4, 0x2f800000
	s_delay_alu instid0(SALU_CYCLE_3) | instskip(NEXT) | instid1(SALU_CYCLE_3)
	s_trunc_f32 s10, s10
	s_fmamk_f32 s4, s10, 0xcf800000, s4
	s_cvt_u32_f32 s11, s10
	s_delay_alu instid0(SALU_CYCLE_2) | instskip(NEXT) | instid1(SALU_CYCLE_3)
	s_cvt_u32_f32 s10, s4
	s_mul_u64 s[40:41], s[20:21], s[10:11]
	s_delay_alu instid0(SALU_CYCLE_1)
	s_mul_hi_u32 s43, s10, s41
	s_mul_i32 s42, s10, s41
	s_mul_hi_u32 s28, s10, s40
	s_mul_i32 s23, s11, s40
	s_add_nc_u64 s[42:43], s[28:29], s[42:43]
	s_mul_hi_u32 s4, s11, s40
	s_mul_hi_u32 s25, s11, s41
	s_add_co_u32 s23, s42, s23
	s_add_co_ci_u32 s28, s43, s4
	s_mul_i32 s40, s11, s41
	s_add_co_ci_u32 s41, s25, 0
	s_delay_alu instid0(SALU_CYCLE_1) | instskip(NEXT) | instid1(SALU_CYCLE_1)
	s_add_nc_u64 s[40:41], s[28:29], s[40:41]
	s_add_co_u32 s10, s10, s40
	s_cselect_b32 s4, -1, 0
	s_delay_alu instid0(SALU_CYCLE_1) | instskip(SKIP_1) | instid1(SALU_CYCLE_1)
	s_cmp_lg_u32 s4, 0
	s_add_co_ci_u32 s11, s11, s41
	s_mul_u64 s[20:21], s[20:21], s[10:11]
	s_delay_alu instid0(SALU_CYCLE_1)
	s_mul_hi_u32 s41, s10, s21
	s_mul_i32 s40, s10, s21
	s_mul_hi_u32 s28, s10, s20
	s_mul_i32 s23, s11, s20
	s_add_nc_u64 s[40:41], s[28:29], s[40:41]
	s_mul_hi_u32 s4, s11, s20
	s_mul_hi_u32 s25, s11, s21
	s_mul_i32 s20, s11, s21
	s_add_co_u32 s21, s40, s23
	s_add_co_ci_u32 s28, s41, s4
	s_add_co_ci_u32 s21, s25, 0
	s_delay_alu instid0(SALU_CYCLE_1) | instskip(NEXT) | instid1(SALU_CYCLE_1)
	s_add_nc_u64 s[20:21], s[28:29], s[20:21]
	s_add_co_u32 s4, s10, s20
	s_cselect_b32 s10, -1, 0
	s_mul_hi_u32 s28, s74, s4
	s_cmp_lg_u32 s10, 0
	s_mul_hi_u32 s23, s75, s4
	s_add_co_ci_u32 s20, s11, s21
	s_mul_i32 s4, s75, s4
	s_mul_hi_u32 s11, s74, s20
	s_mul_i32 s10, s74, s20
	s_mul_hi_u32 s21, s75, s20
	s_add_nc_u64 s[10:11], s[28:29], s[10:11]
	s_mul_i32 s20, s75, s20
	s_add_co_u32 s4, s10, s4
	s_add_co_ci_u32 s28, s11, s23
	s_add_co_ci_u32 s21, s21, 0
	s_delay_alu instid0(SALU_CYCLE_1) | instskip(NEXT) | instid1(SALU_CYCLE_1)
	s_add_nc_u64 s[10:11], s[28:29], s[20:21]
	s_and_b64 s[20:21], s[10:11], 0xffffffff00000000
	s_delay_alu instid0(SALU_CYCLE_1) | instskip(NEXT) | instid1(SALU_CYCLE_1)
	s_or_b32 s20, s20, s10
	s_mul_u64 s[10:11], s[56:57], s[20:21]
	s_delay_alu instid0(SALU_CYCLE_1) | instskip(SKIP_1) | instid1(SALU_CYCLE_1)
	s_sub_co_u32 s4, s74, s10
	s_cselect_b32 s10, -1, 0
	s_cmp_lg_u32 s10, 0
	s_sub_co_ci_u32 s10, s75, s11
	s_sub_co_u32 s11, s4, s56
	s_cselect_b32 s20, -1, 0
	s_delay_alu instid0(SALU_CYCLE_1) | instskip(SKIP_3) | instid1(SALU_CYCLE_1)
	s_cmp_lg_u32 s20, 0
	s_sub_co_ci_u32 s20, s10, 0
	s_sub_co_u32 s21, s11, s56
	s_cselect_b32 s23, -1, 0
	s_cmp_lg_u32 s23, 0
	s_sub_co_ci_u32 s23, s20, 0
	s_cmp_ge_u32 s11, s56
	s_cselect_b32 s25, -1, 0
	s_cmp_eq_u32 s20, 0
	s_cselect_b32 s25, s25, -1
	s_delay_alu instid0(SALU_CYCLE_1)
	s_cmp_lg_u32 s25, 0
	s_cselect_b32 s20, s23, s20
	s_cselect_b32 s21, s21, s11
	s_cmp_ge_u32 s4, s56
	s_cselect_b32 s11, -1, 0
	s_cmp_eq_u32 s10, 0
	s_cselect_b32 s11, s11, -1
	s_delay_alu instid0(SALU_CYCLE_1)
	s_cmp_lg_u32 s11, 0
	s_cselect_b32 s11, s20, s10
	s_cselect_b32 s10, s21, s4
	s_cbranch_execnz .LBB174_306
.LBB174_305:                            ;   in Loop: Header=BB174_18 Depth=1
	v_cvt_f32_u32_e32 v2, s56
	s_sub_co_i32 s10, 0, s56
	s_delay_alu instid0(VALU_DEP_1) | instskip(SKIP_1) | instid1(TRANS32_DEP_1)
	v_rcp_iflag_f32_e32 v2, v2
	v_nop
	v_mul_f32_e32 v2, 0x4f7ffffe, v2
	s_delay_alu instid0(VALU_DEP_1) | instskip(NEXT) | instid1(VALU_DEP_1)
	v_cvt_u32_f32_e32 v2, v2
	v_readfirstlane_b32 s4, v2
	s_mul_i32 s10, s10, s4
	s_delay_alu instid0(SALU_CYCLE_1) | instskip(NEXT) | instid1(SALU_CYCLE_1)
	s_mul_hi_u32 s10, s4, s10
	s_add_co_i32 s4, s4, s10
	s_delay_alu instid0(SALU_CYCLE_1) | instskip(NEXT) | instid1(SALU_CYCLE_1)
	s_mul_hi_u32 s4, s74, s4
	s_mul_i32 s4, s4, s56
	s_delay_alu instid0(SALU_CYCLE_1) | instskip(NEXT) | instid1(SALU_CYCLE_1)
	s_sub_co_i32 s4, s74, s4
	s_sub_co_i32 s10, s4, s56
	s_cmp_ge_u32 s4, s56
	s_cselect_b32 s4, s10, s4
	s_delay_alu instid0(SALU_CYCLE_1) | instskip(SKIP_2) | instid1(SALU_CYCLE_1)
	s_sub_co_i32 s10, s4, s56
	s_cmp_ge_u32 s4, s56
	s_cselect_b32 s28, s10, s4
	s_mov_b64 s[10:11], s[28:29]
.LBB174_306:                            ;   in Loop: Header=BB174_18 Depth=1
	s_delay_alu instid0(SALU_CYCLE_1)
	s_sub_nc_u64 s[10:11], s[74:75], s[10:11]
	s_mov_b32 s4, exec_lo
                                        ; implicit-def: $vgpr35
	v_cmpx_gt_u64_e64 s[10:11], v[0:1]
	s_cbranch_execz .LBB174_315
; %bb.307:                              ;   in Loop: Header=BB174_18 Depth=1
	v_mov_b64_e32 v[4:5], v[0:1]
	s_mov_b32 s20, 0
                                        ; implicit-def: $sgpr21
	s_branch .LBB174_310
.LBB174_308:                            ;   in Loop: Header=BB174_310 Depth=2
	s_or_b32 exec_lo, exec_lo, s23
	s_wait_dscnt 0x0
	s_barrier_signal -1
	s_barrier_wait -1
	ds_load_b32 v2, v3 offset:3072
	s_mov_b32 s25, -1
	s_mov_b32 s23, -1
	s_wait_dscnt 0x0
	s_barrier_signal -1
	s_barrier_wait -1
	v_and_b32_e32 v6, 0xffff, v2
	s_delay_alu instid0(VALU_DEP_1)
	v_cmp_ne_u32_e32 vcc_lo, 0, v6
	s_cbranch_vccz .LBB174_313
.LBB174_309:                            ;   in Loop: Header=BB174_310 Depth=2
	s_and_b32 s25, exec_lo, s25
	s_delay_alu instid0(SALU_CYCLE_1) | instskip(SKIP_2) | instid1(SALU_CYCLE_1)
	s_or_b32 s20, s25, s20
	s_and_not1_b32 s21, s21, exec_lo
	s_and_b32 s23, s23, exec_lo
	s_or_b32 s21, s21, s23
	s_and_not1_b32 exec_lo, exec_lo, s20
	s_cbranch_execz .LBB174_314
.LBB174_310:                            ;   Parent Loop BB174_18 Depth=1
                                        ; =>  This Inner Loop Header: Depth=2
	s_mov_b32 s23, exec_lo
	s_delay_alu instid0(VALU_DEP_1)
	v_cmpx_gt_u64_e64 s[36:37], v[4:5]
	s_cbranch_execz .LBB174_308
; %bb.311:                              ;   in Loop: Header=BB174_310 Depth=2
	v_mul_u64_e32 v[6:7], s[30:31], v[4:5]
	s_delay_alu instid0(VALU_DEP_1) | instskip(SKIP_3) | instid1(VALU_DEP_1)
	v_lshl_add_u64 v[6:7], v[6:7], 1, s[34:35]
	global_load_u16 v2, v[6:7], off
	s_wait_loadcnt 0x0
	v_bfe_i32 v6, v2, 0, 16
	v_add_nc_u32_e32 v6, 0x8000, v6
	s_delay_alu instid0(VALU_DEP_1) | instskip(NEXT) | instid1(VALU_DEP_1)
	v_and_b32_e32 v6, v6, v34
	v_cmp_eq_u32_e32 vcc_lo, v6, v31
	s_and_b32 exec_lo, exec_lo, vcc_lo
	s_cbranch_execz .LBB174_308
; %bb.312:                              ;   in Loop: Header=BB174_310 Depth=2
	v_perm_b32 v2, v2, 1, 0x5040100
	ds_store_b32 v3, v2 offset:3072
	s_branch .LBB174_308
.LBB174_313:                            ;   in Loop: Header=BB174_310 Depth=2
	v_add_nc_u64_e32 v[4:5], s[56:57], v[4:5]
	s_mov_b32 s23, 0
	s_delay_alu instid0(VALU_DEP_1)
	v_cmp_le_u64_e32 vcc_lo, s[10:11], v[4:5]
	s_or_not1_b32 s25, vcc_lo, exec_lo
	s_branch .LBB174_309
.LBB174_314:                            ;   in Loop: Header=BB174_18 Depth=1
	s_or_b32 exec_lo, exec_lo, s20
	v_lshrrev_b32_e32 v35, 16, v2
	s_and_not1_b32 s10, s22, exec_lo
	s_and_b32 s11, s21, exec_lo
	s_delay_alu instid0(SALU_CYCLE_1)
	s_or_b32 s22, s10, s11
.LBB174_315:                            ;   in Loop: Header=BB174_18 Depth=1
	s_or_b32 exec_lo, exec_lo, s4
	s_mov_b32 s25, 0
	s_mov_b32 s89, -1
.LBB174_316:                            ;   in Loop: Header=BB174_18 Depth=1
	s_or_not1_b32 s4, s22, exec_lo
.LBB174_317:                            ;   in Loop: Header=BB174_18 Depth=1
	s_or_b32 exec_lo, exec_lo, s87
                                        ; implicit-def: $vgpr4_vgpr5
                                        ; implicit-def: $vgpr2
	s_and_saveexec_b32 s22, s4
	s_cbranch_execz .LBB174_475
; %bb.318:                              ;   in Loop: Header=BB174_18 Depth=1
	v_mov_b64_e32 v[4:5], 1
	v_mov_b32_e32 v2, 1
	s_xor_b32 s10, s9, -1
	s_mov_b32 s9, 0
	s_and_saveexec_b32 s4, s10
	s_cbranch_execz .LBB174_327
; %bb.319:                              ;   in Loop: Header=BB174_18 Depth=1
	s_mov_b32 s9, exec_lo
	v_cmpx_ge_u64_e64 s[18:19], v[22:23]
	s_xor_b32 s9, exec_lo, s9
	s_cbranch_execz .LBB174_324
; %bb.320:                              ;   in Loop: Header=BB174_18 Depth=1
	ds_load_b64 v[4:5], v3 offset:5120
	v_or_b32_e32 v31, s24, v31
	v_or_b32_e32 v34, s24, v34
	s_wait_dscnt 0x0
	v_cmp_ne_u64_e32 vcc_lo, 0, v[4:5]
	s_cbranch_vccnz .LBB174_324
; %bb.321:                              ;   in Loop: Header=BB174_18 Depth=1
	s_and_saveexec_b32 s10, s5
; %bb.322:                              ;   in Loop: Header=BB174_18 Depth=1
	v_mov_b64_e32 v[4:5], s[18:19]
	ds_store_b64 v3, v[4:5] offset:5128
; %bb.323:                              ;   in Loop: Header=BB174_18 Depth=1
	s_or_b32 exec_lo, exec_lo, s10
	s_wait_dscnt 0x0
	s_barrier_signal -1
	s_barrier_wait -1
.LBB174_324:                            ;   in Loop: Header=BB174_18 Depth=1
	s_or_saveexec_b32 s9, s9
	v_mov_b32_e32 v2, 5
	s_mov_b32 s10, 0
	s_xor_b32 exec_lo, exec_lo, s9
; %bb.325:                              ;   in Loop: Header=BB174_18 Depth=1
	v_sub_nc_u64_e64 v[22:23], v[22:23], s[18:19]
	v_mov_b32_e32 v2, 0
	s_mov_b32 s10, exec_lo
; %bb.326:                              ;   in Loop: Header=BB174_18 Depth=1
	s_or_b32 exec_lo, exec_lo, s9
	s_delay_alu instid0(VALU_DEP_2)
	v_mov_b64_e32 v[4:5], v[22:23]
	s_and_b32 s9, s10, exec_lo
.LBB174_327:                            ;   in Loop: Header=BB174_18 Depth=1
	s_or_b32 exec_lo, exec_lo, s4
	s_mov_b32 s4, -1
                                        ; implicit-def: $sgpr23
                                        ; implicit-def: $sgpr87
	s_and_saveexec_b32 s10, s9
	s_delay_alu instid0(SALU_CYCLE_1)
	s_xor_b32 s9, exec_lo, s10
	s_cbranch_execz .LBB174_472
; %bb.328:                              ;   in Loop: Header=BB174_18 Depth=1
	v_cmp_eq_u64_e32 vcc_lo, 1, v[4:5]
	s_cmp_eq_u64 s[16:17], 1
                                        ; implicit-def: $sgpr87
                                        ; implicit-def: $sgpr23
	s_cselect_b32 s4, -1, 0
	s_delay_alu instid0(SALU_CYCLE_1)
	s_and_b32 s88, s4, vcc_lo
	s_mov_b32 s4, -1
	s_and_saveexec_b32 s90, s88
	s_cbranch_execz .LBB174_362
; %bb.329:                              ;   in Loop: Header=BB174_18 Depth=1
	ds_load_b64 v[6:7], v3 offset:5120
	s_wait_dscnt 0x0
	s_barrier_signal -1
	s_barrier_wait -1
	v_readfirstlane_b32 s10, v6
	v_readfirstlane_b32 s11, v7
	s_and_saveexec_b32 s4, s6
; %bb.330:                              ;   in Loop: Header=BB174_18 Depth=1
	ds_store_b16 v29, v3
; %bb.331:                              ;   in Loop: Header=BB174_18 Depth=1
	s_or_b32 exec_lo, exec_lo, s4
	s_lshl_b32 s4, 2, s71
	v_or_b32_e32 v34, s24, v34
	v_and_or_b32 v31, v31, s26, s4
	s_mov_b32 s23, -1
	s_mov_b32 s87, 0
	s_cmp_eq_u64 s[10:11], 0
	s_mov_b32 s20, 0
	s_mov_b32 s4, -1
	s_wait_dscnt 0x0
	s_barrier_signal -1
	s_barrier_wait -1
                                        ; implicit-def: $vgpr35
	s_cbranch_scc1 .LBB174_347
; %bb.332:                              ;   in Loop: Header=BB174_18 Depth=1
	s_add_nc_u64 s[18:19], s[10:11], s[72:73]
	s_delay_alu instid0(SALU_CYCLE_1) | instskip(NEXT) | instid1(SALU_CYCLE_1)
	s_and_b64 s[20:21], s[18:19], 0xffffffff00000000
	s_cmp_lg_u64 s[20:21], 0
	s_cbranch_scc0 .LBB174_388
; %bb.333:                              ;   in Loop: Header=BB174_18 Depth=1
	s_cvt_f32_u32 s4, s56
	s_sub_nc_u64 s[40:41], 0, s[56:57]
	s_delay_alu instid0(SALU_CYCLE_2) | instskip(NEXT) | instid1(SALU_CYCLE_3)
	s_fmamk_f32 s4, s70, 0x0, s4
	v_s_rcp_f32 s4, s4
	s_delay_alu instid0(TRANS32_DEP_1) | instskip(NEXT) | instid1(SALU_CYCLE_3)
	s_mul_f32 s4, s4, 0x5f7ffffc
	s_mul_f32 s20, s4, 0x2f800000
	s_delay_alu instid0(SALU_CYCLE_3) | instskip(NEXT) | instid1(SALU_CYCLE_3)
	s_trunc_f32 s20, s20
	s_fmamk_f32 s4, s20, 0xcf800000, s4
	s_cvt_u32_f32 s21, s20
	s_delay_alu instid0(SALU_CYCLE_2) | instskip(NEXT) | instid1(SALU_CYCLE_3)
	s_cvt_u32_f32 s20, s4
	s_mul_u64 s[42:43], s[40:41], s[20:21]
	s_delay_alu instid0(SALU_CYCLE_1)
	s_mul_hi_u32 s65, s20, s43
	s_mul_i32 s64, s20, s43
	s_mul_hi_u32 s28, s20, s42
	s_mul_i32 s44, s21, s42
	s_add_nc_u64 s[64:65], s[28:29], s[64:65]
	s_mul_hi_u32 s4, s21, s42
	s_mul_hi_u32 s45, s21, s43
	s_add_co_u32 s28, s64, s44
	s_add_co_ci_u32 s28, s65, s4
	s_mul_i32 s42, s21, s43
	s_add_co_ci_u32 s43, s45, 0
	s_delay_alu instid0(SALU_CYCLE_1) | instskip(NEXT) | instid1(SALU_CYCLE_1)
	s_add_nc_u64 s[42:43], s[28:29], s[42:43]
	s_add_co_u32 s20, s20, s42
	s_cselect_b32 s4, -1, 0
	s_delay_alu instid0(SALU_CYCLE_1) | instskip(SKIP_1) | instid1(SALU_CYCLE_1)
	s_cmp_lg_u32 s4, 0
	s_add_co_ci_u32 s21, s21, s43
	s_mul_u64 s[40:41], s[40:41], s[20:21]
	s_delay_alu instid0(SALU_CYCLE_1)
	s_mul_hi_u32 s43, s20, s41
	s_mul_i32 s42, s20, s41
	s_mul_hi_u32 s28, s20, s40
	s_mul_i32 s44, s21, s40
	s_add_nc_u64 s[42:43], s[28:29], s[42:43]
	s_mul_hi_u32 s4, s21, s40
	s_mul_hi_u32 s45, s21, s41
	s_add_co_u32 s28, s42, s44
	s_add_co_ci_u32 s28, s43, s4
	s_mul_i32 s40, s21, s41
	s_add_co_ci_u32 s41, s45, 0
	s_delay_alu instid0(SALU_CYCLE_1) | instskip(NEXT) | instid1(SALU_CYCLE_1)
	s_add_nc_u64 s[40:41], s[28:29], s[40:41]
	s_add_co_u32 s4, s20, s40
	s_cselect_b32 s20, -1, 0
	s_mul_hi_u32 s28, s18, s4
	s_cmp_lg_u32 s20, 0
	s_mul_hi_u32 s42, s19, s4
	s_add_co_ci_u32 s40, s21, s41
	s_mul_i32 s4, s19, s4
	s_mul_hi_u32 s21, s18, s40
	s_mul_i32 s20, s18, s40
	s_mul_hi_u32 s41, s19, s40
	s_add_nc_u64 s[20:21], s[28:29], s[20:21]
	s_mul_i32 s40, s19, s40
	s_add_co_u32 s4, s20, s4
	s_add_co_ci_u32 s28, s21, s42
	s_add_co_ci_u32 s41, s41, 0
	s_delay_alu instid0(SALU_CYCLE_1) | instskip(NEXT) | instid1(SALU_CYCLE_1)
	s_add_nc_u64 s[20:21], s[28:29], s[40:41]
	s_and_b64 s[40:41], s[20:21], 0xffffffff00000000
	s_delay_alu instid0(SALU_CYCLE_1) | instskip(NEXT) | instid1(SALU_CYCLE_1)
	s_or_b32 s40, s40, s20
	s_mul_u64 s[20:21], s[56:57], s[40:41]
	s_delay_alu instid0(SALU_CYCLE_1) | instskip(SKIP_1) | instid1(SALU_CYCLE_1)
	s_sub_co_u32 s4, s18, s20
	s_cselect_b32 s20, -1, 0
	s_cmp_lg_u32 s20, 0
	s_sub_co_ci_u32 s20, s19, s21
	s_sub_co_u32 s21, s4, s56
	s_cselect_b32 s28, -1, 0
	s_delay_alu instid0(SALU_CYCLE_1) | instskip(SKIP_3) | instid1(SALU_CYCLE_1)
	s_cmp_lg_u32 s28, 0
	s_sub_co_ci_u32 s28, s20, 0
	s_sub_co_u32 s40, s21, s56
	s_cselect_b32 s41, -1, 0
	s_cmp_lg_u32 s41, 0
	s_sub_co_ci_u32 s41, s28, 0
	s_cmp_ge_u32 s21, s56
	s_cselect_b32 s42, -1, 0
	s_cmp_eq_u32 s28, 0
	s_cselect_b32 s42, s42, -1
	s_delay_alu instid0(SALU_CYCLE_1)
	s_cmp_lg_u32 s42, 0
	s_cselect_b32 s28, s41, s28
	s_cselect_b32 s40, s40, s21
	s_cmp_ge_u32 s4, s56
	s_cselect_b32 s21, -1, 0
	s_cmp_eq_u32 s20, 0
	s_cselect_b32 s21, s21, -1
	s_delay_alu instid0(SALU_CYCLE_1)
	s_cmp_lg_u32 s21, 0
	s_cselect_b32 s21, s28, s20
	s_cselect_b32 s20, s40, s4
	s_cbranch_execnz .LBB174_335
.LBB174_334:                            ;   in Loop: Header=BB174_18 Depth=1
	v_cvt_f32_u32_e32 v6, s56
	s_sub_co_i32 s20, 0, s56
	s_delay_alu instid0(VALU_DEP_1) | instskip(SKIP_1) | instid1(TRANS32_DEP_1)
	v_rcp_iflag_f32_e32 v6, v6
	v_nop
	v_mul_f32_e32 v6, 0x4f7ffffe, v6
	s_delay_alu instid0(VALU_DEP_1) | instskip(NEXT) | instid1(VALU_DEP_1)
	v_cvt_u32_f32_e32 v6, v6
	v_readfirstlane_b32 s4, v6
	s_mul_i32 s20, s20, s4
	s_delay_alu instid0(SALU_CYCLE_1) | instskip(NEXT) | instid1(SALU_CYCLE_1)
	s_mul_hi_u32 s20, s4, s20
	s_add_co_i32 s4, s4, s20
	s_delay_alu instid0(SALU_CYCLE_1) | instskip(NEXT) | instid1(SALU_CYCLE_1)
	s_mul_hi_u32 s4, s18, s4
	s_mul_i32 s4, s4, s56
	s_delay_alu instid0(SALU_CYCLE_1) | instskip(NEXT) | instid1(SALU_CYCLE_1)
	s_sub_co_i32 s4, s18, s4
	s_sub_co_i32 s20, s4, s56
	s_cmp_ge_u32 s4, s56
	s_cselect_b32 s4, s20, s4
	s_delay_alu instid0(SALU_CYCLE_1) | instskip(SKIP_2) | instid1(SALU_CYCLE_1)
	s_sub_co_i32 s20, s4, s56
	s_cmp_ge_u32 s4, s56
	s_cselect_b32 s28, s20, s4
	s_mov_b64 s[20:21], s[28:29]
.LBB174_335:                            ;   in Loop: Header=BB174_18 Depth=1
	s_delay_alu instid0(SALU_CYCLE_1)
	s_sub_nc_u64 s[18:19], s[18:19], s[20:21]
	s_mov_b32 s4, 0
	s_mov_b32 s20, 0
	s_mov_b32 s21, exec_lo
                                        ; implicit-def: $vgpr35
	v_cmpx_gt_u64_e64 s[18:19], v[0:1]
	s_cbranch_execz .LBB174_346
; %bb.336:                              ;   in Loop: Header=BB174_18 Depth=1
	v_mov_b64_e32 v[6:7], v[0:1]
	v_mov_b32_e32 v8, v28
                                        ; implicit-def: $sgpr28
	s_branch .LBB174_339
.LBB174_337:                            ;   in Loop: Header=BB174_339 Depth=2
	s_or_b32 exec_lo, exec_lo, s64
	s_wait_dscnt 0x0
	s_barrier_signal -1
	s_barrier_wait -1
	ds_load_b32 v9, v3 offset:3072
	s_mov_b32 s40, -1
	s_mov_b32 s41, -1
	s_wait_dscnt 0x0
	s_barrier_signal -1
	s_barrier_wait -1
	v_and_b32_e32 v10, 0xffff, v9
	s_delay_alu instid0(VALU_DEP_1)
	v_cmp_ne_u32_e32 vcc_lo, 0, v10
	s_cbranch_vccz .LBB174_342
.LBB174_338:                            ;   in Loop: Header=BB174_339 Depth=2
	s_and_b32 s40, exec_lo, s40
	s_delay_alu instid0(SALU_CYCLE_1) | instskip(SKIP_2) | instid1(SALU_CYCLE_1)
	s_or_b32 s20, s40, s20
	s_and_not1_b32 s28, s28, exec_lo
	s_and_b32 s40, s41, exec_lo
	s_or_b32 s28, s28, s40
	s_and_not1_b32 exec_lo, exec_lo, s20
	s_cbranch_execz .LBB174_345
.LBB174_339:                            ;   Parent Loop BB174_18 Depth=1
                                        ; =>  This Inner Loop Header: Depth=2
	s_mov_b32 s64, exec_lo
	s_delay_alu instid0(VALU_DEP_2)
	v_cmpx_gt_u64_e64 s[10:11], v[6:7]
	s_cbranch_execz .LBB174_337
; %bb.340:                              ;   in Loop: Header=BB174_339 Depth=2
	ds_load_u16 v9, v8
	s_wait_dscnt 0x0
	v_bfe_i32 v10, v9, 0, 16
	s_delay_alu instid0(VALU_DEP_1) | instskip(NEXT) | instid1(VALU_DEP_1)
	v_add_nc_u32_e32 v10, 0x8000, v10
	v_and_b32_e32 v10, v10, v34
	s_delay_alu instid0(VALU_DEP_1)
	v_cmp_eq_u32_e32 vcc_lo, v10, v31
	s_and_b32 exec_lo, exec_lo, vcc_lo
	s_cbranch_execz .LBB174_337
; %bb.341:                              ;   in Loop: Header=BB174_339 Depth=2
	v_perm_b32 v9, v9, 1, 0x5040100
	ds_store_b32 v3, v9 offset:3072
	s_branch .LBB174_337
.LBB174_342:                            ;   in Loop: Header=BB174_339 Depth=2
	v_add_nc_u64_e32 v[6:7], s[56:57], v[6:7]
	v_add_nc_u32_e32 v8, s69, v8
	s_mov_b32 s41, 0
	s_delay_alu instid0(VALU_DEP_2)
	v_cmp_le_u64_e32 vcc_lo, s[18:19], v[6:7]
	s_or_not1_b32 s40, vcc_lo, exec_lo
	s_branch .LBB174_338
.LBB174_343:                            ;   in Loop: Header=BB174_18 Depth=1
                                        ; implicit-def: $sgpr22_sgpr23
	s_and_not1_b32 vcc_lo, exec_lo, s4
	s_cbranch_vccz .LBB174_290
	s_branch .LBB174_291
.LBB174_344:                            ;   in Loop: Header=BB174_18 Depth=1
                                        ; implicit-def: $sgpr10_sgpr11
	s_branch .LBB174_305
.LBB174_345:                            ;   in Loop: Header=BB174_18 Depth=1
	s_or_b32 exec_lo, exec_lo, s20
	v_lshrrev_b32_e32 v35, 16, v9
	s_and_b32 s20, s28, exec_lo
.LBB174_346:                            ;   in Loop: Header=BB174_18 Depth=1
	s_or_b32 exec_lo, exec_lo, s21
.LBB174_347:                            ;   in Loop: Header=BB174_18 Depth=1
	s_delay_alu instid0(SALU_CYCLE_1)
	s_and_b32 vcc_lo, exec_lo, s4
	s_cbranch_vccz .LBB174_361
; %bb.348:                              ;   in Loop: Header=BB174_18 Depth=1
	s_and_b64 s[10:11], s[74:75], 0xffffffff00000000
	s_delay_alu instid0(SALU_CYCLE_1)
	s_cmp_lg_u64 s[10:11], 0
	s_cbranch_scc0 .LBB174_389
; %bb.349:                              ;   in Loop: Header=BB174_18 Depth=1
	s_cvt_f32_u32 s4, s56
	s_sub_nc_u64 s[18:19], 0, s[56:57]
	s_delay_alu instid0(SALU_CYCLE_2) | instskip(NEXT) | instid1(SALU_CYCLE_3)
	s_fmamk_f32 s4, s70, 0x0, s4
	v_s_rcp_f32 s4, s4
	s_delay_alu instid0(TRANS32_DEP_1) | instskip(NEXT) | instid1(SALU_CYCLE_3)
	s_mul_f32 s4, s4, 0x5f7ffffc
	s_mul_f32 s10, s4, 0x2f800000
	s_delay_alu instid0(SALU_CYCLE_3) | instskip(NEXT) | instid1(SALU_CYCLE_3)
	s_trunc_f32 s10, s10
	s_fmamk_f32 s4, s10, 0xcf800000, s4
	s_cvt_u32_f32 s11, s10
	s_delay_alu instid0(SALU_CYCLE_2) | instskip(NEXT) | instid1(SALU_CYCLE_3)
	s_cvt_u32_f32 s10, s4
	s_mul_u64 s[40:41], s[18:19], s[10:11]
	s_delay_alu instid0(SALU_CYCLE_1)
	s_mul_hi_u32 s43, s10, s41
	s_mul_i32 s42, s10, s41
	s_mul_hi_u32 s28, s10, s40
	s_mul_i32 s21, s11, s40
	s_add_nc_u64 s[42:43], s[28:29], s[42:43]
	s_mul_hi_u32 s4, s11, s40
	s_mul_hi_u32 s23, s11, s41
	s_add_co_u32 s21, s42, s21
	s_add_co_ci_u32 s28, s43, s4
	s_mul_i32 s40, s11, s41
	s_add_co_ci_u32 s41, s23, 0
	s_delay_alu instid0(SALU_CYCLE_1) | instskip(NEXT) | instid1(SALU_CYCLE_1)
	s_add_nc_u64 s[40:41], s[28:29], s[40:41]
	s_add_co_u32 s10, s10, s40
	s_cselect_b32 s4, -1, 0
	s_delay_alu instid0(SALU_CYCLE_1) | instskip(SKIP_1) | instid1(SALU_CYCLE_1)
	s_cmp_lg_u32 s4, 0
	s_add_co_ci_u32 s11, s11, s41
	s_mul_u64 s[18:19], s[18:19], s[10:11]
	s_delay_alu instid0(SALU_CYCLE_1)
	s_mul_hi_u32 s41, s10, s19
	s_mul_i32 s40, s10, s19
	s_mul_hi_u32 s28, s10, s18
	s_mul_i32 s21, s11, s18
	s_add_nc_u64 s[40:41], s[28:29], s[40:41]
	s_mul_hi_u32 s4, s11, s18
	s_mul_hi_u32 s23, s11, s19
	s_mul_i32 s18, s11, s19
	s_add_co_u32 s19, s40, s21
	s_add_co_ci_u32 s28, s41, s4
	s_add_co_ci_u32 s19, s23, 0
	s_delay_alu instid0(SALU_CYCLE_1) | instskip(NEXT) | instid1(SALU_CYCLE_1)
	s_add_nc_u64 s[18:19], s[28:29], s[18:19]
	s_add_co_u32 s4, s10, s18
	s_cselect_b32 s10, -1, 0
	s_mul_hi_u32 s28, s74, s4
	s_cmp_lg_u32 s10, 0
	s_mul_hi_u32 s21, s75, s4
	s_add_co_ci_u32 s18, s11, s19
	s_mul_i32 s4, s75, s4
	s_mul_hi_u32 s11, s74, s18
	s_mul_i32 s10, s74, s18
	s_mul_hi_u32 s19, s75, s18
	s_add_nc_u64 s[10:11], s[28:29], s[10:11]
	s_mul_i32 s18, s75, s18
	s_add_co_u32 s4, s10, s4
	s_add_co_ci_u32 s28, s11, s21
	s_add_co_ci_u32 s19, s19, 0
	s_delay_alu instid0(SALU_CYCLE_1) | instskip(NEXT) | instid1(SALU_CYCLE_1)
	s_add_nc_u64 s[10:11], s[28:29], s[18:19]
	s_and_b64 s[18:19], s[10:11], 0xffffffff00000000
	s_delay_alu instid0(SALU_CYCLE_1) | instskip(NEXT) | instid1(SALU_CYCLE_1)
	s_or_b32 s18, s18, s10
	s_mul_u64 s[10:11], s[56:57], s[18:19]
	s_delay_alu instid0(SALU_CYCLE_1) | instskip(SKIP_1) | instid1(SALU_CYCLE_1)
	s_sub_co_u32 s4, s74, s10
	s_cselect_b32 s10, -1, 0
	s_cmp_lg_u32 s10, 0
	s_sub_co_ci_u32 s10, s75, s11
	s_sub_co_u32 s11, s4, s56
	s_cselect_b32 s18, -1, 0
	s_delay_alu instid0(SALU_CYCLE_1) | instskip(SKIP_3) | instid1(SALU_CYCLE_1)
	s_cmp_lg_u32 s18, 0
	s_sub_co_ci_u32 s18, s10, 0
	s_sub_co_u32 s19, s11, s56
	s_cselect_b32 s21, -1, 0
	s_cmp_lg_u32 s21, 0
	s_sub_co_ci_u32 s21, s18, 0
	s_cmp_ge_u32 s11, s56
	s_cselect_b32 s23, -1, 0
	s_cmp_eq_u32 s18, 0
	s_cselect_b32 s23, s23, -1
	s_delay_alu instid0(SALU_CYCLE_1)
	s_cmp_lg_u32 s23, 0
	s_cselect_b32 s18, s21, s18
	s_cselect_b32 s19, s19, s11
	s_cmp_ge_u32 s4, s56
	s_cselect_b32 s11, -1, 0
	s_cmp_eq_u32 s10, 0
	s_cselect_b32 s11, s11, -1
	s_delay_alu instid0(SALU_CYCLE_1)
	s_cmp_lg_u32 s11, 0
	s_cselect_b32 s11, s18, s10
	s_cselect_b32 s10, s19, s4
	s_cbranch_execnz .LBB174_351
.LBB174_350:                            ;   in Loop: Header=BB174_18 Depth=1
	v_cvt_f32_u32_e32 v6, s56
	s_sub_co_i32 s10, 0, s56
	s_delay_alu instid0(VALU_DEP_1) | instskip(SKIP_1) | instid1(TRANS32_DEP_1)
	v_rcp_iflag_f32_e32 v6, v6
	v_nop
	v_mul_f32_e32 v6, 0x4f7ffffe, v6
	s_delay_alu instid0(VALU_DEP_1) | instskip(NEXT) | instid1(VALU_DEP_1)
	v_cvt_u32_f32_e32 v6, v6
	v_readfirstlane_b32 s4, v6
	s_mul_i32 s10, s10, s4
	s_delay_alu instid0(SALU_CYCLE_1) | instskip(NEXT) | instid1(SALU_CYCLE_1)
	s_mul_hi_u32 s10, s4, s10
	s_add_co_i32 s4, s4, s10
	s_delay_alu instid0(SALU_CYCLE_1) | instskip(NEXT) | instid1(SALU_CYCLE_1)
	s_mul_hi_u32 s4, s74, s4
	s_mul_i32 s4, s4, s56
	s_delay_alu instid0(SALU_CYCLE_1) | instskip(NEXT) | instid1(SALU_CYCLE_1)
	s_sub_co_i32 s4, s74, s4
	s_sub_co_i32 s10, s4, s56
	s_cmp_ge_u32 s4, s56
	s_cselect_b32 s4, s10, s4
	s_delay_alu instid0(SALU_CYCLE_1) | instskip(SKIP_2) | instid1(SALU_CYCLE_1)
	s_sub_co_i32 s10, s4, s56
	s_cmp_ge_u32 s4, s56
	s_cselect_b32 s28, s10, s4
	s_mov_b64 s[10:11], s[28:29]
.LBB174_351:                            ;   in Loop: Header=BB174_18 Depth=1
	s_delay_alu instid0(SALU_CYCLE_1)
	s_sub_nc_u64 s[10:11], s[74:75], s[10:11]
	s_mov_b32 s4, exec_lo
                                        ; implicit-def: $vgpr35
	v_cmpx_gt_u64_e64 s[10:11], v[0:1]
	s_cbranch_execz .LBB174_360
; %bb.352:                              ;   in Loop: Header=BB174_18 Depth=1
	v_mov_b64_e32 v[6:7], v[0:1]
	s_mov_b32 s18, 0
                                        ; implicit-def: $sgpr19
	s_branch .LBB174_355
.LBB174_353:                            ;   in Loop: Header=BB174_355 Depth=2
	s_or_b32 exec_lo, exec_lo, s21
	s_wait_dscnt 0x0
	s_barrier_signal -1
	s_barrier_wait -1
	ds_load_b32 v8, v3 offset:3072
	s_mov_b32 s23, -1
	s_mov_b32 s21, -1
	s_wait_dscnt 0x0
	s_barrier_signal -1
	s_barrier_wait -1
	v_and_b32_e32 v9, 0xffff, v8
	s_delay_alu instid0(VALU_DEP_1)
	v_cmp_eq_u32_e32 vcc_lo, 0, v9
	s_cbranch_vccnz .LBB174_358
.LBB174_354:                            ;   in Loop: Header=BB174_355 Depth=2
	s_and_b32 s23, exec_lo, s23
	s_delay_alu instid0(SALU_CYCLE_1) | instskip(SKIP_2) | instid1(SALU_CYCLE_1)
	s_or_b32 s18, s23, s18
	s_and_not1_b32 s19, s19, exec_lo
	s_and_b32 s21, s21, exec_lo
	s_or_b32 s19, s19, s21
	s_and_not1_b32 exec_lo, exec_lo, s18
	s_cbranch_execz .LBB174_359
.LBB174_355:                            ;   Parent Loop BB174_18 Depth=1
                                        ; =>  This Inner Loop Header: Depth=2
	s_mov_b32 s21, exec_lo
	s_delay_alu instid0(VALU_DEP_1)
	v_cmpx_gt_u64_e64 s[36:37], v[6:7]
	s_cbranch_execz .LBB174_353
; %bb.356:                              ;   in Loop: Header=BB174_355 Depth=2
	v_mul_u64_e32 v[8:9], s[30:31], v[6:7]
	s_delay_alu instid0(VALU_DEP_1) | instskip(SKIP_3) | instid1(VALU_DEP_1)
	v_lshl_add_u64 v[8:9], v[8:9], 1, s[34:35]
	global_load_u16 v8, v[8:9], off
	s_wait_loadcnt 0x0
	v_bfe_i32 v9, v8, 0, 16
	v_add_nc_u32_e32 v9, 0x8000, v9
	s_delay_alu instid0(VALU_DEP_1) | instskip(NEXT) | instid1(VALU_DEP_1)
	v_and_b32_e32 v9, v9, v34
	v_cmp_eq_u32_e32 vcc_lo, v9, v31
	s_and_b32 exec_lo, exec_lo, vcc_lo
	s_cbranch_execz .LBB174_353
; %bb.357:                              ;   in Loop: Header=BB174_355 Depth=2
	v_perm_b32 v8, v8, 1, 0x5040100
	ds_store_b32 v3, v8 offset:3072
	s_branch .LBB174_353
.LBB174_358:                            ;   in Loop: Header=BB174_355 Depth=2
	v_add_nc_u64_e32 v[6:7], s[56:57], v[6:7]
	s_mov_b32 s21, 0
	s_delay_alu instid0(VALU_DEP_1)
	v_cmp_le_u64_e32 vcc_lo, s[10:11], v[6:7]
	s_or_not1_b32 s23, vcc_lo, exec_lo
	s_branch .LBB174_354
.LBB174_359:                            ;   in Loop: Header=BB174_18 Depth=1
	s_or_b32 exec_lo, exec_lo, s18
	v_lshrrev_b32_e32 v35, 16, v8
	s_and_not1_b32 s10, s20, exec_lo
	s_and_b32 s11, s19, exec_lo
	s_delay_alu instid0(SALU_CYCLE_1)
	s_or_b32 s20, s10, s11
.LBB174_360:                            ;   in Loop: Header=BB174_18 Depth=1
	s_or_b32 exec_lo, exec_lo, s4
	s_mov_b32 s23, 0
	s_mov_b32 s87, -1
.LBB174_361:                            ;   in Loop: Header=BB174_18 Depth=1
	s_or_not1_b32 s4, s20, exec_lo
.LBB174_362:                            ;   in Loop: Header=BB174_18 Depth=1
	s_or_b32 exec_lo, exec_lo, s90
	s_mov_b32 s10, 0
	s_and_saveexec_b32 s20, s4
	s_cbranch_execz .LBB174_471
; %bb.363:                              ;   in Loop: Header=BB174_18 Depth=1
	v_mov_b64_e32 v[6:7], 1
	v_mov_b32_e32 v2, 1
	s_xor_b32 s11, s88, -1
	s_delay_alu instid0(SALU_CYCLE_1)
	s_and_saveexec_b32 s4, s11
	s_cbranch_execz .LBB174_372
; %bb.364:                              ;   in Loop: Header=BB174_18 Depth=1
	s_mov_b32 s10, exec_lo
	v_cmpx_ge_u64_e64 s[16:17], v[4:5]
	s_xor_b32 s10, exec_lo, s10
	s_cbranch_execz .LBB174_369
; %bb.365:                              ;   in Loop: Header=BB174_18 Depth=1
	ds_load_b64 v[6:7], v3 offset:5120
	s_lshl_b32 s11, 2, s71
	v_or_b32_e32 v34, s24, v34
	v_and_or_b32 v31, v31, s26, s11
	s_wait_dscnt 0x0
	v_cmp_ne_u64_e32 vcc_lo, 0, v[6:7]
	s_cbranch_vccnz .LBB174_369
; %bb.366:                              ;   in Loop: Header=BB174_18 Depth=1
	s_and_saveexec_b32 s11, s5
; %bb.367:                              ;   in Loop: Header=BB174_18 Depth=1
	v_mov_b64_e32 v[6:7], s[16:17]
	ds_store_b64 v3, v[6:7] offset:5128
; %bb.368:                              ;   in Loop: Header=BB174_18 Depth=1
	s_or_b32 exec_lo, exec_lo, s11
	s_wait_dscnt 0x0
	s_barrier_signal -1
	s_barrier_wait -1
.LBB174_369:                            ;   in Loop: Header=BB174_18 Depth=1
	s_or_saveexec_b32 s10, s10
	v_mov_b32_e32 v2, 5
	s_mov_b32 s11, 0
	s_xor_b32 exec_lo, exec_lo, s10
; %bb.370:                              ;   in Loop: Header=BB174_18 Depth=1
	v_sub_nc_u64_e64 v[4:5], v[4:5], s[16:17]
	v_mov_b32_e32 v2, 0
	s_mov_b32 s11, exec_lo
; %bb.371:                              ;   in Loop: Header=BB174_18 Depth=1
	s_or_b32 exec_lo, exec_lo, s10
	s_delay_alu instid0(VALU_DEP_2)
	v_mov_b64_e32 v[6:7], v[4:5]
	s_and_b32 s10, s11, exec_lo
.LBB174_372:                            ;   in Loop: Header=BB174_18 Depth=1
	s_or_b32 exec_lo, exec_lo, s4
	s_mov_b32 s4, -1
                                        ; implicit-def: $sgpr88
                                        ; implicit-def: $sgpr90
	s_and_saveexec_b32 s21, s10
	s_cbranch_execz .LBB174_470
; %bb.373:                              ;   in Loop: Header=BB174_18 Depth=1
	s_delay_alu instid0(VALU_DEP_1) | instskip(SKIP_2) | instid1(SALU_CYCLE_1)
	v_cmp_eq_u64_e32 vcc_lo, 1, v[6:7]
	s_cmp_eq_u64 s[14:15], 1
                                        ; implicit-def: $sgpr90
                                        ; implicit-def: $sgpr88
	s_cselect_b32 s4, -1, 0
	s_and_b32 s91, s4, vcc_lo
	s_mov_b32 s4, -1
	s_and_saveexec_b32 s92, s91
	s_cbranch_execz .LBB174_407
; %bb.374:                              ;   in Loop: Header=BB174_18 Depth=1
	ds_load_b64 v[4:5], v3 offset:5120
	s_wait_dscnt 0x0
	s_barrier_signal -1
	s_barrier_wait -1
	v_readfirstlane_b32 s10, v4
	v_readfirstlane_b32 s11, v5
	s_and_saveexec_b32 s4, s6
; %bb.375:                              ;   in Loop: Header=BB174_18 Depth=1
	ds_store_b16 v29, v3
; %bb.376:                              ;   in Loop: Header=BB174_18 Depth=1
	s_or_b32 exec_lo, exec_lo, s4
	s_lshl_b32 s4, 1, s71
	v_or_b32_e32 v34, s24, v34
	v_and_or_b32 v31, v31, s26, s4
	s_mov_b32 s88, -1
	s_mov_b32 s90, 0
	s_cmp_eq_u64 s[10:11], 0
	s_mov_b32 s18, 0
	s_mov_b32 s4, -1
	s_wait_dscnt 0x0
	s_barrier_signal -1
	s_barrier_wait -1
                                        ; implicit-def: $vgpr35
	s_cbranch_scc1 .LBB174_392
; %bb.377:                              ;   in Loop: Header=BB174_18 Depth=1
	s_add_nc_u64 s[16:17], s[10:11], s[72:73]
	s_delay_alu instid0(SALU_CYCLE_1) | instskip(NEXT) | instid1(SALU_CYCLE_1)
	s_and_b64 s[18:19], s[16:17], 0xffffffff00000000
	s_cmp_lg_u64 s[18:19], 0
	s_cbranch_scc0 .LBB174_424
; %bb.378:                              ;   in Loop: Header=BB174_18 Depth=1
	s_cvt_f32_u32 s4, s56
	s_sub_nc_u64 s[40:41], 0, s[56:57]
	s_delay_alu instid0(SALU_CYCLE_2) | instskip(NEXT) | instid1(SALU_CYCLE_3)
	s_fmamk_f32 s4, s70, 0x0, s4
	v_s_rcp_f32 s4, s4
	s_delay_alu instid0(TRANS32_DEP_1) | instskip(NEXT) | instid1(SALU_CYCLE_3)
	s_mul_f32 s4, s4, 0x5f7ffffc
	s_mul_f32 s18, s4, 0x2f800000
	s_delay_alu instid0(SALU_CYCLE_3) | instskip(NEXT) | instid1(SALU_CYCLE_3)
	s_trunc_f32 s18, s18
	s_fmamk_f32 s4, s18, 0xcf800000, s4
	s_cvt_u32_f32 s19, s18
	s_delay_alu instid0(SALU_CYCLE_2) | instskip(NEXT) | instid1(SALU_CYCLE_3)
	s_cvt_u32_f32 s18, s4
	s_mul_u64 s[42:43], s[40:41], s[18:19]
	s_delay_alu instid0(SALU_CYCLE_1)
	s_mul_hi_u32 s65, s18, s43
	s_mul_i32 s64, s18, s43
	s_mul_hi_u32 s28, s18, s42
	s_mul_i32 s44, s19, s42
	s_add_nc_u64 s[64:65], s[28:29], s[64:65]
	s_mul_hi_u32 s4, s19, s42
	s_mul_hi_u32 s45, s19, s43
	s_add_co_u32 s28, s64, s44
	s_add_co_ci_u32 s28, s65, s4
	s_mul_i32 s42, s19, s43
	s_add_co_ci_u32 s43, s45, 0
	s_delay_alu instid0(SALU_CYCLE_1) | instskip(NEXT) | instid1(SALU_CYCLE_1)
	s_add_nc_u64 s[42:43], s[28:29], s[42:43]
	s_add_co_u32 s18, s18, s42
	s_cselect_b32 s4, -1, 0
	s_delay_alu instid0(SALU_CYCLE_1) | instskip(SKIP_1) | instid1(SALU_CYCLE_1)
	s_cmp_lg_u32 s4, 0
	s_add_co_ci_u32 s19, s19, s43
	s_mul_u64 s[40:41], s[40:41], s[18:19]
	s_delay_alu instid0(SALU_CYCLE_1)
	s_mul_hi_u32 s43, s18, s41
	s_mul_i32 s42, s18, s41
	s_mul_hi_u32 s28, s18, s40
	s_mul_i32 s44, s19, s40
	s_add_nc_u64 s[42:43], s[28:29], s[42:43]
	s_mul_hi_u32 s4, s19, s40
	s_mul_hi_u32 s45, s19, s41
	s_add_co_u32 s28, s42, s44
	s_add_co_ci_u32 s28, s43, s4
	s_mul_i32 s40, s19, s41
	s_add_co_ci_u32 s41, s45, 0
	s_delay_alu instid0(SALU_CYCLE_1) | instskip(NEXT) | instid1(SALU_CYCLE_1)
	s_add_nc_u64 s[40:41], s[28:29], s[40:41]
	s_add_co_u32 s4, s18, s40
	s_cselect_b32 s18, -1, 0
	s_mul_hi_u32 s28, s16, s4
	s_cmp_lg_u32 s18, 0
	s_mul_hi_u32 s42, s17, s4
	s_add_co_ci_u32 s40, s19, s41
	s_mul_i32 s4, s17, s4
	s_mul_hi_u32 s19, s16, s40
	s_mul_i32 s18, s16, s40
	s_mul_hi_u32 s41, s17, s40
	s_add_nc_u64 s[18:19], s[28:29], s[18:19]
	s_mul_i32 s40, s17, s40
	s_add_co_u32 s4, s18, s4
	s_add_co_ci_u32 s28, s19, s42
	s_add_co_ci_u32 s41, s41, 0
	s_delay_alu instid0(SALU_CYCLE_1) | instskip(NEXT) | instid1(SALU_CYCLE_1)
	s_add_nc_u64 s[18:19], s[28:29], s[40:41]
	s_and_b64 s[40:41], s[18:19], 0xffffffff00000000
	s_delay_alu instid0(SALU_CYCLE_1) | instskip(NEXT) | instid1(SALU_CYCLE_1)
	s_or_b32 s40, s40, s18
	s_mul_u64 s[18:19], s[56:57], s[40:41]
	s_delay_alu instid0(SALU_CYCLE_1) | instskip(SKIP_1) | instid1(SALU_CYCLE_1)
	s_sub_co_u32 s4, s16, s18
	s_cselect_b32 s18, -1, 0
	s_cmp_lg_u32 s18, 0
	s_sub_co_ci_u32 s18, s17, s19
	s_sub_co_u32 s19, s4, s56
	s_cselect_b32 s28, -1, 0
	s_delay_alu instid0(SALU_CYCLE_1) | instskip(SKIP_3) | instid1(SALU_CYCLE_1)
	s_cmp_lg_u32 s28, 0
	s_sub_co_ci_u32 s28, s18, 0
	s_sub_co_u32 s40, s19, s56
	s_cselect_b32 s41, -1, 0
	s_cmp_lg_u32 s41, 0
	s_sub_co_ci_u32 s41, s28, 0
	s_cmp_ge_u32 s19, s56
	s_cselect_b32 s42, -1, 0
	s_cmp_eq_u32 s28, 0
	s_cselect_b32 s42, s42, -1
	s_delay_alu instid0(SALU_CYCLE_1)
	s_cmp_lg_u32 s42, 0
	s_cselect_b32 s28, s41, s28
	s_cselect_b32 s40, s40, s19
	s_cmp_ge_u32 s4, s56
	s_cselect_b32 s19, -1, 0
	s_cmp_eq_u32 s18, 0
	s_cselect_b32 s19, s19, -1
	s_delay_alu instid0(SALU_CYCLE_1)
	s_cmp_lg_u32 s19, 0
	s_cselect_b32 s19, s28, s18
	s_cselect_b32 s18, s40, s4
	s_cbranch_execnz .LBB174_380
.LBB174_379:                            ;   in Loop: Header=BB174_18 Depth=1
	v_cvt_f32_u32_e32 v4, s56
	s_sub_co_i32 s18, 0, s56
	s_delay_alu instid0(VALU_DEP_1) | instskip(SKIP_1) | instid1(TRANS32_DEP_1)
	v_rcp_iflag_f32_e32 v4, v4
	v_nop
	v_mul_f32_e32 v4, 0x4f7ffffe, v4
	s_delay_alu instid0(VALU_DEP_1) | instskip(NEXT) | instid1(VALU_DEP_1)
	v_cvt_u32_f32_e32 v4, v4
	v_readfirstlane_b32 s4, v4
	s_mul_i32 s18, s18, s4
	s_delay_alu instid0(SALU_CYCLE_1) | instskip(NEXT) | instid1(SALU_CYCLE_1)
	s_mul_hi_u32 s18, s4, s18
	s_add_co_i32 s4, s4, s18
	s_delay_alu instid0(SALU_CYCLE_1) | instskip(NEXT) | instid1(SALU_CYCLE_1)
	s_mul_hi_u32 s4, s16, s4
	s_mul_i32 s4, s4, s56
	s_delay_alu instid0(SALU_CYCLE_1) | instskip(NEXT) | instid1(SALU_CYCLE_1)
	s_sub_co_i32 s4, s16, s4
	s_sub_co_i32 s18, s4, s56
	s_cmp_ge_u32 s4, s56
	s_cselect_b32 s4, s18, s4
	s_delay_alu instid0(SALU_CYCLE_1) | instskip(SKIP_2) | instid1(SALU_CYCLE_1)
	s_sub_co_i32 s18, s4, s56
	s_cmp_ge_u32 s4, s56
	s_cselect_b32 s28, s18, s4
	s_mov_b64 s[18:19], s[28:29]
.LBB174_380:                            ;   in Loop: Header=BB174_18 Depth=1
	s_delay_alu instid0(SALU_CYCLE_1)
	s_sub_nc_u64 s[16:17], s[16:17], s[18:19]
	s_mov_b32 s4, 0
	s_mov_b32 s18, 0
	s_mov_b32 s19, exec_lo
                                        ; implicit-def: $vgpr35
	v_cmpx_gt_u64_e64 s[16:17], v[0:1]
	s_cbranch_execz .LBB174_391
; %bb.381:                              ;   in Loop: Header=BB174_18 Depth=1
	v_mov_b64_e32 v[4:5], v[0:1]
	v_mov_b32_e32 v8, v28
                                        ; implicit-def: $sgpr28
	s_branch .LBB174_384
.LBB174_382:                            ;   in Loop: Header=BB174_384 Depth=2
	s_or_b32 exec_lo, exec_lo, s64
	s_wait_dscnt 0x0
	s_barrier_signal -1
	s_barrier_wait -1
	ds_load_b32 v9, v3 offset:3072
	s_mov_b32 s40, -1
	s_mov_b32 s41, -1
	s_wait_dscnt 0x0
	s_barrier_signal -1
	s_barrier_wait -1
	v_and_b32_e32 v10, 0xffff, v9
	s_delay_alu instid0(VALU_DEP_1)
	v_cmp_ne_u32_e32 vcc_lo, 0, v10
	s_cbranch_vccz .LBB174_387
.LBB174_383:                            ;   in Loop: Header=BB174_384 Depth=2
	s_and_b32 s40, exec_lo, s40
	s_delay_alu instid0(SALU_CYCLE_1) | instskip(SKIP_2) | instid1(SALU_CYCLE_1)
	s_or_b32 s18, s40, s18
	s_and_not1_b32 s28, s28, exec_lo
	s_and_b32 s40, s41, exec_lo
	s_or_b32 s28, s28, s40
	s_and_not1_b32 exec_lo, exec_lo, s18
	s_cbranch_execz .LBB174_390
.LBB174_384:                            ;   Parent Loop BB174_18 Depth=1
                                        ; =>  This Inner Loop Header: Depth=2
	s_mov_b32 s64, exec_lo
	s_delay_alu instid0(VALU_DEP_2)
	v_cmpx_gt_u64_e64 s[10:11], v[4:5]
	s_cbranch_execz .LBB174_382
; %bb.385:                              ;   in Loop: Header=BB174_384 Depth=2
	ds_load_u16 v9, v8
	s_wait_dscnt 0x0
	v_bfe_i32 v10, v9, 0, 16
	s_delay_alu instid0(VALU_DEP_1) | instskip(NEXT) | instid1(VALU_DEP_1)
	v_add_nc_u32_e32 v10, 0x8000, v10
	v_and_b32_e32 v10, v10, v34
	s_delay_alu instid0(VALU_DEP_1)
	v_cmp_eq_u32_e32 vcc_lo, v10, v31
	s_and_b32 exec_lo, exec_lo, vcc_lo
	s_cbranch_execz .LBB174_382
; %bb.386:                              ;   in Loop: Header=BB174_384 Depth=2
	v_perm_b32 v9, v9, 1, 0x5040100
	ds_store_b32 v3, v9 offset:3072
	s_branch .LBB174_382
.LBB174_387:                            ;   in Loop: Header=BB174_384 Depth=2
	v_add_nc_u64_e32 v[4:5], s[56:57], v[4:5]
	v_add_nc_u32_e32 v8, s69, v8
	s_mov_b32 s41, 0
	s_delay_alu instid0(VALU_DEP_2)
	v_cmp_le_u64_e32 vcc_lo, s[16:17], v[4:5]
	s_or_not1_b32 s40, vcc_lo, exec_lo
	s_branch .LBB174_383
.LBB174_388:                            ;   in Loop: Header=BB174_18 Depth=1
                                        ; implicit-def: $sgpr20_sgpr21
	s_and_not1_b32 vcc_lo, exec_lo, s4
	s_cbranch_vccz .LBB174_334
	s_branch .LBB174_335
.LBB174_389:                            ;   in Loop: Header=BB174_18 Depth=1
                                        ; implicit-def: $sgpr10_sgpr11
	s_branch .LBB174_350
.LBB174_390:                            ;   in Loop: Header=BB174_18 Depth=1
	s_or_b32 exec_lo, exec_lo, s18
	v_lshrrev_b32_e32 v35, 16, v9
	s_and_b32 s18, s28, exec_lo
.LBB174_391:                            ;   in Loop: Header=BB174_18 Depth=1
	s_or_b32 exec_lo, exec_lo, s19
.LBB174_392:                            ;   in Loop: Header=BB174_18 Depth=1
	s_delay_alu instid0(SALU_CYCLE_1)
	s_and_b32 vcc_lo, exec_lo, s4
	s_cbranch_vccz .LBB174_406
; %bb.393:                              ;   in Loop: Header=BB174_18 Depth=1
	s_and_b64 s[10:11], s[74:75], 0xffffffff00000000
	s_delay_alu instid0(SALU_CYCLE_1)
	s_cmp_lg_u64 s[10:11], 0
	s_cbranch_scc0 .LBB174_425
; %bb.394:                              ;   in Loop: Header=BB174_18 Depth=1
	s_cvt_f32_u32 s4, s56
	s_sub_nc_u64 s[16:17], 0, s[56:57]
	s_delay_alu instid0(SALU_CYCLE_2) | instskip(NEXT) | instid1(SALU_CYCLE_3)
	s_fmamk_f32 s4, s70, 0x0, s4
	v_s_rcp_f32 s4, s4
	s_delay_alu instid0(TRANS32_DEP_1) | instskip(NEXT) | instid1(SALU_CYCLE_3)
	s_mul_f32 s4, s4, 0x5f7ffffc
	s_mul_f32 s10, s4, 0x2f800000
	s_delay_alu instid0(SALU_CYCLE_3) | instskip(NEXT) | instid1(SALU_CYCLE_3)
	s_trunc_f32 s10, s10
	s_fmamk_f32 s4, s10, 0xcf800000, s4
	s_cvt_u32_f32 s11, s10
	s_delay_alu instid0(SALU_CYCLE_2) | instskip(NEXT) | instid1(SALU_CYCLE_3)
	s_cvt_u32_f32 s10, s4
	s_mul_u64 s[40:41], s[16:17], s[10:11]
	s_delay_alu instid0(SALU_CYCLE_1)
	s_mul_hi_u32 s43, s10, s41
	s_mul_i32 s42, s10, s41
	s_mul_hi_u32 s28, s10, s40
	s_mul_i32 s19, s11, s40
	s_add_nc_u64 s[42:43], s[28:29], s[42:43]
	s_mul_hi_u32 s4, s11, s40
	s_mul_hi_u32 s44, s11, s41
	s_add_co_u32 s19, s42, s19
	s_add_co_ci_u32 s28, s43, s4
	s_mul_i32 s40, s11, s41
	s_add_co_ci_u32 s41, s44, 0
	s_delay_alu instid0(SALU_CYCLE_1) | instskip(NEXT) | instid1(SALU_CYCLE_1)
	s_add_nc_u64 s[40:41], s[28:29], s[40:41]
	s_add_co_u32 s10, s10, s40
	s_cselect_b32 s4, -1, 0
	s_delay_alu instid0(SALU_CYCLE_1) | instskip(SKIP_1) | instid1(SALU_CYCLE_1)
	s_cmp_lg_u32 s4, 0
	s_add_co_ci_u32 s11, s11, s41
	s_mul_u64 s[16:17], s[16:17], s[10:11]
	s_delay_alu instid0(SALU_CYCLE_1)
	s_mul_hi_u32 s41, s10, s17
	s_mul_i32 s40, s10, s17
	s_mul_hi_u32 s28, s10, s16
	s_mul_i32 s19, s11, s16
	s_add_nc_u64 s[40:41], s[28:29], s[40:41]
	s_mul_hi_u32 s4, s11, s16
	s_mul_hi_u32 s42, s11, s17
	s_mul_i32 s16, s11, s17
	s_add_co_u32 s17, s40, s19
	s_add_co_ci_u32 s28, s41, s4
	s_add_co_ci_u32 s17, s42, 0
	s_delay_alu instid0(SALU_CYCLE_1) | instskip(NEXT) | instid1(SALU_CYCLE_1)
	s_add_nc_u64 s[16:17], s[28:29], s[16:17]
	s_add_co_u32 s4, s10, s16
	s_cselect_b32 s10, -1, 0
	s_mul_hi_u32 s28, s74, s4
	s_cmp_lg_u32 s10, 0
	s_mul_hi_u32 s19, s75, s4
	s_add_co_ci_u32 s16, s11, s17
	s_mul_i32 s4, s75, s4
	s_mul_hi_u32 s11, s74, s16
	s_mul_i32 s10, s74, s16
	s_mul_hi_u32 s17, s75, s16
	s_add_nc_u64 s[10:11], s[28:29], s[10:11]
	s_mul_i32 s16, s75, s16
	s_add_co_u32 s4, s10, s4
	s_add_co_ci_u32 s28, s11, s19
	s_add_co_ci_u32 s17, s17, 0
	s_delay_alu instid0(SALU_CYCLE_1) | instskip(NEXT) | instid1(SALU_CYCLE_1)
	s_add_nc_u64 s[10:11], s[28:29], s[16:17]
	s_and_b64 s[16:17], s[10:11], 0xffffffff00000000
	s_delay_alu instid0(SALU_CYCLE_1) | instskip(NEXT) | instid1(SALU_CYCLE_1)
	s_or_b32 s16, s16, s10
	s_mul_u64 s[10:11], s[56:57], s[16:17]
	s_delay_alu instid0(SALU_CYCLE_1) | instskip(SKIP_1) | instid1(SALU_CYCLE_1)
	s_sub_co_u32 s4, s74, s10
	s_cselect_b32 s10, -1, 0
	s_cmp_lg_u32 s10, 0
	s_sub_co_ci_u32 s10, s75, s11
	s_sub_co_u32 s11, s4, s56
	s_cselect_b32 s16, -1, 0
	s_delay_alu instid0(SALU_CYCLE_1) | instskip(SKIP_3) | instid1(SALU_CYCLE_1)
	s_cmp_lg_u32 s16, 0
	s_sub_co_ci_u32 s16, s10, 0
	s_sub_co_u32 s17, s11, s56
	s_cselect_b32 s19, -1, 0
	s_cmp_lg_u32 s19, 0
	s_sub_co_ci_u32 s19, s16, 0
	s_cmp_ge_u32 s11, s56
	s_cselect_b32 s28, -1, 0
	s_cmp_eq_u32 s16, 0
	s_cselect_b32 s28, s28, -1
	s_delay_alu instid0(SALU_CYCLE_1)
	s_cmp_lg_u32 s28, 0
	s_cselect_b32 s16, s19, s16
	s_cselect_b32 s17, s17, s11
	s_cmp_ge_u32 s4, s56
	s_cselect_b32 s11, -1, 0
	s_cmp_eq_u32 s10, 0
	s_cselect_b32 s11, s11, -1
	s_delay_alu instid0(SALU_CYCLE_1)
	s_cmp_lg_u32 s11, 0
	s_cselect_b32 s11, s16, s10
	s_cselect_b32 s10, s17, s4
	s_cbranch_execnz .LBB174_396
.LBB174_395:                            ;   in Loop: Header=BB174_18 Depth=1
	v_cvt_f32_u32_e32 v4, s56
	s_sub_co_i32 s10, 0, s56
	s_delay_alu instid0(VALU_DEP_1) | instskip(SKIP_1) | instid1(TRANS32_DEP_1)
	v_rcp_iflag_f32_e32 v4, v4
	v_nop
	v_mul_f32_e32 v4, 0x4f7ffffe, v4
	s_delay_alu instid0(VALU_DEP_1) | instskip(NEXT) | instid1(VALU_DEP_1)
	v_cvt_u32_f32_e32 v4, v4
	v_readfirstlane_b32 s4, v4
	s_mul_i32 s10, s10, s4
	s_delay_alu instid0(SALU_CYCLE_1) | instskip(NEXT) | instid1(SALU_CYCLE_1)
	s_mul_hi_u32 s10, s4, s10
	s_add_co_i32 s4, s4, s10
	s_delay_alu instid0(SALU_CYCLE_1) | instskip(NEXT) | instid1(SALU_CYCLE_1)
	s_mul_hi_u32 s4, s74, s4
	s_mul_i32 s4, s4, s56
	s_delay_alu instid0(SALU_CYCLE_1) | instskip(NEXT) | instid1(SALU_CYCLE_1)
	s_sub_co_i32 s4, s74, s4
	s_sub_co_i32 s10, s4, s56
	s_cmp_ge_u32 s4, s56
	s_cselect_b32 s4, s10, s4
	s_delay_alu instid0(SALU_CYCLE_1) | instskip(SKIP_2) | instid1(SALU_CYCLE_1)
	s_sub_co_i32 s10, s4, s56
	s_cmp_ge_u32 s4, s56
	s_cselect_b32 s28, s10, s4
	s_mov_b64 s[10:11], s[28:29]
.LBB174_396:                            ;   in Loop: Header=BB174_18 Depth=1
	s_delay_alu instid0(SALU_CYCLE_1)
	s_sub_nc_u64 s[10:11], s[74:75], s[10:11]
	s_mov_b32 s4, exec_lo
                                        ; implicit-def: $vgpr35
	v_cmpx_gt_u64_e64 s[10:11], v[0:1]
	s_cbranch_execz .LBB174_405
; %bb.397:                              ;   in Loop: Header=BB174_18 Depth=1
	v_mov_b64_e32 v[4:5], v[0:1]
	s_mov_b32 s16, 0
                                        ; implicit-def: $sgpr17
	s_branch .LBB174_400
.LBB174_398:                            ;   in Loop: Header=BB174_400 Depth=2
	s_or_b32 exec_lo, exec_lo, s19
	s_wait_dscnt 0x0
	s_barrier_signal -1
	s_barrier_wait -1
	ds_load_b32 v8, v3 offset:3072
	s_mov_b32 s28, -1
	s_mov_b32 s19, -1
	s_wait_dscnt 0x0
	s_barrier_signal -1
	s_barrier_wait -1
	v_and_b32_e32 v9, 0xffff, v8
	s_delay_alu instid0(VALU_DEP_1)
	v_cmp_eq_u32_e32 vcc_lo, 0, v9
	s_cbranch_vccnz .LBB174_403
.LBB174_399:                            ;   in Loop: Header=BB174_400 Depth=2
	s_and_b32 s28, exec_lo, s28
	s_delay_alu instid0(SALU_CYCLE_1) | instskip(SKIP_2) | instid1(SALU_CYCLE_1)
	s_or_b32 s16, s28, s16
	s_and_not1_b32 s17, s17, exec_lo
	s_and_b32 s19, s19, exec_lo
	s_or_b32 s17, s17, s19
	s_and_not1_b32 exec_lo, exec_lo, s16
	s_cbranch_execz .LBB174_404
.LBB174_400:                            ;   Parent Loop BB174_18 Depth=1
                                        ; =>  This Inner Loop Header: Depth=2
	s_mov_b32 s19, exec_lo
	s_delay_alu instid0(VALU_DEP_1)
	v_cmpx_gt_u64_e64 s[36:37], v[4:5]
	s_cbranch_execz .LBB174_398
; %bb.401:                              ;   in Loop: Header=BB174_400 Depth=2
	v_mul_u64_e32 v[8:9], s[30:31], v[4:5]
	s_delay_alu instid0(VALU_DEP_1) | instskip(SKIP_3) | instid1(VALU_DEP_1)
	v_lshl_add_u64 v[8:9], v[8:9], 1, s[34:35]
	global_load_u16 v8, v[8:9], off
	s_wait_loadcnt 0x0
	v_bfe_i32 v9, v8, 0, 16
	v_add_nc_u32_e32 v9, 0x8000, v9
	s_delay_alu instid0(VALU_DEP_1) | instskip(NEXT) | instid1(VALU_DEP_1)
	v_and_b32_e32 v9, v9, v34
	v_cmp_eq_u32_e32 vcc_lo, v9, v31
	s_and_b32 exec_lo, exec_lo, vcc_lo
	s_cbranch_execz .LBB174_398
; %bb.402:                              ;   in Loop: Header=BB174_400 Depth=2
	v_perm_b32 v8, v8, 1, 0x5040100
	ds_store_b32 v3, v8 offset:3072
	s_branch .LBB174_398
.LBB174_403:                            ;   in Loop: Header=BB174_400 Depth=2
	v_add_nc_u64_e32 v[4:5], s[56:57], v[4:5]
	s_mov_b32 s19, 0
	s_delay_alu instid0(VALU_DEP_1)
	v_cmp_le_u64_e32 vcc_lo, s[10:11], v[4:5]
	s_or_not1_b32 s28, vcc_lo, exec_lo
	s_branch .LBB174_399
.LBB174_404:                            ;   in Loop: Header=BB174_18 Depth=1
	s_or_b32 exec_lo, exec_lo, s16
	v_lshrrev_b32_e32 v35, 16, v8
	s_and_not1_b32 s10, s18, exec_lo
	s_and_b32 s11, s17, exec_lo
	s_delay_alu instid0(SALU_CYCLE_1)
	s_or_b32 s18, s10, s11
.LBB174_405:                            ;   in Loop: Header=BB174_18 Depth=1
	s_or_b32 exec_lo, exec_lo, s4
	s_mov_b32 s88, 0
	s_mov_b32 s90, -1
.LBB174_406:                            ;   in Loop: Header=BB174_18 Depth=1
	s_or_not1_b32 s4, s18, exec_lo
.LBB174_407:                            ;   in Loop: Header=BB174_18 Depth=1
	s_or_b32 exec_lo, exec_lo, s92
	s_mov_b32 s10, 0
	s_and_saveexec_b32 s18, s4
	s_cbranch_execz .LBB174_469
; %bb.408:                              ;   in Loop: Header=BB174_18 Depth=1
	v_mov_b64_e32 v[4:5], 1
	v_mov_b32_e32 v2, 1
	s_xor_b32 s11, s91, -1
	s_delay_alu instid0(SALU_CYCLE_1)
	s_and_saveexec_b32 s4, s11
	s_cbranch_execz .LBB174_417
; %bb.409:                              ;   in Loop: Header=BB174_18 Depth=1
	s_mov_b32 s10, exec_lo
	v_cmpx_ge_u64_e64 s[14:15], v[6:7]
	s_xor_b32 s10, exec_lo, s10
	s_cbranch_execz .LBB174_414
; %bb.410:                              ;   in Loop: Header=BB174_18 Depth=1
	ds_load_b64 v[4:5], v3 offset:5120
	s_lshl_b32 s11, 1, s71
	v_or_b32_e32 v34, s24, v34
	v_and_or_b32 v31, v31, s26, s11
	s_wait_dscnt 0x0
	v_cmp_ne_u64_e32 vcc_lo, 0, v[4:5]
	s_cbranch_vccnz .LBB174_414
; %bb.411:                              ;   in Loop: Header=BB174_18 Depth=1
	s_and_saveexec_b32 s11, s5
; %bb.412:                              ;   in Loop: Header=BB174_18 Depth=1
	v_mov_b64_e32 v[4:5], s[14:15]
	ds_store_b64 v3, v[4:5] offset:5128
; %bb.413:                              ;   in Loop: Header=BB174_18 Depth=1
	s_or_b32 exec_lo, exec_lo, s11
	s_wait_dscnt 0x0
	s_barrier_signal -1
	s_barrier_wait -1
.LBB174_414:                            ;   in Loop: Header=BB174_18 Depth=1
	s_or_saveexec_b32 s10, s10
	v_mov_b32_e32 v2, 5
	s_mov_b32 s11, 0
	s_xor_b32 exec_lo, exec_lo, s10
; %bb.415:                              ;   in Loop: Header=BB174_18 Depth=1
	v_sub_nc_u64_e64 v[6:7], v[6:7], s[14:15]
	v_mov_b32_e32 v2, 0
	s_mov_b32 s11, exec_lo
; %bb.416:                              ;   in Loop: Header=BB174_18 Depth=1
	s_or_b32 exec_lo, exec_lo, s10
	s_delay_alu instid0(VALU_DEP_2)
	v_mov_b64_e32 v[4:5], v[6:7]
	s_and_b32 s10, s11, exec_lo
.LBB174_417:                            ;   in Loop: Header=BB174_18 Depth=1
	s_or_b32 exec_lo, exec_lo, s4
	s_mov_b32 s4, -1
                                        ; implicit-def: $sgpr64
                                        ; implicit-def: $sgpr93
	s_and_saveexec_b32 s19, s10
	s_cbranch_execz .LBB174_468
; %bb.418:                              ;   in Loop: Header=BB174_18 Depth=1
	s_delay_alu instid0(VALU_DEP_1) | instskip(SKIP_3) | instid1(SALU_CYCLE_1)
	v_cmp_eq_u64_e32 vcc_lo, 1, v[4:5]
	s_cmp_eq_u64 s[12:13], 1
	s_mov_b32 s10, -1
	s_cselect_b32 s4, -1, 0
                                        ; implicit-def: $sgpr64
                                        ; implicit-def: $sgpr93
	s_and_b32 s91, s4, vcc_lo
	s_delay_alu instid0(SALU_CYCLE_1)
	s_and_saveexec_b32 s92, s91
	s_cbranch_execz .LBB174_456
; %bb.419:                              ;   in Loop: Header=BB174_18 Depth=1
	ds_load_b64 v[6:7], v3 offset:5120
	s_wait_dscnt 0x0
	s_barrier_signal -1
	s_barrier_wait -1
	v_readfirstlane_b32 s10, v6
	v_readfirstlane_b32 s11, v7
	s_and_saveexec_b32 s4, s6
; %bb.420:                              ;   in Loop: Header=BB174_18 Depth=1
	ds_store_b16 v29, v3
; %bb.421:                              ;   in Loop: Header=BB174_18 Depth=1
	s_or_b32 exec_lo, exec_lo, s4
	v_and_b32_e32 v31, s26, v31
	v_or_b32_e32 v34, s24, v34
	s_mov_b32 s93, -1
	s_mov_b32 s64, 0
	s_cmp_eq_u64 s[10:11], 0
	s_mov_b32 s16, 0
	s_mov_b32 s4, -1
	s_wait_dscnt 0x0
	s_barrier_signal -1
	s_barrier_wait -1
                                        ; implicit-def: $vgpr35
	s_cbranch_scc1 .LBB174_439
; %bb.422:                              ;   in Loop: Header=BB174_18 Depth=1
	s_add_nc_u64 s[14:15], s[10:11], s[72:73]
	s_delay_alu instid0(SALU_CYCLE_1) | instskip(NEXT) | instid1(SALU_CYCLE_1)
	s_and_b64 s[16:17], s[14:15], 0xffffffff00000000
	s_cmp_lg_u64 s[16:17], 0
	s_cbranch_scc0 .LBB174_426
; %bb.423:                              ;   in Loop: Header=BB174_18 Depth=1
	s_cvt_f32_u32 s4, s56
	s_sub_nc_u64 s[40:41], 0, s[56:57]
	s_delay_alu instid0(SALU_CYCLE_2) | instskip(NEXT) | instid1(SALU_CYCLE_3)
	s_fmamk_f32 s4, s70, 0x0, s4
	v_s_rcp_f32 s4, s4
	s_delay_alu instid0(TRANS32_DEP_1) | instskip(NEXT) | instid1(SALU_CYCLE_3)
	s_mul_f32 s4, s4, 0x5f7ffffc
	s_mul_f32 s16, s4, 0x2f800000
	s_delay_alu instid0(SALU_CYCLE_3) | instskip(NEXT) | instid1(SALU_CYCLE_3)
	s_trunc_f32 s16, s16
	s_fmamk_f32 s4, s16, 0xcf800000, s4
	s_cvt_u32_f32 s17, s16
	s_delay_alu instid0(SALU_CYCLE_2) | instskip(NEXT) | instid1(SALU_CYCLE_3)
	s_cvt_u32_f32 s16, s4
	s_mul_u64 s[42:43], s[40:41], s[16:17]
	s_delay_alu instid0(SALU_CYCLE_1)
	s_mul_hi_u32 s95, s16, s43
	s_mul_i32 s94, s16, s43
	s_mul_hi_u32 s28, s16, s42
	s_mul_i32 s44, s17, s42
	s_add_nc_u64 s[94:95], s[28:29], s[94:95]
	s_mul_hi_u32 s4, s17, s42
	s_mul_hi_u32 s45, s17, s43
	s_add_co_u32 s28, s94, s44
	s_add_co_ci_u32 s28, s95, s4
	s_mul_i32 s42, s17, s43
	s_add_co_ci_u32 s43, s45, 0
	s_delay_alu instid0(SALU_CYCLE_1) | instskip(NEXT) | instid1(SALU_CYCLE_1)
	s_add_nc_u64 s[42:43], s[28:29], s[42:43]
	s_add_co_u32 s16, s16, s42
	s_cselect_b32 s4, -1, 0
	s_delay_alu instid0(SALU_CYCLE_1) | instskip(SKIP_1) | instid1(SALU_CYCLE_1)
	s_cmp_lg_u32 s4, 0
	s_add_co_ci_u32 s17, s17, s43
	s_mul_u64 s[40:41], s[40:41], s[16:17]
	s_delay_alu instid0(SALU_CYCLE_1)
	s_mul_hi_u32 s43, s16, s41
	s_mul_i32 s42, s16, s41
	s_mul_hi_u32 s28, s16, s40
	s_mul_i32 s44, s17, s40
	s_add_nc_u64 s[42:43], s[28:29], s[42:43]
	s_mul_hi_u32 s4, s17, s40
	s_mul_hi_u32 s45, s17, s41
	s_add_co_u32 s28, s42, s44
	s_add_co_ci_u32 s28, s43, s4
	s_mul_i32 s40, s17, s41
	s_add_co_ci_u32 s41, s45, 0
	s_delay_alu instid0(SALU_CYCLE_1) | instskip(NEXT) | instid1(SALU_CYCLE_1)
	s_add_nc_u64 s[40:41], s[28:29], s[40:41]
	s_add_co_u32 s4, s16, s40
	s_cselect_b32 s16, -1, 0
	s_mul_hi_u32 s28, s14, s4
	s_cmp_lg_u32 s16, 0
	s_mul_hi_u32 s42, s15, s4
	s_add_co_ci_u32 s40, s17, s41
	s_mul_i32 s4, s15, s4
	s_mul_hi_u32 s17, s14, s40
	s_mul_i32 s16, s14, s40
	s_mul_hi_u32 s41, s15, s40
	s_add_nc_u64 s[16:17], s[28:29], s[16:17]
	s_mul_i32 s40, s15, s40
	s_add_co_u32 s4, s16, s4
	s_add_co_ci_u32 s28, s17, s42
	s_add_co_ci_u32 s41, s41, 0
	s_delay_alu instid0(SALU_CYCLE_1) | instskip(NEXT) | instid1(SALU_CYCLE_1)
	s_add_nc_u64 s[16:17], s[28:29], s[40:41]
	s_and_b64 s[40:41], s[16:17], 0xffffffff00000000
	s_delay_alu instid0(SALU_CYCLE_1) | instskip(NEXT) | instid1(SALU_CYCLE_1)
	s_or_b32 s40, s40, s16
	s_mul_u64 s[16:17], s[56:57], s[40:41]
	s_delay_alu instid0(SALU_CYCLE_1) | instskip(SKIP_1) | instid1(SALU_CYCLE_1)
	s_sub_co_u32 s4, s14, s16
	s_cselect_b32 s16, -1, 0
	s_cmp_lg_u32 s16, 0
	s_sub_co_ci_u32 s16, s15, s17
	s_sub_co_u32 s17, s4, s56
	s_cselect_b32 s28, -1, 0
	s_delay_alu instid0(SALU_CYCLE_1) | instskip(SKIP_3) | instid1(SALU_CYCLE_1)
	s_cmp_lg_u32 s28, 0
	s_sub_co_ci_u32 s28, s16, 0
	s_sub_co_u32 s40, s17, s56
	s_cselect_b32 s41, -1, 0
	s_cmp_lg_u32 s41, 0
	s_sub_co_ci_u32 s41, s28, 0
	s_cmp_ge_u32 s17, s56
	s_cselect_b32 s42, -1, 0
	s_cmp_eq_u32 s28, 0
	s_cselect_b32 s42, s42, -1
	s_delay_alu instid0(SALU_CYCLE_1)
	s_cmp_lg_u32 s42, 0
	s_cselect_b32 s28, s41, s28
	s_cselect_b32 s40, s40, s17
	s_cmp_ge_u32 s4, s56
	s_cselect_b32 s17, -1, 0
	s_cmp_eq_u32 s16, 0
	s_cselect_b32 s17, s17, -1
	s_delay_alu instid0(SALU_CYCLE_1)
	s_cmp_lg_u32 s17, 0
	s_cselect_b32 s17, s28, s16
	s_cselect_b32 s16, s40, s4
	s_mov_b32 s4, 0
	s_branch .LBB174_427
.LBB174_424:                            ;   in Loop: Header=BB174_18 Depth=1
                                        ; implicit-def: $sgpr18_sgpr19
	s_and_not1_b32 vcc_lo, exec_lo, s4
	s_cbranch_vccz .LBB174_379
	s_branch .LBB174_380
.LBB174_425:                            ;   in Loop: Header=BB174_18 Depth=1
                                        ; implicit-def: $sgpr10_sgpr11
	s_branch .LBB174_395
.LBB174_426:                            ;   in Loop: Header=BB174_18 Depth=1
                                        ; implicit-def: $sgpr16_sgpr17
.LBB174_427:                            ;   in Loop: Header=BB174_18 Depth=1
	s_and_not1_b32 vcc_lo, exec_lo, s4
	s_cbranch_vccnz .LBB174_429
; %bb.428:                              ;   in Loop: Header=BB174_18 Depth=1
	v_cvt_f32_u32_e32 v6, s56
	s_sub_co_i32 s16, 0, s56
	s_delay_alu instid0(VALU_DEP_1) | instskip(SKIP_1) | instid1(TRANS32_DEP_1)
	v_rcp_iflag_f32_e32 v6, v6
	v_nop
	v_mul_f32_e32 v6, 0x4f7ffffe, v6
	s_delay_alu instid0(VALU_DEP_1) | instskip(NEXT) | instid1(VALU_DEP_1)
	v_cvt_u32_f32_e32 v6, v6
	v_readfirstlane_b32 s4, v6
	s_mul_i32 s16, s16, s4
	s_delay_alu instid0(SALU_CYCLE_1) | instskip(NEXT) | instid1(SALU_CYCLE_1)
	s_mul_hi_u32 s16, s4, s16
	s_add_co_i32 s4, s4, s16
	s_delay_alu instid0(SALU_CYCLE_1) | instskip(NEXT) | instid1(SALU_CYCLE_1)
	s_mul_hi_u32 s4, s14, s4
	s_mul_i32 s4, s4, s56
	s_delay_alu instid0(SALU_CYCLE_1) | instskip(NEXT) | instid1(SALU_CYCLE_1)
	s_sub_co_i32 s4, s14, s4
	s_sub_co_i32 s16, s4, s56
	s_cmp_ge_u32 s4, s56
	s_cselect_b32 s4, s16, s4
	s_delay_alu instid0(SALU_CYCLE_1) | instskip(SKIP_2) | instid1(SALU_CYCLE_1)
	s_sub_co_i32 s16, s4, s56
	s_cmp_ge_u32 s4, s56
	s_cselect_b32 s28, s16, s4
	s_mov_b64 s[16:17], s[28:29]
.LBB174_429:                            ;   in Loop: Header=BB174_18 Depth=1
	s_delay_alu instid0(SALU_CYCLE_1)
	s_sub_nc_u64 s[14:15], s[14:15], s[16:17]
	s_mov_b32 s4, 0
	s_mov_b32 s16, 0
	s_mov_b32 s17, exec_lo
                                        ; implicit-def: $vgpr35
	v_cmpx_gt_u64_e64 s[14:15], v[0:1]
	s_cbranch_execz .LBB174_438
; %bb.430:                              ;   in Loop: Header=BB174_18 Depth=1
	v_mov_b64_e32 v[6:7], v[0:1]
	v_mov_b32_e32 v8, v28
                                        ; implicit-def: $sgpr28
	s_branch .LBB174_433
.LBB174_431:                            ;   in Loop: Header=BB174_433 Depth=2
	s_or_b32 exec_lo, exec_lo, s65
	s_wait_dscnt 0x0
	s_barrier_signal -1
	s_barrier_wait -1
	ds_load_b32 v9, v3 offset:3072
	s_mov_b32 s40, -1
	s_mov_b32 s41, -1
	s_wait_dscnt 0x0
	s_barrier_signal -1
	s_barrier_wait -1
	v_and_b32_e32 v10, 0xffff, v9
	s_delay_alu instid0(VALU_DEP_1)
	v_cmp_ne_u32_e32 vcc_lo, 0, v10
	s_cbranch_vccz .LBB174_436
.LBB174_432:                            ;   in Loop: Header=BB174_433 Depth=2
	s_and_b32 s40, exec_lo, s40
	s_delay_alu instid0(SALU_CYCLE_1) | instskip(SKIP_2) | instid1(SALU_CYCLE_1)
	s_or_b32 s16, s40, s16
	s_and_not1_b32 s28, s28, exec_lo
	s_and_b32 s40, s41, exec_lo
	s_or_b32 s28, s28, s40
	s_and_not1_b32 exec_lo, exec_lo, s16
	s_cbranch_execz .LBB174_437
.LBB174_433:                            ;   Parent Loop BB174_18 Depth=1
                                        ; =>  This Inner Loop Header: Depth=2
	s_mov_b32 s65, exec_lo
	s_delay_alu instid0(VALU_DEP_2)
	v_cmpx_gt_u64_e64 s[10:11], v[6:7]
	s_cbranch_execz .LBB174_431
; %bb.434:                              ;   in Loop: Header=BB174_433 Depth=2
	ds_load_u16 v9, v8
	s_wait_dscnt 0x0
	v_bfe_i32 v10, v9, 0, 16
	s_delay_alu instid0(VALU_DEP_1) | instskip(NEXT) | instid1(VALU_DEP_1)
	v_add_nc_u32_e32 v10, 0x8000, v10
	v_and_b32_e32 v10, v10, v34
	s_delay_alu instid0(VALU_DEP_1)
	v_cmp_eq_u32_e32 vcc_lo, v10, v31
	s_and_b32 exec_lo, exec_lo, vcc_lo
	s_cbranch_execz .LBB174_431
; %bb.435:                              ;   in Loop: Header=BB174_433 Depth=2
	v_perm_b32 v9, v9, 1, 0x5040100
	ds_store_b32 v3, v9 offset:3072
	s_branch .LBB174_431
.LBB174_436:                            ;   in Loop: Header=BB174_433 Depth=2
	v_add_nc_u64_e32 v[6:7], s[56:57], v[6:7]
	v_add_nc_u32_e32 v8, s69, v8
	s_mov_b32 s41, 0
	s_delay_alu instid0(VALU_DEP_2)
	v_cmp_le_u64_e32 vcc_lo, s[14:15], v[6:7]
	s_or_not1_b32 s40, vcc_lo, exec_lo
	s_branch .LBB174_432
.LBB174_437:                            ;   in Loop: Header=BB174_18 Depth=1
	s_or_b32 exec_lo, exec_lo, s16
	v_lshrrev_b32_e32 v35, 16, v9
	s_and_b32 s16, s28, exec_lo
.LBB174_438:                            ;   in Loop: Header=BB174_18 Depth=1
	s_or_b32 exec_lo, exec_lo, s17
.LBB174_439:                            ;   in Loop: Header=BB174_18 Depth=1
	s_delay_alu instid0(SALU_CYCLE_1)
	s_and_b32 vcc_lo, exec_lo, s4
	s_cbranch_vccz .LBB174_455
; %bb.440:                              ;   in Loop: Header=BB174_18 Depth=1
	s_and_b64 s[10:11], s[74:75], 0xffffffff00000000
	s_delay_alu instid0(SALU_CYCLE_1)
	s_cmp_lg_u64 s[10:11], 0
	s_cbranch_scc0 .LBB174_442
; %bb.441:                              ;   in Loop: Header=BB174_18 Depth=1
	s_cvt_f32_u32 s4, s56
	s_sub_nc_u64 s[14:15], 0, s[56:57]
	s_delay_alu instid0(SALU_CYCLE_2) | instskip(NEXT) | instid1(SALU_CYCLE_3)
	s_fmamk_f32 s4, s70, 0x0, s4
	v_s_rcp_f32 s4, s4
	s_delay_alu instid0(TRANS32_DEP_1) | instskip(NEXT) | instid1(SALU_CYCLE_3)
	s_mul_f32 s4, s4, 0x5f7ffffc
	s_mul_f32 s10, s4, 0x2f800000
	s_delay_alu instid0(SALU_CYCLE_3) | instskip(NEXT) | instid1(SALU_CYCLE_3)
	s_trunc_f32 s10, s10
	s_fmamk_f32 s4, s10, 0xcf800000, s4
	s_cvt_u32_f32 s11, s10
	s_delay_alu instid0(SALU_CYCLE_2) | instskip(NEXT) | instid1(SALU_CYCLE_3)
	s_cvt_u32_f32 s10, s4
	s_mul_u64 s[40:41], s[14:15], s[10:11]
	s_delay_alu instid0(SALU_CYCLE_1)
	s_mul_hi_u32 s43, s10, s41
	s_mul_i32 s42, s10, s41
	s_mul_hi_u32 s28, s10, s40
	s_mul_i32 s17, s11, s40
	s_add_nc_u64 s[42:43], s[28:29], s[42:43]
	s_mul_hi_u32 s4, s11, s40
	s_mul_hi_u32 s44, s11, s41
	s_add_co_u32 s17, s42, s17
	s_add_co_ci_u32 s28, s43, s4
	s_mul_i32 s40, s11, s41
	s_add_co_ci_u32 s41, s44, 0
	s_delay_alu instid0(SALU_CYCLE_1) | instskip(NEXT) | instid1(SALU_CYCLE_1)
	s_add_nc_u64 s[40:41], s[28:29], s[40:41]
	s_add_co_u32 s10, s10, s40
	s_cselect_b32 s4, -1, 0
	s_delay_alu instid0(SALU_CYCLE_1) | instskip(SKIP_1) | instid1(SALU_CYCLE_1)
	s_cmp_lg_u32 s4, 0
	s_add_co_ci_u32 s11, s11, s41
	s_mul_u64 s[14:15], s[14:15], s[10:11]
	s_delay_alu instid0(SALU_CYCLE_1)
	s_mul_hi_u32 s41, s10, s15
	s_mul_i32 s40, s10, s15
	s_mul_hi_u32 s28, s10, s14
	s_mul_i32 s17, s11, s14
	s_add_nc_u64 s[40:41], s[28:29], s[40:41]
	s_mul_hi_u32 s4, s11, s14
	s_mul_hi_u32 s42, s11, s15
	s_mul_i32 s14, s11, s15
	s_add_co_u32 s15, s40, s17
	s_add_co_ci_u32 s28, s41, s4
	s_add_co_ci_u32 s15, s42, 0
	s_delay_alu instid0(SALU_CYCLE_1) | instskip(NEXT) | instid1(SALU_CYCLE_1)
	s_add_nc_u64 s[14:15], s[28:29], s[14:15]
	s_add_co_u32 s4, s10, s14
	s_cselect_b32 s10, -1, 0
	s_mul_hi_u32 s28, s74, s4
	s_cmp_lg_u32 s10, 0
	s_mul_hi_u32 s17, s75, s4
	s_add_co_ci_u32 s14, s11, s15
	s_mul_i32 s4, s75, s4
	s_mul_hi_u32 s11, s74, s14
	s_mul_i32 s10, s74, s14
	s_mul_hi_u32 s15, s75, s14
	s_add_nc_u64 s[10:11], s[28:29], s[10:11]
	s_mul_i32 s14, s75, s14
	s_add_co_u32 s4, s10, s4
	s_add_co_ci_u32 s28, s11, s17
	s_add_co_ci_u32 s15, s15, 0
	s_delay_alu instid0(SALU_CYCLE_1) | instskip(NEXT) | instid1(SALU_CYCLE_1)
	s_add_nc_u64 s[10:11], s[28:29], s[14:15]
	s_and_b64 s[14:15], s[10:11], 0xffffffff00000000
	s_delay_alu instid0(SALU_CYCLE_1) | instskip(NEXT) | instid1(SALU_CYCLE_1)
	s_or_b32 s14, s14, s10
	s_mul_u64 s[10:11], s[56:57], s[14:15]
	s_delay_alu instid0(SALU_CYCLE_1) | instskip(SKIP_1) | instid1(SALU_CYCLE_1)
	s_sub_co_u32 s4, s74, s10
	s_cselect_b32 s10, -1, 0
	s_cmp_lg_u32 s10, 0
	s_sub_co_ci_u32 s10, s75, s11
	s_sub_co_u32 s11, s4, s56
	s_cselect_b32 s14, -1, 0
	s_delay_alu instid0(SALU_CYCLE_1) | instskip(SKIP_3) | instid1(SALU_CYCLE_1)
	s_cmp_lg_u32 s14, 0
	s_sub_co_ci_u32 s14, s10, 0
	s_sub_co_u32 s15, s11, s56
	s_cselect_b32 s17, -1, 0
	s_cmp_lg_u32 s17, 0
	s_sub_co_ci_u32 s17, s14, 0
	s_cmp_ge_u32 s11, s56
	s_cselect_b32 s28, -1, 0
	s_cmp_eq_u32 s14, 0
	s_cselect_b32 s28, s28, -1
	s_delay_alu instid0(SALU_CYCLE_1)
	s_cmp_lg_u32 s28, 0
	s_cselect_b32 s14, s17, s14
	s_cselect_b32 s15, s15, s11
	s_cmp_ge_u32 s4, s56
	s_cselect_b32 s11, -1, 0
	s_cmp_eq_u32 s10, 0
	s_cselect_b32 s11, s11, -1
	s_delay_alu instid0(SALU_CYCLE_1)
	s_cmp_lg_u32 s11, 0
	s_cselect_b32 s11, s14, s10
	s_cselect_b32 s10, s15, s4
	s_mov_b32 s4, 0
	s_branch .LBB174_443
.LBB174_442:                            ;   in Loop: Header=BB174_18 Depth=1
	s_mov_b32 s4, -1
                                        ; implicit-def: $sgpr10_sgpr11
.LBB174_443:                            ;   in Loop: Header=BB174_18 Depth=1
	s_delay_alu instid0(SALU_CYCLE_1)
	s_and_not1_b32 vcc_lo, exec_lo, s4
	s_cbranch_vccnz .LBB174_445
; %bb.444:                              ;   in Loop: Header=BB174_18 Depth=1
	v_cvt_f32_u32_e32 v6, s56
	s_sub_co_i32 s10, 0, s56
	s_delay_alu instid0(VALU_DEP_1) | instskip(SKIP_1) | instid1(TRANS32_DEP_1)
	v_rcp_iflag_f32_e32 v6, v6
	v_nop
	v_mul_f32_e32 v6, 0x4f7ffffe, v6
	s_delay_alu instid0(VALU_DEP_1) | instskip(NEXT) | instid1(VALU_DEP_1)
	v_cvt_u32_f32_e32 v6, v6
	v_readfirstlane_b32 s4, v6
	s_mul_i32 s10, s10, s4
	s_delay_alu instid0(SALU_CYCLE_1) | instskip(NEXT) | instid1(SALU_CYCLE_1)
	s_mul_hi_u32 s10, s4, s10
	s_add_co_i32 s4, s4, s10
	s_delay_alu instid0(SALU_CYCLE_1) | instskip(NEXT) | instid1(SALU_CYCLE_1)
	s_mul_hi_u32 s4, s74, s4
	s_mul_i32 s4, s4, s56
	s_delay_alu instid0(SALU_CYCLE_1) | instskip(NEXT) | instid1(SALU_CYCLE_1)
	s_sub_co_i32 s4, s74, s4
	s_sub_co_i32 s10, s4, s56
	s_cmp_ge_u32 s4, s56
	s_cselect_b32 s4, s10, s4
	s_delay_alu instid0(SALU_CYCLE_1) | instskip(SKIP_2) | instid1(SALU_CYCLE_1)
	s_sub_co_i32 s10, s4, s56
	s_cmp_ge_u32 s4, s56
	s_cselect_b32 s28, s10, s4
	s_mov_b64 s[10:11], s[28:29]
.LBB174_445:                            ;   in Loop: Header=BB174_18 Depth=1
	s_delay_alu instid0(SALU_CYCLE_1)
	s_sub_nc_u64 s[10:11], s[74:75], s[10:11]
	s_mov_b32 s4, exec_lo
                                        ; implicit-def: $vgpr35
	v_cmpx_gt_u64_e64 s[10:11], v[0:1]
	s_cbranch_execz .LBB174_454
; %bb.446:                              ;   in Loop: Header=BB174_18 Depth=1
	v_mov_b64_e32 v[6:7], v[0:1]
	s_mov_b32 s14, 0
                                        ; implicit-def: $sgpr15
	s_branch .LBB174_449
.LBB174_447:                            ;   in Loop: Header=BB174_449 Depth=2
	s_or_b32 exec_lo, exec_lo, s17
	s_wait_dscnt 0x0
	s_barrier_signal -1
	s_barrier_wait -1
	ds_load_b32 v8, v3 offset:3072
	s_mov_b32 s28, -1
	s_mov_b32 s17, -1
	s_wait_dscnt 0x0
	s_barrier_signal -1
	s_barrier_wait -1
	v_and_b32_e32 v9, 0xffff, v8
	s_delay_alu instid0(VALU_DEP_1)
	v_cmp_eq_u32_e32 vcc_lo, 0, v9
	s_cbranch_vccnz .LBB174_452
.LBB174_448:                            ;   in Loop: Header=BB174_449 Depth=2
	s_and_b32 s28, exec_lo, s28
	s_delay_alu instid0(SALU_CYCLE_1) | instskip(SKIP_2) | instid1(SALU_CYCLE_1)
	s_or_b32 s14, s28, s14
	s_and_not1_b32 s15, s15, exec_lo
	s_and_b32 s17, s17, exec_lo
	s_or_b32 s15, s15, s17
	s_and_not1_b32 exec_lo, exec_lo, s14
	s_cbranch_execz .LBB174_453
.LBB174_449:                            ;   Parent Loop BB174_18 Depth=1
                                        ; =>  This Inner Loop Header: Depth=2
	s_mov_b32 s17, exec_lo
	s_delay_alu instid0(VALU_DEP_1)
	v_cmpx_gt_u64_e64 s[36:37], v[6:7]
	s_cbranch_execz .LBB174_447
; %bb.450:                              ;   in Loop: Header=BB174_449 Depth=2
	v_mul_u64_e32 v[8:9], s[30:31], v[6:7]
	s_delay_alu instid0(VALU_DEP_1) | instskip(SKIP_3) | instid1(VALU_DEP_1)
	v_lshl_add_u64 v[8:9], v[8:9], 1, s[34:35]
	global_load_u16 v8, v[8:9], off
	s_wait_loadcnt 0x0
	v_bfe_i32 v9, v8, 0, 16
	v_add_nc_u32_e32 v9, 0x8000, v9
	s_delay_alu instid0(VALU_DEP_1) | instskip(NEXT) | instid1(VALU_DEP_1)
	v_and_b32_e32 v9, v9, v34
	v_cmp_eq_u32_e32 vcc_lo, v9, v31
	s_and_b32 exec_lo, exec_lo, vcc_lo
	s_cbranch_execz .LBB174_447
; %bb.451:                              ;   in Loop: Header=BB174_449 Depth=2
	v_perm_b32 v8, v8, 1, 0x5040100
	ds_store_b32 v3, v8 offset:3072
	s_branch .LBB174_447
.LBB174_452:                            ;   in Loop: Header=BB174_449 Depth=2
	v_add_nc_u64_e32 v[6:7], s[56:57], v[6:7]
	s_mov_b32 s17, 0
	s_delay_alu instid0(VALU_DEP_1)
	v_cmp_le_u64_e32 vcc_lo, s[10:11], v[6:7]
	s_or_not1_b32 s28, vcc_lo, exec_lo
	s_branch .LBB174_448
.LBB174_453:                            ;   in Loop: Header=BB174_18 Depth=1
	s_or_b32 exec_lo, exec_lo, s14
	v_lshrrev_b32_e32 v35, 16, v8
	s_and_not1_b32 s10, s16, exec_lo
	s_and_b32 s11, s15, exec_lo
	s_delay_alu instid0(SALU_CYCLE_1)
	s_or_b32 s16, s10, s11
.LBB174_454:                            ;   in Loop: Header=BB174_18 Depth=1
	s_or_b32 exec_lo, exec_lo, s4
	s_mov_b32 s93, 0
	s_mov_b32 s64, -1
.LBB174_455:                            ;   in Loop: Header=BB174_18 Depth=1
	s_or_not1_b32 s10, s16, exec_lo
.LBB174_456:                            ;   in Loop: Header=BB174_18 Depth=1
	s_or_b32 exec_lo, exec_lo, s92
	s_mov_b32 s11, 0
	s_and_saveexec_b32 s4, s10
	s_cbranch_execz .LBB174_467
; %bb.457:                              ;   in Loop: Header=BB174_18 Depth=1
	v_mov_b64_e32 v[6:7], 1
	v_mov_b32_e32 v2, 1
	s_xor_b32 s11, s91, -1
	s_delay_alu instid0(SALU_CYCLE_1)
	s_and_saveexec_b32 s10, s11
	s_cbranch_execz .LBB174_466
; %bb.458:                              ;   in Loop: Header=BB174_18 Depth=1
	s_mov_b32 s11, exec_lo
	v_cmpx_ge_u64_e64 s[12:13], v[4:5]
	s_xor_b32 s11, exec_lo, s11
	s_cbranch_execz .LBB174_463
; %bb.459:                              ;   in Loop: Header=BB174_18 Depth=1
	ds_load_b64 v[6:7], v3 offset:5120
	v_and_b32_e32 v31, s26, v31
	v_or_b32_e32 v34, s24, v34
	s_wait_dscnt 0x0
	v_cmp_ne_u64_e32 vcc_lo, 0, v[6:7]
	s_cbranch_vccnz .LBB174_463
; %bb.460:                              ;   in Loop: Header=BB174_18 Depth=1
	s_and_saveexec_b32 s14, s5
; %bb.461:                              ;   in Loop: Header=BB174_18 Depth=1
	v_mov_b64_e32 v[6:7], s[12:13]
	ds_store_b64 v3, v[6:7] offset:5128
; %bb.462:                              ;   in Loop: Header=BB174_18 Depth=1
	s_or_b32 exec_lo, exec_lo, s14
	s_wait_dscnt 0x0
	s_barrier_signal -1
	s_barrier_wait -1
.LBB174_463:                            ;   in Loop: Header=BB174_18 Depth=1
	s_and_not1_saveexec_b32 s11, s11
; %bb.464:                              ;   in Loop: Header=BB174_18 Depth=1
	v_sub_nc_u64_e64 v[4:5], v[4:5], s[12:13]
; %bb.465:                              ;   in Loop: Header=BB174_18 Depth=1
	s_or_b32 exec_lo, exec_lo, s11
	s_delay_alu instid0(VALU_DEP_1)
	v_mov_b64_e32 v[6:7], v[4:5]
	v_mov_b32_e32 v2, 5
.LBB174_466:                            ;   in Loop: Header=BB174_18 Depth=1
	s_or_b32 exec_lo, exec_lo, s10
	s_delay_alu instid0(VALU_DEP_2)
	v_mov_b64_e32 v[4:5], v[6:7]
	s_mov_b32 s11, exec_lo
.LBB174_467:                            ;   in Loop: Header=BB174_18 Depth=1
	s_or_b32 exec_lo, exec_lo, s4
	s_delay_alu instid0(SALU_CYCLE_1)
	s_or_not1_b32 s4, s11, exec_lo
.LBB174_468:                            ;   in Loop: Header=BB174_18 Depth=1
	s_or_b32 exec_lo, exec_lo, s19
	s_delay_alu instid0(VALU_DEP_1)
	v_mov_b64_e32 v[6:7], v[4:5]
	s_and_not1_b32 s10, s90, exec_lo
	s_and_b32 s11, s64, exec_lo
	s_and_not1_b32 s12, s88, exec_lo
	s_and_b32 s13, s93, exec_lo
	s_or_b32 s90, s10, s11
	s_or_b32 s88, s12, s13
	s_and_b32 s10, s4, exec_lo
.LBB174_469:                            ;   in Loop: Header=BB174_18 Depth=1
	s_or_b32 exec_lo, exec_lo, s18
	s_delay_alu instid0(SALU_CYCLE_1)
	s_or_not1_b32 s4, s10, exec_lo
.LBB174_470:                            ;   in Loop: Header=BB174_18 Depth=1
	s_or_b32 exec_lo, exec_lo, s21
	v_mov_b64_e32 v[4:5], v[6:7]
	s_and_not1_b32 s10, s87, exec_lo
	s_and_b32 s11, s90, exec_lo
	s_and_not1_b32 s12, s23, exec_lo
	s_and_b32 s13, s88, exec_lo
	s_or_b32 s87, s10, s11
	s_or_b32 s23, s12, s13
	s_and_b32 s10, s4, exec_lo
.LBB174_471:                            ;   in Loop: Header=BB174_18 Depth=1
	s_or_b32 exec_lo, exec_lo, s20
	s_delay_alu instid0(SALU_CYCLE_1)
	s_or_not1_b32 s4, s10, exec_lo
.LBB174_472:                            ;   in Loop: Header=BB174_18 Depth=1
	s_or_b32 exec_lo, exec_lo, s9
	s_mov_b32 s9, s86
	s_mov_b32 s10, s27
	s_and_saveexec_b32 s11, s4
; %bb.473:                              ;   in Loop: Header=BB174_18 Depth=1
	v_cmp_ne_u32_e32 vcc_lo, 5, v2
	v_cmp_eq_u32_e64 s9, 5, v2
	s_and_not1_b32 s4, s27, exec_lo
	s_and_not1_b32 s12, s86, exec_lo
	s_and_b32 s10, vcc_lo, exec_lo
	s_and_b32 s9, s9, exec_lo
	s_or_b32 s10, s4, s10
	s_or_b32 s9, s12, s9
; %bb.474:                              ;   in Loop: Header=BB174_18 Depth=1
	s_or_b32 exec_lo, exec_lo, s11
	s_delay_alu instid0(SALU_CYCLE_1)
	s_and_not1_b32 s4, s89, exec_lo
	s_and_b32 s11, s87, exec_lo
	s_and_not1_b32 s12, s25, exec_lo
	s_and_b32 s13, s23, exec_lo
	s_or_b32 s89, s4, s11
	s_and_not1_b32 s4, s27, exec_lo
	s_and_b32 s10, s10, exec_lo
	s_and_not1_b32 s11, s86, exec_lo
	s_and_b32 s9, s9, exec_lo
	s_or_b32 s25, s12, s13
	s_or_b32 s27, s4, s10
	;; [unrolled: 1-line block ×3, first 2 shown]
.LBB174_475:                            ;   in Loop: Header=BB174_18 Depth=1
	s_or_b32 exec_lo, exec_lo, s22
	s_mov_b32 s87, 0
	s_mov_b32 s88, 0
	s_and_saveexec_b32 s4, s86
.LBB174_476:                            ;   in Loop: Header=BB174_18 Depth=1
	v_mov_b32_e32 v2, 0
	s_or_b32 s27, s27, exec_lo
.LBB174_477:                            ;   in Loop: Header=BB174_18 Depth=1
	s_or_b32 exec_lo, exec_lo, s4
	v_mov_b64_e32 v[22:23], v[4:5]
	s_and_not1_b32 s4, s7, exec_lo
	s_and_b32 s7, s89, exec_lo
	s_and_not1_b32 s10, s55, exec_lo
	s_and_b32 s11, s25, exec_lo
	s_or_b32 s7, s4, s7
	s_or_b32 s55, s10, s11
	s_and_not1_b32 s4, s63, exec_lo
	s_and_b32 s10, s88, exec_lo
	s_and_not1_b32 s11, s62, exec_lo
	s_and_b32 s12, s87, exec_lo
	s_mov_b32 s9, -1
	s_and_not1_b32 s8, s8, exec_lo
	s_or_b32 s63, s4, s10
	s_or_b32 s62, s11, s12
	s_and_saveexec_b32 s4, s27
	s_delay_alu instid0(SALU_CYCLE_1)
	s_xor_b32 s4, exec_lo, s4
	s_cbranch_execz .LBB174_17
; %bb.478:                              ;   in Loop: Header=BB174_18 Depth=1
	s_mov_b32 s10, -1
	s_mov_b32 s11, exec_lo
	v_cmpx_eq_u32_e32 0, v2
	s_cbranch_execz .LBB174_16
; %bb.479:                              ;   in Loop: Header=BB174_18 Depth=1
	s_xor_b32 s50, s50, 1
	s_add_co_i32 s12, s71, -2
	s_cmp_eq_u32 s71, 0
	s_mov_b32 s71, s12
	s_cselect_b32 s9, -1, 0
	s_xor_b32 s10, exec_lo, -1
	s_or_not1_b32 s9, s9, exec_lo
	s_branch .LBB174_16
.LBB174_480:
	s_or_b32 exec_lo, exec_lo, s48
	s_xor_b32 s6, s54, -1
	s_xor_b32 s8, s52, -1
	;; [unrolled: 1-line block ×5, first 2 shown]
	s_mov_b32 s7, 0
	s_and_saveexec_b32 s11, s10
	s_delay_alu instid0(SALU_CYCLE_1)
	s_xor_b32 s16, exec_lo, s11
	s_cbranch_execnz .LBB174_485
; %bb.481:
	s_and_not1_saveexec_b32 s0, s16
	s_cbranch_execnz .LBB174_504
.LBB174_482:
	s_or_b32 exec_lo, exec_lo, s0
	s_and_saveexec_b32 s0, s7
.LBB174_483:
	; divergent unreachable
.LBB174_484:
	s_endpgm
.LBB174_485:
	s_and_saveexec_b32 s10, s9
	s_delay_alu instid0(SALU_CYCLE_1)
	s_xor_b32 s17, exec_lo, s10
	s_cbranch_execz .LBB174_502
; %bb.486:
	s_and_saveexec_b32 s9, s8
	s_delay_alu instid0(SALU_CYCLE_1)
	s_xor_b32 s18, exec_lo, s9
	s_cbranch_execz .LBB174_500
; %bb.487:
	;; [unrolled: 5-line block ×3, first 2 shown]
	s_and_saveexec_b32 s6, s4
	s_delay_alu instid0(SALU_CYCLE_1)
	s_xor_b32 s4, exec_lo, s6
; %bb.489:
	v_xor_b32_e32 v35, 0xffff8000, v31
; %bb.490:
	s_or_b32 exec_lo, exec_lo, s4
	s_and_saveexec_b32 s4, s5
	v_readlane_b32 s33, v46, 12
; %bb.491:
	v_mov_b64_e32 v[2:3], 0
	v_mov_b32_e32 v4, 0
	ds_store_b64 v4, v[2:3] offset:5136
; %bb.492:
	s_or_b32 exec_lo, exec_lo, s4
	v_mov_b32_e32 v13, 0
	s_wait_dscnt 0x0
	s_barrier_signal -1
	s_barrier_wait -1
	s_and_saveexec_b32 s4, s3
	s_cbranch_execz .LBB174_494
; %bb.493:
	global_load_u16 v13, v[14:15], off
.LBB174_494:
	s_wait_xcnt 0x0
	s_or_b32 exec_lo, exec_lo, s4
	s_clause 0x4
	s_load_b128 s[20:23], s[0:1], 0x380
	s_load_b128 s[24:27], s[0:1], 0x1d8
	;; [unrolled: 1-line block ×3, first 2 shown]
	s_load_b64 s[4:5], s[0:1], 0x450
	s_load_b64 s[12:13], s[0:1], 0x2a8
	v_readlane_b32 s6, v46, 0
	v_readlane_b32 s7, v46, 1
	s_add_nc_u64 s[10:11], s[36:37], 31
	s_mov_b64 s[14:15], 0xffffffffffffffe0
	s_delay_alu instid0(SALU_CYCLE_1) | instskip(NEXT) | instid1(SALU_CYCLE_1)
	s_and_b64 s[10:11], s[10:11], s[14:15]
	v_cmp_gt_u64_e32 vcc_lo, s[10:11], v[0:1]
	s_wait_kmcnt 0x0
	s_mov_b64 s[42:43], s[22:23]
	s_mov_b64 s[40:41], s[20:21]
	s_mul_u64 s[20:21], s[66:67], s[42:43]
	s_mul_u64 s[22:23], s[6:7], s[24:25]
	;; [unrolled: 1-line block ×4, first 2 shown]
	s_clause 0x1
	s_load_b64 s[6:7], s[0:1], 0x510
	s_load_b64 s[8:9], s[0:1], 0x368
	s_wait_xcnt 0x0
	s_sub_nc_u64 s[0:1], s[58:59], s[20:21]
	s_sub_nc_u64 s[20:21], s[58:59], s[24:25]
	v_readlane_b32 s24, v46, 10
	v_readlane_b32 s25, v46, 11
	;; [unrolled: 1-line block ×3, first 2 shown]
	s_sub_nc_u64 s[14:15], s[60:61], s[22:23]
	v_readlane_b32 s43, v46, 7
	s_mul_u64 s[14:15], s[14:15], s[46:47]
	v_readlane_b32 s44, v46, 2
	s_mul_u64 s[0:1], s[0:1], s[4:5]
	s_mul_u64 s[4:5], s[20:21], s[12:13]
	s_lshl_b64 s[12:13], s[26:27], 1
	v_readlane_b32 s45, v46, 3
	s_add_nc_u64 s[12:13], s[24:25], s[12:13]
	s_lshl_b64 s[14:15], s[14:15], 1
	v_readlane_b32 s46, v46, 4
	v_readlane_b32 s47, v46, 5
	s_mul_u64 s[28:29], s[42:43], s[40:41]
	s_add_nc_u64 s[12:13], s[12:13], s[14:15]
	v_readlane_b32 s14, v46, 8
	v_readlane_b32 s15, v46, 9
	s_sub_nc_u64 s[22:23], s[66:67], s[28:29]
	s_mul_u64 s[20:21], s[42:43], s[44:45]
	s_mul_u64 s[22:23], s[22:23], s[46:47]
	s_lshl_b64 s[20:21], s[20:21], 3
	s_lshl_b64 s[4:5], s[4:5], 1
	s_add_nc_u64 s[14:15], s[14:15], s[20:21]
	s_lshl_b64 s[20:21], s[22:23], 3
	s_lshl_b64 s[0:1], s[0:1], 3
	s_add_nc_u64 s[14:15], s[14:15], s[20:21]
	s_add_nc_u64 s[12:13], s[12:13], s[4:5]
	;; [unrolled: 1-line block ×3, first 2 shown]
	s_mov_b32 s0, -1
	s_mov_b32 s5, 0
	s_mov_b32 s1, 0
	s_and_saveexec_b32 s4, vcc_lo
	s_cbranch_execnz .LBB174_505
; %bb.495:
	s_or_b32 exec_lo, exec_lo, s4
	s_and_saveexec_b32 s4, s0
	s_cbranch_execnz .LBB174_520
.LBB174_496:
	s_or_b32 exec_lo, exec_lo, s4
	s_and_saveexec_b32 s0, s1
	s_delay_alu instid0(SALU_CYCLE_1)
	s_xor_b32 s0, exec_lo, s0
	s_cbranch_execnz .LBB174_543
.LBB174_497:
	s_or_b32 exec_lo, exec_lo, s0
	s_wait_kmcnt 0x0
	s_and_b32 s7, s5, exec_lo
.LBB174_498:
	s_and_not1_saveexec_b32 s0, s19
	s_cbranch_execnz .LBB174_545
.LBB174_499:
	s_or_b32 exec_lo, exec_lo, s0
	s_delay_alu instid0(SALU_CYCLE_1)
	s_and_b32 s7, s7, exec_lo
.LBB174_500:
	s_and_not1_saveexec_b32 s0, s18
	s_cbranch_execnz .LBB174_544
.LBB174_501:
	s_or_b32 exec_lo, exec_lo, s0
	s_delay_alu instid0(SALU_CYCLE_1)
	s_and_b32 s7, s7, exec_lo
.LBB174_502:
	s_and_not1_saveexec_b32 s0, s17
	s_cbranch_execnz .LBB174_539
.LBB174_503:
	s_or_b32 exec_lo, exec_lo, s0
	s_delay_alu instid0(SALU_CYCLE_1)
	s_and_b32 s7, s7, exec_lo
	s_and_not1_saveexec_b32 s0, s16
	s_cbranch_execz .LBB174_482
.LBB174_504:
	s_or_b32 s7, s7, exec_lo
	s_trap 2
	s_or_b32 exec_lo, exec_lo, s0
	s_and_saveexec_b32 s0, s7
	s_cbranch_execnz .LBB174_483
	s_branch .LBB174_484
.LBB174_505:
	v_bfe_i32 v2, v35, 0, 16
	v_mov_b64_e32 v[8:9], v[0:1]
	v_mov_b32_e32 v3, 0
	s_mov_b32 s20, 0
                                        ; implicit-def: $sgpr21
                                        ; implicit-def: $vgpr6_vgpr7
	s_delay_alu instid0(VALU_DEP_3)
	v_add_nc_u32_e32 v16, 0x8000, v2
	s_branch .LBB174_507
.LBB174_506:                            ;   in Loop: Header=BB174_507 Depth=1
	s_or_b32 exec_lo, exec_lo, s23
	s_xor_b32 s0, s22, -1
	s_and_b32 s1, exec_lo, s1
	v_mov_b64_e32 v[8:9], v[4:5]
	v_mov_b32_e32 v13, v17
	s_or_b32 s20, s1, s20
	s_and_not1_b32 s1, s21, exec_lo
	s_and_b32 s0, s0, exec_lo
	s_delay_alu instid0(SALU_CYCLE_1)
	s_or_b32 s21, s1, s0
	s_and_not1_b32 exec_lo, exec_lo, s20
	s_cbranch_execz .LBB174_519
.LBB174_507:                            ; =>This Inner Loop Header: Depth=1
	s_delay_alu instid0(VALU_DEP_3) | instskip(SKIP_2) | instid1(VALU_DEP_2)
	v_add_nc_u64_e32 v[4:5], s[56:57], v[8:9]
	v_mov_b32_e32 v17, 0
	s_mov_b32 s1, exec_lo
	v_cmpx_gt_u64_e64 s[36:37], v[4:5]
	s_cbranch_execz .LBB174_509
; %bb.508:                              ;   in Loop: Header=BB174_507 Depth=1
	v_mul_u64_e32 v[10:11], s[30:31], v[4:5]
	s_delay_alu instid0(VALU_DEP_1)
	v_lshl_add_u64 v[10:11], v[10:11], 1, s[34:35]
	global_load_u16 v17, v[10:11], off
.LBB174_509:                            ;   in Loop: Header=BB174_507 Depth=1
	s_wait_xcnt 0x0
	s_or_b32 exec_lo, exec_lo, s1
	s_wait_loadcnt 0x0
	v_bfe_i32 v2, v13, 0, 16
	s_delay_alu instid0(VALU_DEP_1) | instskip(NEXT) | instid1(VALU_DEP_1)
	v_add_nc_u32_e32 v2, 0x8000, v2
	v_cmp_gt_u32_e64 s0, v2, v16
	s_delay_alu instid0(VALU_DEP_1) | instskip(SKIP_1) | instid1(VALU_DEP_1)
	v_cndmask_b32_e64 v10, 0, 1, s0
	v_cmp_lt_u32_e64 s0, v2, v16
	v_cndmask_b32_e64 v2, 0, 1, s0
	v_cmp_gt_u64_e64 s0, s[36:37], v[8:9]
	s_delay_alu instid0(VALU_DEP_2) | instskip(NEXT) | instid1(VALU_DEP_1)
	v_cndmask_b32_e64 v2, v2, v10, s33
	v_and_b32_e32 v2, 1, v2
	s_delay_alu instid0(VALU_DEP_1) | instskip(SKIP_1) | instid1(SALU_CYCLE_1)
	v_cmp_eq_u32_e64 s1, 1, v2
	s_and_b32 s22, s0, s1
	v_cndmask_b32_e64 v2, 0, 1, s22
	s_delay_alu instid0(VALU_DEP_1) | instskip(SKIP_2) | instid1(SALU_CYCLE_1)
	v_cmp_ne_u32_e64 s0, 0, v2
	s_cmp_lg_u32 s0, 0
	s_cselect_b32 s1, -1, 0
	s_and_b32 s1, s2, s1
	s_delay_alu instid0(SALU_CYCLE_1)
	s_and_saveexec_b32 s23, s1
	s_cbranch_execz .LBB174_513
; %bb.510:                              ;   in Loop: Header=BB174_507 Depth=1
	s_mov_b32 s26, exec_lo
	s_bcnt1_i32_b32 s24, s0
	v_mbcnt_lo_u32_b32 v10, s26, 0
	s_mov_b32 s25, exec_lo
                                        ; implicit-def: $vgpr6_vgpr7
	s_delay_alu instid0(VALU_DEP_1)
	v_cmpx_eq_u32_e32 0, v10
	s_cbranch_execz .LBB174_512
; %bb.511:                              ;   in Loop: Header=BB174_507 Depth=1
	s_bcnt1_i32_b32 s1, s26
	s_delay_alu instid0(SALU_CYCLE_1) | instskip(NEXT) | instid1(SALU_CYCLE_1)
	s_mul_i32 s1, s24, s1
	v_mov_b32_e32 v2, s1
	s_wait_dscnt 0x0
	ds_add_rtn_u64 v[6:7], v3, v[2:3] offset:5136
.LBB174_512:                            ;   in Loop: Header=BB174_507 Depth=1
	s_or_b32 exec_lo, exec_lo, s25
	s_wait_dscnt 0x0
	v_readfirstlane_b32 s27, v7
	v_readfirstlane_b32 s26, v6
	s_delay_alu instid0(VALU_DEP_1)
	v_mad_nc_u64_u32 v[6:7], s24, v10, s[26:27]
.LBB174_513:                            ;   in Loop: Header=BB174_507 Depth=1
	s_or_b32 exec_lo, exec_lo, s23
	s_wait_dscnt 0x1
	ds_bpermute_b32 v6, v3, v6
	s_wait_dscnt 0x1
	ds_bpermute_b32 v7, v3, v7
	s_mov_b32 s1, -1
	s_mov_b32 s24, -1
	s_and_saveexec_b32 s23, s22
	s_cbranch_execz .LBB174_517
; %bb.514:                              ;   in Loop: Header=BB174_507 Depth=1
	v_and_b32_e32 v2, s0, v12
	s_mov_b32 s22, 0
	s_mov_b32 s24, exec_lo
	s_delay_alu instid0(VALU_DEP_1) | instskip(SKIP_1) | instid1(VALU_DEP_1)
	v_bcnt_u32_b32 v2, v2, 0
	s_wait_dscnt 0x0
	v_add_nc_u64_e32 v[10:11], v[6:7], v[2:3]
	s_delay_alu instid0(VALU_DEP_1)
	v_cmpx_gt_u64_e64 s[38:39], v[10:11]
	s_cbranch_execz .LBB174_516
; %bb.515:                              ;   in Loop: Header=BB174_507 Depth=1
	s_wait_kmcnt 0x0
	v_mul_u64_e32 v[18:19], s[8:9], v[10:11]
	v_mul_u64_e32 v[10:11], s[6:7], v[10:11]
	s_mov_b32 s22, exec_lo
	s_delay_alu instid0(VALU_DEP_2) | instskip(NEXT) | instid1(VALU_DEP_2)
	v_lshl_add_u64 v[18:19], v[18:19], 1, s[12:13]
	v_lshl_add_u64 v[10:11], v[10:11], 3, s[14:15]
	global_store_b16 v[18:19], v13, off
	global_store_b64 v[10:11], v[8:9], off
.LBB174_516:                            ;   in Loop: Header=BB174_507 Depth=1
	s_wait_xcnt 0x0
	s_or_b32 exec_lo, exec_lo, s24
	s_delay_alu instid0(SALU_CYCLE_1)
	s_or_not1_b32 s24, s22, exec_lo
.LBB174_517:                            ;   in Loop: Header=BB174_507 Depth=1
	s_or_b32 exec_lo, exec_lo, s23
	s_mov_b32 s22, -1
	s_and_saveexec_b32 s23, s24
	s_cbranch_execz .LBB174_506
; %bb.518:                              ;   in Loop: Header=BB174_507 Depth=1
	v_cmp_le_u64_e64 s0, s[10:11], v[4:5]
	s_xor_b32 s22, exec_lo, -1
	s_or_not1_b32 s1, s0, exec_lo
	s_branch .LBB174_506
.LBB174_519:
	s_or_b32 exec_lo, exec_lo, s20
	s_delay_alu instid0(SALU_CYCLE_1)
	s_mov_b32 s1, exec_lo
	s_or_not1_b32 s0, s21, exec_lo
	s_or_b32 exec_lo, exec_lo, s4
	s_and_saveexec_b32 s4, s0
	s_cbranch_execz .LBB174_496
.LBB174_520:
	v_mov_b32_e32 v2, 0
	s_wait_storecnt 0x0
	s_wait_loadcnt_dscnt 0x0
	s_barrier_signal -1
	s_barrier_wait -1
	s_and_saveexec_b32 s0, s3
	s_cbranch_execz .LBB174_522
; %bb.521:
	global_load_u16 v2, v[14:15], off
.LBB174_522:
	s_wait_xcnt 0x0
	s_or_b32 exec_lo, exec_lo, s0
	s_mov_b32 s0, 0
	s_and_saveexec_b32 s3, vcc_lo
	s_cbranch_execz .LBB174_542
; %bb.523:
	v_mov_b32_e32 v3, 0
	s_mov_b32 s5, 0
                                        ; implicit-def: $sgpr20
                                        ; implicit-def: $vgpr6_vgpr7
	s_branch .LBB174_526
.LBB174_524:                            ;   in Loop: Header=BB174_526 Depth=1
	s_or_b32 exec_lo, exec_lo, s21
	s_delay_alu instid0(SALU_CYCLE_1)
	s_or_not1_b32 s23, s23, exec_lo
	s_or_not1_b32 s22, s22, exec_lo
.LBB174_525:                            ;   in Loop: Header=BB174_526 Depth=1
	s_or_b32 exec_lo, exec_lo, s0
	s_xor_b32 s0, s23, -1
	s_and_b32 s21, exec_lo, s22
	v_mov_b64_e32 v[0:1], v[4:5]
	s_or_b32 s5, s21, s5
	v_mov_b32_e32 v2, v10
	s_and_not1_b32 s20, s20, exec_lo
	s_and_b32 s0, s0, exec_lo
	s_delay_alu instid0(SALU_CYCLE_1)
	s_or_b32 s20, s20, s0
	s_and_not1_b32 exec_lo, exec_lo, s5
	s_cbranch_execz .LBB174_540
.LBB174_526:                            ; =>This Inner Loop Header: Depth=1
	v_add_nc_u64_e32 v[4:5], s[56:57], v[0:1]
	v_mov_b32_e32 v10, 0
	s_mov_b32 s0, exec_lo
	s_delay_alu instid0(VALU_DEP_2)
	v_cmpx_gt_u64_e64 s[36:37], v[4:5]
	s_cbranch_execz .LBB174_528
; %bb.527:                              ;   in Loop: Header=BB174_526 Depth=1
	v_mul_u64_e32 v[8:9], s[30:31], v[4:5]
	s_delay_alu instid0(VALU_DEP_1)
	v_lshl_add_u64 v[8:9], v[8:9], 1, s[34:35]
	global_load_u16 v10, v[8:9], off
.LBB174_528:                            ;   in Loop: Header=BB174_526 Depth=1
	s_wait_xcnt 0x0
	s_or_b32 exec_lo, exec_lo, s0
	v_cmp_gt_u64_e32 vcc_lo, s[36:37], v[0:1]
	s_wait_loadcnt 0x0
	v_cmp_eq_u16_e64 s0, v2, v35
	s_and_b32 s21, vcc_lo, s0
	s_delay_alu instid0(SALU_CYCLE_1) | instskip(NEXT) | instid1(VALU_DEP_1)
	v_cndmask_b32_e64 v2, 0, 1, s21
	v_cmp_ne_u32_e32 vcc_lo, 0, v2
	s_cmp_lg_u32 vcc_lo, 0
	s_cselect_b32 s0, -1, 0
	s_delay_alu instid0(SALU_CYCLE_1) | instskip(NEXT) | instid1(SALU_CYCLE_1)
	s_and_b32 s0, s2, s0
	s_and_saveexec_b32 s22, s0
	s_cbranch_execz .LBB174_532
; %bb.529:                              ;   in Loop: Header=BB174_526 Depth=1
	s_mov_b32 s25, exec_lo
	s_bcnt1_i32_b32 s23, vcc_lo
	v_mbcnt_lo_u32_b32 v8, s25, 0
	s_mov_b32 s24, exec_lo
                                        ; implicit-def: $vgpr6_vgpr7
	s_delay_alu instid0(VALU_DEP_1)
	v_cmpx_eq_u32_e32 0, v8
; %bb.530:                              ;   in Loop: Header=BB174_526 Depth=1
	s_bcnt1_i32_b32 s0, s25
	s_delay_alu instid0(SALU_CYCLE_1) | instskip(NEXT) | instid1(SALU_CYCLE_1)
	s_mul_i32 s0, s23, s0
	v_mov_b32_e32 v2, s0
	ds_add_rtn_u64 v[6:7], v3, v[2:3] offset:5136
; %bb.531:                              ;   in Loop: Header=BB174_526 Depth=1
	s_or_b32 exec_lo, exec_lo, s24
	s_wait_dscnt 0x0
	v_readfirstlane_b32 s25, v7
	v_readfirstlane_b32 s24, v6
	s_delay_alu instid0(VALU_DEP_1)
	v_mad_nc_u64_u32 v[6:7], s23, v8, s[24:25]
.LBB174_532:                            ;   in Loop: Header=BB174_526 Depth=1
	s_or_b32 exec_lo, exec_lo, s22
	ds_bpermute_b32 v6, v3, v6
	ds_bpermute_b32 v7, v3, v7
	s_cmp_eq_u32 vcc_lo, 0
	s_mov_b32 s22, -1
	s_cselect_b32 s23, -1, 0
	s_wait_dscnt 0x0
	v_cmp_gt_u64_e64 s0, s[38:39], v[6:7]
	s_or_b32 s24, s23, s0
	s_mov_b32 s23, -1
	s_and_saveexec_b32 s0, s24
	s_cbranch_execz .LBB174_525
; %bb.533:                              ;   in Loop: Header=BB174_526 Depth=1
	v_and_b32_e32 v2, vcc_lo, v12
	v_sub_nc_u64_e32 v[8:9], s[38:39], v[6:7]
	s_mov_b32 s24, -1
	s_delay_alu instid0(VALU_DEP_2) | instskip(NEXT) | instid1(VALU_DEP_1)
	v_bcnt_u32_b32 v2, v2, 0
	v_bcnt_u32_b32 v2, 0, v2
	s_delay_alu instid0(VALU_DEP_1) | instskip(SKIP_1) | instid1(SALU_CYCLE_1)
	v_cmp_gt_u64_e32 vcc_lo, v[8:9], v[2:3]
	s_and_b32 s25, s21, vcc_lo
	s_and_saveexec_b32 s21, s25
	s_cbranch_execz .LBB174_537
; %bb.534:                              ;   in Loop: Header=BB174_526 Depth=1
	v_add_nc_u64_e32 v[8:9], v[6:7], v[2:3]
	s_mov_b32 s24, 0
	s_mov_b32 s23, exec_lo
	s_delay_alu instid0(VALU_DEP_1)
	v_cmpx_gt_u64_e64 s[38:39], v[8:9]
	s_cbranch_execz .LBB174_536
; %bb.535:                              ;   in Loop: Header=BB174_526 Depth=1
	s_wait_kmcnt 0x0
	v_mul_u64_e32 v[14:15], s[8:9], v[8:9]
	v_mul_u64_e32 v[8:9], s[6:7], v[8:9]
	s_mov_b32 s24, exec_lo
	s_delay_alu instid0(VALU_DEP_2) | instskip(NEXT) | instid1(VALU_DEP_2)
	v_lshl_add_u64 v[14:15], v[14:15], 1, s[12:13]
	v_lshl_add_u64 v[8:9], v[8:9], 3, s[14:15]
	global_store_b16 v[14:15], v35, off
	global_store_b64 v[8:9], v[0:1], off
.LBB174_536:                            ;   in Loop: Header=BB174_526 Depth=1
	s_wait_xcnt 0x0
	s_or_b32 exec_lo, exec_lo, s23
	s_delay_alu instid0(SALU_CYCLE_1)
	s_xor_b32 s23, exec_lo, -1
	s_or_not1_b32 s24, s24, exec_lo
.LBB174_537:                            ;   in Loop: Header=BB174_526 Depth=1
	s_or_b32 exec_lo, exec_lo, s21
	s_and_saveexec_b32 s21, s24
	s_cbranch_execz .LBB174_524
; %bb.538:                              ;   in Loop: Header=BB174_526 Depth=1
	v_cmp_le_u64_e32 vcc_lo, s[10:11], v[4:5]
	s_or_b32 s23, s23, exec_lo
	s_or_not1_b32 s22, vcc_lo, exec_lo
	s_branch .LBB174_524
.LBB174_539:
	s_or_b32 s7, s7, exec_lo
	s_trap 2
	s_branch .LBB174_503
.LBB174_540:
	s_or_b32 exec_lo, exec_lo, s5
	s_mov_b32 s0, 0
	s_and_saveexec_b32 s2, s20
	s_delay_alu instid0(SALU_CYCLE_1)
	s_xor_b32 s2, exec_lo, s2
	s_cbranch_execnz .LBB174_546
.LBB174_541:
	s_or_b32 exec_lo, exec_lo, s2
	s_delay_alu instid0(SALU_CYCLE_1)
	s_and_b32 s0, s0, exec_lo
.LBB174_542:
	s_or_b32 exec_lo, exec_lo, s3
	s_delay_alu instid0(SALU_CYCLE_1) | instskip(SKIP_3) | instid1(SALU_CYCLE_1)
	s_and_b32 s5, s0, exec_lo
	s_and_not1_b32 s1, s1, exec_lo
	s_or_b32 exec_lo, exec_lo, s4
	s_and_saveexec_b32 s0, s1
	s_xor_b32 s0, exec_lo, s0
	s_cbranch_execz .LBB174_497
.LBB174_543:
	s_or_b32 s5, s5, exec_lo
	s_trap 2
	s_branch .LBB174_497
.LBB174_544:
	s_or_b32 s7, s7, exec_lo
	s_trap 2
	s_branch .LBB174_501
.LBB174_545:
	s_or_b32 s7, s7, exec_lo
	s_trap 2
	s_branch .LBB174_499
.LBB174_546:
	s_mov_b32 s0, exec_lo
	s_trap 2
	s_branch .LBB174_541
	.section	.rodata,"a",@progbits
	.p2align	6, 0x0
	.amdhsa_kernel _ZN2at6native6sbtopk10gatherTopKIsmLi3ELb0EEEvNS_4cuda6detail10TensorInfoIKT_T0_EES8_S8_bS8_S8_NS5_IS6_S8_EES8_NS5_IlS8_EES8_PS6_
		.amdhsa_group_segment_fixed_size 5152
		.amdhsa_private_segment_fixed_size 0
		.amdhsa_kernarg_size 1568
		.amdhsa_user_sgpr_count 2
		.amdhsa_user_sgpr_dispatch_ptr 0
		.amdhsa_user_sgpr_queue_ptr 0
		.amdhsa_user_sgpr_kernarg_segment_ptr 1
		.amdhsa_user_sgpr_dispatch_id 0
		.amdhsa_user_sgpr_kernarg_preload_length 0
		.amdhsa_user_sgpr_kernarg_preload_offset 0
		.amdhsa_user_sgpr_private_segment_size 0
		.amdhsa_wavefront_size32 1
		.amdhsa_uses_dynamic_stack 0
		.amdhsa_enable_private_segment 0
		.amdhsa_system_sgpr_workgroup_id_x 1
		.amdhsa_system_sgpr_workgroup_id_y 1
		.amdhsa_system_sgpr_workgroup_id_z 1
		.amdhsa_system_sgpr_workgroup_info 0
		.amdhsa_system_vgpr_workitem_id 0
		.amdhsa_next_free_vgpr 47
		.amdhsa_next_free_sgpr 105
		.amdhsa_named_barrier_count 0
		.amdhsa_reserve_vcc 1
		.amdhsa_float_round_mode_32 0
		.amdhsa_float_round_mode_16_64 0
		.amdhsa_float_denorm_mode_32 3
		.amdhsa_float_denorm_mode_16_64 3
		.amdhsa_fp16_overflow 0
		.amdhsa_memory_ordered 1
		.amdhsa_forward_progress 1
		.amdhsa_inst_pref_size 202
		.amdhsa_round_robin_scheduling 0
		.amdhsa_exception_fp_ieee_invalid_op 0
		.amdhsa_exception_fp_denorm_src 0
		.amdhsa_exception_fp_ieee_div_zero 0
		.amdhsa_exception_fp_ieee_overflow 0
		.amdhsa_exception_fp_ieee_underflow 0
		.amdhsa_exception_fp_ieee_inexact 0
		.amdhsa_exception_int_div_zero 0
	.end_amdhsa_kernel
	.section	.text._ZN2at6native6sbtopk10gatherTopKIsmLi3ELb0EEEvNS_4cuda6detail10TensorInfoIKT_T0_EES8_S8_bS8_S8_NS5_IS6_S8_EES8_NS5_IlS8_EES8_PS6_,"axG",@progbits,_ZN2at6native6sbtopk10gatherTopKIsmLi3ELb0EEEvNS_4cuda6detail10TensorInfoIKT_T0_EES8_S8_bS8_S8_NS5_IS6_S8_EES8_NS5_IlS8_EES8_PS6_,comdat
.Lfunc_end174:
	.size	_ZN2at6native6sbtopk10gatherTopKIsmLi3ELb0EEEvNS_4cuda6detail10TensorInfoIKT_T0_EES8_S8_bS8_S8_NS5_IS6_S8_EES8_NS5_IlS8_EES8_PS6_, .Lfunc_end174-_ZN2at6native6sbtopk10gatherTopKIsmLi3ELb0EEEvNS_4cuda6detail10TensorInfoIKT_T0_EES8_S8_bS8_S8_NS5_IS6_S8_EES8_NS5_IlS8_EES8_PS6_
                                        ; -- End function
	.set _ZN2at6native6sbtopk10gatherTopKIsmLi3ELb0EEEvNS_4cuda6detail10TensorInfoIKT_T0_EES8_S8_bS8_S8_NS5_IS6_S8_EES8_NS5_IlS8_EES8_PS6_.num_vgpr, 47
	.set _ZN2at6native6sbtopk10gatherTopKIsmLi3ELb0EEEvNS_4cuda6detail10TensorInfoIKT_T0_EES8_S8_bS8_S8_NS5_IS6_S8_EES8_NS5_IlS8_EES8_PS6_.num_agpr, 0
	.set _ZN2at6native6sbtopk10gatherTopKIsmLi3ELb0EEEvNS_4cuda6detail10TensorInfoIKT_T0_EES8_S8_bS8_S8_NS5_IS6_S8_EES8_NS5_IlS8_EES8_PS6_.numbered_sgpr, 105
	.set _ZN2at6native6sbtopk10gatherTopKIsmLi3ELb0EEEvNS_4cuda6detail10TensorInfoIKT_T0_EES8_S8_bS8_S8_NS5_IS6_S8_EES8_NS5_IlS8_EES8_PS6_.num_named_barrier, 0
	.set _ZN2at6native6sbtopk10gatherTopKIsmLi3ELb0EEEvNS_4cuda6detail10TensorInfoIKT_T0_EES8_S8_bS8_S8_NS5_IS6_S8_EES8_NS5_IlS8_EES8_PS6_.private_seg_size, 0
	.set _ZN2at6native6sbtopk10gatherTopKIsmLi3ELb0EEEvNS_4cuda6detail10TensorInfoIKT_T0_EES8_S8_bS8_S8_NS5_IS6_S8_EES8_NS5_IlS8_EES8_PS6_.uses_vcc, 1
	.set _ZN2at6native6sbtopk10gatherTopKIsmLi3ELb0EEEvNS_4cuda6detail10TensorInfoIKT_T0_EES8_S8_bS8_S8_NS5_IS6_S8_EES8_NS5_IlS8_EES8_PS6_.uses_flat_scratch, 0
	.set _ZN2at6native6sbtopk10gatherTopKIsmLi3ELb0EEEvNS_4cuda6detail10TensorInfoIKT_T0_EES8_S8_bS8_S8_NS5_IS6_S8_EES8_NS5_IlS8_EES8_PS6_.has_dyn_sized_stack, 0
	.set _ZN2at6native6sbtopk10gatherTopKIsmLi3ELb0EEEvNS_4cuda6detail10TensorInfoIKT_T0_EES8_S8_bS8_S8_NS5_IS6_S8_EES8_NS5_IlS8_EES8_PS6_.has_recursion, 0
	.set _ZN2at6native6sbtopk10gatherTopKIsmLi3ELb0EEEvNS_4cuda6detail10TensorInfoIKT_T0_EES8_S8_bS8_S8_NS5_IS6_S8_EES8_NS5_IlS8_EES8_PS6_.has_indirect_call, 0
	.section	.AMDGPU.csdata,"",@progbits
; Kernel info:
; codeLenInByte = 25852
; TotalNumSgprs: 107
; NumVgprs: 47
; ScratchSize: 0
; MemoryBound: 0
; FloatMode: 240
; IeeeMode: 1
; LDSByteSize: 5152 bytes/workgroup (compile time only)
; SGPRBlocks: 0
; VGPRBlocks: 2
; NumSGPRsForWavesPerEU: 107
; NumVGPRsForWavesPerEU: 47
; NamedBarCnt: 0
; Occupancy: 16
; WaveLimiterHint : 1
; COMPUTE_PGM_RSRC2:SCRATCH_EN: 0
; COMPUTE_PGM_RSRC2:USER_SGPR: 2
; COMPUTE_PGM_RSRC2:TRAP_HANDLER: 0
; COMPUTE_PGM_RSRC2:TGID_X_EN: 1
; COMPUTE_PGM_RSRC2:TGID_Y_EN: 1
; COMPUTE_PGM_RSRC2:TGID_Z_EN: 1
; COMPUTE_PGM_RSRC2:TIDIG_COMP_CNT: 0
	.section	.text._ZN2at6native6mbtopk23computeBlockDigitCountsIsmjLin1EEEvNS_4cuda6detail10TensorInfoIKT_T0_EEjPjjS8_iijT1_PSB_Ps,"axG",@progbits,_ZN2at6native6mbtopk23computeBlockDigitCountsIsmjLin1EEEvNS_4cuda6detail10TensorInfoIKT_T0_EEjPjjS8_iijT1_PSB_Ps,comdat
	.protected	_ZN2at6native6mbtopk23computeBlockDigitCountsIsmjLin1EEEvNS_4cuda6detail10TensorInfoIKT_T0_EEjPjjS8_iijT1_PSB_Ps ; -- Begin function _ZN2at6native6mbtopk23computeBlockDigitCountsIsmjLin1EEEvNS_4cuda6detail10TensorInfoIKT_T0_EEjPjjS8_iijT1_PSB_Ps
	.globl	_ZN2at6native6mbtopk23computeBlockDigitCountsIsmjLin1EEEvNS_4cuda6detail10TensorInfoIKT_T0_EEjPjjS8_iijT1_PSB_Ps
	.p2align	8
	.type	_ZN2at6native6mbtopk23computeBlockDigitCountsIsmjLin1EEEvNS_4cuda6detail10TensorInfoIKT_T0_EEjPjjS8_iijT1_PSB_Ps,@function
_ZN2at6native6mbtopk23computeBlockDigitCountsIsmjLin1EEEvNS_4cuda6detail10TensorInfoIKT_T0_EEjPjjS8_iijT1_PSB_Ps: ; @_ZN2at6native6mbtopk23computeBlockDigitCountsIsmjLin1EEEvNS_4cuda6detail10TensorInfoIKT_T0_EEjPjjS8_iijT1_PSB_Ps
; %bb.0:
	s_load_b128 s[4:7], s[0:1], 0x1c0
	s_bfe_u32 s2, ttmp6, 0x40010
	s_and_b32 s8, ttmp7, 0xffff
	s_add_co_i32 s9, s2, 1
	s_bfe_u32 s10, ttmp6, 0x40004
	s_mul_i32 s9, s8, s9
	s_load_b64 s[2:3], s[0:1], 0x1e0
	s_add_co_i32 s10, s10, s9
	s_bfe_u32 s11, ttmp6, 0x4000c
	s_bfe_u32 s13, ttmp6, 0x40014
	s_add_co_i32 s11, s11, 1
	s_and_b32 s12, ttmp6, 15
	s_mul_i32 s11, ttmp9, s11
	s_add_co_i32 s13, s13, 1
	s_add_co_i32 s12, s12, s11
	s_getreg_b32 s14, hwreg(HW_REG_IB_STS2, 6, 4)
	s_wait_kmcnt 0x0
	s_cvt_f32_u32 s9, s6
	s_delay_alu instid0(SALU_CYCLE_3) | instskip(SKIP_1) | instid1(SALU_CYCLE_1)
	v_rcp_iflag_f32_e32 v1, s9
	s_lshr_b32 s9, ttmp7, 16
	s_mul_i32 s11, s9, s13
	s_bfe_u32 s13, ttmp6, 0x40008
	s_delay_alu instid0(SALU_CYCLE_1) | instskip(SKIP_1) | instid1(TRANS32_DEP_1)
	s_add_co_i32 s13, s13, s11
	v_nop
	v_readfirstlane_b32 s15, v1
	s_cmp_eq_u32 s14, 0
	s_cselect_b32 s9, s9, s13
	s_load_b32 s13, s[0:1], 0x1b0
	s_mul_f32 s11, s15, 0x4f7ffffe
	s_mul_i32 s3, s3, s9
	s_cselect_b32 s9, ttmp9, s12
	s_cselect_b32 s8, s8, s10
	s_cvt_u32_f32 s11, s11
	s_sub_co_i32 s10, 0, s6
	s_add_co_i32 s3, s3, s8
	s_delay_alu instid0(SALU_CYCLE_1) | instskip(SKIP_3) | instid1(SALU_CYCLE_1)
	s_mul_i32 s24, s3, s2
	s_mul_i32 s10, s10, s11
	s_add_co_i32 s24, s24, s9
	s_mul_hi_u32 s2, s11, s10
	s_add_co_i32 s11, s11, s2
	s_delay_alu instid0(SALU_CYCLE_1) | instskip(NEXT) | instid1(SALU_CYCLE_1)
	s_mul_hi_u32 s2, s24, s11
	s_mul_i32 s3, s2, s6
	s_add_co_i32 s8, s2, 1
	s_sub_co_i32 s3, s24, s3
	s_delay_alu instid0(SALU_CYCLE_1)
	s_sub_co_i32 s9, s3, s6
	s_cmp_ge_u32 s3, s6
	s_cselect_b32 s2, s8, s2
	s_cselect_b32 s3, s9, s3
	s_add_co_i32 s8, s2, 1
	s_cmp_ge_u32 s3, s6
	s_cselect_b32 s12, s8, s2
	s_wait_kmcnt 0x0
	s_cmp_ge_u32 s12, s13
	s_mov_b32 s13, 0
	s_cbranch_scc1 .LBB175_28
; %bb.1:
	s_clause 0x1
	s_load_b32 s14, s[0:1], 0x198
	s_load_b128 s[8:11], s[0:1], 0x1d0
	s_mov_b64 s[2:3], 0
	s_wait_kmcnt 0x0
	s_cmp_lt_i32 s14, 2
	s_cbranch_scc1 .LBB175_7
; %bb.2:
	s_add_co_i32 s16, s14, -1
	s_mov_b32 s17, 0
	s_add_co_i32 s25, s14, 1
	s_lshl_b64 s[2:3], s[16:17], 3
	s_mov_b64 s[20:21], s[12:13]
	s_add_nc_u64 s[14:15], s[0:1], s[2:3]
	s_mov_b64 s[2:3], 0
	s_add_nc_u64 s[18:19], s[14:15], 8
.LBB175_3:                              ; =>This Inner Loop Header: Depth=1
	s_load_b64 s[22:23], s[18:19], 0x0
	s_mov_b64 s[14:15], 0
	s_wait_kmcnt 0x0
	v_cmp_lt_u64_e64 s13, s[20:21], s[22:23]
	s_and_b32 vcc_lo, exec_lo, s13
	s_cbranch_vccnz .LBB175_5
; %bb.4:                                ;   in Loop: Header=BB175_3 Depth=1
	v_cvt_f32_u32_e32 v1, s22
	s_sub_co_i32 s14, 0, s22
	s_delay_alu instid0(VALU_DEP_1) | instskip(SKIP_1) | instid1(TRANS32_DEP_1)
	v_rcp_iflag_f32_e32 v1, v1
	v_nop
	v_mul_f32_e32 v1, 0x4f7ffffe, v1
	s_delay_alu instid0(VALU_DEP_1) | instskip(NEXT) | instid1(VALU_DEP_1)
	v_cvt_u32_f32_e32 v1, v1
	v_readfirstlane_b32 s13, v1
	s_mul_i32 s14, s14, s13
	s_delay_alu instid0(SALU_CYCLE_1) | instskip(NEXT) | instid1(SALU_CYCLE_1)
	s_mul_hi_u32 s14, s13, s14
	s_add_co_i32 s13, s13, s14
	s_delay_alu instid0(SALU_CYCLE_1) | instskip(NEXT) | instid1(SALU_CYCLE_1)
	s_mul_hi_u32 s13, s20, s13
	s_mul_i32 s14, s13, s22
	s_add_co_i32 s15, s13, 1
	s_sub_co_i32 s14, s20, s14
	s_delay_alu instid0(SALU_CYCLE_1)
	s_sub_co_i32 s16, s14, s22
	s_cmp_ge_u32 s14, s22
	s_cselect_b32 s13, s15, s13
	s_cselect_b32 s14, s16, s14
	s_add_co_i32 s15, s13, 1
	s_cmp_ge_u32 s14, s22
	s_cselect_b32 s16, s15, s13
	s_delay_alu instid0(SALU_CYCLE_1)
	s_mov_b64 s[14:15], s[16:17]
.LBB175_5:                              ;   in Loop: Header=BB175_3 Depth=1
	s_load_b64 s[26:27], s[18:19], 0xc8
	s_mul_u64 s[22:23], s[14:15], s[22:23]
	s_add_co_i32 s25, s25, -1
	s_sub_nc_u64 s[20:21], s[20:21], s[22:23]
	s_cmp_gt_u32 s25, 2
	s_wait_xcnt 0x0
	s_add_nc_u64 s[18:19], s[18:19], -8
	s_wait_kmcnt 0x0
	s_mul_u64 s[20:21], s[26:27], s[20:21]
	s_delay_alu instid0(SALU_CYCLE_1)
	s_add_nc_u64 s[2:3], s[20:21], s[2:3]
	s_cbranch_scc0 .LBB175_8
; %bb.6:                                ;   in Loop: Header=BB175_3 Depth=1
	s_mov_b64 s[20:21], s[14:15]
	s_branch .LBB175_3
.LBB175_7:
	s_mov_b64 s[14:15], s[12:13]
.LBB175_8:
	s_load_b32 s16, s[8:9], s12 offset:0x0 scale_offset
	v_cmp_gt_u32_e32 vcc_lo, 0x100, v0
	v_lshlrev_b32_e32 v1, 2, v0
	s_wait_xcnt 0x0
	s_and_saveexec_b32 s8, vcc_lo
; %bb.9:
	v_mov_b32_e32 v2, 0
	ds_store_b32 v1, v2
; %bb.10:
	s_or_b32 exec_lo, exec_lo, s8
	s_load_b32 s17, s[0:1], 0x1a0
	s_mul_i32 s8, s12, s6
	s_mov_b32 s13, 0
	s_sub_co_i32 s19, s24, s8
	s_wait_dscnt 0x0
	s_mul_i32 s8, s5, s19
	s_add_co_i32 s19, s19, 1
	s_lshl_b32 s18, s8, 8
	s_barrier_signal -1
	s_barrier_wait -1
	s_wait_kmcnt 0x0
	s_sub_co_i32 s12, s17, s18
	s_delay_alu instid0(SALU_CYCLE_1) | instskip(NEXT) | instid1(SALU_CYCLE_1)
	s_add_nc_u64 s[8:9], s[12:13], 0xff
	s_lshr_b64 s[8:9], s[8:9], 8
	s_cmp_lt_u32 s19, s6
	s_cselect_b32 s5, s5, s8
	s_delay_alu instid0(SALU_CYCLE_1)
	s_cmp_lt_i32 s5, 1
	s_cbranch_scc1 .LBB175_26
; %bb.11:
	s_clause 0x2
	s_load_b64 s[20:21], s[0:1], 0xd0
	s_load_b64 s[8:9], s[0:1], 0x1b8
	;; [unrolled: 1-line block ×3, first 2 shown]
	v_add_nc_u32_e32 v6, s18, v0
	s_lshl_b64 s[2:3], s[2:3], 1
	s_wait_kmcnt 0x0
	s_mul_u64 s[0:1], s[20:21], s[14:15]
	s_delay_alu instid0(SALU_CYCLE_1) | instskip(NEXT) | instid1(SALU_CYCLE_1)
	s_lshl_b64 s[0:1], s[0:1], 1
	s_add_nc_u64 s[14:15], s[22:23], s[0:1]
	s_and_b32 s1, s4, 0xff
	s_cmp_eq_u32 s5, 1
	s_add_nc_u64 s[2:3], s[14:15], s[2:3]
	s_cbranch_scc1 .LBB175_21
; %bb.12:
	v_dual_mov_b32 v3, 0 :: v_dual_mov_b32 v7, 1
	v_mov_b32_e32 v2, v6
	s_and_b32 s4, s5, 0x7ffffffe
	s_mov_b32 s6, 0
	s_branch .LBB175_14
.LBB175_13:                             ;   in Loop: Header=BB175_14 Depth=1
	s_or_b32 exec_lo, exec_lo, s12
	v_add_nc_u32_e32 v2, 0x200, v2
	s_add_co_i32 s6, s6, 2
	s_delay_alu instid0(SALU_CYCLE_1)
	s_cmp_eq_u32 s4, s6
	s_cbranch_scc1 .LBB175_20
.LBB175_14:                             ; =>This Inner Loop Header: Depth=1
	s_mov_b32 s12, exec_lo
	v_cmpx_gt_u32_e64 s17, v2
	s_cbranch_execz .LBB175_17
; %bb.15:                               ;   in Loop: Header=BB175_14 Depth=1
	v_mul_u64_e32 v[4:5], s[8:9], v[2:3]
	s_delay_alu instid0(VALU_DEP_1) | instskip(SKIP_4) | instid1(VALU_DEP_1)
	v_lshl_add_u64 v[4:5], v[4:5], 1, s[2:3]
	global_load_i16 v4, v[4:5], off
	s_wait_loadcnt 0x0
	s_wait_xcnt 0x0
	v_add_nc_u32_e32 v4, 0x8000, v4
	v_bitop3_b32 v5, v4, s7, s16 bitop3:0x48
	s_delay_alu instid0(VALU_DEP_1)
	v_cmp_eq_u32_e64 s0, 0, v5
	s_and_b32 exec_lo, exec_lo, s0
; %bb.16:                               ;   in Loop: Header=BB175_14 Depth=1
	v_bfe_u32 v4, v4, s1, 8
	s_delay_alu instid0(VALU_DEP_1)
	v_lshlrev_b32_e32 v4, 2, v4
	ds_add_u32 v4, v7
.LBB175_17:                             ;   in Loop: Header=BB175_14 Depth=1
	s_or_b32 exec_lo, exec_lo, s12
	v_add_nc_u32_e32 v4, 0x100, v2
	s_mov_b32 s12, exec_lo
	s_delay_alu instid0(VALU_DEP_1)
	v_cmpx_gt_u32_e64 s17, v4
	s_cbranch_execz .LBB175_13
; %bb.18:                               ;   in Loop: Header=BB175_14 Depth=1
	v_mov_b32_e32 v5, v3
	s_delay_alu instid0(VALU_DEP_1) | instskip(NEXT) | instid1(VALU_DEP_1)
	v_mul_u64_e32 v[4:5], s[8:9], v[4:5]
	v_lshl_add_u64 v[4:5], v[4:5], 1, s[2:3]
	global_load_i16 v4, v[4:5], off
	s_wait_loadcnt 0x0
	v_add_nc_u32_e32 v4, 0x8000, v4
	s_delay_alu instid0(VALU_DEP_1) | instskip(NEXT) | instid1(VALU_DEP_1)
	v_bitop3_b32 v5, v4, s7, s16 bitop3:0x48
	v_cmp_eq_u32_e64 s0, 0, v5
	s_and_b32 exec_lo, exec_lo, s0
	s_cbranch_execz .LBB175_13
; %bb.19:                               ;   in Loop: Header=BB175_14 Depth=1
	v_bfe_u32 v4, v4, s1, 8
	s_delay_alu instid0(VALU_DEP_1)
	v_lshlrev_b32_e32 v4, 2, v4
	ds_add_u32 v4, v7
	s_branch .LBB175_13
.LBB175_20:
	s_lshl_b32 s13, s4, 8
.LBB175_21:
	s_bitcmp0_b32 s5, 0
	s_cbranch_scc1 .LBB175_26
; %bb.22:
	v_add_nc_u32_e32 v2, s13, v6
	s_mov_b32 s4, exec_lo
	s_delay_alu instid0(VALU_DEP_1)
	v_cmpx_gt_u32_e64 s17, v2
	s_cbranch_execz .LBB175_25
; %bb.23:
	v_mov_b32_e32 v3, 0
	s_delay_alu instid0(VALU_DEP_1) | instskip(NEXT) | instid1(VALU_DEP_1)
	v_mul_u64_e32 v[2:3], s[8:9], v[2:3]
	v_lshl_add_u64 v[2:3], v[2:3], 1, s[2:3]
	global_load_i16 v2, v[2:3], off
	s_wait_loadcnt 0x0
	v_add_nc_u32_e32 v2, 0x8000, v2
	s_delay_alu instid0(VALU_DEP_1) | instskip(NEXT) | instid1(VALU_DEP_1)
	v_bitop3_b32 v3, v2, s7, s16 bitop3:0x48
	v_cmp_eq_u32_e64 s0, 0, v3
	s_and_b32 exec_lo, exec_lo, s0
; %bb.24:
	v_bfe_u32 v2, v2, s1, 8
	s_delay_alu instid0(VALU_DEP_1)
	v_dual_mov_b32 v3, 1 :: v_dual_lshlrev_b32 v2, 2, v2
	ds_add_u32 v2, v3
.LBB175_25:
	s_or_b32 exec_lo, exec_lo, s4
.LBB175_26:
	s_wait_dscnt 0x0
	s_barrier_signal -1
	s_barrier_wait -1
	s_and_saveexec_b32 s0, vcc_lo
	s_cbranch_execz .LBB175_28
; %bb.27:
	ds_load_b32 v1, v1
	v_lshl_or_b32 v0, s24, 8, v0
	s_wait_dscnt 0x0
	global_store_b16 v0, v1, s[10:11] scale_offset
.LBB175_28:
	s_endpgm
	.section	.rodata,"a",@progbits
	.p2align	6, 0x0
	.amdhsa_kernel _ZN2at6native6mbtopk23computeBlockDigitCountsIsmjLin1EEEvNS_4cuda6detail10TensorInfoIKT_T0_EEjPjjS8_iijT1_PSB_Ps
		.amdhsa_group_segment_fixed_size 1024
		.amdhsa_private_segment_fixed_size 0
		.amdhsa_kernarg_size 736
		.amdhsa_user_sgpr_count 2
		.amdhsa_user_sgpr_dispatch_ptr 0
		.amdhsa_user_sgpr_queue_ptr 0
		.amdhsa_user_sgpr_kernarg_segment_ptr 1
		.amdhsa_user_sgpr_dispatch_id 0
		.amdhsa_user_sgpr_kernarg_preload_length 0
		.amdhsa_user_sgpr_kernarg_preload_offset 0
		.amdhsa_user_sgpr_private_segment_size 0
		.amdhsa_wavefront_size32 1
		.amdhsa_uses_dynamic_stack 0
		.amdhsa_enable_private_segment 0
		.amdhsa_system_sgpr_workgroup_id_x 1
		.amdhsa_system_sgpr_workgroup_id_y 1
		.amdhsa_system_sgpr_workgroup_id_z 1
		.amdhsa_system_sgpr_workgroup_info 0
		.amdhsa_system_vgpr_workitem_id 0
		.amdhsa_next_free_vgpr 8
		.amdhsa_next_free_sgpr 28
		.amdhsa_named_barrier_count 0
		.amdhsa_reserve_vcc 1
		.amdhsa_float_round_mode_32 0
		.amdhsa_float_round_mode_16_64 0
		.amdhsa_float_denorm_mode_32 3
		.amdhsa_float_denorm_mode_16_64 3
		.amdhsa_fp16_overflow 0
		.amdhsa_memory_ordered 1
		.amdhsa_forward_progress 1
		.amdhsa_inst_pref_size 10
		.amdhsa_round_robin_scheduling 0
		.amdhsa_exception_fp_ieee_invalid_op 0
		.amdhsa_exception_fp_denorm_src 0
		.amdhsa_exception_fp_ieee_div_zero 0
		.amdhsa_exception_fp_ieee_overflow 0
		.amdhsa_exception_fp_ieee_underflow 0
		.amdhsa_exception_fp_ieee_inexact 0
		.amdhsa_exception_int_div_zero 0
	.end_amdhsa_kernel
	.section	.text._ZN2at6native6mbtopk23computeBlockDigitCountsIsmjLin1EEEvNS_4cuda6detail10TensorInfoIKT_T0_EEjPjjS8_iijT1_PSB_Ps,"axG",@progbits,_ZN2at6native6mbtopk23computeBlockDigitCountsIsmjLin1EEEvNS_4cuda6detail10TensorInfoIKT_T0_EEjPjjS8_iijT1_PSB_Ps,comdat
.Lfunc_end175:
	.size	_ZN2at6native6mbtopk23computeBlockDigitCountsIsmjLin1EEEvNS_4cuda6detail10TensorInfoIKT_T0_EEjPjjS8_iijT1_PSB_Ps, .Lfunc_end175-_ZN2at6native6mbtopk23computeBlockDigitCountsIsmjLin1EEEvNS_4cuda6detail10TensorInfoIKT_T0_EEjPjjS8_iijT1_PSB_Ps
                                        ; -- End function
	.set _ZN2at6native6mbtopk23computeBlockDigitCountsIsmjLin1EEEvNS_4cuda6detail10TensorInfoIKT_T0_EEjPjjS8_iijT1_PSB_Ps.num_vgpr, 8
	.set _ZN2at6native6mbtopk23computeBlockDigitCountsIsmjLin1EEEvNS_4cuda6detail10TensorInfoIKT_T0_EEjPjjS8_iijT1_PSB_Ps.num_agpr, 0
	.set _ZN2at6native6mbtopk23computeBlockDigitCountsIsmjLin1EEEvNS_4cuda6detail10TensorInfoIKT_T0_EEjPjjS8_iijT1_PSB_Ps.numbered_sgpr, 28
	.set _ZN2at6native6mbtopk23computeBlockDigitCountsIsmjLin1EEEvNS_4cuda6detail10TensorInfoIKT_T0_EEjPjjS8_iijT1_PSB_Ps.num_named_barrier, 0
	.set _ZN2at6native6mbtopk23computeBlockDigitCountsIsmjLin1EEEvNS_4cuda6detail10TensorInfoIKT_T0_EEjPjjS8_iijT1_PSB_Ps.private_seg_size, 0
	.set _ZN2at6native6mbtopk23computeBlockDigitCountsIsmjLin1EEEvNS_4cuda6detail10TensorInfoIKT_T0_EEjPjjS8_iijT1_PSB_Ps.uses_vcc, 1
	.set _ZN2at6native6mbtopk23computeBlockDigitCountsIsmjLin1EEEvNS_4cuda6detail10TensorInfoIKT_T0_EEjPjjS8_iijT1_PSB_Ps.uses_flat_scratch, 0
	.set _ZN2at6native6mbtopk23computeBlockDigitCountsIsmjLin1EEEvNS_4cuda6detail10TensorInfoIKT_T0_EEjPjjS8_iijT1_PSB_Ps.has_dyn_sized_stack, 0
	.set _ZN2at6native6mbtopk23computeBlockDigitCountsIsmjLin1EEEvNS_4cuda6detail10TensorInfoIKT_T0_EEjPjjS8_iijT1_PSB_Ps.has_recursion, 0
	.set _ZN2at6native6mbtopk23computeBlockDigitCountsIsmjLin1EEEvNS_4cuda6detail10TensorInfoIKT_T0_EEjPjjS8_iijT1_PSB_Ps.has_indirect_call, 0
	.section	.AMDGPU.csdata,"",@progbits
; Kernel info:
; codeLenInByte = 1260
; TotalNumSgprs: 30
; NumVgprs: 8
; ScratchSize: 0
; MemoryBound: 0
; FloatMode: 240
; IeeeMode: 1
; LDSByteSize: 1024 bytes/workgroup (compile time only)
; SGPRBlocks: 0
; VGPRBlocks: 0
; NumSGPRsForWavesPerEU: 30
; NumVGPRsForWavesPerEU: 8
; NamedBarCnt: 0
; Occupancy: 16
; WaveLimiterHint : 0
; COMPUTE_PGM_RSRC2:SCRATCH_EN: 0
; COMPUTE_PGM_RSRC2:USER_SGPR: 2
; COMPUTE_PGM_RSRC2:TRAP_HANDLER: 0
; COMPUTE_PGM_RSRC2:TGID_X_EN: 1
; COMPUTE_PGM_RSRC2:TGID_Y_EN: 1
; COMPUTE_PGM_RSRC2:TGID_Z_EN: 1
; COMPUTE_PGM_RSRC2:TIDIG_COMP_CNT: 0
	.section	.text._ZN2at6native6mbtopk10gatherTopKIsmLin1EEEvNS_4cuda6detail10TensorInfoIKT_T0_EES8_S8_bjS8_NS5_IS6_S8_EES8_NS5_IlS8_EES8_jjPS6_PjSD_j,"axG",@progbits,_ZN2at6native6mbtopk10gatherTopKIsmLin1EEEvNS_4cuda6detail10TensorInfoIKT_T0_EES8_S8_bjS8_NS5_IS6_S8_EES8_NS5_IlS8_EES8_jjPS6_PjSD_j,comdat
	.protected	_ZN2at6native6mbtopk10gatherTopKIsmLin1EEEvNS_4cuda6detail10TensorInfoIKT_T0_EES8_S8_bjS8_NS5_IS6_S8_EES8_NS5_IlS8_EES8_jjPS6_PjSD_j ; -- Begin function _ZN2at6native6mbtopk10gatherTopKIsmLin1EEEvNS_4cuda6detail10TensorInfoIKT_T0_EES8_S8_bjS8_NS5_IS6_S8_EES8_NS5_IlS8_EES8_jjPS6_PjSD_j
	.globl	_ZN2at6native6mbtopk10gatherTopKIsmLin1EEEvNS_4cuda6detail10TensorInfoIKT_T0_EES8_S8_bjS8_NS5_IS6_S8_EES8_NS5_IlS8_EES8_jjPS6_PjSD_j
	.p2align	8
	.type	_ZN2at6native6mbtopk10gatherTopKIsmLin1EEEvNS_4cuda6detail10TensorInfoIKT_T0_EES8_S8_bjS8_NS5_IS6_S8_EES8_NS5_IlS8_EES8_jjPS6_PjSD_j,@function
_ZN2at6native6mbtopk10gatherTopKIsmLin1EEEvNS_4cuda6detail10TensorInfoIKT_T0_EES8_S8_bjS8_NS5_IS6_S8_EES8_NS5_IlS8_EES8_jjPS6_PjSD_j: ; @_ZN2at6native6mbtopk10gatherTopKIsmLin1EEEvNS_4cuda6detail10TensorInfoIKT_T0_EES8_S8_bjS8_NS5_IS6_S8_EES8_NS5_IlS8_EES8_jjPS6_PjSD_j
; %bb.0:
	s_bfe_u32 s2, ttmp6, 0x40010
	s_and_b32 s4, ttmp7, 0xffff
	s_add_co_i32 s5, s2, 1
	s_clause 0x1
	s_load_b32 s6, s[0:1], 0x530
	s_load_b64 s[2:3], s[0:1], 0x538
	s_bfe_u32 s8, ttmp6, 0x4000c
	s_mul_i32 s5, s4, s5
	s_bfe_u32 s7, ttmp6, 0x40004
	s_add_co_i32 s8, s8, 1
	s_bfe_u32 s9, ttmp6, 0x40014
	s_add_co_i32 s7, s7, s5
	s_and_b32 s5, ttmp6, 15
	s_mul_i32 s8, ttmp9, s8
	s_lshr_b32 s10, ttmp7, 16
	s_add_co_i32 s9, s9, 1
	s_add_co_i32 s5, s5, s8
	s_mul_i32 s8, s10, s9
	s_bfe_u32 s9, ttmp6, 0x40008
	s_getreg_b32 s11, hwreg(HW_REG_IB_STS2, 6, 4)
	s_add_co_i32 s9, s9, s8
	s_cmp_eq_u32 s11, 0
	s_cselect_b32 s8, s10, s9
	s_cselect_b32 s4, s4, s7
	s_wait_kmcnt 0x0
	s_mul_i32 s3, s3, s8
	s_cselect_b32 s5, ttmp9, s5
	s_add_co_i32 s3, s3, s4
	s_delay_alu instid0(SALU_CYCLE_1) | instskip(NEXT) | instid1(SALU_CYCLE_1)
	s_mul_i32 s3, s3, s2
	s_add_co_i32 s3, s3, s5
	s_delay_alu instid0(SALU_CYCLE_1)
	s_cmp_ge_u32 s3, s6
	s_cbranch_scc1 .LBB176_61
; %bb.1:
	s_load_b64 s[16:17], s[0:1], 0x510
	s_wait_kmcnt 0x0
	s_cvt_f32_u32 s2, s17
	s_sub_co_i32 s4, 0, s17
	s_lshl_b32 s33, s16, 8
	s_delay_alu instid0(SALU_CYCLE_1) | instskip(SKIP_1) | instid1(TRANS32_DEP_1)
	v_rcp_iflag_f32_e32 v1, s2
	v_nop
	v_readfirstlane_b32 s2, v1
	s_mul_f32 s2, s2, 0x4f7ffffe
	s_delay_alu instid0(SALU_CYCLE_3) | instskip(NEXT) | instid1(SALU_CYCLE_3)
	s_cvt_u32_f32 s2, s2
	s_mul_i32 s4, s4, s2
	s_delay_alu instid0(SALU_CYCLE_1) | instskip(NEXT) | instid1(SALU_CYCLE_1)
	s_mul_hi_u32 s4, s2, s4
	s_add_co_i32 s2, s2, s4
	s_load_b128 s[4:7], s[0:1], 0x1a0
	s_mul_hi_u32 s2, s3, s2
	s_delay_alu instid0(SALU_CYCLE_1) | instskip(SKIP_2) | instid1(SALU_CYCLE_1)
	s_mul_i32 s8, s2, s17
	s_add_co_i32 s9, s2, 1
	s_sub_co_i32 s8, s3, s8
	s_sub_co_i32 s10, s8, s17
	s_cmp_ge_u32 s8, s17
	s_cselect_b32 s2, s9, s2
	s_cselect_b32 s8, s10, s8
	s_add_co_i32 s9, s2, 1
	s_cmp_ge_u32 s8, s17
	s_cselect_b32 s2, s9, s2
	s_delay_alu instid0(SALU_CYCLE_1) | instskip(NEXT) | instid1(SALU_CYCLE_1)
	s_mul_i32 s20, s2, s17
	s_sub_co_i32 s44, s3, s20
	s_delay_alu instid0(SALU_CYCLE_1) | instskip(NEXT) | instid1(SALU_CYCLE_1)
	s_add_co_i32 s3, s44, 1
	s_cmp_lt_u32 s3, s17
	s_cbranch_scc1 .LBB176_3
; %bb.2:
	s_mul_i32 s8, s44, s33
	s_mov_b32 s9, 0
	s_wait_kmcnt 0x0
	s_sub_nc_u64 s[10:11], s[4:5], s[8:9]
	s_delay_alu instid0(SALU_CYCLE_1) | instskip(NEXT) | instid1(SALU_CYCLE_1)
	s_add_nc_u64 s[10:11], s[10:11], 0xff
	s_ashr_i32 s3, s11, 31
	s_delay_alu instid0(SALU_CYCLE_1) | instskip(NEXT) | instid1(SALU_CYCLE_1)
	s_lshr_b32 s8, s3, 24
	s_add_nc_u64 s[8:9], s[10:11], s[8:9]
	s_delay_alu instid0(SALU_CYCLE_1) | instskip(NEXT) | instid1(SALU_CYCLE_1)
	s_lshr_b64 s[8:9], s[8:9], 8
	s_mov_b32 s16, s8
.LBB176_3:
	s_load_b32 s10, s[0:1], 0x198
	s_mov_b32 s9, 0
	s_mov_b64 s[18:19], 0
	s_mov_b32 s3, s9
	s_delay_alu instid0(SALU_CYCLE_1)
	s_mov_b64 s[22:23], s[2:3]
	s_wait_kmcnt 0x0
	s_cmp_lt_i32 s10, 2
	s_cbranch_scc1 .LBB176_9
; %bb.4:
	s_add_co_i32 s8, s10, -1
	s_add_co_i32 s21, s10, 1
	s_lshl_b64 s[12:13], s[8:9], 3
	s_delay_alu instid0(SALU_CYCLE_1)
	s_add_nc_u64 s[10:11], s[0:1], s[12:13]
	s_mov_b64 s[12:13], s[2:3]
	s_add_nc_u64 s[10:11], s[10:11], 8
.LBB176_5:                              ; =>This Inner Loop Header: Depth=1
	s_load_b64 s[14:15], s[10:11], 0x0
	s_mov_b64 s[22:23], 0
	s_wait_kmcnt 0x0
	v_cmp_lt_u64_e64 s8, s[12:13], s[14:15]
	s_and_b32 vcc_lo, exec_lo, s8
	s_cbranch_vccnz .LBB176_7
; %bb.6:                                ;   in Loop: Header=BB176_5 Depth=1
	v_cvt_f32_u32_e32 v1, s14
	s_sub_co_i32 s22, 0, s14
	s_delay_alu instid0(VALU_DEP_1) | instskip(SKIP_1) | instid1(TRANS32_DEP_1)
	v_rcp_iflag_f32_e32 v1, v1
	v_nop
	v_mul_f32_e32 v1, 0x4f7ffffe, v1
	s_delay_alu instid0(VALU_DEP_1) | instskip(NEXT) | instid1(VALU_DEP_1)
	v_cvt_u32_f32_e32 v1, v1
	v_readfirstlane_b32 s8, v1
	s_mul_i32 s22, s22, s8
	s_delay_alu instid0(SALU_CYCLE_1) | instskip(NEXT) | instid1(SALU_CYCLE_1)
	s_mul_hi_u32 s22, s8, s22
	s_add_co_i32 s8, s8, s22
	s_delay_alu instid0(SALU_CYCLE_1) | instskip(NEXT) | instid1(SALU_CYCLE_1)
	s_mul_hi_u32 s8, s12, s8
	s_mul_i32 s22, s8, s14
	s_add_co_i32 s23, s8, 1
	s_sub_co_i32 s22, s12, s22
	s_delay_alu instid0(SALU_CYCLE_1)
	s_sub_co_i32 s24, s22, s14
	s_cmp_ge_u32 s22, s14
	s_cselect_b32 s8, s23, s8
	s_cselect_b32 s22, s24, s22
	s_add_co_i32 s23, s8, 1
	s_cmp_ge_u32 s22, s14
	s_cselect_b32 s8, s23, s8
	s_delay_alu instid0(SALU_CYCLE_1)
	s_mov_b64 s[22:23], s[8:9]
.LBB176_7:                              ;   in Loop: Header=BB176_5 Depth=1
	s_load_b64 s[24:25], s[10:11], 0xc8
	s_mul_u64 s[14:15], s[22:23], s[14:15]
	s_add_co_i32 s21, s21, -1
	s_sub_nc_u64 s[12:13], s[12:13], s[14:15]
	s_cmp_gt_u32 s21, 2
	s_wait_xcnt 0x0
	s_add_nc_u64 s[10:11], s[10:11], -8
	s_wait_kmcnt 0x0
	s_mul_u64 s[12:13], s[24:25], s[12:13]
	s_delay_alu instid0(SALU_CYCLE_1)
	s_add_nc_u64 s[18:19], s[12:13], s[18:19]
	s_cbranch_scc0 .LBB176_9
; %bb.8:                                ;   in Loop: Header=BB176_5 Depth=1
	s_mov_b64 s[12:13], s[22:23]
	s_branch .LBB176_5
.LBB176_9:
	s_load_b32 s12, s[0:1], 0x358
	s_add_nc_u64 s[8:9], s[0:1], 0x1c0
	s_mov_b64 s[24:25], 0
	s_mov_b64 s[26:27], s[2:3]
	s_wait_kmcnt 0x0
	s_cmp_lt_i32 s12, 2
	s_cbranch_scc1 .LBB176_15
; %bb.10:
	s_add_co_i32 s10, s12, -1
	s_mov_b32 s11, 0
	s_add_co_i32 s21, s12, 1
	s_lshl_b64 s[14:15], s[10:11], 3
	s_delay_alu instid0(SALU_CYCLE_1)
	s_add_nc_u64 s[12:13], s[8:9], s[14:15]
	s_mov_b64 s[14:15], s[2:3]
	s_add_nc_u64 s[12:13], s[12:13], 8
.LBB176_11:                             ; =>This Inner Loop Header: Depth=1
	s_load_b64 s[28:29], s[12:13], 0x0
	s_mov_b64 s[26:27], 0
	s_wait_kmcnt 0x0
	v_cmp_lt_u64_e64 s10, s[14:15], s[28:29]
	s_and_b32 vcc_lo, exec_lo, s10
	s_cbranch_vccnz .LBB176_13
; %bb.12:                               ;   in Loop: Header=BB176_11 Depth=1
	v_cvt_f32_u32_e32 v1, s28
	s_sub_co_i32 s26, 0, s28
	s_delay_alu instid0(VALU_DEP_1) | instskip(SKIP_1) | instid1(TRANS32_DEP_1)
	v_rcp_iflag_f32_e32 v1, v1
	v_nop
	v_mul_f32_e32 v1, 0x4f7ffffe, v1
	s_delay_alu instid0(VALU_DEP_1) | instskip(NEXT) | instid1(VALU_DEP_1)
	v_cvt_u32_f32_e32 v1, v1
	v_readfirstlane_b32 s10, v1
	s_mul_i32 s26, s26, s10
	s_delay_alu instid0(SALU_CYCLE_1) | instskip(NEXT) | instid1(SALU_CYCLE_1)
	s_mul_hi_u32 s26, s10, s26
	s_add_co_i32 s10, s10, s26
	s_delay_alu instid0(SALU_CYCLE_1) | instskip(NEXT) | instid1(SALU_CYCLE_1)
	s_mul_hi_u32 s10, s14, s10
	s_mul_i32 s26, s10, s28
	s_add_co_i32 s27, s10, 1
	s_sub_co_i32 s26, s14, s26
	s_delay_alu instid0(SALU_CYCLE_1)
	s_sub_co_i32 s30, s26, s28
	s_cmp_ge_u32 s26, s28
	s_cselect_b32 s10, s27, s10
	s_cselect_b32 s26, s30, s26
	s_add_co_i32 s27, s10, 1
	s_cmp_ge_u32 s26, s28
	s_cselect_b32 s10, s27, s10
	s_delay_alu instid0(SALU_CYCLE_1)
	s_mov_b64 s[26:27], s[10:11]
.LBB176_13:                             ;   in Loop: Header=BB176_11 Depth=1
	s_load_b64 s[30:31], s[12:13], 0xc8
	s_mul_u64 s[28:29], s[26:27], s[28:29]
	s_add_co_i32 s21, s21, -1
	s_sub_nc_u64 s[14:15], s[14:15], s[28:29]
	s_cmp_gt_u32 s21, 2
	s_wait_xcnt 0x0
	s_add_nc_u64 s[12:13], s[12:13], -8
	s_wait_kmcnt 0x0
	s_mul_u64 s[14:15], s[30:31], s[14:15]
	s_delay_alu instid0(SALU_CYCLE_1)
	s_add_nc_u64 s[24:25], s[14:15], s[24:25]
	s_cbranch_scc0 .LBB176_15
; %bb.14:                               ;   in Loop: Header=BB176_11 Depth=1
	s_mov_b64 s[14:15], s[26:27]
	s_branch .LBB176_11
.LBB176_15:
	s_clause 0x1
	s_load_b64 s[30:31], s[0:1], 0xd0
	s_load_b32 s12, s[0:1], 0x500
	s_mov_b64 s[28:29], 0
	s_wait_kmcnt 0x0
	s_cmp_lt_i32 s12, 2
	s_cbranch_scc1 .LBB176_21
; %bb.16:
	s_add_co_i32 s10, s12, -1
	s_mov_b32 s11, 0
	s_add_nc_u64 s[14:15], s[0:1], 0x368
	s_lshl_b64 s[28:29], s[10:11], 3
	s_add_co_i32 s21, s12, 1
	s_add_nc_u64 s[14:15], s[14:15], s[28:29]
	s_mov_b64 s[28:29], 0
	s_add_nc_u64 s[12:13], s[14:15], 8
	s_mov_b64 s[14:15], s[2:3]
.LBB176_17:                             ; =>This Inner Loop Header: Depth=1
	s_load_b64 s[36:37], s[12:13], 0x0
	s_mov_b64 s[34:35], 0
	s_wait_kmcnt 0x0
	v_cmp_lt_u64_e64 s10, s[14:15], s[36:37]
	s_and_b32 vcc_lo, exec_lo, s10
	s_cbranch_vccnz .LBB176_19
; %bb.18:                               ;   in Loop: Header=BB176_17 Depth=1
	v_cvt_f32_u32_e32 v1, s36
	s_sub_co_i32 s34, 0, s36
	s_delay_alu instid0(VALU_DEP_1) | instskip(SKIP_1) | instid1(TRANS32_DEP_1)
	v_rcp_iflag_f32_e32 v1, v1
	v_nop
	v_mul_f32_e32 v1, 0x4f7ffffe, v1
	s_delay_alu instid0(VALU_DEP_1) | instskip(NEXT) | instid1(VALU_DEP_1)
	v_cvt_u32_f32_e32 v1, v1
	v_readfirstlane_b32 s10, v1
	s_mul_i32 s34, s34, s10
	s_delay_alu instid0(SALU_CYCLE_1) | instskip(NEXT) | instid1(SALU_CYCLE_1)
	s_mul_hi_u32 s34, s10, s34
	s_add_co_i32 s10, s10, s34
	s_delay_alu instid0(SALU_CYCLE_1) | instskip(NEXT) | instid1(SALU_CYCLE_1)
	s_mul_hi_u32 s10, s14, s10
	s_mul_i32 s34, s10, s36
	s_add_co_i32 s35, s10, 1
	s_sub_co_i32 s34, s14, s34
	s_delay_alu instid0(SALU_CYCLE_1)
	s_sub_co_i32 s38, s34, s36
	s_cmp_ge_u32 s34, s36
	s_cselect_b32 s10, s35, s10
	s_cselect_b32 s34, s38, s34
	s_add_co_i32 s35, s10, 1
	s_cmp_ge_u32 s34, s36
	s_cselect_b32 s10, s35, s10
	s_delay_alu instid0(SALU_CYCLE_1)
	s_mov_b64 s[34:35], s[10:11]
.LBB176_19:                             ;   in Loop: Header=BB176_17 Depth=1
	s_load_b64 s[38:39], s[12:13], 0xc8
	s_mul_u64 s[36:37], s[34:35], s[36:37]
	s_add_co_i32 s21, s21, -1
	s_sub_nc_u64 s[14:15], s[14:15], s[36:37]
	s_cmp_gt_u32 s21, 2
	s_wait_xcnt 0x0
	s_add_nc_u64 s[12:13], s[12:13], -8
	s_wait_kmcnt 0x0
	s_mul_u64 s[14:15], s[38:39], s[14:15]
	s_delay_alu instid0(SALU_CYCLE_1)
	s_add_nc_u64 s[28:29], s[14:15], s[28:29]
	s_cbranch_scc0 .LBB176_22
; %bb.20:                               ;   in Loop: Header=BB176_17 Depth=1
	s_mov_b64 s[14:15], s[34:35]
	s_branch .LBB176_17
.LBB176_21:
	s_mov_b64 s[34:35], s[2:3]
.LBB176_22:
	s_load_b64 s[36:37], s[8:9], 0xd0
	s_wait_xcnt 0x0
	s_load_b128 s[8:11], s[0:1], 0x518
	v_mov_b32_e32 v1, 0
	s_lshl_b64 s[2:3], s[2:3], 1
	s_mov_b32 s21, 0
	s_wait_kmcnt 0x0
	s_add_nc_u64 s[2:3], s[8:9], s[2:3]
	global_load_u16 v5, v1, s[2:3]
	s_wait_xcnt 0x0
	v_cmp_ne_u32_e64 s2, 0, v0
	v_cmp_eq_u32_e64 s3, 0, v0
	s_and_saveexec_b32 s45, s3
	s_cbranch_execz .LBB176_38
; %bb.23:
	s_load_b64 s[38:39], s[0:1], 0x528
	s_lshl_b64 s[40:41], s[20:21], 2
	s_cmp_lt_u32 s17, 4
	s_cbranch_scc1 .LBB176_35
; %bb.24:
	s_mov_b64 s[8:9], 0
	s_mov_b32 s20, 0
.LBB176_25:                             ; =>This Inner Loop Header: Depth=1
	s_add_nc_u64 s[42:43], s[10:11], s[40:41]
	s_cmp_ge_u32 s20, s44
	s_load_b128 s[12:15], s[42:43], 0x0
	s_wait_kmcnt 0x0
	s_add_nc_u64 s[42:43], s[38:39], s[40:41]
	s_cbranch_scc0 .LBB176_32
; %bb.26:                               ;   in Loop: Header=BB176_25 Depth=1
	s_add_co_i32 s46, s20, 1
	s_delay_alu instid0(SALU_CYCLE_1)
	s_cmp_ge_u32 s46, s44
	s_cbranch_scc0 .LBB176_33
.LBB176_27:                             ;   in Loop: Header=BB176_25 Depth=1
	s_add_co_i32 s46, s46, 1
	s_delay_alu instid0(SALU_CYCLE_1)
	s_cmp_ge_u32 s46, s44
	s_cbranch_scc0 .LBB176_34
.LBB176_28:                             ;   in Loop: Header=BB176_25 Depth=1
	s_add_co_i32 s46, s46, 1
	s_delay_alu instid0(SALU_CYCLE_1)
	s_cmp_ge_u32 s46, s44
	s_cbranch_scc1 .LBB176_30
.LBB176_29:                             ;   in Loop: Header=BB176_25 Depth=1
	s_load_b32 s42, s[42:43], 0xc
	s_add_co_i32 s9, s15, s9
	s_wait_kmcnt 0x0
	s_add_co_i32 s8, s42, s8
.LBB176_30:                             ;   in Loop: Header=BB176_25 Depth=1
	s_add_co_i32 s12, s12, s21
	s_add_nc_u64 s[10:11], s[10:11], 16
	s_add_co_i32 s12, s12, s13
	s_add_co_i32 s13, s46, 4
	;; [unrolled: 1-line block ×3, first 2 shown]
	s_add_nc_u64 s[38:39], s[38:39], 16
	s_add_co_i32 s21, s12, s15
	s_add_co_i32 s12, s46, 1
	s_cmp_ge_u32 s13, s17
	s_cbranch_scc1 .LBB176_36
; %bb.31:                               ;   in Loop: Header=BB176_25 Depth=1
	s_mov_b32 s20, s12
	s_branch .LBB176_25
.LBB176_32:                             ;   in Loop: Header=BB176_25 Depth=1
	s_load_b32 s46, s[42:43], 0x0
	s_add_co_i32 s9, s12, s9
	s_wait_kmcnt 0x0
	s_add_co_i32 s8, s46, s8
	s_add_co_i32 s46, s20, 1
	s_delay_alu instid0(SALU_CYCLE_1)
	s_cmp_ge_u32 s46, s44
	s_cbranch_scc1 .LBB176_27
.LBB176_33:                             ;   in Loop: Header=BB176_25 Depth=1
	s_load_b32 s47, s[42:43], 0x4
	s_add_co_i32 s9, s13, s9
	s_wait_kmcnt 0x0
	s_add_co_i32 s8, s47, s8
	s_add_co_i32 s46, s46, 1
	s_delay_alu instid0(SALU_CYCLE_1)
	s_cmp_ge_u32 s46, s44
	s_cbranch_scc1 .LBB176_28
.LBB176_34:                             ;   in Loop: Header=BB176_25 Depth=1
	s_load_b32 s47, s[42:43], 0x8
	s_add_co_i32 s9, s14, s9
	s_wait_kmcnt 0x0
	s_add_co_i32 s8, s47, s8
	s_add_co_i32 s46, s46, 1
	s_delay_alu instid0(SALU_CYCLE_1)
	s_cmp_ge_u32 s46, s44
	s_cbranch_scc0 .LBB176_29
	s_branch .LBB176_30
.LBB176_35:
	s_mov_b64 s[8:9], 0
	s_add_nc_u64 s[10:11], s[10:11], s[40:41]
	s_wait_kmcnt 0x0
	s_add_nc_u64 s[12:13], s[38:39], s[40:41]
	s_mov_b32 s14, 0
	s_delay_alu instid0(SALU_CYCLE_1)
	s_cmp_ge_u32 s14, s17
	s_cbranch_scc0 .LBB176_59
	s_branch .LBB176_37
.LBB176_36:
	s_add_co_i32 s14, s20, 4
	s_add_nc_u64 s[12:13], s[38:39], s[40:41]
	s_add_nc_u64 s[10:11], s[10:11], s[40:41]
	s_cmp_ge_u32 s14, s17
	s_cbranch_scc0 .LBB176_59
.LBB176_37:
	v_dual_mov_b32 v2, s8 :: v_dual_mov_b32 v3, s21
	v_dual_mov_b32 v4, s9 :: v_dual_mov_b32 v1, 0
	ds_store_b96 v1, v[2:4] offset:1056
.LBB176_38:
	s_or_b32 exec_lo, exec_lo, s45
	s_clause 0x3
	s_load_b64 s[8:9], s[0:1], 0x438
	s_load_b64 s[14:15], s[0:1], 0x0
	;; [unrolled: 1-line block ×4, first 2 shown]
	s_cmp_eq_u32 s16, 0
	s_wait_loadcnt_dscnt 0x0
	s_barrier_signal -1
	s_barrier_wait -1
	s_cbranch_scc1 .LBB176_61
; %bb.39:
	v_dual_mov_b32 v7, 0 :: v_dual_lshrrev_b32 v1, 3, v0
	s_mul_u64 s[20:21], s[30:31], s[22:23]
	s_mul_u64 s[22:23], s[36:37], s[26:27]
	s_lshl_b64 s[20:21], s[20:21], 1
	ds_load_b96 v[2:4], v7 offset:1056
	s_wait_kmcnt 0x0
	s_mul_u64 s[26:27], s[8:9], s[34:35]
	s_add_nc_u64 s[8:9], s[14:15], s[20:21]
	s_lshl_b64 s[14:15], s[18:19], 1
	s_lshl_b64 s[18:19], s[22:23], 1
	s_load_b32 s17, s[0:1], 0x1b0
	s_add_nc_u64 s[8:9], s[8:9], s[14:15]
	s_add_nc_u64 s[10:11], s[10:11], s[18:19]
	s_lshl_b64 s[14:15], s[24:25], 1
	s_lshl_b64 s[18:19], s[26:27], 3
	s_add_nc_u64 s[10:11], s[10:11], s[14:15]
	s_add_nc_u64 s[20:21], s[12:13], s[18:19]
	s_clause 0x2
	s_load_b64 s[12:13], s[0:1], 0x1b8
	s_load_b64 s[14:15], s[0:1], 0x360
	;; [unrolled: 1-line block ×3, first 2 shown]
	v_dual_add_nc_u32 v11, -1, v0 :: v_dual_bitop2_b32 v1, 28, v1 bitop3:0x40
	v_bfe_i32 v6, v5, 0, 16
	v_lshlrev_b32_e32 v12, 5, v0
	s_lshl_b64 s[22:23], s[28:29], 3
	s_delay_alu instid0(VALU_DEP_3)
	v_lshrrev_b32_e32 v10, 3, v11
	v_lshl_add_u32 v9, v0, 2, v1
	v_add_nc_u32_e32 v8, 0x8000, v6
	v_mad_u32 v6, s44, s33, v0
	v_and_b32_e32 v1, 0xfc, v0
	s_wait_dscnt 0x0
	v_add_nc_u32_e32 v2, v2, v3
	v_and_b32_e32 v3, 0x1ffffffc, v10
	v_mbcnt_lo_u32_b32 v10, -1, 0
	s_wait_xcnt 0x0
	v_cmp_gt_u32_e64 s0, 32, v0
	v_add_nc_u32_e32 v12, v1, v12
	s_wait_kmcnt 0x0
	s_bitcmp1_b32 s17, 0
	v_lshl_add_u32 v11, v11, 2, v3
	v_dual_add_nc_u32 v15, -1, v10 :: v_dual_bitop2_b32 v13, 15, v10 bitop3:0x40
	v_bfe_i32 v14, v10, 4, 1
	s_add_nc_u64 s[20:21], s[20:21], s[22:23]
	s_cselect_b32 s1, -1, 0
                                        ; implicit-def: $vgpr16
	s_branch .LBB176_42
.LBB176_40:                             ;   in Loop: Header=BB176_42 Depth=1
	s_wait_xcnt 0x0
	s_or_b32 exec_lo, exec_lo, s17
	v_add_nc_u32_e32 v2, v3, v2
.LBB176_41:                             ;   in Loop: Header=BB176_42 Depth=1
	v_add_nc_u32_e32 v4, v17, v4
	v_add_nc_u32_e32 v6, 0x100, v6
	s_add_co_i32 s16, s16, -1
	s_delay_alu instid0(SALU_CYCLE_1)
	s_cmp_lg_u32 s16, 0
	s_cbranch_scc0 .LBB176_61
.LBB176_42:                             ; =>This Inner Loop Header: Depth=1
	v_dual_mov_b32 v1, v7 :: v_dual_mov_b32 v0, v7
	s_mov_b32 s17, exec_lo
	v_cmpx_gt_u64_e64 s[4:5], v[6:7]
	s_cbranch_execz .LBB176_44
; %bb.43:                               ;   in Loop: Header=BB176_42 Depth=1
	v_mul_u64_e32 v[0:1], s[12:13], v[6:7]
	s_delay_alu instid0(VALU_DEP_1) | instskip(SKIP_4) | instid1(VALU_DEP_1)
	v_lshl_add_u64 v[0:1], v[0:1], 1, s[8:9]
	global_load_u16 v16, v[0:1], off
	s_wait_loadcnt 0x0
	s_wait_xcnt 0x0
	v_bfe_i32 v0, v16, 0, 16
	v_add_nc_u32_e32 v0, 0x8000, v0
	s_delay_alu instid0(VALU_DEP_1) | instskip(SKIP_4) | instid1(VALU_DEP_2)
	v_cmp_gt_u32_e32 vcc_lo, v0, v8
	v_cndmask_b32_e64 v1, 0, 1, vcc_lo
	v_cmp_lt_u32_e32 vcc_lo, v0, v8
	v_cndmask_b32_e64 v0, 0, 1, vcc_lo
	v_cmp_eq_u16_e32 vcc_lo, v16, v5
	v_cndmask_b32_e64 v0, v0, v1, s1
	s_delay_alu instid0(VALU_DEP_1)
	v_and_b32_e32 v1, 1, v0
	v_cndmask_b32_e64 v0, 0, 1, vcc_lo
.LBB176_44:                             ;   in Loop: Header=BB176_42 Depth=1
	s_or_b32 exec_lo, exec_lo, s17
	ds_store_b32 v9, v1
	s_wait_dscnt 0x0
	s_barrier_signal -1
	s_barrier_wait -1
	s_and_saveexec_b32 s17, s0
	s_cbranch_execz .LBB176_46
; %bb.45:                               ;   in Loop: Header=BB176_42 Depth=1
	ds_load_2addr_b32 v[18:19], v12 offset1:1
	ds_load_2addr_b32 v[20:21], v12 offset0:2 offset1:3
	ds_load_2addr_b32 v[22:23], v12 offset0:4 offset1:5
	;; [unrolled: 1-line block ×3, first 2 shown]
	v_cmp_ne_u32_e32 vcc_lo, 0, v13
	; wave barrier
	s_wait_dscnt 0x3
	v_add_nc_u32_e32 v3, v19, v18
	s_wait_dscnt 0x2
	s_delay_alu instid0(VALU_DEP_1) | instskip(SKIP_1) | instid1(VALU_DEP_1)
	v_add3_u32 v3, v3, v20, v21
	s_wait_dscnt 0x1
	v_add3_u32 v3, v3, v22, v23
	s_wait_dscnt 0x0
	s_delay_alu instid0(VALU_DEP_1) | instskip(NEXT) | instid1(VALU_DEP_1)
	v_add3_u32 v3, v3, v24, v25
	v_mov_b32_dpp v17, v3 row_shr:1 row_mask:0xf bank_mask:0xf
	s_delay_alu instid0(VALU_DEP_1) | instskip(SKIP_1) | instid1(VALU_DEP_2)
	v_cndmask_b32_e32 v17, 0, v17, vcc_lo
	v_cmp_lt_u32_e32 vcc_lo, 1, v13
	v_add_nc_u32_e32 v3, v17, v3
	s_delay_alu instid0(VALU_DEP_1) | instskip(NEXT) | instid1(VALU_DEP_1)
	v_mov_b32_dpp v17, v3 row_shr:2 row_mask:0xf bank_mask:0xf
	v_cndmask_b32_e32 v17, 0, v17, vcc_lo
	v_cmp_lt_u32_e32 vcc_lo, 3, v13
	s_delay_alu instid0(VALU_DEP_2) | instskip(NEXT) | instid1(VALU_DEP_1)
	v_add_nc_u32_e32 v3, v3, v17
	v_mov_b32_dpp v17, v3 row_shr:4 row_mask:0xf bank_mask:0xf
	s_delay_alu instid0(VALU_DEP_1) | instskip(SKIP_1) | instid1(VALU_DEP_2)
	v_cndmask_b32_e32 v17, 0, v17, vcc_lo
	v_cmp_lt_u32_e32 vcc_lo, 7, v13
	v_add_nc_u32_e32 v3, v3, v17
	s_delay_alu instid0(VALU_DEP_1) | instskip(NEXT) | instid1(VALU_DEP_1)
	v_mov_b32_dpp v17, v3 row_shr:8 row_mask:0xf bank_mask:0xf
	v_cndmask_b32_e32 v17, 0, v17, vcc_lo
	v_cmp_gt_i32_e32 vcc_lo, 0, v15
	s_delay_alu instid0(VALU_DEP_2) | instskip(SKIP_4) | instid1(VALU_DEP_1)
	v_add_nc_u32_e32 v3, v3, v17
	v_cndmask_b32_e32 v19, v15, v10, vcc_lo
	ds_swizzle_b32 v17, v3 offset:swizzle(BROADCAST,32,15)
	s_wait_dscnt 0x0
	v_dual_lshlrev_b32 v19, 2, v19 :: v_dual_bitop2_b32 v17, v14, v17 bitop3:0x40
	v_add_nc_u32_e32 v3, v3, v17
	ds_bpermute_b32 v3, v19, v3
	s_wait_dscnt 0x0
	v_add_nc_u32_e32 v3, v3, v18
	s_delay_alu instid0(VALU_DEP_1)
	v_cndmask_b32_e64 v3, v3, v1, s3
	ds_store_b32 v12, v3
	; wave barrier
	ds_load_2addr_b32 v[18:19], v12 offset0:1 offset1:2
	ds_load_2addr_b32 v[20:21], v12 offset0:3 offset1:4
	;; [unrolled: 1-line block ×3, first 2 shown]
	ds_load_b32 v17, v12 offset:28
	s_wait_dscnt 0x3
	v_add_nc_u32_e32 v3, v18, v3
	s_delay_alu instid0(VALU_DEP_1) | instskip(SKIP_1) | instid1(VALU_DEP_1)
	v_add_nc_u32_e32 v18, v19, v3
	s_wait_dscnt 0x2
	v_add_nc_u32_e32 v19, v20, v18
	s_delay_alu instid0(VALU_DEP_1) | instskip(SKIP_1) | instid1(VALU_DEP_1)
	v_add_nc_u32_e32 v20, v21, v19
	;; [unrolled: 4-line block ×3, first 2 shown]
	s_wait_dscnt 0x0
	v_add_nc_u32_e32 v17, v17, v22
	ds_store_2addr_b32 v12, v3, v18 offset0:1 offset1:2
	ds_store_2addr_b32 v12, v19, v20 offset0:3 offset1:4
	;; [unrolled: 1-line block ×3, first 2 shown]
	ds_store_b32 v12, v17 offset:28
.LBB176_46:                             ;   in Loop: Header=BB176_42 Depth=1
	s_or_b32 exec_lo, exec_lo, s17
	v_mov_b32_e32 v3, 0
	s_wait_dscnt 0x0
	s_barrier_signal -1
	s_barrier_wait -1
	s_and_saveexec_b32 s17, s2
; %bb.47:                               ;   in Loop: Header=BB176_42 Depth=1
	ds_load_b32 v3, v11
; %bb.48:                               ;   in Loop: Header=BB176_42 Depth=1
	s_or_b32 exec_lo, exec_lo, s17
	ds_load_b32 v17, v7 offset:1048
	s_mov_b32 s17, exec_lo
	s_wait_dscnt 0x0
	s_barrier_signal -1
	s_barrier_wait -1
	v_cmpx_ne_u32_e32 0, v1
	s_cbranch_execz .LBB176_50
; %bb.49:                               ;   in Loop: Header=BB176_42 Depth=1
	v_add_nc_u32_e32 v18, v3, v4
	v_mov_b32_e32 v19, v7
	s_delay_alu instid0(VALU_DEP_1) | instskip(SKIP_1) | instid1(VALU_DEP_2)
	v_mul_u64_e32 v[20:21], s[14:15], v[18:19]
	v_mul_u64_e32 v[18:19], s[18:19], v[18:19]
	v_lshl_add_u64 v[20:21], v[20:21], 1, s[10:11]
	s_delay_alu instid0(VALU_DEP_2)
	v_lshl_add_u64 v[18:19], v[18:19], 3, s[20:21]
	global_store_b16 v[20:21], v16, off
	global_store_b64 v[18:19], v[6:7], off
.LBB176_50:                             ;   in Loop: Header=BB176_42 Depth=1
	s_wait_xcnt 0x0
	s_or_b32 exec_lo, exec_lo, s17
	v_mov_b32_e32 v3, v7
	s_delay_alu instid0(VALU_DEP_1)
	v_cmp_le_u64_e32 vcc_lo, s[6:7], v[2:3]
	s_cbranch_vccnz .LBB176_41
; %bb.51:                               ;   in Loop: Header=BB176_42 Depth=1
	ds_store_b32 v9, v0
	s_wait_storecnt_dscnt 0x0
	s_barrier_signal -1
	s_barrier_wait -1
	s_and_saveexec_b32 s17, s0
	s_cbranch_execz .LBB176_53
; %bb.52:                               ;   in Loop: Header=BB176_42 Depth=1
	ds_load_2addr_b32 v[18:19], v12 offset1:1
	ds_load_2addr_b32 v[20:21], v12 offset0:2 offset1:3
	ds_load_2addr_b32 v[22:23], v12 offset0:4 offset1:5
	;; [unrolled: 1-line block ×3, first 2 shown]
	v_cmp_ne_u32_e32 vcc_lo, 0, v13
	; wave barrier
	s_wait_dscnt 0x3
	v_add_nc_u32_e32 v1, v19, v18
	s_wait_dscnt 0x2
	s_delay_alu instid0(VALU_DEP_1) | instskip(SKIP_1) | instid1(VALU_DEP_1)
	v_add3_u32 v1, v1, v20, v21
	s_wait_dscnt 0x1
	v_add3_u32 v1, v1, v22, v23
	s_wait_dscnt 0x0
	s_delay_alu instid0(VALU_DEP_1) | instskip(NEXT) | instid1(VALU_DEP_1)
	v_add3_u32 v1, v1, v24, v25
	v_mov_b32_dpp v3, v1 row_shr:1 row_mask:0xf bank_mask:0xf
	s_delay_alu instid0(VALU_DEP_1) | instskip(SKIP_1) | instid1(VALU_DEP_2)
	v_cndmask_b32_e32 v3, 0, v3, vcc_lo
	v_cmp_lt_u32_e32 vcc_lo, 1, v13
	v_add_nc_u32_e32 v1, v3, v1
	s_delay_alu instid0(VALU_DEP_1) | instskip(NEXT) | instid1(VALU_DEP_1)
	v_mov_b32_dpp v3, v1 row_shr:2 row_mask:0xf bank_mask:0xf
	v_cndmask_b32_e32 v3, 0, v3, vcc_lo
	v_cmp_lt_u32_e32 vcc_lo, 3, v13
	s_delay_alu instid0(VALU_DEP_2) | instskip(NEXT) | instid1(VALU_DEP_1)
	v_add_nc_u32_e32 v1, v1, v3
	v_mov_b32_dpp v3, v1 row_shr:4 row_mask:0xf bank_mask:0xf
	s_delay_alu instid0(VALU_DEP_1) | instskip(SKIP_1) | instid1(VALU_DEP_2)
	v_cndmask_b32_e32 v3, 0, v3, vcc_lo
	v_cmp_lt_u32_e32 vcc_lo, 7, v13
	v_add_nc_u32_e32 v1, v1, v3
	s_delay_alu instid0(VALU_DEP_1) | instskip(NEXT) | instid1(VALU_DEP_1)
	v_mov_b32_dpp v3, v1 row_shr:8 row_mask:0xf bank_mask:0xf
	v_cndmask_b32_e32 v3, 0, v3, vcc_lo
	v_cmp_gt_i32_e32 vcc_lo, 0, v15
	s_delay_alu instid0(VALU_DEP_2) | instskip(SKIP_4) | instid1(VALU_DEP_1)
	v_dual_add_nc_u32 v1, v1, v3 :: v_dual_cndmask_b32 v19, v15, v10, vcc_lo
	ds_swizzle_b32 v3, v1 offset:swizzle(BROADCAST,32,15)
	v_lshlrev_b32_e32 v19, 2, v19
	s_wait_dscnt 0x0
	v_and_b32_e32 v3, v14, v3
	v_add_nc_u32_e32 v1, v1, v3
	ds_bpermute_b32 v1, v19, v1
	s_wait_dscnt 0x0
	v_add_nc_u32_e32 v1, v1, v18
	s_delay_alu instid0(VALU_DEP_1)
	v_cndmask_b32_e64 v1, v1, v0, s3
	ds_store_b32 v12, v1
	; wave barrier
	ds_load_2addr_b32 v[18:19], v12 offset0:1 offset1:2
	ds_load_2addr_b32 v[20:21], v12 offset0:3 offset1:4
	;; [unrolled: 1-line block ×3, first 2 shown]
	ds_load_b32 v3, v12 offset:28
	s_wait_dscnt 0x3
	v_add_nc_u32_e32 v1, v18, v1
	s_delay_alu instid0(VALU_DEP_1) | instskip(SKIP_1) | instid1(VALU_DEP_1)
	v_add_nc_u32_e32 v18, v19, v1
	s_wait_dscnt 0x2
	v_add_nc_u32_e32 v19, v20, v18
	s_delay_alu instid0(VALU_DEP_1) | instskip(SKIP_1) | instid1(VALU_DEP_1)
	v_add_nc_u32_e32 v20, v21, v19
	;; [unrolled: 4-line block ×3, first 2 shown]
	s_wait_dscnt 0x0
	v_add_nc_u32_e32 v3, v3, v22
	ds_store_2addr_b32 v12, v1, v18 offset0:1 offset1:2
	ds_store_2addr_b32 v12, v19, v20 offset0:3 offset1:4
	;; [unrolled: 1-line block ×3, first 2 shown]
	ds_store_b32 v12, v3 offset:28
.LBB176_53:                             ;   in Loop: Header=BB176_42 Depth=1
	s_or_b32 exec_lo, exec_lo, s17
	v_mov_b32_e32 v1, 0
	s_wait_dscnt 0x0
	s_barrier_signal -1
	s_barrier_wait -1
	s_and_saveexec_b32 s17, s2
; %bb.54:                               ;   in Loop: Header=BB176_42 Depth=1
	ds_load_b32 v1, v11
; %bb.55:                               ;   in Loop: Header=BB176_42 Depth=1
	s_or_b32 exec_lo, exec_lo, s17
	ds_load_b32 v3, v7 offset:1048
	s_mov_b32 s17, exec_lo
	s_wait_dscnt 0x0
	s_barrier_signal -1
	s_barrier_wait -1
	v_cmpx_ne_u32_e32 0, v0
	s_cbranch_execz .LBB176_40
; %bb.56:                               ;   in Loop: Header=BB176_42 Depth=1
	v_dual_mov_b32 v1, v7 :: v_dual_add_nc_u32 v0, v1, v2
	s_delay_alu instid0(VALU_DEP_1)
	v_cmp_gt_u64_e32 vcc_lo, s[6:7], v[0:1]
	s_and_b32 exec_lo, exec_lo, vcc_lo
	s_cbranch_execz .LBB176_40
; %bb.57:                               ;   in Loop: Header=BB176_42 Depth=1
	v_mul_u64_e32 v[18:19], s[14:15], v[0:1]
	v_mul_u64_e32 v[0:1], s[18:19], v[0:1]
	s_delay_alu instid0(VALU_DEP_2) | instskip(NEXT) | instid1(VALU_DEP_2)
	v_lshl_add_u64 v[18:19], v[18:19], 1, s[10:11]
	v_lshl_add_u64 v[0:1], v[0:1], 3, s[20:21]
	global_store_b16 v[18:19], v16, off
	global_store_b64 v[0:1], v[6:7], off
	s_branch .LBB176_40
.LBB176_58:                             ;   in Loop: Header=BB176_59 Depth=1
	s_add_co_i32 s14, s14, 1
	s_wait_kmcnt 0x0
	s_add_co_i32 s21, s15, s21
	s_add_nc_u64 s[10:11], s[10:11], 4
	s_cmp_lt_u32 s14, s17
	s_add_nc_u64 s[12:13], s[12:13], 4
	s_cbranch_scc0 .LBB176_37
.LBB176_59:                             ; =>This Inner Loop Header: Depth=1
	s_load_b32 s15, s[10:11], 0x0
	s_cmp_ge_u32 s14, s44
	s_cbranch_scc1 .LBB176_58
; %bb.60:                               ;   in Loop: Header=BB176_59 Depth=1
	s_load_b32 s20, s[12:13], 0x0
	s_wait_kmcnt 0x0
	s_add_co_i32 s9, s15, s9
	s_add_co_i32 s8, s20, s8
	s_branch .LBB176_58
.LBB176_61:
	s_endpgm
	.section	.rodata,"a",@progbits
	.p2align	6, 0x0
	.amdhsa_kernel _ZN2at6native6mbtopk10gatherTopKIsmLin1EEEvNS_4cuda6detail10TensorInfoIKT_T0_EES8_S8_bjS8_NS5_IS6_S8_EES8_NS5_IlS8_EES8_jjPS6_PjSD_j
		.amdhsa_group_segment_fixed_size 1068
		.amdhsa_private_segment_fixed_size 0
		.amdhsa_kernarg_size 1592
		.amdhsa_user_sgpr_count 2
		.amdhsa_user_sgpr_dispatch_ptr 0
		.amdhsa_user_sgpr_queue_ptr 0
		.amdhsa_user_sgpr_kernarg_segment_ptr 1
		.amdhsa_user_sgpr_dispatch_id 0
		.amdhsa_user_sgpr_kernarg_preload_length 0
		.amdhsa_user_sgpr_kernarg_preload_offset 0
		.amdhsa_user_sgpr_private_segment_size 0
		.amdhsa_wavefront_size32 1
		.amdhsa_uses_dynamic_stack 0
		.amdhsa_enable_private_segment 0
		.amdhsa_system_sgpr_workgroup_id_x 1
		.amdhsa_system_sgpr_workgroup_id_y 1
		.amdhsa_system_sgpr_workgroup_id_z 1
		.amdhsa_system_sgpr_workgroup_info 0
		.amdhsa_system_vgpr_workitem_id 0
		.amdhsa_next_free_vgpr 26
		.amdhsa_next_free_sgpr 48
		.amdhsa_named_barrier_count 0
		.amdhsa_reserve_vcc 1
		.amdhsa_float_round_mode_32 0
		.amdhsa_float_round_mode_16_64 0
		.amdhsa_float_denorm_mode_32 3
		.amdhsa_float_denorm_mode_16_64 3
		.amdhsa_fp16_overflow 0
		.amdhsa_memory_ordered 1
		.amdhsa_forward_progress 1
		.amdhsa_inst_pref_size 27
		.amdhsa_round_robin_scheduling 0
		.amdhsa_exception_fp_ieee_invalid_op 0
		.amdhsa_exception_fp_denorm_src 0
		.amdhsa_exception_fp_ieee_div_zero 0
		.amdhsa_exception_fp_ieee_overflow 0
		.amdhsa_exception_fp_ieee_underflow 0
		.amdhsa_exception_fp_ieee_inexact 0
		.amdhsa_exception_int_div_zero 0
	.end_amdhsa_kernel
	.section	.text._ZN2at6native6mbtopk10gatherTopKIsmLin1EEEvNS_4cuda6detail10TensorInfoIKT_T0_EES8_S8_bjS8_NS5_IS6_S8_EES8_NS5_IlS8_EES8_jjPS6_PjSD_j,"axG",@progbits,_ZN2at6native6mbtopk10gatherTopKIsmLin1EEEvNS_4cuda6detail10TensorInfoIKT_T0_EES8_S8_bjS8_NS5_IS6_S8_EES8_NS5_IlS8_EES8_jjPS6_PjSD_j,comdat
.Lfunc_end176:
	.size	_ZN2at6native6mbtopk10gatherTopKIsmLin1EEEvNS_4cuda6detail10TensorInfoIKT_T0_EES8_S8_bjS8_NS5_IS6_S8_EES8_NS5_IlS8_EES8_jjPS6_PjSD_j, .Lfunc_end176-_ZN2at6native6mbtopk10gatherTopKIsmLin1EEEvNS_4cuda6detail10TensorInfoIKT_T0_EES8_S8_bjS8_NS5_IS6_S8_EES8_NS5_IlS8_EES8_jjPS6_PjSD_j
                                        ; -- End function
	.set _ZN2at6native6mbtopk10gatherTopKIsmLin1EEEvNS_4cuda6detail10TensorInfoIKT_T0_EES8_S8_bjS8_NS5_IS6_S8_EES8_NS5_IlS8_EES8_jjPS6_PjSD_j.num_vgpr, 26
	.set _ZN2at6native6mbtopk10gatherTopKIsmLin1EEEvNS_4cuda6detail10TensorInfoIKT_T0_EES8_S8_bjS8_NS5_IS6_S8_EES8_NS5_IlS8_EES8_jjPS6_PjSD_j.num_agpr, 0
	.set _ZN2at6native6mbtopk10gatherTopKIsmLin1EEEvNS_4cuda6detail10TensorInfoIKT_T0_EES8_S8_bjS8_NS5_IS6_S8_EES8_NS5_IlS8_EES8_jjPS6_PjSD_j.numbered_sgpr, 48
	.set _ZN2at6native6mbtopk10gatherTopKIsmLin1EEEvNS_4cuda6detail10TensorInfoIKT_T0_EES8_S8_bjS8_NS5_IS6_S8_EES8_NS5_IlS8_EES8_jjPS6_PjSD_j.num_named_barrier, 0
	.set _ZN2at6native6mbtopk10gatherTopKIsmLin1EEEvNS_4cuda6detail10TensorInfoIKT_T0_EES8_S8_bjS8_NS5_IS6_S8_EES8_NS5_IlS8_EES8_jjPS6_PjSD_j.private_seg_size, 0
	.set _ZN2at6native6mbtopk10gatherTopKIsmLin1EEEvNS_4cuda6detail10TensorInfoIKT_T0_EES8_S8_bjS8_NS5_IS6_S8_EES8_NS5_IlS8_EES8_jjPS6_PjSD_j.uses_vcc, 1
	.set _ZN2at6native6mbtopk10gatherTopKIsmLin1EEEvNS_4cuda6detail10TensorInfoIKT_T0_EES8_S8_bjS8_NS5_IS6_S8_EES8_NS5_IlS8_EES8_jjPS6_PjSD_j.uses_flat_scratch, 0
	.set _ZN2at6native6mbtopk10gatherTopKIsmLin1EEEvNS_4cuda6detail10TensorInfoIKT_T0_EES8_S8_bjS8_NS5_IS6_S8_EES8_NS5_IlS8_EES8_jjPS6_PjSD_j.has_dyn_sized_stack, 0
	.set _ZN2at6native6mbtopk10gatherTopKIsmLin1EEEvNS_4cuda6detail10TensorInfoIKT_T0_EES8_S8_bjS8_NS5_IS6_S8_EES8_NS5_IlS8_EES8_jjPS6_PjSD_j.has_recursion, 0
	.set _ZN2at6native6mbtopk10gatherTopKIsmLin1EEEvNS_4cuda6detail10TensorInfoIKT_T0_EES8_S8_bjS8_NS5_IS6_S8_EES8_NS5_IlS8_EES8_jjPS6_PjSD_j.has_indirect_call, 0
	.section	.AMDGPU.csdata,"",@progbits
; Kernel info:
; codeLenInByte = 3360
; TotalNumSgprs: 50
; NumVgprs: 26
; ScratchSize: 0
; MemoryBound: 0
; FloatMode: 240
; IeeeMode: 1
; LDSByteSize: 1068 bytes/workgroup (compile time only)
; SGPRBlocks: 0
; VGPRBlocks: 1
; NumSGPRsForWavesPerEU: 50
; NumVGPRsForWavesPerEU: 26
; NamedBarCnt: 0
; Occupancy: 16
; WaveLimiterHint : 1
; COMPUTE_PGM_RSRC2:SCRATCH_EN: 0
; COMPUTE_PGM_RSRC2:USER_SGPR: 2
; COMPUTE_PGM_RSRC2:TRAP_HANDLER: 0
; COMPUTE_PGM_RSRC2:TGID_X_EN: 1
; COMPUTE_PGM_RSRC2:TGID_Y_EN: 1
; COMPUTE_PGM_RSRC2:TGID_Z_EN: 1
; COMPUTE_PGM_RSRC2:TIDIG_COMP_CNT: 0
	.section	.text._ZN2at6native6sbtopk10gatherTopKIsmLin1ELb0EEEvNS_4cuda6detail10TensorInfoIKT_T0_EES8_S8_bS8_S8_NS5_IS6_S8_EES8_NS5_IlS8_EES8_PS6_,"axG",@progbits,_ZN2at6native6sbtopk10gatherTopKIsmLin1ELb0EEEvNS_4cuda6detail10TensorInfoIKT_T0_EES8_S8_bS8_S8_NS5_IS6_S8_EES8_NS5_IlS8_EES8_PS6_,comdat
	.protected	_ZN2at6native6sbtopk10gatherTopKIsmLin1ELb0EEEvNS_4cuda6detail10TensorInfoIKT_T0_EES8_S8_bS8_S8_NS5_IS6_S8_EES8_NS5_IlS8_EES8_PS6_ ; -- Begin function _ZN2at6native6sbtopk10gatherTopKIsmLin1ELb0EEEvNS_4cuda6detail10TensorInfoIKT_T0_EES8_S8_bS8_S8_NS5_IS6_S8_EES8_NS5_IlS8_EES8_PS6_
	.globl	_ZN2at6native6sbtopk10gatherTopKIsmLin1ELb0EEEvNS_4cuda6detail10TensorInfoIKT_T0_EES8_S8_bS8_S8_NS5_IS6_S8_EES8_NS5_IlS8_EES8_PS6_
	.p2align	8
	.type	_ZN2at6native6sbtopk10gatherTopKIsmLin1ELb0EEEvNS_4cuda6detail10TensorInfoIKT_T0_EES8_S8_bS8_S8_NS5_IS6_S8_EES8_NS5_IlS8_EES8_PS6_,@function
_ZN2at6native6sbtopk10gatherTopKIsmLin1ELb0EEEvNS_4cuda6detail10TensorInfoIKT_T0_EES8_S8_bS8_S8_NS5_IS6_S8_EES8_NS5_IlS8_EES8_PS6_: ; @_ZN2at6native6sbtopk10gatherTopKIsmLin1ELb0EEEvNS_4cuda6detail10TensorInfoIKT_T0_EES8_S8_bS8_S8_NS5_IS6_S8_EES8_NS5_IlS8_EES8_PS6_
; %bb.0:
	s_clause 0x1
	s_load_b128 s[28:31], s[0:1], 0x1b8
	s_load_b64 s[8:9], s[0:1], 0x520
	s_bfe_u32 s2, ttmp6, 0x40010
	s_and_b32 s3, ttmp7, 0xffff
	s_add_co_i32 s2, s2, 1
	s_bfe_u32 s5, ttmp6, 0x4000c
	s_mul_i32 s2, s3, s2
	s_bfe_u32 s4, ttmp6, 0x40004
	s_add_co_i32 s5, s5, 1
	s_bfe_u32 s6, ttmp6, 0x40014
	s_add_co_i32 s4, s4, s2
	s_and_b32 s2, ttmp6, 15
	s_mul_i32 s5, ttmp9, s5
	s_lshr_b32 s7, ttmp7, 16
	s_add_co_i32 s6, s6, 1
	s_add_co_i32 s2, s2, s5
	s_mul_i32 s5, s7, s6
	s_bfe_u32 s6, ttmp6, 0x40008
	s_getreg_b32 s10, hwreg(HW_REG_IB_STS2, 6, 4)
	s_add_co_i32 s6, s6, s5
	s_cmp_eq_u32 s10, 0
	s_cselect_b32 s5, s7, s6
	s_cselect_b32 s3, s3, s4
	s_wait_kmcnt 0x0
	s_mul_i32 s5, s9, s5
	s_cselect_b32 s9, ttmp9, s2
	s_add_co_i32 s2, s5, s3
	s_mov_b32 s5, 0
	s_mul_i32 s2, s2, s8
	s_delay_alu instid0(SALU_CYCLE_1) | instskip(NEXT) | instid1(SALU_CYCLE_1)
	s_add_co_i32 s4, s2, s9
	v_cmp_le_u64_e64 s2, s[28:29], s[4:5]
	s_and_b32 vcc_lo, exec_lo, s2
	s_cbranch_vccnz .LBB177_498
; %bb.1:
	s_load_b32 s12, s[0:1], 0x198
	s_mov_b64 s[2:3], 0
	s_mov_b64 s[6:7], s[4:5]
	s_wait_kmcnt 0x0
	s_cmp_lt_i32 s12, 2
	s_cbranch_scc1 .LBB177_9
; %bb.2:
	s_add_co_i32 s10, s12, -1
	s_mov_b32 s11, 0
	s_add_co_i32 s18, s12, 1
	s_lshl_b64 s[2:3], s[10:11], 3
	s_mov_b64 s[14:15], s[4:5]
	s_add_nc_u64 s[6:7], s[0:1], s[2:3]
	s_mov_b64 s[2:3], 0
	s_add_nc_u64 s[12:13], s[6:7], 8
.LBB177_3:                              ; =>This Inner Loop Header: Depth=1
	s_load_b64 s[16:17], s[12:13], 0x0
	s_mov_b32 s10, -1
	s_wait_kmcnt 0x0
	s_or_b64 s[6:7], s[14:15], s[16:17]
	s_delay_alu instid0(SALU_CYCLE_1) | instskip(NEXT) | instid1(SALU_CYCLE_1)
	s_and_b64 s[6:7], s[6:7], 0xffffffff00000000
	s_cmp_lg_u64 s[6:7], 0
                                        ; implicit-def: $sgpr6_sgpr7
	s_cbranch_scc0 .LBB177_5
; %bb.4:                                ;   in Loop: Header=BB177_3 Depth=1
	s_cvt_f32_u32 s6, s16
	s_cvt_f32_u32 s7, s17
	s_sub_nc_u64 s[20:21], 0, s[16:17]
	s_delay_alu instid0(SALU_CYCLE_2) | instskip(NEXT) | instid1(SALU_CYCLE_3)
	s_fmamk_f32 s6, s7, 0x4f800000, s6
	v_s_rcp_f32 s6, s6
	s_delay_alu instid0(TRANS32_DEP_1) | instskip(NEXT) | instid1(SALU_CYCLE_3)
	s_mul_f32 s6, s6, 0x5f7ffffc
	s_mul_f32 s7, s6, 0x2f800000
	s_delay_alu instid0(SALU_CYCLE_3) | instskip(NEXT) | instid1(SALU_CYCLE_3)
	s_trunc_f32 s7, s7
	s_fmamk_f32 s6, s7, 0xcf800000, s6
	s_cvt_u32_f32 s7, s7
	s_delay_alu instid0(SALU_CYCLE_2) | instskip(NEXT) | instid1(SALU_CYCLE_3)
	s_cvt_u32_f32 s6, s6
	s_mul_u64 s[22:23], s[20:21], s[6:7]
	s_delay_alu instid0(SALU_CYCLE_1)
	s_mul_hi_u32 s25, s6, s23
	s_mul_i32 s24, s6, s23
	s_mul_hi_u32 s10, s6, s22
	s_mul_i32 s26, s7, s22
	s_add_nc_u64 s[24:25], s[10:11], s[24:25]
	s_mul_hi_u32 s19, s7, s22
	s_mul_hi_u32 s27, s7, s23
	s_add_co_u32 s10, s24, s26
	s_add_co_ci_u32 s10, s25, s19
	s_mul_i32 s22, s7, s23
	s_add_co_ci_u32 s23, s27, 0
	s_delay_alu instid0(SALU_CYCLE_1) | instskip(NEXT) | instid1(SALU_CYCLE_1)
	s_add_nc_u64 s[22:23], s[10:11], s[22:23]
	s_add_co_u32 s6, s6, s22
	s_cselect_b32 s10, -1, 0
	s_delay_alu instid0(SALU_CYCLE_1) | instskip(SKIP_1) | instid1(SALU_CYCLE_1)
	s_cmp_lg_u32 s10, 0
	s_add_co_ci_u32 s7, s7, s23
	s_mul_u64 s[20:21], s[20:21], s[6:7]
	s_delay_alu instid0(SALU_CYCLE_1)
	s_mul_hi_u32 s23, s6, s21
	s_mul_i32 s22, s6, s21
	s_mul_hi_u32 s10, s6, s20
	s_mul_i32 s24, s7, s20
	s_add_nc_u64 s[22:23], s[10:11], s[22:23]
	s_mul_hi_u32 s19, s7, s20
	s_mul_hi_u32 s25, s7, s21
	s_add_co_u32 s10, s22, s24
	s_add_co_ci_u32 s10, s23, s19
	s_mul_i32 s20, s7, s21
	s_add_co_ci_u32 s21, s25, 0
	s_delay_alu instid0(SALU_CYCLE_1) | instskip(NEXT) | instid1(SALU_CYCLE_1)
	s_add_nc_u64 s[20:21], s[10:11], s[20:21]
	s_add_co_u32 s6, s6, s20
	s_cselect_b32 s19, -1, 0
	s_mul_hi_u32 s10, s14, s6
	s_cmp_lg_u32 s19, 0
	s_mul_hi_u32 s19, s15, s6
	s_add_co_ci_u32 s20, s7, s21
	s_mul_i32 s21, s15, s6
	s_mul_hi_u32 s7, s14, s20
	s_mul_i32 s6, s14, s20
	s_mul_hi_u32 s22, s15, s20
	s_add_nc_u64 s[6:7], s[10:11], s[6:7]
	s_mul_i32 s20, s15, s20
	s_add_co_u32 s6, s6, s21
	s_add_co_ci_u32 s10, s7, s19
	s_add_co_ci_u32 s21, s22, 0
	s_delay_alu instid0(SALU_CYCLE_1) | instskip(NEXT) | instid1(SALU_CYCLE_1)
	s_add_nc_u64 s[6:7], s[10:11], s[20:21]
	s_and_b64 s[20:21], s[6:7], 0xffffffff00000000
	s_delay_alu instid0(SALU_CYCLE_1) | instskip(NEXT) | instid1(SALU_CYCLE_1)
	s_or_b32 s20, s20, s6
	s_mul_u64 s[6:7], s[16:17], s[20:21]
	s_delay_alu instid0(SALU_CYCLE_1)
	s_sub_co_u32 s6, s14, s6
	s_cselect_b32 s10, -1, 0
	s_sub_co_i32 s19, s15, s7
	s_cmp_lg_u32 s10, 0
	s_sub_co_ci_u32 s19, s19, s17
	s_sub_co_u32 s22, s6, s16
	s_cselect_b32 s23, -1, 0
	s_delay_alu instid0(SALU_CYCLE_1) | instskip(SKIP_1) | instid1(SALU_CYCLE_1)
	s_cmp_lg_u32 s23, 0
	s_sub_co_ci_u32 s19, s19, 0
	s_cmp_ge_u32 s19, s17
	s_cselect_b32 s24, -1, 0
	s_cmp_ge_u32 s22, s16
	s_add_nc_u64 s[22:23], s[20:21], 1
	s_cselect_b32 s25, -1, 0
	s_cmp_eq_u32 s19, s17
	s_cselect_b32 s19, s25, s24
	s_add_nc_u64 s[24:25], s[20:21], 2
	s_cmp_lg_u32 s19, 0
	s_cselect_b32 s19, s24, s22
	s_cselect_b32 s22, s25, s23
	s_cmp_lg_u32 s10, 0
	s_sub_co_ci_u32 s7, s15, s7
	s_delay_alu instid0(SALU_CYCLE_1)
	s_cmp_ge_u32 s7, s17
	s_cselect_b32 s10, -1, 0
	s_cmp_ge_u32 s6, s16
	s_cselect_b32 s6, -1, 0
	s_cmp_eq_u32 s7, s17
	s_cselect_b32 s6, s6, s10
	s_mov_b32 s10, 0
	s_cmp_lg_u32 s6, 0
	s_cselect_b32 s7, s22, s21
	s_cselect_b32 s6, s19, s20
.LBB177_5:                              ;   in Loop: Header=BB177_3 Depth=1
	s_and_not1_b32 vcc_lo, exec_lo, s10
	s_cbranch_vccnz .LBB177_7
; %bb.6:                                ;   in Loop: Header=BB177_3 Depth=1
	v_cvt_f32_u32_e32 v1, s16
	s_sub_co_i32 s7, 0, s16
	s_delay_alu instid0(VALU_DEP_1) | instskip(SKIP_1) | instid1(TRANS32_DEP_1)
	v_rcp_iflag_f32_e32 v1, v1
	v_nop
	v_mul_f32_e32 v1, 0x4f7ffffe, v1
	s_delay_alu instid0(VALU_DEP_1) | instskip(NEXT) | instid1(VALU_DEP_1)
	v_cvt_u32_f32_e32 v1, v1
	v_readfirstlane_b32 s6, v1
	s_mul_i32 s7, s7, s6
	s_delay_alu instid0(SALU_CYCLE_1) | instskip(NEXT) | instid1(SALU_CYCLE_1)
	s_mul_hi_u32 s7, s6, s7
	s_add_co_i32 s6, s6, s7
	s_delay_alu instid0(SALU_CYCLE_1) | instskip(NEXT) | instid1(SALU_CYCLE_1)
	s_mul_hi_u32 s6, s14, s6
	s_mul_i32 s7, s6, s16
	s_add_co_i32 s10, s6, 1
	s_sub_co_i32 s7, s14, s7
	s_delay_alu instid0(SALU_CYCLE_1)
	s_sub_co_i32 s19, s7, s16
	s_cmp_ge_u32 s7, s16
	s_cselect_b32 s6, s10, s6
	s_cselect_b32 s7, s19, s7
	s_add_co_i32 s10, s6, 1
	s_cmp_ge_u32 s7, s16
	s_cselect_b32 s10, s10, s6
	s_delay_alu instid0(SALU_CYCLE_1)
	s_mov_b64 s[6:7], s[10:11]
.LBB177_7:                              ;   in Loop: Header=BB177_3 Depth=1
	s_load_b64 s[20:21], s[12:13], 0xc8
	s_mul_u64 s[16:17], s[6:7], s[16:17]
	s_add_co_i32 s18, s18, -1
	s_sub_nc_u64 s[14:15], s[14:15], s[16:17]
	s_cmp_gt_u32 s18, 2
	s_wait_xcnt 0x0
	s_add_nc_u64 s[12:13], s[12:13], -8
	s_wait_kmcnt 0x0
	s_mul_u64 s[14:15], s[20:21], s[14:15]
	s_delay_alu instid0(SALU_CYCLE_1)
	s_add_nc_u64 s[2:3], s[14:15], s[2:3]
	s_cbranch_scc0 .LBB177_9
; %bb.8:                                ;   in Loop: Header=BB177_3 Depth=1
	s_mov_b64 s[14:15], s[6:7]
	s_branch .LBB177_3
.LBB177_9:
	s_load_b32 s16, s[0:1], 0x360
	s_add_nc_u64 s[10:11], s[0:1], 0x520
	s_add_nc_u64 s[12:13], s[0:1], 0x1c8
	s_mov_b64 s[34:35], 0
	s_mov_b64 s[42:43], s[4:5]
	s_wait_kmcnt 0x0
	s_cmp_lt_i32 s16, 2
	s_cbranch_scc1 .LBB177_17
; %bb.10:
	s_add_co_i32 s14, s16, -1
	s_mov_b32 s15, 0
	s_add_co_i32 s22, s16, 1
	s_lshl_b64 s[18:19], s[14:15], 3
	s_delay_alu instid0(SALU_CYCLE_1)
	s_add_nc_u64 s[16:17], s[12:13], s[18:19]
	s_mov_b64 s[18:19], s[4:5]
	s_add_nc_u64 s[16:17], s[16:17], 8
.LBB177_11:                             ; =>This Inner Loop Header: Depth=1
	s_load_b64 s[20:21], s[16:17], 0x0
	s_mov_b32 s14, -1
                                        ; implicit-def: $sgpr42_sgpr43
	s_wait_kmcnt 0x0
	s_or_b64 s[24:25], s[18:19], s[20:21]
	s_delay_alu instid0(SALU_CYCLE_1) | instskip(NEXT) | instid1(SALU_CYCLE_1)
	s_and_b64 s[24:25], s[24:25], 0xffffffff00000000
	s_cmp_lg_u64 s[24:25], 0
	s_cbranch_scc0 .LBB177_13
; %bb.12:                               ;   in Loop: Header=BB177_11 Depth=1
	s_cvt_f32_u32 s14, s20
	s_cvt_f32_u32 s23, s21
	s_sub_nc_u64 s[26:27], 0, s[20:21]
	s_delay_alu instid0(SALU_CYCLE_2) | instskip(NEXT) | instid1(SALU_CYCLE_3)
	s_fmamk_f32 s14, s23, 0x4f800000, s14
	v_s_rcp_f32 s14, s14
	s_delay_alu instid0(TRANS32_DEP_1) | instskip(NEXT) | instid1(SALU_CYCLE_3)
	s_mul_f32 s14, s14, 0x5f7ffffc
	s_mul_f32 s23, s14, 0x2f800000
	s_delay_alu instid0(SALU_CYCLE_3) | instskip(NEXT) | instid1(SALU_CYCLE_3)
	s_trunc_f32 s23, s23
	s_fmamk_f32 s14, s23, 0xcf800000, s14
	s_cvt_u32_f32 s25, s23
	s_delay_alu instid0(SALU_CYCLE_2) | instskip(NEXT) | instid1(SALU_CYCLE_3)
	s_cvt_u32_f32 s24, s14
	s_mul_u64 s[28:29], s[26:27], s[24:25]
	s_delay_alu instid0(SALU_CYCLE_1)
	s_mul_hi_u32 s37, s24, s29
	s_mul_i32 s36, s24, s29
	s_mul_hi_u32 s14, s24, s28
	s_mul_i32 s33, s25, s28
	s_add_nc_u64 s[36:37], s[14:15], s[36:37]
	s_mul_hi_u32 s23, s25, s28
	s_mul_hi_u32 s38, s25, s29
	s_add_co_u32 s14, s36, s33
	s_add_co_ci_u32 s14, s37, s23
	s_mul_i32 s28, s25, s29
	s_add_co_ci_u32 s29, s38, 0
	s_delay_alu instid0(SALU_CYCLE_1) | instskip(NEXT) | instid1(SALU_CYCLE_1)
	s_add_nc_u64 s[28:29], s[14:15], s[28:29]
	s_add_co_u32 s24, s24, s28
	s_cselect_b32 s14, -1, 0
	s_delay_alu instid0(SALU_CYCLE_1) | instskip(SKIP_1) | instid1(SALU_CYCLE_1)
	s_cmp_lg_u32 s14, 0
	s_add_co_ci_u32 s25, s25, s29
	s_mul_u64 s[26:27], s[26:27], s[24:25]
	s_delay_alu instid0(SALU_CYCLE_1)
	s_mul_hi_u32 s29, s24, s27
	s_mul_i32 s28, s24, s27
	s_mul_hi_u32 s14, s24, s26
	s_mul_i32 s33, s25, s26
	s_add_nc_u64 s[28:29], s[14:15], s[28:29]
	s_mul_hi_u32 s23, s25, s26
	s_mul_hi_u32 s36, s25, s27
	s_add_co_u32 s14, s28, s33
	s_add_co_ci_u32 s14, s29, s23
	s_mul_i32 s26, s25, s27
	s_add_co_ci_u32 s27, s36, 0
	s_delay_alu instid0(SALU_CYCLE_1) | instskip(NEXT) | instid1(SALU_CYCLE_1)
	s_add_nc_u64 s[26:27], s[14:15], s[26:27]
	s_add_co_u32 s23, s24, s26
	s_cselect_b32 s24, -1, 0
	s_mul_hi_u32 s14, s18, s23
	s_cmp_lg_u32 s24, 0
	s_mul_hi_u32 s28, s19, s23
	s_add_co_ci_u32 s26, s25, s27
	s_mul_i32 s23, s19, s23
	s_mul_hi_u32 s25, s18, s26
	s_mul_i32 s24, s18, s26
	s_mul_hi_u32 s27, s19, s26
	s_add_nc_u64 s[24:25], s[14:15], s[24:25]
	s_mul_i32 s26, s19, s26
	s_add_co_u32 s14, s24, s23
	s_add_co_ci_u32 s14, s25, s28
	s_add_co_ci_u32 s27, s27, 0
	s_delay_alu instid0(SALU_CYCLE_1) | instskip(NEXT) | instid1(SALU_CYCLE_1)
	s_add_nc_u64 s[24:25], s[14:15], s[26:27]
	s_and_b64 s[26:27], s[24:25], 0xffffffff00000000
	s_delay_alu instid0(SALU_CYCLE_1) | instskip(NEXT) | instid1(SALU_CYCLE_1)
	s_or_b32 s26, s26, s24
	s_mul_u64 s[24:25], s[20:21], s[26:27]
	s_delay_alu instid0(SALU_CYCLE_1)
	s_sub_co_u32 s14, s18, s24
	s_cselect_b32 s23, -1, 0
	s_sub_co_i32 s24, s19, s25
	s_cmp_lg_u32 s23, 0
	s_sub_co_ci_u32 s24, s24, s21
	s_sub_co_u32 s28, s14, s20
	s_cselect_b32 s29, -1, 0
	s_delay_alu instid0(SALU_CYCLE_1) | instskip(SKIP_1) | instid1(SALU_CYCLE_1)
	s_cmp_lg_u32 s29, 0
	s_sub_co_ci_u32 s24, s24, 0
	s_cmp_ge_u32 s24, s21
	s_cselect_b32 s33, -1, 0
	s_cmp_ge_u32 s28, s20
	s_add_nc_u64 s[28:29], s[26:27], 1
	s_cselect_b32 s36, -1, 0
	s_cmp_eq_u32 s24, s21
	s_cselect_b32 s24, s36, s33
	s_add_nc_u64 s[36:37], s[26:27], 2
	s_cmp_lg_u32 s24, 0
	s_cselect_b32 s24, s36, s28
	s_cselect_b32 s28, s37, s29
	s_cmp_lg_u32 s23, 0
	s_sub_co_ci_u32 s23, s19, s25
	s_delay_alu instid0(SALU_CYCLE_1)
	s_cmp_ge_u32 s23, s21
	s_cselect_b32 s25, -1, 0
	s_cmp_ge_u32 s14, s20
	s_cselect_b32 s14, -1, 0
	s_cmp_eq_u32 s23, s21
	s_cselect_b32 s14, s14, s25
	s_delay_alu instid0(SALU_CYCLE_1)
	s_cmp_lg_u32 s14, 0
	s_mov_b32 s14, 0
	s_cselect_b32 s43, s28, s27
	s_cselect_b32 s42, s24, s26
.LBB177_13:                             ;   in Loop: Header=BB177_11 Depth=1
	s_and_not1_b32 vcc_lo, exec_lo, s14
	s_cbranch_vccnz .LBB177_15
; %bb.14:                               ;   in Loop: Header=BB177_11 Depth=1
	v_cvt_f32_u32_e32 v1, s20
	s_sub_co_i32 s23, 0, s20
	s_delay_alu instid0(VALU_DEP_1) | instskip(SKIP_1) | instid1(TRANS32_DEP_1)
	v_rcp_iflag_f32_e32 v1, v1
	v_nop
	v_mul_f32_e32 v1, 0x4f7ffffe, v1
	s_delay_alu instid0(VALU_DEP_1) | instskip(NEXT) | instid1(VALU_DEP_1)
	v_cvt_u32_f32_e32 v1, v1
	v_readfirstlane_b32 s14, v1
	s_mul_i32 s23, s23, s14
	s_delay_alu instid0(SALU_CYCLE_1) | instskip(NEXT) | instid1(SALU_CYCLE_1)
	s_mul_hi_u32 s23, s14, s23
	s_add_co_i32 s14, s14, s23
	s_delay_alu instid0(SALU_CYCLE_1) | instskip(NEXT) | instid1(SALU_CYCLE_1)
	s_mul_hi_u32 s14, s18, s14
	s_mul_i32 s23, s14, s20
	s_add_co_i32 s24, s14, 1
	s_sub_co_i32 s23, s18, s23
	s_delay_alu instid0(SALU_CYCLE_1)
	s_sub_co_i32 s25, s23, s20
	s_cmp_ge_u32 s23, s20
	s_cselect_b32 s14, s24, s14
	s_cselect_b32 s23, s25, s23
	s_add_co_i32 s24, s14, 1
	s_cmp_ge_u32 s23, s20
	s_cselect_b32 s14, s24, s14
	s_delay_alu instid0(SALU_CYCLE_1)
	s_mov_b64 s[42:43], s[14:15]
.LBB177_15:                             ;   in Loop: Header=BB177_11 Depth=1
	s_load_b64 s[24:25], s[16:17], 0xc8
	s_mul_u64 s[20:21], s[42:43], s[20:21]
	s_add_co_i32 s22, s22, -1
	s_sub_nc_u64 s[18:19], s[18:19], s[20:21]
	s_cmp_gt_u32 s22, 2
	s_wait_xcnt 0x0
	s_add_nc_u64 s[16:17], s[16:17], -8
	s_wait_kmcnt 0x0
	s_mul_u64 s[18:19], s[24:25], s[18:19]
	s_delay_alu instid0(SALU_CYCLE_1)
	s_add_nc_u64 s[34:35], s[18:19], s[34:35]
	s_cbranch_scc0 .LBB177_17
; %bb.16:                               ;   in Loop: Header=BB177_11 Depth=1
	s_mov_b64 s[18:19], s[42:43]
	s_branch .LBB177_11
.LBB177_17:
	s_clause 0x1
	s_load_b64 s[14:15], s[0:1], 0xd0
	s_load_b32 s18, s[0:1], 0x508
	s_mov_b64 s[46:47], 0
	s_wait_kmcnt 0x0
	s_cmp_lt_i32 s18, 2
	s_cbranch_scc1 .LBB177_25
; %bb.18:
	s_add_co_i32 s16, s18, -1
	s_mov_b32 s17, 0
	s_add_nc_u64 s[20:21], s[0:1], 0x370
	s_lshl_b64 s[22:23], s[16:17], 3
	s_delay_alu instid0(SALU_CYCLE_1)
	s_add_nc_u64 s[20:21], s[20:21], s[22:23]
	s_add_co_i32 s22, s18, 1
	s_add_nc_u64 s[18:19], s[20:21], 8
.LBB177_19:                             ; =>This Inner Loop Header: Depth=1
	s_load_b64 s[20:21], s[18:19], 0x0
	s_mov_b32 s16, -1
                                        ; implicit-def: $sgpr48_sgpr49
	s_wait_kmcnt 0x0
	s_or_b64 s[24:25], s[4:5], s[20:21]
	s_delay_alu instid0(SALU_CYCLE_1) | instskip(NEXT) | instid1(SALU_CYCLE_1)
	s_and_b64 s[24:25], s[24:25], 0xffffffff00000000
	s_cmp_lg_u64 s[24:25], 0
	s_cbranch_scc0 .LBB177_21
; %bb.20:                               ;   in Loop: Header=BB177_19 Depth=1
	s_cvt_f32_u32 s16, s20
	s_cvt_f32_u32 s23, s21
	s_sub_nc_u64 s[26:27], 0, s[20:21]
	s_delay_alu instid0(SALU_CYCLE_2) | instskip(NEXT) | instid1(SALU_CYCLE_3)
	s_fmamk_f32 s16, s23, 0x4f800000, s16
	v_s_rcp_f32 s16, s16
	s_delay_alu instid0(TRANS32_DEP_1) | instskip(NEXT) | instid1(SALU_CYCLE_3)
	s_mul_f32 s16, s16, 0x5f7ffffc
	s_mul_f32 s23, s16, 0x2f800000
	s_delay_alu instid0(SALU_CYCLE_3) | instskip(NEXT) | instid1(SALU_CYCLE_3)
	s_trunc_f32 s23, s23
	s_fmamk_f32 s16, s23, 0xcf800000, s16
	s_cvt_u32_f32 s25, s23
	s_delay_alu instid0(SALU_CYCLE_2) | instskip(NEXT) | instid1(SALU_CYCLE_3)
	s_cvt_u32_f32 s24, s16
	s_mul_u64 s[28:29], s[26:27], s[24:25]
	s_delay_alu instid0(SALU_CYCLE_1)
	s_mul_hi_u32 s37, s24, s29
	s_mul_i32 s36, s24, s29
	s_mul_hi_u32 s16, s24, s28
	s_mul_i32 s33, s25, s28
	s_add_nc_u64 s[36:37], s[16:17], s[36:37]
	s_mul_hi_u32 s23, s25, s28
	s_mul_hi_u32 s38, s25, s29
	s_add_co_u32 s16, s36, s33
	s_add_co_ci_u32 s16, s37, s23
	s_mul_i32 s28, s25, s29
	s_add_co_ci_u32 s29, s38, 0
	s_delay_alu instid0(SALU_CYCLE_1) | instskip(NEXT) | instid1(SALU_CYCLE_1)
	s_add_nc_u64 s[28:29], s[16:17], s[28:29]
	s_add_co_u32 s24, s24, s28
	s_cselect_b32 s16, -1, 0
	s_delay_alu instid0(SALU_CYCLE_1) | instskip(SKIP_1) | instid1(SALU_CYCLE_1)
	s_cmp_lg_u32 s16, 0
	s_add_co_ci_u32 s25, s25, s29
	s_mul_u64 s[26:27], s[26:27], s[24:25]
	s_delay_alu instid0(SALU_CYCLE_1)
	s_mul_hi_u32 s29, s24, s27
	s_mul_i32 s28, s24, s27
	s_mul_hi_u32 s16, s24, s26
	s_mul_i32 s33, s25, s26
	s_add_nc_u64 s[28:29], s[16:17], s[28:29]
	s_mul_hi_u32 s23, s25, s26
	s_mul_hi_u32 s36, s25, s27
	s_add_co_u32 s16, s28, s33
	s_add_co_ci_u32 s16, s29, s23
	s_mul_i32 s26, s25, s27
	s_add_co_ci_u32 s27, s36, 0
	s_delay_alu instid0(SALU_CYCLE_1) | instskip(NEXT) | instid1(SALU_CYCLE_1)
	s_add_nc_u64 s[26:27], s[16:17], s[26:27]
	s_add_co_u32 s23, s24, s26
	s_cselect_b32 s24, -1, 0
	s_mul_hi_u32 s16, s4, s23
	s_cmp_lg_u32 s24, 0
	s_mul_hi_u32 s28, s5, s23
	s_add_co_ci_u32 s26, s25, s27
	s_mul_i32 s23, s5, s23
	s_mul_hi_u32 s25, s4, s26
	s_mul_i32 s24, s4, s26
	s_mul_hi_u32 s27, s5, s26
	s_add_nc_u64 s[24:25], s[16:17], s[24:25]
	s_mul_i32 s26, s5, s26
	s_add_co_u32 s16, s24, s23
	s_add_co_ci_u32 s16, s25, s28
	s_add_co_ci_u32 s27, s27, 0
	s_delay_alu instid0(SALU_CYCLE_1) | instskip(NEXT) | instid1(SALU_CYCLE_1)
	s_add_nc_u64 s[24:25], s[16:17], s[26:27]
	s_and_b64 s[26:27], s[24:25], 0xffffffff00000000
	s_delay_alu instid0(SALU_CYCLE_1) | instskip(NEXT) | instid1(SALU_CYCLE_1)
	s_or_b32 s26, s26, s24
	s_mul_u64 s[24:25], s[20:21], s[26:27]
	s_delay_alu instid0(SALU_CYCLE_1)
	s_sub_co_u32 s16, s4, s24
	s_cselect_b32 s23, -1, 0
	s_sub_co_i32 s24, s5, s25
	s_cmp_lg_u32 s23, 0
	s_sub_co_ci_u32 s24, s24, s21
	s_sub_co_u32 s28, s16, s20
	s_cselect_b32 s29, -1, 0
	s_delay_alu instid0(SALU_CYCLE_1) | instskip(SKIP_1) | instid1(SALU_CYCLE_1)
	s_cmp_lg_u32 s29, 0
	s_sub_co_ci_u32 s24, s24, 0
	s_cmp_ge_u32 s24, s21
	s_cselect_b32 s33, -1, 0
	s_cmp_ge_u32 s28, s20
	s_add_nc_u64 s[28:29], s[26:27], 1
	s_cselect_b32 s36, -1, 0
	s_cmp_eq_u32 s24, s21
	s_cselect_b32 s24, s36, s33
	s_add_nc_u64 s[36:37], s[26:27], 2
	s_cmp_lg_u32 s24, 0
	s_cselect_b32 s24, s36, s28
	s_cselect_b32 s28, s37, s29
	s_cmp_lg_u32 s23, 0
	s_sub_co_ci_u32 s23, s5, s25
	s_delay_alu instid0(SALU_CYCLE_1)
	s_cmp_ge_u32 s23, s21
	s_cselect_b32 s25, -1, 0
	s_cmp_ge_u32 s16, s20
	s_cselect_b32 s16, -1, 0
	s_cmp_eq_u32 s23, s21
	s_cselect_b32 s16, s16, s25
	s_delay_alu instid0(SALU_CYCLE_1)
	s_cmp_lg_u32 s16, 0
	s_mov_b32 s16, 0
	s_cselect_b32 s49, s28, s27
	s_cselect_b32 s48, s24, s26
.LBB177_21:                             ;   in Loop: Header=BB177_19 Depth=1
	s_and_not1_b32 vcc_lo, exec_lo, s16
	s_cbranch_vccnz .LBB177_23
; %bb.22:                               ;   in Loop: Header=BB177_19 Depth=1
	v_cvt_f32_u32_e32 v1, s20
	s_sub_co_i32 s23, 0, s20
	s_delay_alu instid0(VALU_DEP_1) | instskip(SKIP_1) | instid1(TRANS32_DEP_1)
	v_rcp_iflag_f32_e32 v1, v1
	v_nop
	v_mul_f32_e32 v1, 0x4f7ffffe, v1
	s_delay_alu instid0(VALU_DEP_1) | instskip(NEXT) | instid1(VALU_DEP_1)
	v_cvt_u32_f32_e32 v1, v1
	v_readfirstlane_b32 s16, v1
	s_mul_i32 s23, s23, s16
	s_delay_alu instid0(SALU_CYCLE_1) | instskip(NEXT) | instid1(SALU_CYCLE_1)
	s_mul_hi_u32 s23, s16, s23
	s_add_co_i32 s16, s16, s23
	s_delay_alu instid0(SALU_CYCLE_1) | instskip(NEXT) | instid1(SALU_CYCLE_1)
	s_mul_hi_u32 s16, s4, s16
	s_mul_i32 s23, s16, s20
	s_add_co_i32 s24, s16, 1
	s_sub_co_i32 s23, s4, s23
	s_delay_alu instid0(SALU_CYCLE_1)
	s_sub_co_i32 s25, s23, s20
	s_cmp_ge_u32 s23, s20
	s_cselect_b32 s16, s24, s16
	s_cselect_b32 s23, s25, s23
	s_add_co_i32 s24, s16, 1
	s_cmp_ge_u32 s23, s20
	s_cselect_b32 s16, s24, s16
	s_delay_alu instid0(SALU_CYCLE_1)
	s_mov_b64 s[48:49], s[16:17]
.LBB177_23:                             ;   in Loop: Header=BB177_19 Depth=1
	s_load_b64 s[24:25], s[18:19], 0xc8
	s_mul_u64 s[20:21], s[48:49], s[20:21]
	s_add_co_i32 s22, s22, -1
	s_sub_nc_u64 s[4:5], s[4:5], s[20:21]
	s_cmp_gt_u32 s22, 2
	s_wait_xcnt 0x0
	s_add_nc_u64 s[18:19], s[18:19], -8
	s_wait_kmcnt 0x0
	s_mul_u64 s[4:5], s[24:25], s[4:5]
	s_delay_alu instid0(SALU_CYCLE_1)
	s_add_nc_u64 s[46:47], s[4:5], s[46:47]
	s_cbranch_scc0 .LBB177_26
; %bb.24:                               ;   in Loop: Header=BB177_19 Depth=1
	s_mov_b64 s[4:5], s[48:49]
	s_branch .LBB177_19
.LBB177_25:
	s_mov_b64 s[48:49], s[4:5]
.LBB177_26:
	s_clause 0x1
	s_load_b64 s[4:5], s[12:13], 0xd0
	s_load_b128 s[36:39], s[0:1], 0x1a0
	s_wait_xcnt 0x0
	s_load_b64 s[12:13], s[0:1], 0x0
                                        ; implicit-def: $vgpr62 : SGPR spill to VGPR lane
	s_mov_b32 s29, 0
	s_wait_kmcnt 0x0
	v_writelane_b32 v62, s4, 0
	v_writelane_b32 v62, s5, 1
	v_cmp_eq_u32_e64 s5, 0, v0
	s_and_saveexec_b32 s4, s5
	s_cbranch_execz .LBB177_28
; %bb.27:
	v_dual_mov_b32 v2, 0 :: v_dual_mov_b32 v4, s36
	s_delay_alu instid0(VALU_DEP_1)
	v_dual_mov_b32 v5, s37 :: v_dual_mov_b32 v3, v2
	ds_store_b32 v2, v2 offset:5144
	ds_store_b128 v2, v[2:5] offset:5120
.LBB177_28:
	s_or_b32 exec_lo, exec_lo, s4
	s_lshl_b64 s[60:61], s[2:3], 1
	s_load_b64 s[2:3], s[0:1], 0x440
	v_dual_mov_b32 v3, 0 :: v_dual_add_nc_u32 v2, 2, v0
	s_wait_dscnt 0x0
	s_barrier_signal -1
	s_barrier_wait -1
	s_delay_alu instid0(VALU_DEP_1) | instskip(SKIP_4) | instid1(VALU_DEP_3)
	v_max_u64 v[4:5], s[36:37], v[2:3]
	s_load_b32 s4, s[10:11], 0xc
	v_dual_mov_b32 v1, v3 :: v_dual_lshlrev_b32 v16, 2, v0
	v_dual_mov_b32 v9, -1 :: v_dual_lshlrev_b32 v46, 1, v0
	v_not_b32_e32 v8, v0
	v_cmp_gt_u64_e64 s19, s[36:37], v[0:1]
	s_mul_u64 s[14:15], s[14:15], s[6:7]
	v_mbcnt_lo_u32_b32 v13, -1, 0
	s_lshl_b64 s[14:15], s[14:15], 1
	v_cmp_gt_u32_e32 vcc_lo, 32, v0
	v_mul_u64_e32 v[6:7], s[30:31], v[0:1]
	s_wait_kmcnt 0x0
	v_writelane_b32 v62, s2, 2
	v_cmp_gt_i32_e64 s7, 4, v13
	s_add_nc_u64 s[16:17], s[12:13], s[14:15]
	v_lshlrev_b64_e64 v[10:11], v13, -1
	s_add_nc_u64 s[62:63], s[16:17], s[60:61]
	v_writelane_b32 v62, s3, 3
	s_load_b64 s[2:3], s[0:1], 0x1c8
	v_cmp_lt_u64_e64 s33, 0x600, s[36:37]
	s_movk_i32 s18, 0x3e0
	v_mov_b64_e32 v[32:33], s[38:39]
	s_mov_b32 s41, s29
	v_cmp_gt_u32_e64 s6, 2, v0
	v_dual_mov_b32 v50, 0 :: v_dual_add_nc_u32 v47, 0xc00, v46
	v_not_b32_e32 v12, v10
	v_and_or_b32 v48, v0, s18, 0xc00
	v_lshl_or_b32 v51, v13, 3, 0xc00
	s_mov_b32 s68, s30
	s_mov_b32 s69, s31
	v_add_nc_u64_e32 v[4:5], v[4:5], v[8:9]
	v_mov_b32_e32 v17, v3
	s_mov_b32 s70, s30
	s_mov_b32 s71, s31
	v_lshlrev_b32_e32 v49, 3, v0
	s_mov_b32 s72, s30
	s_mov_b32 s73, s31
	s_wait_kmcnt 0x0
	v_writelane_b32 v62, s2, 4
	v_dual_mov_b32 v19, v5 :: v_dual_bitop2_b32 v18, -4, v4 bitop3:0x40
	v_dual_mov_b32 v53, 0 :: v_dual_bitop2_b32 v2, 6, v49 bitop3:0x54
	v_writelane_b32 v62, s3, 5
	s_load_b64 s[2:3], s[0:1], 0x370
	v_lshlrev_b64_e32 v[8:9], 1, v[6:7]
	s_delay_alu instid0(VALU_DEP_3)
	v_mad_nc_u64_u32 v[22:23], s30, v2, s[16:17]
	v_add_nc_u64_e32 v[20:21], v[18:19], v[0:1]
	v_lshl_add_u64 v[28:29], v[6:7], 3, s[16:17]
	s_mov_b32 s53, 14
	s_mov_b32 s52, 0x4f800000
	;; [unrolled: 1-line block ×3, first 2 shown]
	v_add_nc_u64_e32 v[14:15], s[62:63], v[8:9]
	s_mov_b32 s56, 0
                                        ; implicit-def: $sgpr55
                                        ; implicit-def: $sgpr59
                                        ; implicit-def: $sgpr58
                                        ; implicit-def: $sgpr57
                                        ; implicit-def: $sgpr74
                                        ; implicit-def: $sgpr50
                                        ; implicit-def: $sgpr51
	v_mov_b32_e32 v52, 0
	v_mad_u32 v23, s31, v2, v23
	s_wait_kmcnt 0x0
	v_writelane_b32 v62, s2, 6
	v_writelane_b32 v62, s3, 7
	s_load_b32 s3, s[0:1], 0x1b0
	v_cmp_eq_u32_e64 s2, 0, v13
	v_writelane_b32 v62, s19, 8
	s_wait_kmcnt 0x0
	s_bitcmp1_b32 s3, 0
	s_cselect_b32 s19, -1, 0
	s_and_b32 s40, s4, 0xffff
	s_bfe_u32 s3, s4, 0xb0005
	v_cmp_lt_u64_e64 s4, 3, v[4:5]
	v_writelane_b32 v62, s19, 9
	s_and_b32 s98, vcc_lo, s7
	s_xor_b32 s99, s19, -1
	s_cmp_gt_u32 s40, 31
	s_add_nc_u64 s[64:65], s[40:41], -1
	s_cselect_b32 s100, -1, 0
	v_writelane_b32 v62, s4, 10
	v_cmp_ne_u64_e64 s4, v[4:5], v[18:19]
	s_cmp_lt_u32 s9, s8
	s_add_nc_u64 s[8:9], s[14:15], s[60:61]
	s_cselect_b32 s28, 12, 18
	s_bfe_u32 s7, s40, 0x30005
	s_add_nc_u64 s[8:9], s[12:13], s[8:9]
	v_or_b32_e32 v4, 4, v49
	v_writelane_b32 v62, s4, 11
	s_add_co_i32 s4, s3, -1
	v_or_b32_e32 v5, 2, v49
	s_and_b32 s4, s4, 0xffff
	v_mad_nc_u64_u32 v[24:25], s30, v4, s[16:17]
	s_cmp_gt_u32 s4, 6
	s_add_nc_u64 s[66:67], s[64:65], s[36:37]
	s_cselect_b32 s4, -1, 0
	s_and_b32 s103, s3, 0x7f8
	v_writelane_b32 v62, s4, 12
	s_cmp_lg_u32 s7, 0
	v_mad_nc_u64_u32 v[26:27], s30, v5, s[16:17]
	s_cselect_b32 s3, -1, 0
	s_lshl_b32 vcc_hi, s40, 1
	v_writelane_b32 v62, s7, 13
	v_mad_u32 v25, s31, v4, v25
	s_and_b64 s[80:81], s[36:37], 0xffffffff00000000
	s_add_nc_u64 s[82:83], s[10:11], s[28:29]
                                        ; implicit-def: $sgpr4
                                        ; implicit-def: $sgpr7
	v_writelane_b32 v62, s3, 14
	s_delay_alu instid0(VALU_DEP_4) | instskip(SKIP_3) | instid1(SALU_CYCLE_1)
	v_mad_u32 v27, s31, v5, v27
	v_writelane_b32 v62, s8, 15
	v_writelane_b32 v62, s9, 16
	s_lshl_b64 s[8:9], s[30:31], 1
	v_writelane_b32 v62, s8, 17
	v_writelane_b32 v62, s9, 18
	s_lshl_b64 s[8:9], s[30:31], 3
	s_delay_alu instid0(SALU_CYCLE_1) | instskip(SKIP_2) | instid1(SALU_CYCLE_1)
	v_writelane_b32 v62, s8, 19
	v_writelane_b32 v62, s9, 20
	s_add_nc_u64 s[8:9], s[12:13], s[60:61]
	s_add_nc_u64 s[12:13], s[8:9], s[14:15]
	s_mul_u64 s[8:9], s[30:31], s[40:41]
	v_writelane_b32 v62, s12, 21
	v_add_nc_u64_e32 v[30:31], s[12:13], v[8:9]
	s_lshl_b64 s[44:45], s[8:9], 1
                                        ; implicit-def: $sgpr8
	v_writelane_b32 v62, s13, 22
	s_branch .LBB177_31
.LBB177_29:                             ;   in Loop: Header=BB177_31 Depth=1
	s_or_b32 exec_lo, exec_lo, s11
	v_mov_b64_e32 v[32:33], v[4:5]
	s_and_not1_b32 s11, s51, exec_lo
	s_and_b32 s10, s10, exec_lo
	s_and_not1_b32 s7, s7, exec_lo
	s_or_b32 s51, s11, s10
	s_and_not1_b32 s50, s50, exec_lo
	s_and_not1_b32 s74, s74, exec_lo
	;; [unrolled: 1-line block ×3, first 2 shown]
	s_or_not1_b32 s9, s9, exec_lo
.LBB177_30:                             ;   in Loop: Header=BB177_31 Depth=1
	s_or_b32 exec_lo, exec_lo, s3
	s_delay_alu instid0(SALU_CYCLE_1) | instskip(NEXT) | instid1(SALU_CYCLE_1)
	s_and_b32 s3, exec_lo, s9
	s_or_b32 s54, s3, s54
	s_and_not1_b32 s3, s57, exec_lo
	s_and_b32 s9, s51, exec_lo
	s_and_not1_b32 s8, s8, exec_lo
	s_or_b32 s57, s3, s9
	s_and_b32 s3, s7, exec_lo
	s_and_not1_b32 s9, s58, exec_lo
	s_and_b32 s10, s50, exec_lo
	s_or_b32 s8, s8, s3
	s_or_b32 s58, s9, s10
	s_and_not1_b32 s3, s59, exec_lo
	s_and_b32 s9, s74, exec_lo
	s_and_not1_b32 s10, s55, exec_lo
	s_and_b32 s11, s4, exec_lo
	s_or_b32 s59, s3, s9
	s_or_b32 s55, s10, s11
	s_and_not1_b32 exec_lo, exec_lo, s54
	s_cbranch_execz .LBB177_494
.LBB177_31:                             ; =>This Loop Header: Depth=1
                                        ;     Child Loop BB177_36 Depth 2
                                        ;     Child Loop BB177_50 Depth 2
	;; [unrolled: 1-line block ×25, first 2 shown]
	ds_load_b128 v[4:7], v3 offset:5120
	s_wait_dscnt 0x0
	v_readfirstlane_b32 s85, v5
	v_readfirstlane_b32 s84, v4
	s_cmp_lg_u64 s[84:85], 0
	s_cbranch_scc1 .LBB177_63
; %bb.32:                               ;   in Loop: Header=BB177_31 Depth=1
	s_and_b32 vcc_lo, exec_lo, s33
	s_cbranch_vccz .LBB177_44
; %bb.33:                               ;   in Loop: Header=BB177_31 Depth=1
	v_cmp_gt_u64_e32 vcc_lo, 0x601, v[6:7]
	s_mov_b32 s3, 0
	s_mov_b32 s9, 0
	s_cbranch_vccz .LBB177_45
; %bb.34:                               ;   in Loop: Header=BB177_31 Depth=1
	global_load_u16 v2, v3, s[82:83]
	global_load_u16 v10, v[14:15], off
	v_readlane_b32 s12, v62, 17
	v_readlane_b32 s13, v62, 18
	;; [unrolled: 1-line block ×4, first 2 shown]
	s_wait_loadcnt 0x1
	v_and_b32_e32 v2, 0xffff, v2
	s_delay_alu instid0(VALU_DEP_1) | instskip(SKIP_1) | instid1(VALU_DEP_1)
	v_mul_u64_e32 v[4:5], s[12:13], v[2:3]
	v_add_nc_u32_e32 v8, v0, v2
	v_mad_nc_u64_u32 v[6:7], s12, v8, s[10:11]
	s_mov_b32 s11, 0
	s_delay_alu instid0(VALU_DEP_1)
	v_mad_u32 v7, s13, v8, v7
	v_mov_b64_e32 v[8:9], v[0:1]
	s_branch .LBB177_36
.LBB177_35:                             ;   in Loop: Header=BB177_36 Depth=2
	s_or_b32 exec_lo, exec_lo, s10
	v_add_nc_u64_e32 v[6:7], v[6:7], v[4:5]
	v_mov_b32_e32 v10, v11
	s_and_not1_b32 exec_lo, exec_lo, s11
	s_cbranch_execz .LBB177_118
.LBB177_36:                             ;   Parent Loop BB177_31 Depth=1
                                        ; =>  This Inner Loop Header: Depth=2
	s_delay_alu instid0(VALU_DEP_1) | instskip(SKIP_3) | instid1(VALU_DEP_2)
	v_add_nc_u64_e32 v[8:9], v[8:9], v[2:3]
	s_wait_dscnt 0x0
	v_dual_mov_b32 v34, 0 :: v_dual_mov_b32 v11, 0
	s_mov_b32 s10, exec_lo
	v_cmp_le_u64_e32 vcc_lo, s[36:37], v[8:9]
	s_wait_xcnt 0x0
	v_cmpx_gt_u64_e64 s[36:37], v[8:9]
	s_cbranch_execz .LBB177_38
; %bb.37:                               ;   in Loop: Header=BB177_36 Depth=2
	global_load_u16 v11, v[6:7], off
.LBB177_38:                             ;   in Loop: Header=BB177_36 Depth=2
	s_wait_xcnt 0x0
	s_or_b32 exec_lo, exec_lo, s10
	s_wait_loadcnt 0x0
	v_bfe_i32 v35, v10, 0, 16
	s_delay_alu instid0(VALU_DEP_1) | instskip(NEXT) | instid1(VALU_DEP_1)
	v_add_nc_u32_e32 v35, 0x8000, v35
	v_and_b32_e32 v35, v35, v52
	s_delay_alu instid0(VALU_DEP_1) | instskip(SKIP_2) | instid1(SALU_CYCLE_1)
	v_cmp_eq_u32_e64 s9, v35, v50
	s_cmp_lg_u32 s9, 0
	s_cselect_b32 s10, -1, 0
	s_and_b32 s10, s2, s10
	s_delay_alu instid0(SALU_CYCLE_1)
	s_and_saveexec_b32 s12, s10
	s_cbranch_execz .LBB177_42
; %bb.39:                               ;   in Loop: Header=BB177_36 Depth=2
	s_mov_b32 s15, exec_lo
	s_bcnt1_i32_b32 s13, s9
	v_mbcnt_lo_u32_b32 v34, s15, 0
	s_mov_b32 s14, exec_lo
                                        ; implicit-def: $vgpr35
	s_delay_alu instid0(VALU_DEP_1)
	v_cmpx_eq_u32_e32 0, v34
; %bb.40:                               ;   in Loop: Header=BB177_36 Depth=2
	s_bcnt1_i32_b32 s10, s15
	s_delay_alu instid0(SALU_CYCLE_1) | instskip(NEXT) | instid1(SALU_CYCLE_1)
	s_mul_i32 s10, s13, s10
	v_mov_b32_e32 v35, s10
	ds_add_rtn_u32 v35, v3, v35 offset:5144
; %bb.41:                               ;   in Loop: Header=BB177_36 Depth=2
	s_or_b32 exec_lo, exec_lo, s14
	s_wait_dscnt 0x0
	v_readfirstlane_b32 s10, v35
	s_delay_alu instid0(VALU_DEP_1)
	v_mad_u32_u24 v34, s13, v34, s10
.LBB177_42:                             ;   in Loop: Header=BB177_36 Depth=2
	s_or_b32 exec_lo, exec_lo, s12
	ds_bpermute_b32 v34, v3, v34
	s_and_b32 s10, exec_lo, vcc_lo
	s_delay_alu instid0(SALU_CYCLE_1)
	s_or_b32 s11, s10, s11
	s_and_saveexec_b32 s10, s9
	s_cbranch_execz .LBB177_35
; %bb.43:                               ;   in Loop: Header=BB177_36 Depth=2
	v_and_b32_e32 v35, s9, v12
	s_delay_alu instid0(VALU_DEP_1) | instskip(NEXT) | instid1(VALU_DEP_1)
	v_bcnt_u32_b32 v35, v35, 0
	v_lshlrev_b32_e32 v35, 1, v35
	s_wait_dscnt 0x0
	s_delay_alu instid0(VALU_DEP_1)
	v_lshl_add_u32 v34, v34, 1, v35
	ds_store_b16 v34, v10
	s_branch .LBB177_35
.LBB177_44:                             ;   in Loop: Header=BB177_31 Depth=1
	s_mov_b32 s3, -1
	s_mov_b32 s9, 0
.LBB177_45:                             ;   in Loop: Header=BB177_31 Depth=1
	s_and_b32 vcc_lo, exec_lo, s3
	s_cbranch_vccz .LBB177_61
.LBB177_46:                             ;   in Loop: Header=BB177_31 Depth=1
	s_mov_b32 s3, exec_lo
	v_readlane_b32 s9, v62, 8
	s_and_b32 s9, s3, s9
	s_delay_alu instid0(SALU_CYCLE_1)
	s_mov_b32 exec_lo, s9
	s_cbranch_execz .LBB177_58
; %bb.47:                               ;   in Loop: Header=BB177_31 Depth=1
	global_load_u16 v4, v3, s[82:83]
	global_load_u16 v36, v[14:15], off
	s_mov_b32 s9, exec_lo
	v_mov_b32_e32 v8, v0
	s_wait_loadcnt 0x1
	v_and_b32_e32 v2, 0xffff, v4
	v_readfirstlane_b32 s10, v4
	s_delay_alu instid0(VALU_DEP_2) | instskip(SKIP_1) | instid1(VALU_DEP_1)
	v_add_nc_u32_e32 v2, v2, v0
	s_wait_xcnt 0x0
	v_cmpx_gt_u64_e64 s[36:37], v[2:3]
	s_cbranch_execz .LBB177_57
; %bb.48:                               ;   in Loop: Header=BB177_31 Depth=1
	s_and_b32 s28, s10, 0xffff
	v_mov_b64_e32 v[6:7], v[0:1]
	v_mov_b64_e32 v[4:5], v[2:3]
	v_readlane_b32 s11, v62, 10
	s_cmp_eq_u32 s28, 1
                                        ; implicit-def: $vgpr8_vgpr9
	s_cselect_b32 s10, -1, 0
	s_delay_alu instid0(SALU_CYCLE_1)
	s_and_b32 s12, s11, s10
	s_mov_b32 s11, -1
	s_and_saveexec_b32 s10, s12
	s_cbranch_execz .LBB177_52
; %bb.49:                               ;   in Loop: Header=BB177_31 Depth=1
	v_add_nc_u64_e32 v[8:9], 3, v[2:3]
	v_add_nc_u64_e32 v[6:7], 2, v[2:3]
	;; [unrolled: 1-line block ×3, first 2 shown]
	v_mov_b64_e32 v[34:35], v[18:19]
	s_wait_loadcnt 0x0
	v_dual_mov_b32 v37, v46 :: v_dual_lshlrev_b32 v38, 16, v36
	s_mov_b32 s11, 0
	v_mov_b64_e32 v[10:11], v[8:9]
	v_mov_b64_e32 v[8:9], v[6:7]
	;; [unrolled: 1-line block ×4, first 2 shown]
.LBB177_50:                             ;   Parent Loop BB177_31 Depth=1
                                        ; =>  This Inner Loop Header: Depth=2
	s_delay_alu instid0(VALU_DEP_2) | instskip(NEXT) | instid1(VALU_DEP_4)
	v_mul_u64_e32 v[40:41], s[30:31], v[6:7]
	v_mul_u64_e32 v[42:43], s[70:71], v[8:9]
	s_delay_alu instid0(VALU_DEP_3)
	v_mul_u64_e32 v[44:45], s[68:69], v[4:5]
	v_mul_u64_e32 v[54:55], s[72:73], v[10:11]
	v_add_nc_u64_e32 v[34:35], -4, v[34:35]
	v_add_nc_u64_e32 v[10:11], 4, v[10:11]
	v_add_nc_u64_e32 v[8:9], 4, v[8:9]
	;; [unrolled: 1-line block ×4, first 2 shown]
	v_cmp_eq_u64_e32 vcc_lo, 0, v[34:35]
	s_or_b32 s11, vcc_lo, s11
	v_lshl_add_u64 v[40:41], v[40:41], 1, s[62:63]
	v_lshl_add_u64 v[42:43], v[42:43], 1, s[62:63]
	;; [unrolled: 1-line block ×4, first 2 shown]
	s_clause 0x3
	global_load_u16 v39, v[40:41], off
	global_load_u16 v40, v[42:43], off
	global_load_u16 v41, v[44:45], off
	global_load_u16 v36, v[54:55], off
	s_wait_loadcnt 0x2
	v_perm_b32 v39, v40, v39, 0x5040100
	s_wait_loadcnt 0x1
	v_alignbit_b32 v38, v41, v38, 16
	s_wait_loadcnt 0x0
	v_perm_b32 v40, v36, v40, 0x5040100
	ds_store_b64 v37, v[38:39]
	v_dual_mov_b32 v38, v40 :: v_dual_add_nc_u32 v37, 8, v37
	s_wait_xcnt 0x0
	s_and_not1_b32 exec_lo, exec_lo, s11
	s_cbranch_execnz .LBB177_50
; %bb.51:                               ;   in Loop: Header=BB177_31 Depth=1
	s_or_b32 exec_lo, exec_lo, s11
	v_add_nc_u64_e32 v[4:5], v[2:3], v[18:19]
	v_mov_b64_e32 v[6:7], v[20:21]
	v_readlane_b32 s11, v62, 11
	s_or_not1_b32 s11, s11, exec_lo
	v_add_nc_u64_e32 v[8:9], -1, v[4:5]
.LBB177_52:                             ;   in Loop: Header=BB177_31 Depth=1
	s_or_b32 exec_lo, exec_lo, s10
	s_and_saveexec_b32 s14, s11
	s_cbranch_execz .LBB177_56
; %bb.53:                               ;   in Loop: Header=BB177_31 Depth=1
	v_readlane_b32 s10, v62, 15
	v_readlane_b32 s11, v62, 16
	v_readlane_b32 s12, v62, 17
	v_readlane_b32 s13, v62, 18
	s_mov_b32 s15, 0
	v_mad_nc_u64_u32 v[8:9], s12, v4, s[10:11]
	s_sub_nc_u64 s[10:11], 0, s[28:29]
	s_delay_alu instid0(VALU_DEP_1) | instskip(NEXT) | instid1(VALU_DEP_1)
	v_mad_u32 v2, s13, v4, v9
	v_mad_u32 v9, s12, v5, v2
	s_mul_u64 s[12:13], s[12:13], s[28:29]
.LBB177_54:                             ;   Parent Loop BB177_31 Depth=1
                                        ; =>  This Inner Loop Header: Depth=2
	global_load_u16 v2, v[8:9], off
	v_mov_b64_e32 v[10:11], v[4:5]
	v_lshlrev_b32_e32 v6, 1, v6
	s_wait_xcnt 0x0
	v_add_nc_u64_e32 v[8:9], s[12:13], v[8:9]
	s_wait_loadcnt 0x1
	ds_store_b16 v6, v36
	v_add_nc_u64_e32 v[4:5], s[28:29], v[10:11]
	v_mov_b64_e32 v[6:7], v[10:11]
	s_delay_alu instid0(VALU_DEP_2)
	v_cmp_le_u64_e32 vcc_lo, s[36:37], v[4:5]
	s_or_b32 s15, vcc_lo, s15
	s_wait_loadcnt 0x0
	v_mov_b32_e32 v36, v2
	s_and_not1_b32 exec_lo, exec_lo, s15
	s_cbranch_execnz .LBB177_54
; %bb.55:                               ;   in Loop: Header=BB177_31 Depth=1
	s_or_b32 exec_lo, exec_lo, s15
	v_add_nc_u64_e32 v[8:9], s[10:11], v[4:5]
	v_mov_b32_e32 v36, v2
.LBB177_56:                             ;   in Loop: Header=BB177_31 Depth=1
	s_or_b32 exec_lo, exec_lo, s14
.LBB177_57:                             ;   in Loop: Header=BB177_31 Depth=1
	s_delay_alu instid0(SALU_CYCLE_1) | instskip(NEXT) | instid1(VALU_DEP_1)
	s_or_b32 exec_lo, exec_lo, s9
	v_lshlrev_b32_e32 v2, 1, v8
	s_wait_loadcnt 0x0
	ds_store_b16 v2, v36
.LBB177_58:                             ;   in Loop: Header=BB177_31 Depth=1
	s_or_b32 exec_lo, exec_lo, s3
	s_wait_dscnt 0x0
	s_barrier_signal -1
	s_barrier_wait -1
	s_and_saveexec_b32 s3, s5
; %bb.59:                               ;   in Loop: Header=BB177_31 Depth=1
	v_mov_b64_e32 v[4:5], s[36:37]
	ds_store_b64 v3, v[4:5] offset:5120
; %bb.60:                               ;   in Loop: Header=BB177_31 Depth=1
	s_or_b32 exec_lo, exec_lo, s3
	s_wait_dscnt 0x0
	s_barrier_signal -1
	s_mov_b32 s9, -1
	s_barrier_wait -1
.LBB177_61:                             ;   in Loop: Header=BB177_31 Depth=1
	s_and_b32 vcc_lo, exec_lo, s9
	s_mov_b64 s[84:85], 0
	s_cbranch_vccz .LBB177_63
; %bb.62:                               ;   in Loop: Header=BB177_31 Depth=1
	ds_load_b64 v[4:5], v3 offset:5120
	s_wait_dscnt 0x0
	v_readfirstlane_b32 s84, v4
	v_readfirstlane_b32 s85, v5
.LBB177_63:                             ;   in Loop: Header=BB177_31 Depth=1
	s_delay_alu instid0(VALU_DEP_2)
	s_cmp_lt_i32 s84, 1
	s_mov_b32 s3, -1
                                        ; implicit-def: $vgpr4_vgpr5
                                        ; implicit-def: $vgpr8_vgpr9
	s_cbranch_scc1 .LBB177_73
; %bb.64:                               ;   in Loop: Header=BB177_31 Depth=1
	s_and_b32 vcc_lo, exec_lo, s3
	s_cbranch_vccnz .LBB177_87
.LBB177_65:                             ;   in Loop: Header=BB177_31 Depth=1
	s_lshl_b32 s3, s56, 7
	s_and_saveexec_b32 s9, s2
	s_cbranch_execz .LBB177_67
.LBB177_66:                             ;   in Loop: Header=BB177_31 Depth=1
	v_lshl_add_u32 v2, s3, 3, v48
	ds_store_b128 v2, v[4:7]
	ds_store_b128 v2, v[8:11] offset:16
.LBB177_67:                             ;   in Loop: Header=BB177_31 Depth=1
	s_or_b32 exec_lo, exec_lo, s9
	s_wait_dscnt 0x0
	s_barrier_signal -1
	s_barrier_wait -1
	s_and_saveexec_b32 s9, s98
	s_cbranch_execz .LBB177_102
; %bb.68:                               ;   in Loop: Header=BB177_31 Depth=1
	v_mov_b64_e32 v[4:5], 0
	s_and_not1_b32 vcc_lo, exec_lo, s100
	s_cbranch_vccnz .LBB177_101
; %bb.69:                               ;   in Loop: Header=BB177_31 Depth=1
	v_readlane_b32 s10, v62, 12
	v_mov_b64_e32 v[4:5], 0
	s_and_not1_b32 vcc_lo, exec_lo, s10
	s_cbranch_vccnz .LBB177_97
; %bb.70:                               ;   in Loop: Header=BB177_31 Depth=1
	v_lshl_add_u32 v2, s56, 10, v51
	s_mov_b32 s10, 0
.LBB177_71:                             ;   Parent Loop BB177_31 Depth=1
                                        ; =>  This Inner Loop Header: Depth=2
	ds_load_2addr_b64 v[6:9], v2 offset1:4
	ds_load_2addr_b64 v[34:37], v2 offset0:8 offset1:12
	s_add_co_i32 s10, s10, 8
	s_delay_alu instid0(SALU_CYCLE_1) | instskip(SKIP_2) | instid1(VALU_DEP_1)
	s_cmp_eq_u32 s103, s10
	s_wait_dscnt 0x1
	v_add_nc_u64_e32 v[4:5], v[6:7], v[4:5]
	v_add_nc_u64_e32 v[8:9], v[8:9], v[4:5]
	ds_load_2addr_b64 v[4:7], v2 offset0:16 offset1:20
	s_wait_dscnt 0x1
	v_add_nc_u64_e32 v[8:9], v[34:35], v[8:9]
	s_delay_alu instid0(VALU_DEP_1) | instskip(SKIP_4) | instid1(VALU_DEP_1)
	v_add_nc_u64_e32 v[34:35], v[36:37], v[8:9]
	ds_load_2addr_b64 v[8:11], v2 offset0:24 offset1:28
	v_add_nc_u32_e32 v2, 0x100, v2
	s_wait_dscnt 0x1
	v_add_nc_u64_e32 v[4:5], v[4:5], v[34:35]
	v_add_nc_u64_e32 v[4:5], v[6:7], v[4:5]
	s_wait_dscnt 0x0
	s_delay_alu instid0(VALU_DEP_1) | instskip(NEXT) | instid1(VALU_DEP_1)
	v_add_nc_u64_e32 v[4:5], v[8:9], v[4:5]
	v_add_nc_u64_e32 v[4:5], v[10:11], v[4:5]
	s_cbranch_scc0 .LBB177_71
; %bb.72:                               ;   in Loop: Header=BB177_31 Depth=1
	s_mov_b32 s10, s103
	s_branch .LBB177_98
.LBB177_73:                             ;   in Loop: Header=BB177_31 Depth=1
	global_load_u16 v2, v3, s[82:83]
	s_mov_b32 s87, s29
	s_wait_loadcnt 0x0
	v_readfirstlane_b32 s3, v2
	s_and_b32 s3, 0xffff, s3
	s_delay_alu instid0(SALU_CYCLE_1)
	s_lshl_b32 s86, s3, 2
	s_cmp_lg_u64 s[80:81], 0
	s_cbranch_scc0 .LBB177_96
; %bb.74:                               ;   in Loop: Header=BB177_31 Depth=1
	s_cvt_f32_u32 s3, s86
	s_sub_nc_u64 s[12:13], 0, s[86:87]
	s_delay_alu instid0(SALU_CYCLE_2) | instskip(NEXT) | instid1(SALU_CYCLE_3)
	s_fmamk_f32 s3, s52, 0x0, s3
	v_s_rcp_f32 s3, s3
	s_delay_alu instid0(TRANS32_DEP_1) | instskip(NEXT) | instid1(SALU_CYCLE_3)
	s_mul_f32 s3, s3, 0x5f7ffffc
	s_mul_f32 s9, s3, 0x2f800000
	s_delay_alu instid0(SALU_CYCLE_3) | instskip(NEXT) | instid1(SALU_CYCLE_3)
	s_trunc_f32 s9, s9
	s_fmamk_f32 s3, s9, 0xcf800000, s3
	s_cvt_u32_f32 s11, s9
	s_delay_alu instid0(SALU_CYCLE_2) | instskip(NEXT) | instid1(SALU_CYCLE_3)
	s_cvt_u32_f32 s10, s3
	s_mul_u64 s[14:15], s[12:13], s[10:11]
	s_delay_alu instid0(SALU_CYCLE_1)
	s_mul_hi_u32 s17, s10, s15
	s_mul_i32 s16, s10, s15
	s_mul_hi_u32 s28, s10, s14
	s_mul_i32 s9, s11, s14
	s_add_nc_u64 s[16:17], s[28:29], s[16:17]
	s_mul_hi_u32 s3, s11, s14
	s_mul_hi_u32 s18, s11, s15
	s_add_co_u32 s9, s16, s9
	s_add_co_ci_u32 s28, s17, s3
	s_mul_i32 s14, s11, s15
	s_add_co_ci_u32 s15, s18, 0
	s_delay_alu instid0(SALU_CYCLE_1) | instskip(NEXT) | instid1(SALU_CYCLE_1)
	s_add_nc_u64 s[14:15], s[28:29], s[14:15]
	s_add_co_u32 s10, s10, s14
	s_cselect_b32 s3, -1, 0
	s_delay_alu instid0(SALU_CYCLE_1) | instskip(SKIP_1) | instid1(SALU_CYCLE_1)
	s_cmp_lg_u32 s3, 0
	s_add_co_ci_u32 s11, s11, s15
	s_mul_u64 s[12:13], s[12:13], s[10:11]
	s_delay_alu instid0(SALU_CYCLE_1)
	s_mul_hi_u32 s15, s10, s13
	s_mul_i32 s14, s10, s13
	s_mul_hi_u32 s28, s10, s12
	s_mul_i32 s9, s11, s12
	s_add_nc_u64 s[14:15], s[28:29], s[14:15]
	s_mul_hi_u32 s3, s11, s12
	s_mul_hi_u32 s16, s11, s13
	s_add_co_u32 s9, s14, s9
	s_add_co_ci_u32 s28, s15, s3
	s_mul_i32 s12, s11, s13
	s_add_co_ci_u32 s13, s16, 0
	s_delay_alu instid0(SALU_CYCLE_1) | instskip(NEXT) | instid1(SALU_CYCLE_1)
	s_add_nc_u64 s[12:13], s[28:29], s[12:13]
	s_add_co_u32 s3, s10, s12
	s_cselect_b32 s9, -1, 0
	s_mul_hi_u32 s28, s36, s3
	s_cmp_lg_u32 s9, 0
	s_mul_hi_u32 s9, s37, s3
	s_add_co_ci_u32 s12, s11, s13
	s_mul_i32 s3, s37, s3
	s_mul_hi_u32 s11, s36, s12
	s_mul_i32 s10, s36, s12
	s_mul_hi_u32 s13, s37, s12
	s_add_nc_u64 s[10:11], s[28:29], s[10:11]
	s_mul_i32 s12, s37, s12
	s_add_co_u32 s3, s10, s3
	s_add_co_ci_u32 s28, s11, s9
	s_add_co_ci_u32 s13, s13, 0
	s_delay_alu instid0(SALU_CYCLE_1) | instskip(NEXT) | instid1(SALU_CYCLE_1)
	s_add_nc_u64 s[10:11], s[28:29], s[12:13]
	s_and_b64 s[12:13], s[10:11], 0xffffffff00000000
	s_delay_alu instid0(SALU_CYCLE_1) | instskip(NEXT) | instid1(SALU_CYCLE_1)
	s_or_b32 s12, s12, s10
	s_mul_u64 s[10:11], s[86:87], s[12:13]
	s_delay_alu instid0(SALU_CYCLE_1) | instskip(SKIP_1) | instid1(SALU_CYCLE_1)
	s_sub_co_u32 s3, s36, s10
	s_cselect_b32 s9, -1, 0
	s_cmp_lg_u32 s9, 0
	s_sub_co_ci_u32 s9, s37, s11
	s_sub_co_u32 s10, s3, s86
	s_cselect_b32 s11, -1, 0
	s_delay_alu instid0(SALU_CYCLE_1) | instskip(SKIP_3) | instid1(SALU_CYCLE_1)
	s_cmp_lg_u32 s11, 0
	s_sub_co_ci_u32 s11, s9, 0
	s_sub_co_u32 s12, s10, s86
	s_cselect_b32 s13, -1, 0
	s_cmp_lg_u32 s13, 0
	s_sub_co_ci_u32 s13, s11, 0
	s_cmp_ge_u32 s10, s86
	s_cselect_b32 s14, -1, 0
	s_cmp_eq_u32 s11, 0
	s_cselect_b32 s14, s14, -1
	s_delay_alu instid0(SALU_CYCLE_1)
	s_cmp_lg_u32 s14, 0
	s_cselect_b32 s11, s13, s11
	s_cselect_b32 s10, s12, s10
	s_cmp_ge_u32 s3, s86
	s_cselect_b32 s12, -1, 0
	s_cmp_eq_u32 s9, 0
	s_cselect_b32 s12, s12, -1
	s_delay_alu instid0(SALU_CYCLE_1)
	s_cmp_lg_u32 s12, 0
	s_cselect_b32 s11, s11, s9
	s_cselect_b32 s10, s10, s3
	s_cbranch_execnz .LBB177_76
.LBB177_75:                             ;   in Loop: Header=BB177_31 Depth=1
	v_cvt_f32_u32_e32 v4, s86
	s_sub_co_i32 s9, 0, s86
	s_delay_alu instid0(VALU_DEP_1) | instskip(SKIP_1) | instid1(TRANS32_DEP_1)
	v_rcp_iflag_f32_e32 v4, v4
	v_nop
	v_mul_f32_e32 v4, 0x4f7ffffe, v4
	s_delay_alu instid0(VALU_DEP_1) | instskip(NEXT) | instid1(VALU_DEP_1)
	v_cvt_u32_f32_e32 v4, v4
	v_readfirstlane_b32 s3, v4
	s_mul_i32 s9, s9, s3
	s_delay_alu instid0(SALU_CYCLE_1) | instskip(NEXT) | instid1(SALU_CYCLE_1)
	s_mul_hi_u32 s9, s3, s9
	s_add_co_i32 s3, s3, s9
	s_delay_alu instid0(SALU_CYCLE_1) | instskip(NEXT) | instid1(SALU_CYCLE_1)
	s_mul_hi_u32 s3, s36, s3
	s_mul_i32 s3, s3, s86
	s_delay_alu instid0(SALU_CYCLE_1) | instskip(NEXT) | instid1(SALU_CYCLE_1)
	s_sub_co_i32 s3, s36, s3
	s_sub_co_i32 s9, s3, s86
	s_cmp_ge_u32 s3, s86
	s_cselect_b32 s3, s9, s3
	s_delay_alu instid0(SALU_CYCLE_1) | instskip(SKIP_2) | instid1(SALU_CYCLE_1)
	s_sub_co_i32 s9, s3, s86
	s_cmp_ge_u32 s3, s86
	s_cselect_b32 s28, s9, s3
	s_mov_b64 s[10:11], s[28:29]
.LBB177_76:                             ;   in Loop: Header=BB177_31 Depth=1
	v_mov_b64_e32 v[4:5], 0
	v_mov_b64_e32 v[6:7], 0
	;; [unrolled: 1-line block ×4, first 2 shown]
	v_and_b32_e32 v2, 0xffff, v2
	s_sub_nc_u64 s[88:89], s[36:37], s[10:11]
	s_mov_b32 s3, exec_lo
	v_cmpx_gt_u64_e64 s[88:89], v[16:17]
	s_cbranch_execz .LBB177_80
; %bb.77:                               ;   in Loop: Header=BB177_31 Depth=1
	v_readlane_b32 s10, v62, 19
	v_readlane_b32 s11, v62, 20
	v_mov_b64_e32 v[36:37], v[28:29]
	v_mov_b64_e32 v[38:39], v[26:27]
	v_mov_b64_e32 v[40:41], v[24:25]
	v_mov_b64_e32 v[42:43], v[22:23]
	v_mul_u64_e32 v[34:35], s[10:11], v[2:3]
	v_mov_b64_e32 v[44:45], v[16:17]
	s_mov_b64 s[90:91], 0
	s_mov_b32 s75, 0
	s_mov_b64 s[92:93], 0
	s_mov_b64 s[94:95], 0
	;; [unrolled: 1-line block ×3, first 2 shown]
.LBB177_78:                             ;   Parent Loop BB177_31 Depth=1
                                        ; =>  This Inner Loop Header: Depth=2
	v_add_nc_u64_e32 v[4:5], s[60:61], v[36:37]
	v_add_nc_u64_e32 v[6:7], s[60:61], v[38:39]
	;; [unrolled: 1-line block ×7, first 2 shown]
	global_load_i16 v4, v[4:5], off
	global_load_i16 v5, v[6:7], off
	;; [unrolled: 1-line block ×4, first 2 shown]
	v_add_nc_u64_e32 v[38:39], v[38:39], v[34:35]
	v_add_nc_u64_e32 v[36:37], v[36:37], v[34:35]
	v_cmp_le_u64_e32 vcc_lo, s[88:89], v[44:45]
	s_wait_loadcnt 0x3
	v_add_nc_u32_e32 v4, 0x8000, v4
	s_wait_loadcnt 0x2
	v_add_nc_u32_e32 v5, 0x8000, v5
	;; [unrolled: 2-line block ×4, first 2 shown]
	v_and_b32_e32 v8, v4, v52
	v_and_b32_e32 v9, v5, v52
	v_bfe_u32 v4, v4, s53, 2
	v_bfe_u32 v5, v5, s53, 2
	v_and_b32_e32 v10, v6, v52
	v_bfe_u32 v6, v6, s53, 2
	v_and_b32_e32 v11, v7, v52
	v_bfe_u32 v7, v7, s53, 2
	v_cmp_eq_u32_e64 s9, v8, v50
	v_cmp_eq_u32_e64 s10, v9, v50
	;; [unrolled: 1-line block ×15, first 2 shown]
	s_and_b32 s13, s9, s13
	s_and_b32 s14, s10, s14
	v_cmp_eq_u32_e64 s20, 1, v7
	v_cmp_eq_u32_e64 s23, 2, v6
	v_cmp_eq_u32_e64 s27, 3, v6
	s_and_b32 s15, s11, s15
	s_and_b32 s17, s9, s17
	;; [unrolled: 1-line block ×3, first 2 shown]
	v_cndmask_b32_e64 v4, 0, 1, s13
	v_cndmask_b32_e64 v5, 0, 1, s14
	v_cmp_eq_u32_e64 s24, 2, v7
	v_cmp_eq_u32_e64 s28, 3, v7
	s_and_b32 s16, s12, s16
	s_and_b32 s19, s11, s19
	;; [unrolled: 1-line block ×4, first 2 shown]
	v_cndmask_b32_e64 v6, 0, 1, s15
	v_cndmask_b32_e64 v8, 0, 1, s17
	;; [unrolled: 1-line block ×3, first 2 shown]
	s_and_b32 s9, s9, s25
	s_and_b32 s10, s10, s26
	;; [unrolled: 1-line block ×4, first 2 shown]
	v_cndmask_b32_e64 v7, 0, 1, s16
	v_cndmask_b32_e64 v10, 0, 1, s19
	;; [unrolled: 1-line block ×4, first 2 shown]
	s_and_b32 s11, s11, s27
	v_cndmask_b32_e64 v58, 0, 1, s9
	v_cndmask_b32_e64 v59, 0, 1, s10
	v_cmp_ne_u32_e64 s9, 0, v4
	v_cmp_ne_u32_e64 s10, 0, v5
	s_and_b32 s24, s12, s24
	v_cndmask_b32_e64 v11, 0, 1, s20
	v_cndmask_b32_e64 v56, 0, 1, s23
	s_and_b32 s12, s12, s28
	v_cndmask_b32_e64 v60, 0, 1, s11
	v_cmp_ne_u32_e64 s11, 0, v6
	v_cmp_ne_u32_e64 s13, 0, v8
	;; [unrolled: 1-line block ×3, first 2 shown]
	v_cndmask_b32_e64 v57, 0, 1, s24
	v_cndmask_b32_e64 v61, 0, 1, s12
	v_cmp_ne_u32_e64 s12, 0, v7
	v_cmp_ne_u32_e64 s15, 0, v10
	;; [unrolled: 1-line block ×4, first 2 shown]
	s_bcnt1_i32_b32 s9, s9
	s_bcnt1_i32_b32 s10, s10
	v_cmp_ne_u32_e64 s16, 0, v11
	v_cmp_ne_u32_e64 s19, 0, v56
	;; [unrolled: 1-line block ×4, first 2 shown]
	s_bcnt1_i32_b32 s11, s11
	s_bcnt1_i32_b32 s13, s13
	s_bcnt1_i32_b32 s14, s14
	s_add_co_i32 s9, s10, s9
	v_cmp_ne_u32_e64 s20, 0, v57
	v_cmp_ne_u32_e64 s23, 0, v60
	s_bcnt1_i32_b32 s12, s12
	s_bcnt1_i32_b32 s15, s15
	;; [unrolled: 1-line block ×4, first 2 shown]
	s_add_co_i32 s10, s14, s13
	s_add_co_i32 s9, s9, s11
	v_cmp_ne_u32_e64 s24, 0, v61
	s_bcnt1_i32_b32 s16, s16
	s_bcnt1_i32_b32 s19, s19
	;; [unrolled: 1-line block ×4, first 2 shown]
	s_add_co_i32 s13, s18, s17
	s_add_co_i32 s10, s10, s15
	;; [unrolled: 1-line block ×3, first 2 shown]
	s_bcnt1_i32_b32 s20, s20
	s_bcnt1_i32_b32 s23, s23
	s_add_co_i32 s14, s22, s21
	s_add_co_i32 s11, s13, s19
	s_add_nc_u64 s[96:97], s[96:97], s[28:29]
	s_add_co_i32 s28, s10, s16
	s_bcnt1_i32_b32 s24, s24
	s_add_co_i32 s13, s14, s23
	s_add_nc_u64 s[94:95], s[94:95], s[28:29]
	s_add_co_i32 s28, s11, s20
	v_mov_b64_e32 v[4:5], s[96:97]
	s_add_nc_u64 s[92:93], s[92:93], s[28:29]
	s_add_co_i32 s28, s13, s24
	v_mov_b64_e32 v[6:7], s[94:95]
	s_add_nc_u64 s[90:91], s[90:91], s[28:29]
	v_mov_b64_e32 v[8:9], s[92:93]
	v_mov_b64_e32 v[10:11], s[90:91]
	s_or_b32 s75, vcc_lo, s75
	s_delay_alu instid0(SALU_CYCLE_1)
	s_and_not1_b32 exec_lo, exec_lo, s75
	s_cbranch_execnz .LBB177_78
; %bb.79:                               ;   in Loop: Header=BB177_31 Depth=1
	s_or_b32 exec_lo, exec_lo, s75
.LBB177_80:                             ;   in Loop: Header=BB177_31 Depth=1
	s_delay_alu instid0(SALU_CYCLE_1) | instskip(SKIP_2) | instid1(VALU_DEP_1)
	s_or_b32 exec_lo, exec_lo, s3
	v_add_nc_u64_e32 v[34:35], s[88:89], v[0:1]
	s_mov_b32 s3, exec_lo
	v_cmpx_gt_u64_e64 s[36:37], v[34:35]
	s_cbranch_execz .LBB177_86
; %bb.81:                               ;   in Loop: Header=BB177_31 Depth=1
	v_mul_u64_e32 v[36:37], s[30:31], v[34:35]
	s_mov_b32 s12, 0
	s_delay_alu instid0(VALU_DEP_1)
	v_lshl_add_u64 v[36:37], v[36:37], 1, s[62:63]
	global_load_u16 v37, v[36:37], off
	s_branch .LBB177_83
.LBB177_82:                             ;   in Loop: Header=BB177_83 Depth=2
	s_wait_xcnt 0x0
	s_or_b32 exec_lo, exec_lo, s10
	s_wait_loadcnt 0x0
	v_bfe_i32 v37, v37, 0, 16
	s_and_b32 s11, exec_lo, vcc_lo
	s_delay_alu instid0(SALU_CYCLE_1) | instskip(NEXT) | instid1(VALU_DEP_1)
	s_or_b32 s12, s11, s12
	v_add_nc_u32_e32 v37, 0x8000, v37
	s_delay_alu instid0(VALU_DEP_1) | instskip(SKIP_1) | instid1(VALU_DEP_2)
	v_and_b32_e32 v38, v37, v52
	v_bfe_u32 v37, v37, s53, 2
	v_cmp_eq_u32_e64 s9, v38, v50
	s_delay_alu instid0(VALU_DEP_2)
	v_cmp_eq_u32_e64 s10, 0, v37
	v_cmp_eq_u32_e32 vcc_lo, 1, v37
	s_and_b32 s10, s9, s10
	s_and_b32 s11, s9, vcc_lo
	v_cndmask_b32_e64 v38, 0, 1, s10
	v_cmp_eq_u32_e64 s10, 2, v37
	v_cmp_eq_u32_e32 vcc_lo, 3, v37
	v_cndmask_b32_e64 v39, 0, 1, s11
	s_delay_alu instid0(VALU_DEP_4)
	v_cmp_ne_u32_e64 s11, 0, v38
	s_and_b32 s10, s9, s10
	s_and_b32 s9, s9, vcc_lo
	v_cndmask_b32_e64 v37, 0, 1, s10
	v_cndmask_b32_e64 v38, 0, 1, s9
	v_cmp_ne_u32_e64 s10, 0, v39
	s_bcnt1_i32_b32 s28, s11
	v_cmp_ne_u32_e32 vcc_lo, 0, v37
	v_cmp_ne_u32_e64 s9, 0, v38
	v_add_nc_u64_e32 v[4:5], s[28:29], v[4:5]
	s_bcnt1_i32_b32 s28, s10
	v_mov_b32_e32 v37, v36
	v_add_nc_u64_e32 v[6:7], s[28:29], v[6:7]
	s_bcnt1_i32_b32 s28, vcc_lo
	s_delay_alu instid0(SALU_CYCLE_1) | instskip(SKIP_1) | instid1(SALU_CYCLE_1)
	v_add_nc_u64_e32 v[8:9], s[28:29], v[8:9]
	s_bcnt1_i32_b32 s28, s9
	v_add_nc_u64_e32 v[10:11], s[28:29], v[10:11]
	s_and_not1_b32 exec_lo, exec_lo, s12
	s_cbranch_execz .LBB177_85
.LBB177_83:                             ;   Parent Loop BB177_31 Depth=1
                                        ; =>  This Inner Loop Header: Depth=2
	v_add_nc_u64_e32 v[34:35], v[34:35], v[2:3]
	s_wait_xcnt 0x0
	v_mov_b32_e32 v36, 0
	s_mov_b32 s10, exec_lo
	s_delay_alu instid0(VALU_DEP_2)
	v_cmp_le_u64_e32 vcc_lo, s[36:37], v[34:35]
	v_cmpx_gt_u64_e64 s[36:37], v[34:35]
	s_cbranch_execz .LBB177_82
; %bb.84:                               ;   in Loop: Header=BB177_83 Depth=2
	v_mul_u64_e32 v[38:39], s[30:31], v[34:35]
	s_delay_alu instid0(VALU_DEP_1)
	v_lshl_add_u64 v[38:39], v[38:39], 1, s[62:63]
	global_load_u16 v36, v[38:39], off
	s_branch .LBB177_82
.LBB177_85:                             ;   in Loop: Header=BB177_31 Depth=1
	s_or_b32 exec_lo, exec_lo, s12
.LBB177_86:                             ;   in Loop: Header=BB177_31 Depth=1
	s_delay_alu instid0(SALU_CYCLE_1)
	s_or_b32 exec_lo, exec_lo, s3
	s_branch .LBB177_65
.LBB177_87:                             ;   in Loop: Header=BB177_31 Depth=1
	global_load_u16 v2, v3, s[82:83]
	s_mov_b32 s87, s29
	v_mov_b64_e32 v[6:7], 0
	v_mov_b64_e32 v[8:9], 0
	;; [unrolled: 1-line block ×3, first 2 shown]
	s_mov_b32 s75, exec_lo
	s_wait_loadcnt 0x0
	v_readfirstlane_b32 s3, v2
	v_and_b32_e32 v2, 0xffff, v2
	s_and_b32 s3, 0xffff, s3
	s_delay_alu instid0(SALU_CYCLE_1) | instskip(NEXT) | instid1(SALU_CYCLE_1)
	s_lshl_b32 s88, s3, 2
	s_cvt_f32_u32 s9, s88
	s_sub_co_i32 s10, 0, s88
	s_delay_alu instid0(SALU_CYCLE_2) | instskip(SKIP_1) | instid1(TRANS32_DEP_1)
	v_rcp_iflag_f32_e32 v4, s9
	v_nop
	v_readfirstlane_b32 s9, v4
	s_mul_f32 s9, s9, 0x4f7ffffe
	s_delay_alu instid0(SALU_CYCLE_3) | instskip(NEXT) | instid1(SALU_CYCLE_3)
	s_cvt_u32_f32 s9, s9
	s_mul_i32 s10, s10, s9
	s_delay_alu instid0(SALU_CYCLE_1) | instskip(NEXT) | instid1(SALU_CYCLE_1)
	s_mul_hi_u32 s10, s9, s10
	s_add_co_i32 s9, s9, s10
	s_delay_alu instid0(SALU_CYCLE_1) | instskip(NEXT) | instid1(SALU_CYCLE_1)
	s_mul_hi_u32 s9, s84, s9
	s_mul_i32 s10, s9, s88
	s_add_co_i32 s11, s9, 1
	s_sub_co_i32 s10, s84, s10
	s_delay_alu instid0(SALU_CYCLE_1)
	s_sub_co_i32 s12, s10, s88
	s_cmp_ge_u32 s10, s88
	s_cselect_b32 s9, s11, s9
	s_cselect_b32 s10, s12, s10
	s_add_co_i32 s11, s9, 1
	s_cmp_ge_u32 s10, s88
	s_cselect_b32 s86, s11, s9
	s_delay_alu instid0(SALU_CYCLE_1) | instskip(NEXT) | instid1(VALU_DEP_1)
	v_mul_u64_e32 v[4:5], s[86:87], v[2:3]
	v_lshlrev_b64_e32 v[34:35], 2, v[4:5]
	v_mov_b64_e32 v[4:5], 0
	s_delay_alu instid0(VALU_DEP_2)
	v_cmpx_gt_u64_e64 v[34:35], v[16:17]
	s_cbranch_execz .LBB177_91
; %bb.88:                               ;   in Loop: Header=BB177_31 Depth=1
	v_mov_b64_e32 v[36:37], v[16:17]
	v_mov_b32_e32 v38, v49
	s_mov_b32 s89, s29
	s_lshl_b32 s87, s3, 3
	s_mov_b64 s[90:91], 0
	s_mov_b32 s101, 0
	s_mov_b64 s[92:93], 0
	s_mov_b64 s[94:95], 0
	;; [unrolled: 1-line block ×3, first 2 shown]
.LBB177_89:                             ;   Parent Loop BB177_31 Depth=1
                                        ; =>  This Inner Loop Header: Depth=2
	ds_load_b64 v[4:5], v38
	v_add_nc_u32_e32 v38, s87, v38
	v_add_nc_u64_e32 v[36:37], s[88:89], v[36:37]
	s_delay_alu instid0(VALU_DEP_1) | instskip(SKIP_4) | instid1(VALU_DEP_3)
	v_cmp_ge_u64_e32 vcc_lo, v[36:37], v[34:35]
	s_wait_dscnt 0x0
	v_bfe_i32 v6, v4, 0, 16
	v_ashrrev_i32_e32 v4, 16, v4
	v_bfe_i32 v7, v5, 0, 16
	v_add_nc_u32_e32 v6, 0x8000, v6
	v_ashrrev_i32_e32 v5, 16, v5
	s_delay_alu instid0(VALU_DEP_4) | instskip(NEXT) | instid1(VALU_DEP_4)
	v_add_nc_u32_e32 v4, 0x8000, v4
	v_add_nc_u32_e32 v7, 0x8000, v7
	s_delay_alu instid0(VALU_DEP_4) | instskip(NEXT) | instid1(VALU_DEP_4)
	v_and_b32_e32 v8, v6, v52
	v_add_nc_u32_e32 v5, 0x8000, v5
	s_delay_alu instid0(VALU_DEP_4)
	v_and_b32_e32 v9, v4, v52
	v_bfe_u32 v6, v6, s53, 2
	v_bfe_u32 v4, v4, s53, 2
	v_and_b32_e32 v10, v7, v52
	v_bfe_u32 v7, v7, s53, 2
	v_and_b32_e32 v11, v5, v52
	v_bfe_u32 v5, v5, s53, 2
	v_cmp_eq_u32_e64 s9, v8, v50
	v_cmp_eq_u32_e64 s10, v9, v50
	;; [unrolled: 1-line block ×15, first 2 shown]
	s_and_b32 s13, s9, s13
	s_and_b32 s14, s10, s14
	v_cmp_eq_u32_e64 s20, 1, v5
	v_cmp_eq_u32_e64 s23, 2, v7
	;; [unrolled: 1-line block ×5, first 2 shown]
	s_and_b32 s15, s11, s15
	s_and_b32 s17, s9, s17
	;; [unrolled: 1-line block ×3, first 2 shown]
	v_cndmask_b32_e64 v4, 0, 1, s13
	v_cndmask_b32_e64 v5, 0, 1, s14
	s_and_b32 s16, s12, s16
	s_and_b32 s19, s11, s19
	;; [unrolled: 1-line block ×4, first 2 shown]
	v_cndmask_b32_e64 v6, 0, 1, s15
	v_cndmask_b32_e64 v8, 0, 1, s17
	;; [unrolled: 1-line block ×3, first 2 shown]
	s_and_b32 s9, s9, s25
	s_and_b32 s10, s10, s26
	;; [unrolled: 1-line block ×4, first 2 shown]
	v_cndmask_b32_e64 v7, 0, 1, s16
	v_cndmask_b32_e64 v10, 0, 1, s19
	;; [unrolled: 1-line block ×4, first 2 shown]
	s_and_b32 s11, s11, s27
	v_cndmask_b32_e64 v43, 0, 1, s9
	v_cndmask_b32_e64 v44, 0, 1, s10
	v_cmp_ne_u32_e64 s9, 0, v4
	v_cmp_ne_u32_e64 s10, 0, v5
	s_and_b32 s24, s12, s24
	v_cndmask_b32_e64 v11, 0, 1, s20
	v_cndmask_b32_e64 v41, 0, 1, s23
	s_and_b32 s12, s12, s28
	v_cndmask_b32_e64 v45, 0, 1, s11
	v_cmp_ne_u32_e64 s11, 0, v6
	v_cmp_ne_u32_e64 s13, 0, v8
	;; [unrolled: 1-line block ×3, first 2 shown]
	v_cndmask_b32_e64 v42, 0, 1, s24
	v_cndmask_b32_e64 v54, 0, 1, s12
	v_cmp_ne_u32_e64 s12, 0, v7
	v_cmp_ne_u32_e64 s15, 0, v10
	v_cmp_ne_u32_e64 s17, 0, v39
	v_cmp_ne_u32_e64 s18, 0, v40
	s_bcnt1_i32_b32 s9, s9
	s_bcnt1_i32_b32 s10, s10
	v_cmp_ne_u32_e64 s16, 0, v11
	v_cmp_ne_u32_e64 s19, 0, v41
	;; [unrolled: 1-line block ×4, first 2 shown]
	s_bcnt1_i32_b32 s11, s11
	s_bcnt1_i32_b32 s13, s13
	;; [unrolled: 1-line block ×3, first 2 shown]
	s_add_co_i32 s9, s10, s9
	v_cmp_ne_u32_e64 s20, 0, v42
	v_cmp_ne_u32_e64 s23, 0, v45
	s_bcnt1_i32_b32 s12, s12
	s_bcnt1_i32_b32 s15, s15
	;; [unrolled: 1-line block ×4, first 2 shown]
	s_add_co_i32 s10, s14, s13
	s_add_co_i32 s9, s9, s11
	v_cmp_ne_u32_e64 s24, 0, v54
	s_bcnt1_i32_b32 s16, s16
	s_bcnt1_i32_b32 s19, s19
	;; [unrolled: 1-line block ×4, first 2 shown]
	s_add_co_i32 s13, s18, s17
	s_add_co_i32 s10, s10, s15
	;; [unrolled: 1-line block ×3, first 2 shown]
	s_bcnt1_i32_b32 s20, s20
	s_bcnt1_i32_b32 s23, s23
	s_add_co_i32 s14, s22, s21
	s_add_co_i32 s11, s13, s19
	s_add_nc_u64 s[96:97], s[96:97], s[28:29]
	s_add_co_i32 s28, s10, s16
	s_bcnt1_i32_b32 s24, s24
	s_add_co_i32 s13, s14, s23
	s_add_nc_u64 s[94:95], s[94:95], s[28:29]
	s_add_co_i32 s28, s11, s20
	v_mov_b64_e32 v[4:5], s[96:97]
	s_add_nc_u64 s[92:93], s[92:93], s[28:29]
	s_add_co_i32 s28, s13, s24
	v_mov_b64_e32 v[6:7], s[94:95]
	s_add_nc_u64 s[90:91], s[90:91], s[28:29]
	v_mov_b64_e32 v[8:9], s[92:93]
	v_mov_b64_e32 v[10:11], s[90:91]
	s_or_b32 s101, vcc_lo, s101
	s_delay_alu instid0(SALU_CYCLE_1)
	s_and_not1_b32 exec_lo, exec_lo, s101
	s_cbranch_execnz .LBB177_89
; %bb.90:                               ;   in Loop: Header=BB177_31 Depth=1
	s_or_b32 exec_lo, exec_lo, s101
.LBB177_91:                             ;   in Loop: Header=BB177_31 Depth=1
	s_delay_alu instid0(SALU_CYCLE_1) | instskip(SKIP_3) | instid1(VALU_DEP_1)
	s_or_b32 exec_lo, exec_lo, s75
	v_add_nc_u64_e32 v[34:35], v[34:35], v[0:1]
	s_and_b64 s[14:15], s[84:85], 0x7fffffff
	s_mov_b32 s16, exec_lo
	v_cmpx_gt_u64_e64 s[14:15], v[34:35]
	s_cbranch_execz .LBB177_95
; %bb.92:                               ;   in Loop: Header=BB177_31 Depth=1
	s_mul_i32 s9, s86, s3
	s_lshl_b32 s17, s3, 1
	v_lshl_add_u32 v36, s9, 3, v46
	s_mov_b32 s3, 0
.LBB177_93:                             ;   Parent Loop BB177_31 Depth=1
                                        ; =>  This Inner Loop Header: Depth=2
	ds_load_i16 v37, v36
	v_add_nc_u64_e32 v[34:35], v[34:35], v[2:3]
	v_add_nc_u32_e32 v36, s17, v36
	s_delay_alu instid0(VALU_DEP_2) | instskip(SKIP_2) | instid1(VALU_DEP_1)
	v_cmp_le_u64_e32 vcc_lo, s[14:15], v[34:35]
	s_wait_dscnt 0x0
	v_add_nc_u32_e32 v37, 0x8000, v37
	v_and_b32_e32 v38, v37, v52
	v_bfe_u32 v37, v37, s53, 2
	s_delay_alu instid0(VALU_DEP_2) | instskip(NEXT) | instid1(VALU_DEP_2)
	v_cmp_eq_u32_e64 s9, v38, v50
	v_cmp_eq_u32_e64 s10, 0, v37
	;; [unrolled: 1-line block ×5, first 2 shown]
	s_and_b32 s10, s9, s10
	s_delay_alu instid0(SALU_CYCLE_1) | instskip(SKIP_1) | instid1(SALU_CYCLE_1)
	v_cndmask_b32_e64 v37, 0, 1, s10
	s_and_b32 s10, s9, s11
	v_cndmask_b32_e64 v38, 0, 1, s10
	s_and_b32 s10, s9, s12
	s_and_b32 s9, s9, s13
	v_cndmask_b32_e64 v39, 0, 1, s10
	v_cndmask_b32_e64 v40, 0, 1, s9
	v_cmp_ne_u32_e64 s9, 0, v37
	v_cmp_ne_u32_e64 s10, 0, v38
	s_delay_alu instid0(VALU_DEP_4) | instskip(NEXT) | instid1(VALU_DEP_4)
	v_cmp_ne_u32_e64 s11, 0, v39
	v_cmp_ne_u32_e64 s12, 0, v40
	s_bcnt1_i32_b32 s28, s9
	s_delay_alu instid0(SALU_CYCLE_1) | instskip(SKIP_1) | instid1(SALU_CYCLE_1)
	v_add_nc_u64_e32 v[4:5], s[28:29], v[4:5]
	s_bcnt1_i32_b32 s28, s10
	v_add_nc_u64_e32 v[6:7], s[28:29], v[6:7]
	s_bcnt1_i32_b32 s28, s11
	s_delay_alu instid0(SALU_CYCLE_1)
	v_add_nc_u64_e32 v[8:9], s[28:29], v[8:9]
	s_bcnt1_i32_b32 s28, s12
	s_or_b32 s3, vcc_lo, s3
	v_add_nc_u64_e32 v[10:11], s[28:29], v[10:11]
	s_and_not1_b32 exec_lo, exec_lo, s3
	s_cbranch_execnz .LBB177_93
; %bb.94:                               ;   in Loop: Header=BB177_31 Depth=1
	s_or_b32 exec_lo, exec_lo, s3
.LBB177_95:                             ;   in Loop: Header=BB177_31 Depth=1
	s_delay_alu instid0(SALU_CYCLE_1)
	s_or_b32 exec_lo, exec_lo, s16
	s_lshl_b32 s3, s56, 7
	s_and_saveexec_b32 s9, s2
	s_cbranch_execnz .LBB177_66
	s_branch .LBB177_67
.LBB177_96:                             ;   in Loop: Header=BB177_31 Depth=1
                                        ; implicit-def: $sgpr10_sgpr11
	s_branch .LBB177_75
.LBB177_97:                             ;   in Loop: Header=BB177_31 Depth=1
	s_mov_b32 s10, 0
.LBB177_98:                             ;   in Loop: Header=BB177_31 Depth=1
	v_readlane_b32 s11, v62, 14
	s_and_not1_b32 vcc_lo, exec_lo, s11
	s_cbranch_vccnz .LBB177_101
; %bb.99:                               ;   in Loop: Header=BB177_31 Depth=1
	s_lshl_b32 s11, s56, 10
	s_lshl_b32 s10, s10, 5
	s_delay_alu instid0(SALU_CYCLE_1)
	v_add3_u32 v2, s11, s10, v51
	v_readlane_b32 s10, v62, 13
.LBB177_100:                            ;   Parent Loop BB177_31 Depth=1
                                        ; =>  This Inner Loop Header: Depth=2
	ds_load_b64 v[6:7], v2
	v_add_nc_u32_e32 v2, 32, v2
	s_add_co_i32 s10, s10, -1
	s_delay_alu instid0(SALU_CYCLE_1)
	s_cmp_lg_u32 s10, 0
	s_wait_dscnt 0x0
	v_add_nc_u64_e32 v[4:5], v[6:7], v[4:5]
	s_cbranch_scc1 .LBB177_100
.LBB177_101:                            ;   in Loop: Header=BB177_31 Depth=1
	v_add_lshl_u32 v2, s3, v13, 3
	ds_store_b64 v2, v[4:5] offset:3072
.LBB177_102:                            ;   in Loop: Header=BB177_31 Depth=1
	s_or_b32 exec_lo, exec_lo, s9
	s_lshl_b32 s3, s3, 3
	s_wait_dscnt 0x0
	v_mov_b32_e32 v2, s3
	s_barrier_signal -1
	s_barrier_wait -1
	v_cmp_eq_u64_e64 s9, 1, v[32:33]
	ds_load_b128 v[4:7], v2 offset:3072
	ds_load_b128 v[8:11], v2 offset:3088
	s_lshl_b32 s24, 3, s53
	s_mov_b32 s86, -1
	s_not_b32 s25, s24
	s_mov_b32 s26, 0
	s_and_not1_b32 vcc_lo, exec_lo, s99
	s_mov_b32 s75, 0
	s_mov_b32 s27, 0
                                        ; implicit-def: $sgpr84
                                        ; implicit-def: $sgpr85
                                        ; implicit-def: $vgpr2
	s_wait_dscnt 0x1
	v_readfirstlane_b32 s13, v5
	v_readfirstlane_b32 s12, v4
	;; [unrolled: 1-line block ×4, first 2 shown]
	s_wait_dscnt 0x0
	v_readfirstlane_b32 s17, v9
	v_readfirstlane_b32 s16, v8
	;; [unrolled: 1-line block ×4, first 2 shown]
                                        ; implicit-def: $vgpr4_vgpr5
                                        ; implicit-def: $vgpr10
                                        ; implicit-def: $vgpr11
                                        ; implicit-def: $vgpr8
	s_cbranch_vccnz .LBB177_297
; %bb.103:                              ;   in Loop: Header=BB177_31 Depth=1
	s_cmp_eq_u64 s[12:13], 1
	v_dual_mov_b32 v10, v50 :: v_dual_mov_b32 v11, v52
	v_mov_b32_e32 v8, v53
	s_cselect_b32 s3, -1, 0
                                        ; implicit-def: $sgpr85
                                        ; implicit-def: $sgpr84
	s_delay_alu instid0(SALU_CYCLE_1)
	s_and_b32 s88, s3, s9
	s_mov_b32 s3, -1
	s_and_saveexec_b32 s27, s88
	s_cbranch_execz .LBB177_138
; %bb.104:                              ;   in Loop: Header=BB177_31 Depth=1
	ds_load_b64 v[4:5], v3 offset:5120
	s_wait_dscnt 0x0
	s_barrier_signal -1
	s_barrier_wait -1
	v_readfirstlane_b32 s10, v4
	v_readfirstlane_b32 s11, v5
	s_and_saveexec_b32 s3, s6
; %bb.105:                              ;   in Loop: Header=BB177_31 Depth=1
	ds_store_b16 v47, v3
; %bb.106:                              ;   in Loop: Header=BB177_31 Depth=1
	s_or_b32 exec_lo, exec_lo, s3
	v_and_b32_e32 v10, s25, v50
	v_or_b32_e32 v11, s24, v52
	s_mov_b32 s84, -1
	s_mov_b32 s85, 0
	s_cmp_eq_u64 s[10:11], 0
	s_mov_b32 s3, 0
	s_mov_b32 s22, -1
	s_wait_dscnt 0x0
	s_barrier_signal -1
	s_barrier_wait -1
                                        ; implicit-def: $vgpr8
	s_cbranch_scc1 .LBB177_123
; %bb.107:                              ;   in Loop: Header=BB177_31 Depth=1
	s_add_nc_u64 s[20:21], s[10:11], s[64:65]
	s_delay_alu instid0(SALU_CYCLE_1) | instskip(NEXT) | instid1(SALU_CYCLE_1)
	s_and_b64 s[22:23], s[20:21], 0xffffffff00000000
	s_cmp_lg_u64 s[22:23], 0
	s_cbranch_scc0 .LBB177_164
; %bb.108:                              ;   in Loop: Header=BB177_31 Depth=1
	s_cvt_f32_u32 s3, s40
	s_sub_nc_u64 s[76:77], 0, s[40:41]
	s_delay_alu instid0(SALU_CYCLE_2) | instskip(NEXT) | instid1(SALU_CYCLE_3)
	s_fmamk_f32 s3, s52, 0x0, s3
	v_s_rcp_f32 s3, s3
	s_delay_alu instid0(TRANS32_DEP_1) | instskip(NEXT) | instid1(SALU_CYCLE_3)
	s_mul_f32 s3, s3, 0x5f7ffffc
	s_mul_f32 s22, s3, 0x2f800000
	s_delay_alu instid0(SALU_CYCLE_3) | instskip(NEXT) | instid1(SALU_CYCLE_3)
	s_trunc_f32 s22, s22
	s_fmamk_f32 s3, s22, 0xcf800000, s3
	s_cvt_u32_f32 s23, s22
	s_delay_alu instid0(SALU_CYCLE_2) | instskip(NEXT) | instid1(SALU_CYCLE_3)
	s_cvt_u32_f32 s22, s3
	s_mul_u64 s[78:79], s[76:77], s[22:23]
	s_delay_alu instid0(SALU_CYCLE_1)
	s_mul_hi_u32 s87, s22, s79
	s_mul_i32 s86, s22, s79
	s_mul_hi_u32 s28, s22, s78
	s_mul_i32 s75, s23, s78
	s_add_nc_u64 s[86:87], s[28:29], s[86:87]
	s_mul_hi_u32 s3, s23, s78
	s_mul_hi_u32 s89, s23, s79
	s_add_co_u32 s28, s86, s75
	s_add_co_ci_u32 s28, s87, s3
	s_mul_i32 s78, s23, s79
	s_add_co_ci_u32 s79, s89, 0
	s_delay_alu instid0(SALU_CYCLE_1) | instskip(NEXT) | instid1(SALU_CYCLE_1)
	s_add_nc_u64 s[78:79], s[28:29], s[78:79]
	s_add_co_u32 s22, s22, s78
	s_cselect_b32 s3, -1, 0
	s_delay_alu instid0(SALU_CYCLE_1) | instskip(SKIP_1) | instid1(SALU_CYCLE_1)
	s_cmp_lg_u32 s3, 0
	s_add_co_ci_u32 s23, s23, s79
	s_mul_u64 s[76:77], s[76:77], s[22:23]
	s_delay_alu instid0(SALU_CYCLE_1)
	s_mul_hi_u32 s79, s22, s77
	s_mul_i32 s78, s22, s77
	s_mul_hi_u32 s28, s22, s76
	s_mul_i32 s75, s23, s76
	s_add_nc_u64 s[78:79], s[28:29], s[78:79]
	s_mul_hi_u32 s3, s23, s76
	s_mul_hi_u32 s86, s23, s77
	s_add_co_u32 s28, s78, s75
	s_add_co_ci_u32 s28, s79, s3
	s_mul_i32 s76, s23, s77
	s_add_co_ci_u32 s77, s86, 0
	s_delay_alu instid0(SALU_CYCLE_1) | instskip(NEXT) | instid1(SALU_CYCLE_1)
	s_add_nc_u64 s[76:77], s[28:29], s[76:77]
	s_add_co_u32 s3, s22, s76
	s_cselect_b32 s22, -1, 0
	s_mul_hi_u32 s28, s20, s3
	s_cmp_lg_u32 s22, 0
	s_mul_hi_u32 s75, s21, s3
	s_add_co_ci_u32 s76, s23, s77
	s_mul_i32 s3, s21, s3
	s_mul_hi_u32 s23, s20, s76
	s_mul_i32 s22, s20, s76
	s_mul_hi_u32 s77, s21, s76
	s_add_nc_u64 s[22:23], s[28:29], s[22:23]
	s_mul_i32 s76, s21, s76
	s_add_co_u32 s3, s22, s3
	s_add_co_ci_u32 s28, s23, s75
	s_add_co_ci_u32 s77, s77, 0
	s_delay_alu instid0(SALU_CYCLE_1) | instskip(NEXT) | instid1(SALU_CYCLE_1)
	s_add_nc_u64 s[22:23], s[28:29], s[76:77]
	s_and_b64 s[76:77], s[22:23], 0xffffffff00000000
	s_delay_alu instid0(SALU_CYCLE_1) | instskip(NEXT) | instid1(SALU_CYCLE_1)
	s_or_b32 s76, s76, s22
	s_mul_u64 s[22:23], s[40:41], s[76:77]
	s_delay_alu instid0(SALU_CYCLE_1) | instskip(SKIP_1) | instid1(SALU_CYCLE_1)
	s_sub_co_u32 s3, s20, s22
	s_cselect_b32 s22, -1, 0
	s_cmp_lg_u32 s22, 0
	s_sub_co_ci_u32 s22, s21, s23
	s_sub_co_u32 s23, s3, s40
	s_cselect_b32 s28, -1, 0
	s_delay_alu instid0(SALU_CYCLE_1) | instskip(SKIP_3) | instid1(SALU_CYCLE_1)
	s_cmp_lg_u32 s28, 0
	s_sub_co_ci_u32 s28, s22, 0
	s_sub_co_u32 s75, s23, s40
	s_cselect_b32 s76, -1, 0
	s_cmp_lg_u32 s76, 0
	s_sub_co_ci_u32 s76, s28, 0
	s_cmp_ge_u32 s23, s40
	s_cselect_b32 s77, -1, 0
	s_cmp_eq_u32 s28, 0
	s_cselect_b32 s77, s77, -1
	s_delay_alu instid0(SALU_CYCLE_1)
	s_cmp_lg_u32 s77, 0
	s_cselect_b32 s28, s76, s28
	s_cselect_b32 s75, s75, s23
	s_cmp_ge_u32 s3, s40
	s_cselect_b32 s23, -1, 0
	s_cmp_eq_u32 s22, 0
	s_cselect_b32 s23, s23, -1
	s_delay_alu instid0(SALU_CYCLE_1)
	s_cmp_lg_u32 s23, 0
	s_cselect_b32 s23, s28, s22
	s_cselect_b32 s22, s75, s3
	s_cbranch_execnz .LBB177_110
.LBB177_109:                            ;   in Loop: Header=BB177_31 Depth=1
	v_cvt_f32_u32_e32 v2, s40
	s_sub_co_i32 s22, 0, s40
	s_delay_alu instid0(VALU_DEP_1) | instskip(SKIP_1) | instid1(TRANS32_DEP_1)
	v_rcp_iflag_f32_e32 v2, v2
	v_nop
	v_mul_f32_e32 v2, 0x4f7ffffe, v2
	s_delay_alu instid0(VALU_DEP_1) | instskip(NEXT) | instid1(VALU_DEP_1)
	v_cvt_u32_f32_e32 v2, v2
	v_readfirstlane_b32 s3, v2
	s_mul_i32 s22, s22, s3
	s_delay_alu instid0(SALU_CYCLE_1) | instskip(NEXT) | instid1(SALU_CYCLE_1)
	s_mul_hi_u32 s22, s3, s22
	s_add_co_i32 s3, s3, s22
	s_delay_alu instid0(SALU_CYCLE_1) | instskip(NEXT) | instid1(SALU_CYCLE_1)
	s_mul_hi_u32 s3, s20, s3
	s_mul_i32 s3, s3, s40
	s_delay_alu instid0(SALU_CYCLE_1) | instskip(NEXT) | instid1(SALU_CYCLE_1)
	s_sub_co_i32 s3, s20, s3
	s_sub_co_i32 s22, s3, s40
	s_cmp_ge_u32 s3, s40
	s_cselect_b32 s3, s22, s3
	s_delay_alu instid0(SALU_CYCLE_1) | instskip(SKIP_2) | instid1(SALU_CYCLE_1)
	s_sub_co_i32 s22, s3, s40
	s_cmp_ge_u32 s3, s40
	s_cselect_b32 s28, s22, s3
	s_mov_b64 s[22:23], s[28:29]
.LBB177_110:                            ;   in Loop: Header=BB177_31 Depth=1
	s_delay_alu instid0(SALU_CYCLE_1)
	s_sub_nc_u64 s[20:21], s[20:21], s[22:23]
	s_mov_b32 s22, 0
	s_mov_b32 s3, 0
	s_mov_b32 s23, exec_lo
                                        ; implicit-def: $vgpr8
	v_cmpx_gt_u64_e64 s[20:21], v[0:1]
	s_cbranch_execz .LBB177_122
; %bb.111:                              ;   in Loop: Header=BB177_31 Depth=1
	v_mov_b64_e32 v[4:5], v[0:1]
	v_mov_b32_e32 v2, v46
                                        ; implicit-def: $sgpr28
	s_branch .LBB177_114
.LBB177_112:                            ;   in Loop: Header=BB177_114 Depth=2
	s_or_b32 exec_lo, exec_lo, s75
	s_wait_dscnt 0x0
	s_barrier_signal -1
	s_barrier_wait -1
	ds_load_b32 v6, v3 offset:3072
	s_mov_b32 s75, -1
	s_mov_b32 s86, -1
	s_wait_dscnt 0x0
	s_barrier_signal -1
	s_barrier_wait -1
	v_and_b32_e32 v7, 0xffff, v6
	s_delay_alu instid0(VALU_DEP_1)
	v_cmp_ne_u32_e32 vcc_lo, 0, v7
	s_cbranch_vccz .LBB177_117
.LBB177_113:                            ;   in Loop: Header=BB177_114 Depth=2
	s_and_b32 s75, exec_lo, s75
	s_delay_alu instid0(SALU_CYCLE_1) | instskip(SKIP_2) | instid1(SALU_CYCLE_1)
	s_or_b32 s3, s75, s3
	s_and_not1_b32 s28, s28, exec_lo
	s_and_b32 s75, s86, exec_lo
	s_or_b32 s28, s28, s75
	s_and_not1_b32 exec_lo, exec_lo, s3
	s_cbranch_execz .LBB177_121
.LBB177_114:                            ;   Parent Loop BB177_31 Depth=1
                                        ; =>  This Inner Loop Header: Depth=2
	s_mov_b32 s75, exec_lo
	s_delay_alu instid0(VALU_DEP_2)
	v_cmpx_gt_u64_e64 s[10:11], v[4:5]
	s_cbranch_execz .LBB177_112
; %bb.115:                              ;   in Loop: Header=BB177_114 Depth=2
	ds_load_u16 v6, v2
	s_wait_dscnt 0x0
	v_bfe_i32 v7, v6, 0, 16
	s_delay_alu instid0(VALU_DEP_1) | instskip(NEXT) | instid1(VALU_DEP_1)
	v_add_nc_u32_e32 v7, 0x8000, v7
	v_and_b32_e32 v7, v7, v11
	s_delay_alu instid0(VALU_DEP_1)
	v_cmp_eq_u32_e32 vcc_lo, v7, v10
	s_and_b32 exec_lo, exec_lo, vcc_lo
	s_cbranch_execz .LBB177_112
; %bb.116:                              ;   in Loop: Header=BB177_114 Depth=2
	v_perm_b32 v6, v6, 1, 0x5040100
	ds_store_b32 v3, v6 offset:3072
	s_branch .LBB177_112
.LBB177_117:                            ;   in Loop: Header=BB177_114 Depth=2
	v_add_nc_u64_e32 v[4:5], s[40:41], v[4:5]
	v_add_nc_u32_e32 v2, vcc_hi, v2
	s_mov_b32 s86, 0
	s_delay_alu instid0(VALU_DEP_2)
	v_cmp_le_u64_e32 vcc_lo, s[20:21], v[4:5]
	s_or_not1_b32 s75, vcc_lo, exec_lo
	s_branch .LBB177_113
.LBB177_118:                            ;   in Loop: Header=BB177_31 Depth=1
	s_or_b32 exec_lo, exec_lo, s11
	s_wait_dscnt 0x0
	s_barrier_signal -1
	s_barrier_wait -1
	s_and_saveexec_b32 s9, s5
	s_cbranch_execz .LBB177_120
; %bb.119:                              ;   in Loop: Header=BB177_31 Depth=1
	ds_load_b32 v4, v3 offset:5144
	s_wait_dscnt 0x0
	v_ashrrev_i32_e32 v5, 31, v4
	ds_store_b64 v3, v[4:5] offset:5120
.LBB177_120:                            ;   in Loop: Header=BB177_31 Depth=1
	s_or_b32 exec_lo, exec_lo, s9
	s_wait_dscnt 0x0
	s_barrier_signal -1
	s_mov_b32 s9, -1
	s_barrier_wait -1
	s_and_b32 vcc_lo, exec_lo, s3
	s_cbranch_vccnz .LBB177_46
	s_branch .LBB177_61
.LBB177_121:                            ;   in Loop: Header=BB177_31 Depth=1
	s_or_b32 exec_lo, exec_lo, s3
	v_lshrrev_b32_e32 v8, 16, v6
	s_and_b32 s3, s28, exec_lo
.LBB177_122:                            ;   in Loop: Header=BB177_31 Depth=1
	s_or_b32 exec_lo, exec_lo, s23
.LBB177_123:                            ;   in Loop: Header=BB177_31 Depth=1
	s_delay_alu instid0(SALU_CYCLE_1)
	s_and_b32 vcc_lo, exec_lo, s22
	s_cbranch_vccz .LBB177_137
; %bb.124:                              ;   in Loop: Header=BB177_31 Depth=1
	s_and_b64 s[10:11], s[66:67], 0xffffffff00000000
	s_delay_alu instid0(SALU_CYCLE_1)
	s_cmp_lg_u64 s[10:11], 0
	s_cbranch_scc0 .LBB177_165
; %bb.125:                              ;   in Loop: Header=BB177_31 Depth=1
	s_cvt_f32_u32 s10, s40
	s_sub_nc_u64 s[20:21], 0, s[40:41]
	s_delay_alu instid0(SALU_CYCLE_2) | instskip(NEXT) | instid1(SALU_CYCLE_3)
	s_fmamk_f32 s10, s52, 0x0, s10
	v_s_rcp_f32 s10, s10
	s_delay_alu instid0(TRANS32_DEP_1) | instskip(NEXT) | instid1(SALU_CYCLE_3)
	s_mul_f32 s10, s10, 0x5f7ffffc
	s_mul_f32 s11, s10, 0x2f800000
	s_delay_alu instid0(SALU_CYCLE_3) | instskip(NEXT) | instid1(SALU_CYCLE_3)
	s_trunc_f32 s11, s11
	s_fmamk_f32 s10, s11, 0xcf800000, s10
	s_cvt_u32_f32 s11, s11
	s_delay_alu instid0(SALU_CYCLE_2) | instskip(NEXT) | instid1(SALU_CYCLE_3)
	s_cvt_u32_f32 s10, s10
	s_mul_u64 s[22:23], s[20:21], s[10:11]
	s_delay_alu instid0(SALU_CYCLE_1)
	s_mul_hi_u32 s77, s10, s23
	s_mul_i32 s76, s10, s23
	s_mul_hi_u32 s28, s10, s22
	s_mul_i32 s78, s11, s22
	s_add_nc_u64 s[76:77], s[28:29], s[76:77]
	s_mul_hi_u32 s75, s11, s22
	s_mul_hi_u32 s79, s11, s23
	s_mul_i32 s22, s11, s23
	s_add_co_u32 s23, s76, s78
	s_add_co_ci_u32 s28, s77, s75
	s_add_co_ci_u32 s23, s79, 0
	s_delay_alu instid0(SALU_CYCLE_1) | instskip(NEXT) | instid1(SALU_CYCLE_1)
	s_add_nc_u64 s[22:23], s[28:29], s[22:23]
	s_add_co_u32 s10, s10, s22
	s_cselect_b32 s22, -1, 0
	s_delay_alu instid0(SALU_CYCLE_1) | instskip(SKIP_1) | instid1(SALU_CYCLE_1)
	s_cmp_lg_u32 s22, 0
	s_add_co_ci_u32 s11, s11, s23
	s_mul_u64 s[20:21], s[20:21], s[10:11]
	s_delay_alu instid0(SALU_CYCLE_1)
	s_mul_hi_u32 s23, s10, s21
	s_mul_i32 s22, s10, s21
	s_mul_hi_u32 s28, s10, s20
	s_mul_i32 s76, s11, s20
	s_add_nc_u64 s[22:23], s[28:29], s[22:23]
	s_mul_hi_u32 s75, s11, s20
	s_mul_hi_u32 s77, s11, s21
	s_mul_i32 s20, s11, s21
	s_add_co_u32 s21, s22, s76
	s_add_co_ci_u32 s28, s23, s75
	s_add_co_ci_u32 s21, s77, 0
	s_delay_alu instid0(SALU_CYCLE_1) | instskip(NEXT) | instid1(SALU_CYCLE_1)
	s_add_nc_u64 s[20:21], s[28:29], s[20:21]
	s_add_co_u32 s10, s10, s20
	s_cselect_b32 s20, -1, 0
	s_mul_hi_u32 s28, s66, s10
	s_cmp_lg_u32 s20, 0
	s_mul_hi_u32 s22, s67, s10
	s_add_co_ci_u32 s20, s11, s21
	s_mul_i32 s21, s67, s10
	s_mul_hi_u32 s11, s66, s20
	s_mul_i32 s10, s66, s20
	s_mul_hi_u32 s23, s67, s20
	s_add_nc_u64 s[10:11], s[28:29], s[10:11]
	s_mul_i32 s20, s67, s20
	s_add_co_u32 s10, s10, s21
	s_add_co_ci_u32 s28, s11, s22
	s_add_co_ci_u32 s21, s23, 0
	s_delay_alu instid0(SALU_CYCLE_1) | instskip(NEXT) | instid1(SALU_CYCLE_1)
	s_add_nc_u64 s[10:11], s[28:29], s[20:21]
	s_and_b64 s[20:21], s[10:11], 0xffffffff00000000
	s_delay_alu instid0(SALU_CYCLE_1) | instskip(NEXT) | instid1(SALU_CYCLE_1)
	s_or_b32 s20, s20, s10
	s_mul_u64 s[10:11], s[40:41], s[20:21]
	s_delay_alu instid0(SALU_CYCLE_1) | instskip(SKIP_1) | instid1(SALU_CYCLE_1)
	s_sub_co_u32 s10, s66, s10
	s_cselect_b32 s20, -1, 0
	s_cmp_lg_u32 s20, 0
	s_sub_co_ci_u32 s11, s67, s11
	s_sub_co_u32 s20, s10, s40
	s_cselect_b32 s21, -1, 0
	s_delay_alu instid0(SALU_CYCLE_1) | instskip(SKIP_3) | instid1(SALU_CYCLE_1)
	s_cmp_lg_u32 s21, 0
	s_sub_co_ci_u32 s21, s11, 0
	s_sub_co_u32 s22, s20, s40
	s_cselect_b32 s23, -1, 0
	s_cmp_lg_u32 s23, 0
	s_sub_co_ci_u32 s23, s21, 0
	s_cmp_ge_u32 s20, s40
	s_cselect_b32 s28, -1, 0
	s_cmp_eq_u32 s21, 0
	s_cselect_b32 s28, s28, -1
	s_delay_alu instid0(SALU_CYCLE_1)
	s_cmp_lg_u32 s28, 0
	s_cselect_b32 s21, s23, s21
	s_cselect_b32 s20, s22, s20
	s_cmp_ge_u32 s10, s40
	s_cselect_b32 s22, -1, 0
	s_cmp_eq_u32 s11, 0
	s_cselect_b32 s22, s22, -1
	s_delay_alu instid0(SALU_CYCLE_1)
	s_cmp_lg_u32 s22, 0
	s_cselect_b32 s11, s21, s11
	s_cselect_b32 s10, s20, s10
	s_cbranch_execnz .LBB177_127
.LBB177_126:                            ;   in Loop: Header=BB177_31 Depth=1
	v_cvt_f32_u32_e32 v2, s40
	s_sub_co_i32 s11, 0, s40
	s_delay_alu instid0(VALU_DEP_1) | instskip(SKIP_1) | instid1(TRANS32_DEP_1)
	v_rcp_iflag_f32_e32 v2, v2
	v_nop
	v_mul_f32_e32 v2, 0x4f7ffffe, v2
	s_delay_alu instid0(VALU_DEP_1) | instskip(NEXT) | instid1(VALU_DEP_1)
	v_cvt_u32_f32_e32 v2, v2
	v_readfirstlane_b32 s10, v2
	s_mul_i32 s11, s11, s10
	s_delay_alu instid0(SALU_CYCLE_1) | instskip(NEXT) | instid1(SALU_CYCLE_1)
	s_mul_hi_u32 s11, s10, s11
	s_add_co_i32 s10, s10, s11
	s_delay_alu instid0(SALU_CYCLE_1) | instskip(NEXT) | instid1(SALU_CYCLE_1)
	s_mul_hi_u32 s10, s66, s10
	s_mul_i32 s10, s10, s40
	s_delay_alu instid0(SALU_CYCLE_1) | instskip(NEXT) | instid1(SALU_CYCLE_1)
	s_sub_co_i32 s10, s66, s10
	s_sub_co_i32 s11, s10, s40
	s_cmp_ge_u32 s10, s40
	s_cselect_b32 s10, s11, s10
	s_delay_alu instid0(SALU_CYCLE_1) | instskip(SKIP_2) | instid1(SALU_CYCLE_1)
	s_sub_co_i32 s11, s10, s40
	s_cmp_ge_u32 s10, s40
	s_cselect_b32 s28, s11, s10
	s_mov_b64 s[10:11], s[28:29]
.LBB177_127:                            ;   in Loop: Header=BB177_31 Depth=1
	s_delay_alu instid0(SALU_CYCLE_1)
	s_sub_nc_u64 s[10:11], s[66:67], s[10:11]
	s_mov_b32 s20, exec_lo
                                        ; implicit-def: $vgpr8
	v_nop
	v_cmpx_gt_u64_e64 s[10:11], v[0:1]
	s_cbranch_execz .LBB177_136
; %bb.128:                              ;   in Loop: Header=BB177_31 Depth=1
	v_mov_b64_e32 v[4:5], v[30:31]
	v_mov_b64_e32 v[6:7], v[0:1]
	s_mov_b32 s21, 0
                                        ; implicit-def: $sgpr22
	s_branch .LBB177_131
.LBB177_129:                            ;   in Loop: Header=BB177_131 Depth=2
	s_or_b32 exec_lo, exec_lo, s23
	s_wait_dscnt 0x0
	s_barrier_signal -1
	s_barrier_wait -1
	ds_load_b32 v2, v3 offset:3072
	s_mov_b32 s23, -1
	s_mov_b32 s28, -1
	s_wait_dscnt 0x0
	s_barrier_signal -1
	s_barrier_wait -1
	v_and_b32_e32 v8, 0xffff, v2
	s_delay_alu instid0(VALU_DEP_1)
	v_cmp_ne_u32_e32 vcc_lo, 0, v8
	s_cbranch_vccz .LBB177_134
.LBB177_130:                            ;   in Loop: Header=BB177_131 Depth=2
	s_and_b32 s23, exec_lo, s23
	s_delay_alu instid0(SALU_CYCLE_1) | instskip(SKIP_2) | instid1(SALU_CYCLE_1)
	s_or_b32 s21, s23, s21
	s_and_not1_b32 s22, s22, exec_lo
	s_and_b32 s23, s28, exec_lo
	s_or_b32 s22, s22, s23
	s_and_not1_b32 exec_lo, exec_lo, s21
	s_cbranch_execz .LBB177_135
.LBB177_131:                            ;   Parent Loop BB177_31 Depth=1
                                        ; =>  This Inner Loop Header: Depth=2
	s_mov_b32 s23, exec_lo
	s_delay_alu instid0(VALU_DEP_1)
	v_cmpx_gt_u64_e64 s[36:37], v[6:7]
	s_cbranch_execz .LBB177_129
; %bb.132:                              ;   in Loop: Header=BB177_131 Depth=2
	global_load_u16 v2, v[4:5], off
	s_wait_loadcnt 0x0
	v_bfe_i32 v8, v2, 0, 16
	s_delay_alu instid0(VALU_DEP_1) | instskip(NEXT) | instid1(VALU_DEP_1)
	v_add_nc_u32_e32 v8, 0x8000, v8
	v_and_b32_e32 v8, v8, v11
	s_delay_alu instid0(VALU_DEP_1)
	v_cmp_eq_u32_e32 vcc_lo, v8, v10
	s_and_b32 exec_lo, exec_lo, vcc_lo
	s_cbranch_execz .LBB177_129
; %bb.133:                              ;   in Loop: Header=BB177_131 Depth=2
	v_perm_b32 v2, v2, 1, 0x5040100
	ds_store_b32 v3, v2 offset:3072
	s_branch .LBB177_129
.LBB177_134:                            ;   in Loop: Header=BB177_131 Depth=2
	v_add_nc_u64_e32 v[6:7], s[40:41], v[6:7]
	v_add_nc_u64_e32 v[4:5], s[44:45], v[4:5]
	s_mov_b32 s28, 0
	s_delay_alu instid0(VALU_DEP_2)
	v_cmp_le_u64_e32 vcc_lo, s[10:11], v[6:7]
	s_or_not1_b32 s23, vcc_lo, exec_lo
	s_branch .LBB177_130
.LBB177_135:                            ;   in Loop: Header=BB177_31 Depth=1
	s_or_b32 exec_lo, exec_lo, s21
	v_lshrrev_b32_e32 v8, 16, v2
	s_and_not1_b32 s3, s3, exec_lo
	s_and_b32 s10, s22, exec_lo
	s_delay_alu instid0(SALU_CYCLE_1)
	s_or_b32 s3, s3, s10
.LBB177_136:                            ;   in Loop: Header=BB177_31 Depth=1
	s_or_b32 exec_lo, exec_lo, s20
	s_mov_b32 s84, 0
	s_mov_b32 s85, -1
.LBB177_137:                            ;   in Loop: Header=BB177_31 Depth=1
	s_or_not1_b32 s3, s3, exec_lo
.LBB177_138:                            ;   in Loop: Header=BB177_31 Depth=1
	s_or_b32 exec_lo, exec_lo, s27
	s_mov_b32 s86, 0
	s_mov_b32 s75, 0
	;; [unrolled: 1-line block ×3, first 2 shown]
                                        ; implicit-def: $vgpr4_vgpr5
                                        ; implicit-def: $vgpr2
	s_and_saveexec_b32 s87, s3
	s_cbranch_execz .LBB177_296
; %bb.139:                              ;   in Loop: Header=BB177_31 Depth=1
	v_mov_b64_e32 v[4:5], 1
	v_mov_b32_e32 v2, 1
	s_xor_b32 s11, s88, -1
	s_mov_b32 s10, 0
	s_and_saveexec_b32 s3, s11
	s_cbranch_execz .LBB177_148
; %bb.140:                              ;   in Loop: Header=BB177_31 Depth=1
	s_mov_b32 s10, exec_lo
	v_cmpx_ge_u64_e64 s[12:13], v[32:33]
	s_xor_b32 s10, exec_lo, s10
	s_cbranch_execz .LBB177_145
; %bb.141:                              ;   in Loop: Header=BB177_31 Depth=1
	ds_load_b64 v[4:5], v3 offset:5120
	v_and_b32_e32 v10, s25, v10
	v_or_b32_e32 v11, s24, v11
	s_wait_dscnt 0x0
	v_cmp_ne_u64_e32 vcc_lo, 0, v[4:5]
	s_cbranch_vccnz .LBB177_145
; %bb.142:                              ;   in Loop: Header=BB177_31 Depth=1
	s_and_saveexec_b32 s11, s5
; %bb.143:                              ;   in Loop: Header=BB177_31 Depth=1
	v_mov_b64_e32 v[4:5], s[12:13]
	ds_store_b64 v3, v[4:5] offset:5128
; %bb.144:                              ;   in Loop: Header=BB177_31 Depth=1
	s_or_b32 exec_lo, exec_lo, s11
	s_wait_dscnt 0x0
	s_barrier_signal -1
	s_barrier_wait -1
.LBB177_145:                            ;   in Loop: Header=BB177_31 Depth=1
	s_or_saveexec_b32 s10, s10
	v_mov_b64_e32 v[4:5], v[32:33]
	v_mov_b32_e32 v2, 8
	s_mov_b32 s11, 0
	s_xor_b32 exec_lo, exec_lo, s10
; %bb.146:                              ;   in Loop: Header=BB177_31 Depth=1
	v_sub_nc_u64_e64 v[4:5], v[32:33], s[12:13]
	v_mov_b32_e32 v2, 0
	s_mov_b32 s11, exec_lo
; %bb.147:                              ;   in Loop: Header=BB177_31 Depth=1
	s_or_b32 exec_lo, exec_lo, s10
	s_delay_alu instid0(SALU_CYCLE_1)
	s_and_b32 s10, s11, exec_lo
.LBB177_148:                            ;   in Loop: Header=BB177_31 Depth=1
	s_or_b32 exec_lo, exec_lo, s3
	s_mov_b32 s3, -1
                                        ; implicit-def: $sgpr75
                                        ; implicit-def: $sgpr88
	s_and_saveexec_b32 s11, s10
	s_delay_alu instid0(SALU_CYCLE_1)
	s_xor_b32 s27, exec_lo, s11
	s_cbranch_execz .LBB177_293
; %bb.149:                              ;   in Loop: Header=BB177_31 Depth=1
	v_cmp_eq_u64_e32 vcc_lo, 1, v[4:5]
	s_cmp_eq_u64 s[14:15], 1
                                        ; implicit-def: $sgpr88
                                        ; implicit-def: $sgpr75
	s_cselect_b32 s3, -1, 0
	s_delay_alu instid0(SALU_CYCLE_1)
	s_and_b32 s90, s3, vcc_lo
	s_mov_b32 s3, -1
	s_and_saveexec_b32 s89, s90
	s_cbranch_execz .LBB177_183
; %bb.150:                              ;   in Loop: Header=BB177_31 Depth=1
	ds_load_b64 v[6:7], v3 offset:5120
	s_wait_dscnt 0x0
	s_barrier_signal -1
	s_barrier_wait -1
	v_readfirstlane_b32 s10, v6
	v_readfirstlane_b32 s11, v7
	s_and_saveexec_b32 s3, s6
; %bb.151:                              ;   in Loop: Header=BB177_31 Depth=1
	ds_store_b16 v47, v3
; %bb.152:                              ;   in Loop: Header=BB177_31 Depth=1
	s_or_b32 exec_lo, exec_lo, s3
	s_lshl_b32 s3, 1, s53
	v_or_b32_e32 v11, s24, v11
	v_and_or_b32 v10, v10, s25, s3
	s_mov_b32 s75, -1
	s_mov_b32 s88, 0
	s_cmp_eq_u64 s[10:11], 0
	s_mov_b32 s3, 0
	s_mov_b32 s22, -1
	s_wait_dscnt 0x0
	s_barrier_signal -1
	s_barrier_wait -1
                                        ; implicit-def: $vgpr8
	s_cbranch_scc1 .LBB177_168
; %bb.153:                              ;   in Loop: Header=BB177_31 Depth=1
	s_add_nc_u64 s[20:21], s[10:11], s[64:65]
	s_delay_alu instid0(SALU_CYCLE_1) | instskip(NEXT) | instid1(SALU_CYCLE_1)
	s_and_b64 s[22:23], s[20:21], 0xffffffff00000000
	s_cmp_lg_u64 s[22:23], 0
	s_cbranch_scc0 .LBB177_209
; %bb.154:                              ;   in Loop: Header=BB177_31 Depth=1
	s_cvt_f32_u32 s3, s40
	s_sub_nc_u64 s[92:93], 0, s[40:41]
	s_delay_alu instid0(SALU_CYCLE_2) | instskip(NEXT) | instid1(SALU_CYCLE_3)
	s_fmamk_f32 s3, s52, 0x0, s3
	v_s_rcp_f32 s3, s3
	s_delay_alu instid0(TRANS32_DEP_1) | instskip(NEXT) | instid1(SALU_CYCLE_3)
	s_mul_f32 s3, s3, 0x5f7ffffc
	s_mul_f32 s22, s3, 0x2f800000
	s_delay_alu instid0(SALU_CYCLE_3) | instskip(NEXT) | instid1(SALU_CYCLE_3)
	s_trunc_f32 s22, s22
	s_fmamk_f32 s3, s22, 0xcf800000, s3
	s_cvt_u32_f32 s23, s22
	s_delay_alu instid0(SALU_CYCLE_2) | instskip(NEXT) | instid1(SALU_CYCLE_3)
	s_cvt_u32_f32 s22, s3
	s_mul_u64 s[94:95], s[92:93], s[22:23]
	s_delay_alu instid0(SALU_CYCLE_1)
	s_mul_hi_u32 s97, s22, s95
	s_mul_i32 s96, s22, s95
	s_mul_hi_u32 s28, s22, s94
	s_mul_i32 s76, s23, s94
	s_add_nc_u64 s[96:97], s[28:29], s[96:97]
	s_mul_hi_u32 s3, s23, s94
	s_mul_hi_u32 s77, s23, s95
	s_add_co_u32 s28, s96, s76
	s_add_co_ci_u32 s28, s97, s3
	s_mul_i32 s94, s23, s95
	s_add_co_ci_u32 s95, s77, 0
	s_delay_alu instid0(SALU_CYCLE_1) | instskip(NEXT) | instid1(SALU_CYCLE_1)
	s_add_nc_u64 s[94:95], s[28:29], s[94:95]
	s_add_co_u32 s22, s22, s94
	s_cselect_b32 s3, -1, 0
	s_delay_alu instid0(SALU_CYCLE_1) | instskip(SKIP_1) | instid1(SALU_CYCLE_1)
	s_cmp_lg_u32 s3, 0
	s_add_co_ci_u32 s23, s23, s95
	s_mul_u64 s[92:93], s[92:93], s[22:23]
	s_delay_alu instid0(SALU_CYCLE_1)
	s_mul_hi_u32 s95, s22, s93
	s_mul_i32 s94, s22, s93
	s_mul_hi_u32 s28, s22, s92
	s_mul_i32 s76, s23, s92
	s_add_nc_u64 s[94:95], s[28:29], s[94:95]
	s_mul_hi_u32 s3, s23, s92
	s_mul_hi_u32 s77, s23, s93
	s_add_co_u32 s28, s94, s76
	s_add_co_ci_u32 s28, s95, s3
	s_mul_i32 s92, s23, s93
	s_add_co_ci_u32 s93, s77, 0
	s_delay_alu instid0(SALU_CYCLE_1) | instskip(NEXT) | instid1(SALU_CYCLE_1)
	s_add_nc_u64 s[92:93], s[28:29], s[92:93]
	s_add_co_u32 s3, s22, s92
	s_cselect_b32 s22, -1, 0
	s_mul_hi_u32 s28, s20, s3
	s_cmp_lg_u32 s22, 0
	s_mul_hi_u32 s76, s21, s3
	s_add_co_ci_u32 s77, s23, s93
	s_mul_i32 s3, s21, s3
	s_mul_hi_u32 s23, s20, s77
	s_mul_i32 s22, s20, s77
	s_mul_hi_u32 s78, s21, s77
	s_add_nc_u64 s[22:23], s[28:29], s[22:23]
	s_mul_i32 s92, s21, s77
	s_add_co_u32 s3, s22, s3
	s_add_co_ci_u32 s28, s23, s76
	s_add_co_ci_u32 s93, s78, 0
	s_delay_alu instid0(SALU_CYCLE_1) | instskip(NEXT) | instid1(SALU_CYCLE_1)
	s_add_nc_u64 s[22:23], s[28:29], s[92:93]
	s_and_b64 s[92:93], s[22:23], 0xffffffff00000000
	s_delay_alu instid0(SALU_CYCLE_1) | instskip(NEXT) | instid1(SALU_CYCLE_1)
	s_or_b32 s92, s92, s22
	s_mul_u64 s[22:23], s[40:41], s[92:93]
	s_delay_alu instid0(SALU_CYCLE_1) | instskip(SKIP_1) | instid1(SALU_CYCLE_1)
	s_sub_co_u32 s3, s20, s22
	s_cselect_b32 s22, -1, 0
	s_cmp_lg_u32 s22, 0
	s_sub_co_ci_u32 s22, s21, s23
	s_sub_co_u32 s23, s3, s40
	s_cselect_b32 s28, -1, 0
	s_delay_alu instid0(SALU_CYCLE_1) | instskip(SKIP_3) | instid1(SALU_CYCLE_1)
	s_cmp_lg_u32 s28, 0
	s_sub_co_ci_u32 s28, s22, 0
	s_sub_co_u32 s76, s23, s40
	s_cselect_b32 s77, -1, 0
	s_cmp_lg_u32 s77, 0
	s_sub_co_ci_u32 s77, s28, 0
	s_cmp_ge_u32 s23, s40
	s_cselect_b32 s78, -1, 0
	s_cmp_eq_u32 s28, 0
	s_cselect_b32 s78, s78, -1
	s_delay_alu instid0(SALU_CYCLE_1)
	s_cmp_lg_u32 s78, 0
	s_cselect_b32 s28, s77, s28
	s_cselect_b32 s76, s76, s23
	s_cmp_ge_u32 s3, s40
	s_cselect_b32 s23, -1, 0
	s_cmp_eq_u32 s22, 0
	s_cselect_b32 s23, s23, -1
	s_delay_alu instid0(SALU_CYCLE_1)
	s_cmp_lg_u32 s23, 0
	s_cselect_b32 s23, s28, s22
	s_cselect_b32 s22, s76, s3
	s_cbranch_execnz .LBB177_156
.LBB177_155:                            ;   in Loop: Header=BB177_31 Depth=1
	v_cvt_f32_u32_e32 v6, s40
	s_sub_co_i32 s22, 0, s40
	s_delay_alu instid0(VALU_DEP_1) | instskip(SKIP_1) | instid1(TRANS32_DEP_1)
	v_rcp_iflag_f32_e32 v6, v6
	v_nop
	v_mul_f32_e32 v6, 0x4f7ffffe, v6
	s_delay_alu instid0(VALU_DEP_1) | instskip(NEXT) | instid1(VALU_DEP_1)
	v_cvt_u32_f32_e32 v6, v6
	v_readfirstlane_b32 s3, v6
	s_mul_i32 s22, s22, s3
	s_delay_alu instid0(SALU_CYCLE_1) | instskip(NEXT) | instid1(SALU_CYCLE_1)
	s_mul_hi_u32 s22, s3, s22
	s_add_co_i32 s3, s3, s22
	s_delay_alu instid0(SALU_CYCLE_1) | instskip(NEXT) | instid1(SALU_CYCLE_1)
	s_mul_hi_u32 s3, s20, s3
	s_mul_i32 s3, s3, s40
	s_delay_alu instid0(SALU_CYCLE_1) | instskip(NEXT) | instid1(SALU_CYCLE_1)
	s_sub_co_i32 s3, s20, s3
	s_sub_co_i32 s22, s3, s40
	s_cmp_ge_u32 s3, s40
	s_cselect_b32 s3, s22, s3
	s_delay_alu instid0(SALU_CYCLE_1) | instskip(SKIP_2) | instid1(SALU_CYCLE_1)
	s_sub_co_i32 s22, s3, s40
	s_cmp_ge_u32 s3, s40
	s_cselect_b32 s28, s22, s3
	s_mov_b64 s[22:23], s[28:29]
.LBB177_156:                            ;   in Loop: Header=BB177_31 Depth=1
	s_delay_alu instid0(SALU_CYCLE_1)
	s_sub_nc_u64 s[20:21], s[20:21], s[22:23]
	s_mov_b32 s22, 0
	s_mov_b32 s3, 0
	s_mov_b32 s23, exec_lo
                                        ; implicit-def: $vgpr8
	v_cmpx_gt_u64_e64 s[20:21], v[0:1]
	s_cbranch_execz .LBB177_167
; %bb.157:                              ;   in Loop: Header=BB177_31 Depth=1
	v_mov_b64_e32 v[6:7], v[0:1]
	v_mov_b32_e32 v8, v46
                                        ; implicit-def: $sgpr28
	s_branch .LBB177_160
.LBB177_158:                            ;   in Loop: Header=BB177_160 Depth=2
	s_or_b32 exec_lo, exec_lo, s91
	s_wait_dscnt 0x0
	s_barrier_signal -1
	s_barrier_wait -1
	ds_load_b32 v9, v3 offset:3072
	s_mov_b32 s91, -1
	s_mov_b32 s92, -1
	s_wait_dscnt 0x0
	s_barrier_signal -1
	s_barrier_wait -1
	v_and_b32_e32 v34, 0xffff, v9
	s_delay_alu instid0(VALU_DEP_1)
	v_cmp_ne_u32_e32 vcc_lo, 0, v34
	s_cbranch_vccz .LBB177_163
.LBB177_159:                            ;   in Loop: Header=BB177_160 Depth=2
	s_and_b32 s76, exec_lo, s91
	s_delay_alu instid0(SALU_CYCLE_1) | instskip(SKIP_2) | instid1(SALU_CYCLE_1)
	s_or_b32 s3, s76, s3
	s_and_not1_b32 s28, s28, exec_lo
	s_and_b32 s76, s92, exec_lo
	s_or_b32 s28, s28, s76
	s_and_not1_b32 exec_lo, exec_lo, s3
	s_cbranch_execz .LBB177_166
.LBB177_160:                            ;   Parent Loop BB177_31 Depth=1
                                        ; =>  This Inner Loop Header: Depth=2
	s_mov_b32 s91, exec_lo
	s_delay_alu instid0(VALU_DEP_2)
	v_cmpx_gt_u64_e64 s[10:11], v[6:7]
	s_cbranch_execz .LBB177_158
; %bb.161:                              ;   in Loop: Header=BB177_160 Depth=2
	ds_load_u16 v9, v8
	s_wait_dscnt 0x0
	v_bfe_i32 v34, v9, 0, 16
	s_delay_alu instid0(VALU_DEP_1) | instskip(NEXT) | instid1(VALU_DEP_1)
	v_add_nc_u32_e32 v34, 0x8000, v34
	v_and_b32_e32 v34, v34, v11
	s_delay_alu instid0(VALU_DEP_1)
	v_cmp_eq_u32_e32 vcc_lo, v34, v10
	s_and_b32 exec_lo, exec_lo, vcc_lo
	s_cbranch_execz .LBB177_158
; %bb.162:                              ;   in Loop: Header=BB177_160 Depth=2
	v_perm_b32 v9, v9, 1, 0x5040100
	ds_store_b32 v3, v9 offset:3072
	s_branch .LBB177_158
.LBB177_163:                            ;   in Loop: Header=BB177_160 Depth=2
	v_add_nc_u64_e32 v[6:7], s[40:41], v[6:7]
	v_add_nc_u32_e32 v8, vcc_hi, v8
	s_mov_b32 s92, 0
	s_delay_alu instid0(VALU_DEP_2)
	v_cmp_le_u64_e32 vcc_lo, s[20:21], v[6:7]
	s_or_not1_b32 s91, vcc_lo, exec_lo
	s_branch .LBB177_159
.LBB177_164:                            ;   in Loop: Header=BB177_31 Depth=1
                                        ; implicit-def: $sgpr22_sgpr23
	s_branch .LBB177_109
.LBB177_165:                            ;   in Loop: Header=BB177_31 Depth=1
                                        ; implicit-def: $sgpr10_sgpr11
	s_branch .LBB177_126
.LBB177_166:                            ;   in Loop: Header=BB177_31 Depth=1
	s_or_b32 exec_lo, exec_lo, s3
	v_lshrrev_b32_e32 v8, 16, v9
	s_and_b32 s3, s28, exec_lo
.LBB177_167:                            ;   in Loop: Header=BB177_31 Depth=1
	s_or_b32 exec_lo, exec_lo, s23
.LBB177_168:                            ;   in Loop: Header=BB177_31 Depth=1
	s_delay_alu instid0(SALU_CYCLE_1)
	s_and_b32 vcc_lo, exec_lo, s22
	s_cbranch_vccz .LBB177_182
; %bb.169:                              ;   in Loop: Header=BB177_31 Depth=1
	s_and_b64 s[10:11], s[66:67], 0xffffffff00000000
	s_delay_alu instid0(SALU_CYCLE_1)
	s_cmp_lg_u64 s[10:11], 0
	s_cbranch_scc0 .LBB177_210
; %bb.170:                              ;   in Loop: Header=BB177_31 Depth=1
	s_cvt_f32_u32 s10, s40
	s_sub_nc_u64 s[20:21], 0, s[40:41]
	s_delay_alu instid0(SALU_CYCLE_2) | instskip(NEXT) | instid1(SALU_CYCLE_3)
	s_fmamk_f32 s10, s52, 0x0, s10
	v_s_rcp_f32 s10, s10
	s_delay_alu instid0(TRANS32_DEP_1) | instskip(NEXT) | instid1(SALU_CYCLE_3)
	s_mul_f32 s10, s10, 0x5f7ffffc
	s_mul_f32 s11, s10, 0x2f800000
	s_delay_alu instid0(SALU_CYCLE_3) | instskip(NEXT) | instid1(SALU_CYCLE_3)
	s_trunc_f32 s11, s11
	s_fmamk_f32 s10, s11, 0xcf800000, s10
	s_cvt_u32_f32 s11, s11
	s_delay_alu instid0(SALU_CYCLE_2) | instskip(NEXT) | instid1(SALU_CYCLE_3)
	s_cvt_u32_f32 s10, s10
	s_mul_u64 s[22:23], s[20:21], s[10:11]
	s_delay_alu instid0(SALU_CYCLE_1)
	s_mul_hi_u32 s93, s10, s23
	s_mul_i32 s92, s10, s23
	s_mul_hi_u32 s28, s10, s22
	s_mul_i32 s76, s11, s22
	s_add_nc_u64 s[92:93], s[28:29], s[92:93]
	s_mul_hi_u32 s75, s11, s22
	s_mul_hi_u32 s77, s11, s23
	s_mul_i32 s22, s11, s23
	s_add_co_u32 s23, s92, s76
	s_add_co_ci_u32 s28, s93, s75
	s_add_co_ci_u32 s23, s77, 0
	s_delay_alu instid0(SALU_CYCLE_1) | instskip(NEXT) | instid1(SALU_CYCLE_1)
	s_add_nc_u64 s[22:23], s[28:29], s[22:23]
	s_add_co_u32 s10, s10, s22
	s_cselect_b32 s22, -1, 0
	s_delay_alu instid0(SALU_CYCLE_1) | instskip(SKIP_1) | instid1(SALU_CYCLE_1)
	s_cmp_lg_u32 s22, 0
	s_add_co_ci_u32 s11, s11, s23
	s_mul_u64 s[20:21], s[20:21], s[10:11]
	s_delay_alu instid0(SALU_CYCLE_1)
	s_mul_hi_u32 s23, s10, s21
	s_mul_i32 s22, s10, s21
	s_mul_hi_u32 s28, s10, s20
	s_mul_i32 s76, s11, s20
	s_add_nc_u64 s[22:23], s[28:29], s[22:23]
	s_mul_hi_u32 s75, s11, s20
	s_mul_hi_u32 s77, s11, s21
	s_mul_i32 s20, s11, s21
	s_add_co_u32 s21, s22, s76
	s_add_co_ci_u32 s28, s23, s75
	s_add_co_ci_u32 s21, s77, 0
	s_delay_alu instid0(SALU_CYCLE_1) | instskip(NEXT) | instid1(SALU_CYCLE_1)
	s_add_nc_u64 s[20:21], s[28:29], s[20:21]
	s_add_co_u32 s10, s10, s20
	s_cselect_b32 s20, -1, 0
	s_mul_hi_u32 s28, s66, s10
	s_cmp_lg_u32 s20, 0
	s_mul_hi_u32 s22, s67, s10
	s_add_co_ci_u32 s20, s11, s21
	s_mul_i32 s21, s67, s10
	s_mul_hi_u32 s11, s66, s20
	s_mul_i32 s10, s66, s20
	s_mul_hi_u32 s23, s67, s20
	s_add_nc_u64 s[10:11], s[28:29], s[10:11]
	s_mul_i32 s20, s67, s20
	s_add_co_u32 s10, s10, s21
	s_add_co_ci_u32 s28, s11, s22
	s_add_co_ci_u32 s21, s23, 0
	s_delay_alu instid0(SALU_CYCLE_1) | instskip(NEXT) | instid1(SALU_CYCLE_1)
	s_add_nc_u64 s[10:11], s[28:29], s[20:21]
	s_and_b64 s[20:21], s[10:11], 0xffffffff00000000
	s_delay_alu instid0(SALU_CYCLE_1) | instskip(NEXT) | instid1(SALU_CYCLE_1)
	s_or_b32 s20, s20, s10
	s_mul_u64 s[10:11], s[40:41], s[20:21]
	s_delay_alu instid0(SALU_CYCLE_1) | instskip(SKIP_1) | instid1(SALU_CYCLE_1)
	s_sub_co_u32 s10, s66, s10
	s_cselect_b32 s20, -1, 0
	s_cmp_lg_u32 s20, 0
	s_sub_co_ci_u32 s11, s67, s11
	s_sub_co_u32 s20, s10, s40
	s_cselect_b32 s21, -1, 0
	s_delay_alu instid0(SALU_CYCLE_1) | instskip(SKIP_3) | instid1(SALU_CYCLE_1)
	s_cmp_lg_u32 s21, 0
	s_sub_co_ci_u32 s21, s11, 0
	s_sub_co_u32 s22, s20, s40
	s_cselect_b32 s23, -1, 0
	s_cmp_lg_u32 s23, 0
	s_sub_co_ci_u32 s23, s21, 0
	s_cmp_ge_u32 s20, s40
	s_cselect_b32 s28, -1, 0
	s_cmp_eq_u32 s21, 0
	s_cselect_b32 s28, s28, -1
	s_delay_alu instid0(SALU_CYCLE_1)
	s_cmp_lg_u32 s28, 0
	s_cselect_b32 s21, s23, s21
	s_cselect_b32 s20, s22, s20
	s_cmp_ge_u32 s10, s40
	s_cselect_b32 s22, -1, 0
	s_cmp_eq_u32 s11, 0
	s_cselect_b32 s22, s22, -1
	s_delay_alu instid0(SALU_CYCLE_1)
	s_cmp_lg_u32 s22, 0
	s_cselect_b32 s11, s21, s11
	s_cselect_b32 s10, s20, s10
	s_cbranch_execnz .LBB177_172
.LBB177_171:                            ;   in Loop: Header=BB177_31 Depth=1
	v_cvt_f32_u32_e32 v6, s40
	s_sub_co_i32 s11, 0, s40
	s_delay_alu instid0(VALU_DEP_1) | instskip(SKIP_1) | instid1(TRANS32_DEP_1)
	v_rcp_iflag_f32_e32 v6, v6
	v_nop
	v_mul_f32_e32 v6, 0x4f7ffffe, v6
	s_delay_alu instid0(VALU_DEP_1) | instskip(NEXT) | instid1(VALU_DEP_1)
	v_cvt_u32_f32_e32 v6, v6
	v_readfirstlane_b32 s10, v6
	s_mul_i32 s11, s11, s10
	s_delay_alu instid0(SALU_CYCLE_1) | instskip(NEXT) | instid1(SALU_CYCLE_1)
	s_mul_hi_u32 s11, s10, s11
	s_add_co_i32 s10, s10, s11
	s_delay_alu instid0(SALU_CYCLE_1) | instskip(NEXT) | instid1(SALU_CYCLE_1)
	s_mul_hi_u32 s10, s66, s10
	s_mul_i32 s10, s10, s40
	s_delay_alu instid0(SALU_CYCLE_1) | instskip(NEXT) | instid1(SALU_CYCLE_1)
	s_sub_co_i32 s10, s66, s10
	s_sub_co_i32 s11, s10, s40
	s_cmp_ge_u32 s10, s40
	s_cselect_b32 s10, s11, s10
	s_delay_alu instid0(SALU_CYCLE_1) | instskip(SKIP_2) | instid1(SALU_CYCLE_1)
	s_sub_co_i32 s11, s10, s40
	s_cmp_ge_u32 s10, s40
	s_cselect_b32 s28, s11, s10
	s_mov_b64 s[10:11], s[28:29]
.LBB177_172:                            ;   in Loop: Header=BB177_31 Depth=1
	s_delay_alu instid0(SALU_CYCLE_1)
	s_sub_nc_u64 s[10:11], s[66:67], s[10:11]
	s_mov_b32 s20, exec_lo
                                        ; implicit-def: $vgpr8
	v_nop
	v_cmpx_gt_u64_e64 s[10:11], v[0:1]
	s_cbranch_execz .LBB177_181
; %bb.173:                              ;   in Loop: Header=BB177_31 Depth=1
	v_mov_b64_e32 v[6:7], v[30:31]
	v_mov_b64_e32 v[8:9], v[0:1]
	s_mov_b32 s21, 0
                                        ; implicit-def: $sgpr22
	s_branch .LBB177_176
.LBB177_174:                            ;   in Loop: Header=BB177_176 Depth=2
	s_or_b32 exec_lo, exec_lo, s23
	s_wait_dscnt 0x0
	s_barrier_signal -1
	s_barrier_wait -1
	ds_load_b32 v34, v3 offset:3072
	s_mov_b32 s23, -1
	s_mov_b32 s28, -1
	s_wait_dscnt 0x0
	s_barrier_signal -1
	s_barrier_wait -1
	v_and_b32_e32 v35, 0xffff, v34
	s_delay_alu instid0(VALU_DEP_1)
	v_cmp_eq_u32_e32 vcc_lo, 0, v35
	s_cbranch_vccnz .LBB177_179
.LBB177_175:                            ;   in Loop: Header=BB177_176 Depth=2
	s_and_b32 s23, exec_lo, s23
	s_delay_alu instid0(SALU_CYCLE_1) | instskip(SKIP_2) | instid1(SALU_CYCLE_1)
	s_or_b32 s21, s23, s21
	s_and_not1_b32 s22, s22, exec_lo
	s_and_b32 s23, s28, exec_lo
	s_or_b32 s22, s22, s23
	s_and_not1_b32 exec_lo, exec_lo, s21
	s_cbranch_execz .LBB177_180
.LBB177_176:                            ;   Parent Loop BB177_31 Depth=1
                                        ; =>  This Inner Loop Header: Depth=2
	s_mov_b32 s23, exec_lo
	s_delay_alu instid0(VALU_DEP_1)
	v_cmpx_gt_u64_e64 s[36:37], v[8:9]
	s_cbranch_execz .LBB177_174
; %bb.177:                              ;   in Loop: Header=BB177_176 Depth=2
	global_load_u16 v34, v[6:7], off
	s_wait_loadcnt 0x0
	v_bfe_i32 v35, v34, 0, 16
	s_delay_alu instid0(VALU_DEP_1) | instskip(NEXT) | instid1(VALU_DEP_1)
	v_add_nc_u32_e32 v35, 0x8000, v35
	v_and_b32_e32 v35, v35, v11
	s_delay_alu instid0(VALU_DEP_1)
	v_cmp_eq_u32_e32 vcc_lo, v35, v10
	s_and_b32 exec_lo, exec_lo, vcc_lo
	s_cbranch_execz .LBB177_174
; %bb.178:                              ;   in Loop: Header=BB177_176 Depth=2
	v_perm_b32 v34, v34, 1, 0x5040100
	ds_store_b32 v3, v34 offset:3072
	s_branch .LBB177_174
.LBB177_179:                            ;   in Loop: Header=BB177_176 Depth=2
	v_add_nc_u64_e32 v[8:9], s[40:41], v[8:9]
	v_add_nc_u64_e32 v[6:7], s[44:45], v[6:7]
	s_mov_b32 s28, 0
	s_delay_alu instid0(VALU_DEP_2)
	v_cmp_le_u64_e32 vcc_lo, s[10:11], v[8:9]
	s_or_not1_b32 s23, vcc_lo, exec_lo
	s_branch .LBB177_175
.LBB177_180:                            ;   in Loop: Header=BB177_31 Depth=1
	s_or_b32 exec_lo, exec_lo, s21
	v_lshrrev_b32_e32 v8, 16, v34
	s_and_not1_b32 s3, s3, exec_lo
	s_and_b32 s10, s22, exec_lo
	s_delay_alu instid0(SALU_CYCLE_1)
	s_or_b32 s3, s3, s10
.LBB177_181:                            ;   in Loop: Header=BB177_31 Depth=1
	s_or_b32 exec_lo, exec_lo, s20
	s_mov_b32 s75, 0
	s_mov_b32 s88, -1
.LBB177_182:                            ;   in Loop: Header=BB177_31 Depth=1
	s_or_not1_b32 s3, s3, exec_lo
.LBB177_183:                            ;   in Loop: Header=BB177_31 Depth=1
	s_or_b32 exec_lo, exec_lo, s89
	s_mov_b32 s10, 0
	s_and_saveexec_b32 s89, s3
	s_cbranch_execz .LBB177_292
; %bb.184:                              ;   in Loop: Header=BB177_31 Depth=1
	v_mov_b64_e32 v[6:7], 1
	v_mov_b32_e32 v2, 1
	s_xor_b32 s11, s90, -1
	s_delay_alu instid0(SALU_CYCLE_1)
	s_and_saveexec_b32 s3, s11
	s_cbranch_execz .LBB177_193
; %bb.185:                              ;   in Loop: Header=BB177_31 Depth=1
	s_mov_b32 s10, exec_lo
	v_cmpx_ge_u64_e64 s[14:15], v[4:5]
	s_xor_b32 s10, exec_lo, s10
	s_cbranch_execz .LBB177_190
; %bb.186:                              ;   in Loop: Header=BB177_31 Depth=1
	ds_load_b64 v[6:7], v3 offset:5120
	s_lshl_b32 s11, 1, s53
	v_or_b32_e32 v11, s24, v11
	v_and_or_b32 v10, v10, s25, s11
	s_wait_dscnt 0x0
	v_cmp_ne_u64_e32 vcc_lo, 0, v[6:7]
	s_cbranch_vccnz .LBB177_190
; %bb.187:                              ;   in Loop: Header=BB177_31 Depth=1
	s_and_saveexec_b32 s11, s5
; %bb.188:                              ;   in Loop: Header=BB177_31 Depth=1
	v_mov_b64_e32 v[6:7], s[14:15]
	ds_store_b64 v3, v[6:7] offset:5128
; %bb.189:                              ;   in Loop: Header=BB177_31 Depth=1
	s_or_b32 exec_lo, exec_lo, s11
	s_wait_dscnt 0x0
	s_barrier_signal -1
	s_barrier_wait -1
.LBB177_190:                            ;   in Loop: Header=BB177_31 Depth=1
	s_or_saveexec_b32 s10, s10
	v_mov_b32_e32 v2, 8
	s_mov_b32 s11, 0
	s_xor_b32 exec_lo, exec_lo, s10
; %bb.191:                              ;   in Loop: Header=BB177_31 Depth=1
	v_sub_nc_u64_e64 v[4:5], v[4:5], s[14:15]
	v_mov_b32_e32 v2, 0
	s_mov_b32 s11, exec_lo
; %bb.192:                              ;   in Loop: Header=BB177_31 Depth=1
	s_or_b32 exec_lo, exec_lo, s10
	s_delay_alu instid0(VALU_DEP_2)
	v_mov_b64_e32 v[6:7], v[4:5]
	s_and_b32 s10, s11, exec_lo
.LBB177_193:                            ;   in Loop: Header=BB177_31 Depth=1
	s_or_b32 exec_lo, exec_lo, s3
	s_mov_b32 s3, -1
                                        ; implicit-def: $sgpr91
                                        ; implicit-def: $sgpr92
	s_and_saveexec_b32 s90, s10
	s_cbranch_execz .LBB177_291
; %bb.194:                              ;   in Loop: Header=BB177_31 Depth=1
	s_delay_alu instid0(VALU_DEP_1) | instskip(SKIP_2) | instid1(SALU_CYCLE_1)
	v_cmp_eq_u64_e32 vcc_lo, 1, v[6:7]
	s_cmp_eq_u64 s[16:17], 1
                                        ; implicit-def: $sgpr92
                                        ; implicit-def: $sgpr91
	s_cselect_b32 s3, -1, 0
	s_and_b32 s94, s3, vcc_lo
	s_mov_b32 s3, -1
	s_and_saveexec_b32 s93, s94
	s_cbranch_execz .LBB177_228
; %bb.195:                              ;   in Loop: Header=BB177_31 Depth=1
	ds_load_b64 v[4:5], v3 offset:5120
	s_wait_dscnt 0x0
	s_barrier_signal -1
	s_barrier_wait -1
	v_readfirstlane_b32 s10, v4
	v_readfirstlane_b32 s11, v5
	s_and_saveexec_b32 s3, s6
; %bb.196:                              ;   in Loop: Header=BB177_31 Depth=1
	ds_store_b16 v47, v3
; %bb.197:                              ;   in Loop: Header=BB177_31 Depth=1
	s_or_b32 exec_lo, exec_lo, s3
	s_lshl_b32 s3, 2, s53
	v_or_b32_e32 v11, s24, v11
	v_and_or_b32 v10, v10, s25, s3
	s_mov_b32 s91, -1
	s_mov_b32 s92, 0
	s_cmp_eq_u64 s[10:11], 0
	s_mov_b32 s3, 0
	s_mov_b32 s22, -1
	s_wait_dscnt 0x0
	s_barrier_signal -1
	s_barrier_wait -1
                                        ; implicit-def: $vgpr8
	s_cbranch_scc1 .LBB177_213
; %bb.198:                              ;   in Loop: Header=BB177_31 Depth=1
	s_add_nc_u64 s[20:21], s[10:11], s[64:65]
	s_delay_alu instid0(SALU_CYCLE_1) | instskip(NEXT) | instid1(SALU_CYCLE_1)
	s_and_b64 s[22:23], s[20:21], 0xffffffff00000000
	s_cmp_lg_u64 s[22:23], 0
	s_cbranch_scc0 .LBB177_245
; %bb.199:                              ;   in Loop: Header=BB177_31 Depth=1
	s_cvt_f32_u32 s3, s40
	s_sub_nc_u64 s[96:97], 0, s[40:41]
	s_delay_alu instid0(SALU_CYCLE_2) | instskip(NEXT) | instid1(SALU_CYCLE_3)
	s_fmamk_f32 s3, s52, 0x0, s3
	v_s_rcp_f32 s3, s3
	s_delay_alu instid0(TRANS32_DEP_1) | instskip(NEXT) | instid1(SALU_CYCLE_3)
	s_mul_f32 s3, s3, 0x5f7ffffc
	s_mul_f32 s22, s3, 0x2f800000
	s_delay_alu instid0(SALU_CYCLE_3) | instskip(NEXT) | instid1(SALU_CYCLE_3)
	s_trunc_f32 s22, s22
	s_fmamk_f32 s3, s22, 0xcf800000, s3
	s_cvt_u32_f32 s23, s22
	s_delay_alu instid0(SALU_CYCLE_2) | instskip(NEXT) | instid1(SALU_CYCLE_3)
	s_cvt_u32_f32 s22, s3
	s_mul_u64 s[78:79], s[96:97], s[22:23]
	s_delay_alu instid0(SALU_CYCLE_1)
	s_mul_hi_u32 s77, s22, s79
	s_mul_i32 s76, s22, s79
	s_mul_hi_u32 s28, s22, s78
	s_mul_i32 s95, s23, s78
	s_add_nc_u64 s[76:77], s[28:29], s[76:77]
	s_mul_hi_u32 s3, s23, s78
	s_mul_hi_u32 s101, s23, s79
	s_add_co_u32 s28, s76, s95
	s_add_co_ci_u32 s28, s77, s3
	s_mul_i32 s78, s23, s79
	s_add_co_ci_u32 s79, s101, 0
	s_delay_alu instid0(SALU_CYCLE_1) | instskip(NEXT) | instid1(SALU_CYCLE_1)
	s_add_nc_u64 s[76:77], s[28:29], s[78:79]
	s_add_co_u32 s22, s22, s76
	s_cselect_b32 s3, -1, 0
	s_delay_alu instid0(SALU_CYCLE_1) | instskip(SKIP_1) | instid1(SALU_CYCLE_1)
	s_cmp_lg_u32 s3, 0
	s_add_co_ci_u32 s23, s23, s77
	s_mul_u64 s[76:77], s[96:97], s[22:23]
	s_delay_alu instid0(SALU_CYCLE_1)
	s_mul_hi_u32 s79, s22, s77
	s_mul_i32 s78, s22, s77
	s_mul_hi_u32 s28, s22, s76
	s_mul_i32 s95, s23, s76
	s_add_nc_u64 s[78:79], s[28:29], s[78:79]
	s_mul_hi_u32 s3, s23, s76
	s_mul_hi_u32 s96, s23, s77
	s_add_co_u32 s28, s78, s95
	s_add_co_ci_u32 s28, s79, s3
	s_mul_i32 s76, s23, s77
	s_add_co_ci_u32 s77, s96, 0
	s_delay_alu instid0(SALU_CYCLE_1) | instskip(NEXT) | instid1(SALU_CYCLE_1)
	s_add_nc_u64 s[76:77], s[28:29], s[76:77]
	s_add_co_u32 s3, s22, s76
	s_cselect_b32 s22, -1, 0
	s_mul_hi_u32 s28, s20, s3
	s_cmp_lg_u32 s22, 0
	s_mul_hi_u32 s78, s21, s3
	s_add_co_ci_u32 s76, s23, s77
	s_mul_i32 s3, s21, s3
	s_mul_hi_u32 s23, s20, s76
	s_mul_i32 s22, s20, s76
	s_mul_hi_u32 s77, s21, s76
	s_add_nc_u64 s[22:23], s[28:29], s[22:23]
	s_mul_i32 s76, s21, s76
	s_add_co_u32 s3, s22, s3
	s_add_co_ci_u32 s28, s23, s78
	s_add_co_ci_u32 s77, s77, 0
	s_delay_alu instid0(SALU_CYCLE_1) | instskip(NEXT) | instid1(SALU_CYCLE_1)
	s_add_nc_u64 s[22:23], s[28:29], s[76:77]
	s_and_b64 s[76:77], s[22:23], 0xffffffff00000000
	s_delay_alu instid0(SALU_CYCLE_1) | instskip(NEXT) | instid1(SALU_CYCLE_1)
	s_or_b32 s76, s76, s22
	s_mul_u64 s[22:23], s[40:41], s[76:77]
	s_delay_alu instid0(SALU_CYCLE_1) | instskip(SKIP_1) | instid1(SALU_CYCLE_1)
	s_sub_co_u32 s3, s20, s22
	s_cselect_b32 s22, -1, 0
	s_cmp_lg_u32 s22, 0
	s_sub_co_ci_u32 s22, s21, s23
	s_sub_co_u32 s23, s3, s40
	s_cselect_b32 s28, -1, 0
	s_delay_alu instid0(SALU_CYCLE_1) | instskip(SKIP_3) | instid1(SALU_CYCLE_1)
	s_cmp_lg_u32 s28, 0
	s_sub_co_ci_u32 s28, s22, 0
	s_sub_co_u32 s76, s23, s40
	s_cselect_b32 s77, -1, 0
	s_cmp_lg_u32 s77, 0
	s_sub_co_ci_u32 s77, s28, 0
	s_cmp_ge_u32 s23, s40
	s_cselect_b32 s78, -1, 0
	s_cmp_eq_u32 s28, 0
	s_cselect_b32 s78, s78, -1
	s_delay_alu instid0(SALU_CYCLE_1)
	s_cmp_lg_u32 s78, 0
	s_cselect_b32 s28, s77, s28
	s_cselect_b32 s76, s76, s23
	s_cmp_ge_u32 s3, s40
	s_cselect_b32 s23, -1, 0
	s_cmp_eq_u32 s22, 0
	s_cselect_b32 s23, s23, -1
	s_delay_alu instid0(SALU_CYCLE_1)
	s_cmp_lg_u32 s23, 0
	s_cselect_b32 s23, s28, s22
	s_cselect_b32 s22, s76, s3
	s_cbranch_execnz .LBB177_201
.LBB177_200:                            ;   in Loop: Header=BB177_31 Depth=1
	v_cvt_f32_u32_e32 v4, s40
	s_sub_co_i32 s22, 0, s40
	s_delay_alu instid0(VALU_DEP_1) | instskip(SKIP_1) | instid1(TRANS32_DEP_1)
	v_rcp_iflag_f32_e32 v4, v4
	v_nop
	v_mul_f32_e32 v4, 0x4f7ffffe, v4
	s_delay_alu instid0(VALU_DEP_1) | instskip(NEXT) | instid1(VALU_DEP_1)
	v_cvt_u32_f32_e32 v4, v4
	v_readfirstlane_b32 s3, v4
	s_mul_i32 s22, s22, s3
	s_delay_alu instid0(SALU_CYCLE_1) | instskip(NEXT) | instid1(SALU_CYCLE_1)
	s_mul_hi_u32 s22, s3, s22
	s_add_co_i32 s3, s3, s22
	s_delay_alu instid0(SALU_CYCLE_1) | instskip(NEXT) | instid1(SALU_CYCLE_1)
	s_mul_hi_u32 s3, s20, s3
	s_mul_i32 s3, s3, s40
	s_delay_alu instid0(SALU_CYCLE_1) | instskip(NEXT) | instid1(SALU_CYCLE_1)
	s_sub_co_i32 s3, s20, s3
	s_sub_co_i32 s22, s3, s40
	s_cmp_ge_u32 s3, s40
	s_cselect_b32 s3, s22, s3
	s_delay_alu instid0(SALU_CYCLE_1) | instskip(SKIP_2) | instid1(SALU_CYCLE_1)
	s_sub_co_i32 s22, s3, s40
	s_cmp_ge_u32 s3, s40
	s_cselect_b32 s28, s22, s3
	s_mov_b64 s[22:23], s[28:29]
.LBB177_201:                            ;   in Loop: Header=BB177_31 Depth=1
	s_delay_alu instid0(SALU_CYCLE_1)
	s_sub_nc_u64 s[20:21], s[20:21], s[22:23]
	s_mov_b32 s22, 0
	s_mov_b32 s3, 0
	s_mov_b32 s23, exec_lo
                                        ; implicit-def: $vgpr8
	v_cmpx_gt_u64_e64 s[20:21], v[0:1]
	s_cbranch_execz .LBB177_212
; %bb.202:                              ;   in Loop: Header=BB177_31 Depth=1
	v_mov_b64_e32 v[4:5], v[0:1]
	v_mov_b32_e32 v8, v46
                                        ; implicit-def: $sgpr28
	s_branch .LBB177_205
.LBB177_203:                            ;   in Loop: Header=BB177_205 Depth=2
	s_or_b32 exec_lo, exec_lo, s95
	s_wait_dscnt 0x0
	s_barrier_signal -1
	s_barrier_wait -1
	ds_load_b32 v9, v3 offset:3072
	s_mov_b32 s95, -1
	s_mov_b32 s96, -1
	s_wait_dscnt 0x0
	s_barrier_signal -1
	s_barrier_wait -1
	v_and_b32_e32 v34, 0xffff, v9
	s_delay_alu instid0(VALU_DEP_1)
	v_cmp_ne_u32_e32 vcc_lo, 0, v34
	s_cbranch_vccz .LBB177_208
.LBB177_204:                            ;   in Loop: Header=BB177_205 Depth=2
	s_and_b32 s76, exec_lo, s95
	s_delay_alu instid0(SALU_CYCLE_1) | instskip(SKIP_2) | instid1(SALU_CYCLE_1)
	s_or_b32 s3, s76, s3
	s_and_not1_b32 s28, s28, exec_lo
	s_and_b32 s76, s96, exec_lo
	s_or_b32 s28, s28, s76
	s_and_not1_b32 exec_lo, exec_lo, s3
	s_cbranch_execz .LBB177_211
.LBB177_205:                            ;   Parent Loop BB177_31 Depth=1
                                        ; =>  This Inner Loop Header: Depth=2
	s_mov_b32 s95, exec_lo
	s_delay_alu instid0(VALU_DEP_2)
	v_cmpx_gt_u64_e64 s[10:11], v[4:5]
	s_cbranch_execz .LBB177_203
; %bb.206:                              ;   in Loop: Header=BB177_205 Depth=2
	ds_load_u16 v9, v8
	s_wait_dscnt 0x0
	v_bfe_i32 v34, v9, 0, 16
	s_delay_alu instid0(VALU_DEP_1) | instskip(NEXT) | instid1(VALU_DEP_1)
	v_add_nc_u32_e32 v34, 0x8000, v34
	v_and_b32_e32 v34, v34, v11
	s_delay_alu instid0(VALU_DEP_1)
	v_cmp_eq_u32_e32 vcc_lo, v34, v10
	s_and_b32 exec_lo, exec_lo, vcc_lo
	s_cbranch_execz .LBB177_203
; %bb.207:                              ;   in Loop: Header=BB177_205 Depth=2
	v_perm_b32 v9, v9, 1, 0x5040100
	ds_store_b32 v3, v9 offset:3072
	s_branch .LBB177_203
.LBB177_208:                            ;   in Loop: Header=BB177_205 Depth=2
	v_add_nc_u64_e32 v[4:5], s[40:41], v[4:5]
	v_add_nc_u32_e32 v8, vcc_hi, v8
	s_mov_b32 s96, 0
	s_delay_alu instid0(VALU_DEP_2)
	v_cmp_le_u64_e32 vcc_lo, s[20:21], v[4:5]
	s_or_not1_b32 s95, vcc_lo, exec_lo
	s_branch .LBB177_204
.LBB177_209:                            ;   in Loop: Header=BB177_31 Depth=1
                                        ; implicit-def: $sgpr22_sgpr23
	s_branch .LBB177_155
.LBB177_210:                            ;   in Loop: Header=BB177_31 Depth=1
                                        ; implicit-def: $sgpr10_sgpr11
	s_branch .LBB177_171
.LBB177_211:                            ;   in Loop: Header=BB177_31 Depth=1
	s_or_b32 exec_lo, exec_lo, s3
	v_lshrrev_b32_e32 v8, 16, v9
	s_and_b32 s3, s28, exec_lo
.LBB177_212:                            ;   in Loop: Header=BB177_31 Depth=1
	s_or_b32 exec_lo, exec_lo, s23
.LBB177_213:                            ;   in Loop: Header=BB177_31 Depth=1
	s_delay_alu instid0(SALU_CYCLE_1)
	s_and_b32 vcc_lo, exec_lo, s22
	s_cbranch_vccz .LBB177_227
; %bb.214:                              ;   in Loop: Header=BB177_31 Depth=1
	s_and_b64 s[10:11], s[66:67], 0xffffffff00000000
	s_delay_alu instid0(SALU_CYCLE_1)
	s_cmp_lg_u64 s[10:11], 0
	s_cbranch_scc0 .LBB177_246
; %bb.215:                              ;   in Loop: Header=BB177_31 Depth=1
	s_cvt_f32_u32 s10, s40
	s_sub_nc_u64 s[20:21], 0, s[40:41]
	s_delay_alu instid0(SALU_CYCLE_2) | instskip(NEXT) | instid1(SALU_CYCLE_3)
	s_fmamk_f32 s10, s52, 0x0, s10
	v_s_rcp_f32 s10, s10
	s_delay_alu instid0(TRANS32_DEP_1) | instskip(NEXT) | instid1(SALU_CYCLE_3)
	s_mul_f32 s10, s10, 0x5f7ffffc
	s_mul_f32 s11, s10, 0x2f800000
	s_delay_alu instid0(SALU_CYCLE_3) | instskip(NEXT) | instid1(SALU_CYCLE_3)
	s_trunc_f32 s11, s11
	s_fmamk_f32 s10, s11, 0xcf800000, s10
	s_cvt_u32_f32 s11, s11
	s_delay_alu instid0(SALU_CYCLE_2) | instskip(NEXT) | instid1(SALU_CYCLE_3)
	s_cvt_u32_f32 s10, s10
	s_mul_u64 s[22:23], s[20:21], s[10:11]
	s_delay_alu instid0(SALU_CYCLE_1)
	s_mul_hi_u32 s77, s10, s23
	s_mul_i32 s76, s10, s23
	s_mul_hi_u32 s28, s10, s22
	s_mul_i32 s79, s11, s22
	s_add_nc_u64 s[76:77], s[28:29], s[76:77]
	s_mul_hi_u32 s78, s11, s22
	s_mul_hi_u32 s91, s11, s23
	s_mul_i32 s22, s11, s23
	s_add_co_u32 s23, s76, s79
	s_add_co_ci_u32 s28, s77, s78
	s_add_co_ci_u32 s23, s91, 0
	s_delay_alu instid0(SALU_CYCLE_1) | instskip(NEXT) | instid1(SALU_CYCLE_1)
	s_add_nc_u64 s[22:23], s[28:29], s[22:23]
	s_add_co_u32 s10, s10, s22
	s_cselect_b32 s22, -1, 0
	s_delay_alu instid0(SALU_CYCLE_1) | instskip(SKIP_1) | instid1(SALU_CYCLE_1)
	s_cmp_lg_u32 s22, 0
	s_add_co_ci_u32 s11, s11, s23
	s_mul_u64 s[20:21], s[20:21], s[10:11]
	s_delay_alu instid0(SALU_CYCLE_1)
	s_mul_hi_u32 s23, s10, s21
	s_mul_i32 s22, s10, s21
	s_mul_hi_u32 s28, s10, s20
	s_mul_i32 s77, s11, s20
	s_add_nc_u64 s[22:23], s[28:29], s[22:23]
	s_mul_hi_u32 s76, s11, s20
	s_mul_hi_u32 s78, s11, s21
	s_mul_i32 s20, s11, s21
	s_add_co_u32 s21, s22, s77
	s_add_co_ci_u32 s28, s23, s76
	s_add_co_ci_u32 s21, s78, 0
	s_delay_alu instid0(SALU_CYCLE_1) | instskip(NEXT) | instid1(SALU_CYCLE_1)
	s_add_nc_u64 s[20:21], s[28:29], s[20:21]
	s_add_co_u32 s10, s10, s20
	s_cselect_b32 s20, -1, 0
	s_mul_hi_u32 s28, s66, s10
	s_cmp_lg_u32 s20, 0
	s_mul_hi_u32 s22, s67, s10
	s_add_co_ci_u32 s20, s11, s21
	s_mul_i32 s21, s67, s10
	s_mul_hi_u32 s11, s66, s20
	s_mul_i32 s10, s66, s20
	s_mul_hi_u32 s23, s67, s20
	s_add_nc_u64 s[10:11], s[28:29], s[10:11]
	s_mul_i32 s20, s67, s20
	s_add_co_u32 s10, s10, s21
	s_add_co_ci_u32 s28, s11, s22
	s_add_co_ci_u32 s21, s23, 0
	s_delay_alu instid0(SALU_CYCLE_1) | instskip(NEXT) | instid1(SALU_CYCLE_1)
	s_add_nc_u64 s[10:11], s[28:29], s[20:21]
	s_and_b64 s[20:21], s[10:11], 0xffffffff00000000
	s_delay_alu instid0(SALU_CYCLE_1) | instskip(NEXT) | instid1(SALU_CYCLE_1)
	s_or_b32 s20, s20, s10
	s_mul_u64 s[10:11], s[40:41], s[20:21]
	s_delay_alu instid0(SALU_CYCLE_1) | instskip(SKIP_1) | instid1(SALU_CYCLE_1)
	s_sub_co_u32 s10, s66, s10
	s_cselect_b32 s20, -1, 0
	s_cmp_lg_u32 s20, 0
	s_sub_co_ci_u32 s11, s67, s11
	s_sub_co_u32 s20, s10, s40
	s_cselect_b32 s21, -1, 0
	s_delay_alu instid0(SALU_CYCLE_1) | instskip(SKIP_3) | instid1(SALU_CYCLE_1)
	s_cmp_lg_u32 s21, 0
	s_sub_co_ci_u32 s21, s11, 0
	s_sub_co_u32 s22, s20, s40
	s_cselect_b32 s23, -1, 0
	s_cmp_lg_u32 s23, 0
	s_sub_co_ci_u32 s23, s21, 0
	s_cmp_ge_u32 s20, s40
	s_cselect_b32 s28, -1, 0
	s_cmp_eq_u32 s21, 0
	s_cselect_b32 s28, s28, -1
	s_delay_alu instid0(SALU_CYCLE_1)
	s_cmp_lg_u32 s28, 0
	s_cselect_b32 s21, s23, s21
	s_cselect_b32 s20, s22, s20
	s_cmp_ge_u32 s10, s40
	s_cselect_b32 s22, -1, 0
	s_cmp_eq_u32 s11, 0
	s_cselect_b32 s22, s22, -1
	s_delay_alu instid0(SALU_CYCLE_1)
	s_cmp_lg_u32 s22, 0
	s_cselect_b32 s11, s21, s11
	s_cselect_b32 s10, s20, s10
	s_cbranch_execnz .LBB177_217
.LBB177_216:                            ;   in Loop: Header=BB177_31 Depth=1
	v_cvt_f32_u32_e32 v4, s40
	s_sub_co_i32 s11, 0, s40
	s_delay_alu instid0(VALU_DEP_1) | instskip(SKIP_1) | instid1(TRANS32_DEP_1)
	v_rcp_iflag_f32_e32 v4, v4
	v_nop
	v_mul_f32_e32 v4, 0x4f7ffffe, v4
	s_delay_alu instid0(VALU_DEP_1) | instskip(NEXT) | instid1(VALU_DEP_1)
	v_cvt_u32_f32_e32 v4, v4
	v_readfirstlane_b32 s10, v4
	s_mul_i32 s11, s11, s10
	s_delay_alu instid0(SALU_CYCLE_1) | instskip(NEXT) | instid1(SALU_CYCLE_1)
	s_mul_hi_u32 s11, s10, s11
	s_add_co_i32 s10, s10, s11
	s_delay_alu instid0(SALU_CYCLE_1) | instskip(NEXT) | instid1(SALU_CYCLE_1)
	s_mul_hi_u32 s10, s66, s10
	s_mul_i32 s10, s10, s40
	s_delay_alu instid0(SALU_CYCLE_1) | instskip(NEXT) | instid1(SALU_CYCLE_1)
	s_sub_co_i32 s10, s66, s10
	s_sub_co_i32 s11, s10, s40
	s_cmp_ge_u32 s10, s40
	s_cselect_b32 s10, s11, s10
	s_delay_alu instid0(SALU_CYCLE_1) | instskip(SKIP_2) | instid1(SALU_CYCLE_1)
	s_sub_co_i32 s11, s10, s40
	s_cmp_ge_u32 s10, s40
	s_cselect_b32 s28, s11, s10
	s_mov_b64 s[10:11], s[28:29]
.LBB177_217:                            ;   in Loop: Header=BB177_31 Depth=1
	s_delay_alu instid0(SALU_CYCLE_1)
	s_sub_nc_u64 s[10:11], s[66:67], s[10:11]
	s_mov_b32 s20, exec_lo
                                        ; implicit-def: $vgpr8
	v_nop
	v_cmpx_gt_u64_e64 s[10:11], v[0:1]
	s_cbranch_execz .LBB177_226
; %bb.218:                              ;   in Loop: Header=BB177_31 Depth=1
	v_mov_b64_e32 v[4:5], v[30:31]
	v_mov_b64_e32 v[8:9], v[0:1]
	s_mov_b32 s21, 0
                                        ; implicit-def: $sgpr22
	s_branch .LBB177_221
.LBB177_219:                            ;   in Loop: Header=BB177_221 Depth=2
	s_or_b32 exec_lo, exec_lo, s23
	s_wait_dscnt 0x0
	s_barrier_signal -1
	s_barrier_wait -1
	ds_load_b32 v34, v3 offset:3072
	s_mov_b32 s23, -1
	s_mov_b32 s28, -1
	s_wait_dscnt 0x0
	s_barrier_signal -1
	s_barrier_wait -1
	v_and_b32_e32 v35, 0xffff, v34
	s_delay_alu instid0(VALU_DEP_1)
	v_cmp_eq_u32_e32 vcc_lo, 0, v35
	s_cbranch_vccnz .LBB177_224
.LBB177_220:                            ;   in Loop: Header=BB177_221 Depth=2
	s_and_b32 s23, exec_lo, s23
	s_delay_alu instid0(SALU_CYCLE_1) | instskip(SKIP_2) | instid1(SALU_CYCLE_1)
	s_or_b32 s21, s23, s21
	s_and_not1_b32 s22, s22, exec_lo
	s_and_b32 s23, s28, exec_lo
	s_or_b32 s22, s22, s23
	s_and_not1_b32 exec_lo, exec_lo, s21
	s_cbranch_execz .LBB177_225
.LBB177_221:                            ;   Parent Loop BB177_31 Depth=1
                                        ; =>  This Inner Loop Header: Depth=2
	s_mov_b32 s23, exec_lo
	s_delay_alu instid0(VALU_DEP_1)
	v_cmpx_gt_u64_e64 s[36:37], v[8:9]
	s_cbranch_execz .LBB177_219
; %bb.222:                              ;   in Loop: Header=BB177_221 Depth=2
	global_load_u16 v34, v[4:5], off
	s_wait_loadcnt 0x0
	v_bfe_i32 v35, v34, 0, 16
	s_delay_alu instid0(VALU_DEP_1) | instskip(NEXT) | instid1(VALU_DEP_1)
	v_add_nc_u32_e32 v35, 0x8000, v35
	v_and_b32_e32 v35, v35, v11
	s_delay_alu instid0(VALU_DEP_1)
	v_cmp_eq_u32_e32 vcc_lo, v35, v10
	s_and_b32 exec_lo, exec_lo, vcc_lo
	s_cbranch_execz .LBB177_219
; %bb.223:                              ;   in Loop: Header=BB177_221 Depth=2
	v_perm_b32 v34, v34, 1, 0x5040100
	ds_store_b32 v3, v34 offset:3072
	s_branch .LBB177_219
.LBB177_224:                            ;   in Loop: Header=BB177_221 Depth=2
	v_add_nc_u64_e32 v[8:9], s[40:41], v[8:9]
	v_add_nc_u64_e32 v[4:5], s[44:45], v[4:5]
	s_mov_b32 s28, 0
	s_delay_alu instid0(VALU_DEP_2)
	v_cmp_le_u64_e32 vcc_lo, s[10:11], v[8:9]
	s_or_not1_b32 s23, vcc_lo, exec_lo
	s_branch .LBB177_220
.LBB177_225:                            ;   in Loop: Header=BB177_31 Depth=1
	s_or_b32 exec_lo, exec_lo, s21
	v_lshrrev_b32_e32 v8, 16, v34
	s_and_not1_b32 s3, s3, exec_lo
	s_and_b32 s10, s22, exec_lo
	s_delay_alu instid0(SALU_CYCLE_1)
	s_or_b32 s3, s3, s10
.LBB177_226:                            ;   in Loop: Header=BB177_31 Depth=1
	s_or_b32 exec_lo, exec_lo, s20
	s_mov_b32 s91, 0
	s_mov_b32 s92, -1
.LBB177_227:                            ;   in Loop: Header=BB177_31 Depth=1
	s_or_not1_b32 s3, s3, exec_lo
.LBB177_228:                            ;   in Loop: Header=BB177_31 Depth=1
	s_or_b32 exec_lo, exec_lo, s93
	s_mov_b32 s10, 0
	s_and_saveexec_b32 s93, s3
	s_cbranch_execz .LBB177_290
; %bb.229:                              ;   in Loop: Header=BB177_31 Depth=1
	v_mov_b64_e32 v[4:5], 1
	v_mov_b32_e32 v2, 1
	s_xor_b32 s10, s94, -1
	s_mov_b32 s11, 0
	s_and_saveexec_b32 s3, s10
	s_cbranch_execz .LBB177_238
; %bb.230:                              ;   in Loop: Header=BB177_31 Depth=1
	s_mov_b32 s10, exec_lo
	v_cmpx_ge_u64_e64 s[16:17], v[6:7]
	s_xor_b32 s10, exec_lo, s10
	s_cbranch_execz .LBB177_235
; %bb.231:                              ;   in Loop: Header=BB177_31 Depth=1
	ds_load_b64 v[4:5], v3 offset:5120
	s_lshl_b32 s11, 2, s53
	v_or_b32_e32 v11, s24, v11
	v_and_or_b32 v10, v10, s25, s11
	s_wait_dscnt 0x0
	v_cmp_ne_u64_e32 vcc_lo, 0, v[4:5]
	s_cbranch_vccnz .LBB177_235
; %bb.232:                              ;   in Loop: Header=BB177_31 Depth=1
	s_and_saveexec_b32 s11, s5
; %bb.233:                              ;   in Loop: Header=BB177_31 Depth=1
	v_mov_b64_e32 v[4:5], s[16:17]
	ds_store_b64 v3, v[4:5] offset:5128
; %bb.234:                              ;   in Loop: Header=BB177_31 Depth=1
	s_or_b32 exec_lo, exec_lo, s11
	s_wait_dscnt 0x0
	s_barrier_signal -1
	s_barrier_wait -1
.LBB177_235:                            ;   in Loop: Header=BB177_31 Depth=1
	s_or_saveexec_b32 s10, s10
	v_mov_b32_e32 v2, 8
	s_mov_b32 s11, 0
	s_xor_b32 exec_lo, exec_lo, s10
; %bb.236:                              ;   in Loop: Header=BB177_31 Depth=1
	v_sub_nc_u64_e64 v[6:7], v[6:7], s[16:17]
	v_mov_b32_e32 v2, 0
	s_mov_b32 s11, exec_lo
; %bb.237:                              ;   in Loop: Header=BB177_31 Depth=1
	s_or_b32 exec_lo, exec_lo, s10
	s_delay_alu instid0(VALU_DEP_2)
	v_mov_b64_e32 v[4:5], v[6:7]
	s_and_b32 s11, s11, exec_lo
.LBB177_238:                            ;   in Loop: Header=BB177_31 Depth=1
	s_or_b32 exec_lo, exec_lo, s3
	s_mov_b32 s10, -1
                                        ; implicit-def: $sgpr3
                                        ; implicit-def: $sgpr28
	s_and_saveexec_b32 s94, s11
	s_cbranch_execz .LBB177_289
; %bb.239:                              ;   in Loop: Header=BB177_31 Depth=1
	s_delay_alu instid0(VALU_DEP_1) | instskip(SKIP_3) | instid1(SALU_CYCLE_1)
	v_cmp_eq_u64_e32 vcc_lo, 1, v[4:5]
	s_cmp_eq_u64 s[18:19], 1
	s_mov_b32 s11, -1
	s_cselect_b32 s3, -1, 0
                                        ; implicit-def: $sgpr28
	s_and_b32 s96, s3, vcc_lo
                                        ; implicit-def: $sgpr3
	s_delay_alu instid0(SALU_CYCLE_1)
	s_and_saveexec_b32 s104, s96
	s_cbranch_execz .LBB177_277
; %bb.240:                              ;   in Loop: Header=BB177_31 Depth=1
	ds_load_b64 v[6:7], v3 offset:5120
	s_wait_dscnt 0x0
	s_barrier_signal -1
	s_barrier_wait -1
	v_readfirstlane_b32 s10, v6
	v_readfirstlane_b32 s11, v7
	s_and_saveexec_b32 s3, s6
; %bb.241:                              ;   in Loop: Header=BB177_31 Depth=1
	ds_store_b16 v47, v3
; %bb.242:                              ;   in Loop: Header=BB177_31 Depth=1
	s_or_b32 exec_lo, exec_lo, s3
	v_or_b32_e32 v10, s24, v10
	v_or_b32_e32 v11, s24, v11
	s_mov_b32 s28, -1
	s_mov_b32 s3, 0
	s_cmp_eq_u64 s[10:11], 0
	s_mov_b32 s22, 0
	s_mov_b32 s23, -1
	s_wait_dscnt 0x0
	s_barrier_signal -1
	s_barrier_wait -1
                                        ; implicit-def: $vgpr8
	s_cbranch_scc1 .LBB177_260
; %bb.243:                              ;   in Loop: Header=BB177_31 Depth=1
	s_add_nc_u64 s[20:21], s[10:11], s[64:65]
	v_writelane_b32 v62, s96, 23
	s_and_b64 s[22:23], s[20:21], 0xffffffff00000000
	s_delay_alu instid0(SALU_CYCLE_1)
	s_cmp_lg_u64 s[22:23], 0
	s_cbranch_scc0 .LBB177_247
; %bb.244:                              ;   in Loop: Header=BB177_31 Depth=1
	s_cvt_f32_u32 s22, s40
	s_sub_nc_u64 s[76:77], 0, s[40:41]
	s_delay_alu instid0(SALU_CYCLE_2) | instskip(NEXT) | instid1(SALU_CYCLE_3)
	s_fmamk_f32 s22, s52, 0x0, s22
	v_s_rcp_f32 s22, s22
	s_delay_alu instid0(TRANS32_DEP_1) | instskip(NEXT) | instid1(SALU_CYCLE_3)
	s_mul_f32 s22, s22, 0x5f7ffffc
	s_mul_f32 s23, s22, 0x2f800000
	s_delay_alu instid0(SALU_CYCLE_3) | instskip(NEXT) | instid1(SALU_CYCLE_3)
	s_trunc_f32 s23, s23
	s_fmamk_f32 s22, s23, 0xcf800000, s22
	s_cvt_u32_f32 s23, s23
	s_delay_alu instid0(SALU_CYCLE_2) | instskip(NEXT) | instid1(SALU_CYCLE_3)
	s_cvt_u32_f32 s22, s22
	s_mul_u64 s[78:79], s[76:77], s[22:23]
	s_delay_alu instid0(SALU_CYCLE_1)
	s_mul_hi_u32 s97, s22, s79
	s_mul_i32 s96, s22, s79
	s_mul_hi_u32 s28, s22, s78
	s_mul_i32 s101, s23, s78
	s_add_nc_u64 s[96:97], s[28:29], s[96:97]
	s_mul_hi_u32 s95, s23, s78
	s_mul_hi_u32 s102, s23, s79
	s_add_co_u32 s28, s96, s101
	s_add_co_ci_u32 s28, s97, s95
	s_mul_i32 s78, s23, s79
	s_add_co_ci_u32 s79, s102, 0
	s_delay_alu instid0(SALU_CYCLE_1) | instskip(NEXT) | instid1(SALU_CYCLE_1)
	s_add_nc_u64 s[78:79], s[28:29], s[78:79]
	s_add_co_u32 s22, s22, s78
	s_cselect_b32 s28, -1, 0
	s_delay_alu instid0(SALU_CYCLE_1) | instskip(SKIP_1) | instid1(SALU_CYCLE_1)
	s_cmp_lg_u32 s28, 0
	s_add_co_ci_u32 s23, s23, s79
	s_mul_u64 s[76:77], s[76:77], s[22:23]
	s_delay_alu instid0(SALU_CYCLE_1)
	s_mul_hi_u32 s79, s22, s77
	s_mul_i32 s78, s22, s77
	s_mul_hi_u32 s28, s22, s76
	s_mul_i32 s96, s23, s76
	s_add_nc_u64 s[78:79], s[28:29], s[78:79]
	s_mul_hi_u32 s95, s23, s76
	s_mul_hi_u32 s97, s23, s77
	s_add_co_u32 s28, s78, s96
	s_add_co_ci_u32 s28, s79, s95
	s_mul_i32 s76, s23, s77
	s_add_co_ci_u32 s77, s97, 0
	s_delay_alu instid0(SALU_CYCLE_1) | instskip(NEXT) | instid1(SALU_CYCLE_1)
	s_add_nc_u64 s[76:77], s[28:29], s[76:77]
	s_add_co_u32 s22, s22, s76
	s_cselect_b32 s76, -1, 0
	s_mul_hi_u32 s28, s20, s22
	s_cmp_lg_u32 s76, 0
	s_mul_hi_u32 s78, s21, s22
	s_add_co_ci_u32 s76, s23, s77
	s_mul_i32 s77, s21, s22
	s_mul_hi_u32 s23, s20, s76
	s_mul_i32 s22, s20, s76
	s_mul_hi_u32 s79, s21, s76
	s_add_nc_u64 s[22:23], s[28:29], s[22:23]
	s_mul_i32 s76, s21, s76
	s_add_co_u32 s22, s22, s77
	s_add_co_ci_u32 s28, s23, s78
	s_add_co_ci_u32 s77, s79, 0
	s_delay_alu instid0(SALU_CYCLE_1) | instskip(NEXT) | instid1(SALU_CYCLE_1)
	s_add_nc_u64 s[22:23], s[28:29], s[76:77]
	s_and_b64 s[76:77], s[22:23], 0xffffffff00000000
	s_delay_alu instid0(SALU_CYCLE_1) | instskip(NEXT) | instid1(SALU_CYCLE_1)
	s_or_b32 s76, s76, s22
	s_mul_u64 s[22:23], s[40:41], s[76:77]
	s_delay_alu instid0(SALU_CYCLE_1) | instskip(SKIP_1) | instid1(SALU_CYCLE_1)
	s_sub_co_u32 s22, s20, s22
	s_cselect_b32 s28, -1, 0
	s_cmp_lg_u32 s28, 0
	s_sub_co_ci_u32 s23, s21, s23
	s_sub_co_u32 s28, s22, s40
	s_cselect_b32 s76, -1, 0
	s_delay_alu instid0(SALU_CYCLE_1) | instskip(SKIP_3) | instid1(SALU_CYCLE_1)
	s_cmp_lg_u32 s76, 0
	s_sub_co_ci_u32 s76, s23, 0
	s_sub_co_u32 s77, s28, s40
	s_cselect_b32 s78, -1, 0
	s_cmp_lg_u32 s78, 0
	s_sub_co_ci_u32 s78, s76, 0
	s_cmp_ge_u32 s28, s40
	s_cselect_b32 s79, -1, 0
	s_cmp_eq_u32 s76, 0
	s_cselect_b32 s79, s79, -1
	s_delay_alu instid0(SALU_CYCLE_1)
	s_cmp_lg_u32 s79, 0
	s_cselect_b32 s76, s78, s76
	s_cselect_b32 s28, s77, s28
	s_cmp_ge_u32 s22, s40
	s_cselect_b32 s77, -1, 0
	s_cmp_eq_u32 s23, 0
	s_cselect_b32 s77, s77, -1
	s_delay_alu instid0(SALU_CYCLE_1)
	s_cmp_lg_u32 s77, 0
	s_cselect_b32 s23, s76, s23
	s_cselect_b32 s22, s28, s22
	s_mov_b32 s28, 0
	s_branch .LBB177_248
.LBB177_245:                            ;   in Loop: Header=BB177_31 Depth=1
                                        ; implicit-def: $sgpr22_sgpr23
	s_branch .LBB177_200
.LBB177_246:                            ;   in Loop: Header=BB177_31 Depth=1
                                        ; implicit-def: $sgpr10_sgpr11
	s_branch .LBB177_216
.LBB177_247:                            ;   in Loop: Header=BB177_31 Depth=1
                                        ; implicit-def: $sgpr22_sgpr23
.LBB177_248:                            ;   in Loop: Header=BB177_31 Depth=1
	s_and_not1_b32 vcc_lo, exec_lo, s28
	s_cbranch_vccnz .LBB177_250
; %bb.249:                              ;   in Loop: Header=BB177_31 Depth=1
	v_cvt_f32_u32_e32 v6, s40
	s_sub_co_i32 s23, 0, s40
	s_delay_alu instid0(VALU_DEP_1) | instskip(SKIP_1) | instid1(TRANS32_DEP_1)
	v_rcp_iflag_f32_e32 v6, v6
	v_nop
	v_mul_f32_e32 v6, 0x4f7ffffe, v6
	s_delay_alu instid0(VALU_DEP_1) | instskip(NEXT) | instid1(VALU_DEP_1)
	v_cvt_u32_f32_e32 v6, v6
	v_readfirstlane_b32 s22, v6
	s_mul_i32 s23, s23, s22
	s_delay_alu instid0(SALU_CYCLE_1) | instskip(NEXT) | instid1(SALU_CYCLE_1)
	s_mul_hi_u32 s23, s22, s23
	s_add_co_i32 s22, s22, s23
	s_delay_alu instid0(SALU_CYCLE_1) | instskip(NEXT) | instid1(SALU_CYCLE_1)
	s_mul_hi_u32 s22, s20, s22
	s_mul_i32 s22, s22, s40
	s_delay_alu instid0(SALU_CYCLE_1) | instskip(NEXT) | instid1(SALU_CYCLE_1)
	s_sub_co_i32 s22, s20, s22
	s_sub_co_i32 s23, s22, s40
	s_cmp_ge_u32 s22, s40
	s_cselect_b32 s22, s23, s22
	s_delay_alu instid0(SALU_CYCLE_1) | instskip(SKIP_2) | instid1(SALU_CYCLE_1)
	s_sub_co_i32 s23, s22, s40
	s_cmp_ge_u32 s22, s40
	s_cselect_b32 s28, s23, s22
	s_mov_b64 s[22:23], s[28:29]
.LBB177_250:                            ;   in Loop: Header=BB177_31 Depth=1
	s_delay_alu instid0(SALU_CYCLE_1)
	s_sub_nc_u64 s[20:21], s[20:21], s[22:23]
	s_mov_b32 s23, 0
	s_mov_b32 s22, 0
	s_mov_b32 s28, exec_lo
                                        ; implicit-def: $vgpr8
	v_cmpx_gt_u64_e64 s[20:21], v[0:1]
	v_readlane_b32 s96, v62, 23
	s_cbranch_execz .LBB177_259
; %bb.251:                              ;   in Loop: Header=BB177_31 Depth=1
	v_mov_b64_e32 v[6:7], v[0:1]
	v_mov_b32_e32 v8, v46
                                        ; implicit-def: $sgpr101
	s_branch .LBB177_254
.LBB177_252:                            ;   in Loop: Header=BB177_254 Depth=2
	s_or_b32 exec_lo, exec_lo, s95
	s_wait_dscnt 0x0
	s_barrier_signal -1
	s_barrier_wait -1
	ds_load_b32 v9, v3 offset:3072
	s_mov_b32 s95, -1
	s_mov_b32 s102, -1
	s_wait_dscnt 0x0
	s_barrier_signal -1
	s_barrier_wait -1
	v_and_b32_e32 v34, 0xffff, v9
	s_delay_alu instid0(VALU_DEP_1)
	v_cmp_ne_u32_e32 vcc_lo, 0, v34
	s_cbranch_vccz .LBB177_257
.LBB177_253:                            ;   in Loop: Header=BB177_254 Depth=2
	s_and_b32 s76, exec_lo, s95
	s_delay_alu instid0(SALU_CYCLE_1) | instskip(SKIP_2) | instid1(SALU_CYCLE_1)
	s_or_b32 s22, s76, s22
	s_and_not1_b32 s76, s101, exec_lo
	s_and_b32 s77, s102, exec_lo
	s_or_b32 s101, s76, s77
	s_and_not1_b32 exec_lo, exec_lo, s22
	s_cbranch_execz .LBB177_258
.LBB177_254:                            ;   Parent Loop BB177_31 Depth=1
                                        ; =>  This Inner Loop Header: Depth=2
	s_mov_b32 s95, exec_lo
	s_delay_alu instid0(VALU_DEP_2)
	v_cmpx_gt_u64_e64 s[10:11], v[6:7]
	s_cbranch_execz .LBB177_252
; %bb.255:                              ;   in Loop: Header=BB177_254 Depth=2
	ds_load_u16 v9, v8
	s_wait_dscnt 0x0
	v_bfe_i32 v34, v9, 0, 16
	s_delay_alu instid0(VALU_DEP_1) | instskip(NEXT) | instid1(VALU_DEP_1)
	v_add_nc_u32_e32 v34, 0x8000, v34
	v_and_b32_e32 v34, v34, v11
	s_delay_alu instid0(VALU_DEP_1)
	v_cmp_eq_u32_e32 vcc_lo, v34, v10
	s_and_b32 exec_lo, exec_lo, vcc_lo
	s_cbranch_execz .LBB177_252
; %bb.256:                              ;   in Loop: Header=BB177_254 Depth=2
	v_perm_b32 v9, v9, 1, 0x5040100
	ds_store_b32 v3, v9 offset:3072
	s_branch .LBB177_252
.LBB177_257:                            ;   in Loop: Header=BB177_254 Depth=2
	v_add_nc_u64_e32 v[6:7], s[40:41], v[6:7]
	v_add_nc_u32_e32 v8, vcc_hi, v8
	s_mov_b32 s102, 0
	s_delay_alu instid0(VALU_DEP_2)
	v_cmp_le_u64_e32 vcc_lo, s[20:21], v[6:7]
	s_or_not1_b32 s95, vcc_lo, exec_lo
	s_branch .LBB177_253
.LBB177_258:                            ;   in Loop: Header=BB177_31 Depth=1
	s_or_b32 exec_lo, exec_lo, s22
	v_lshrrev_b32_e32 v8, 16, v9
	s_and_b32 s22, s101, exec_lo
.LBB177_259:                            ;   in Loop: Header=BB177_31 Depth=1
	s_or_b32 exec_lo, exec_lo, s28
	s_mov_b32 s28, -1
.LBB177_260:                            ;   in Loop: Header=BB177_31 Depth=1
	s_and_b32 vcc_lo, exec_lo, s23
	s_cbranch_vccz .LBB177_276
; %bb.261:                              ;   in Loop: Header=BB177_31 Depth=1
	s_and_b64 s[10:11], s[66:67], 0xffffffff00000000
	s_delay_alu instid0(SALU_CYCLE_1)
	s_cmp_lg_u64 s[10:11], 0
	s_cbranch_scc0 .LBB177_263
; %bb.262:                              ;   in Loop: Header=BB177_31 Depth=1
	s_cvt_f32_u32 s3, s40
	s_sub_nc_u64 s[20:21], 0, s[40:41]
	s_delay_alu instid0(SALU_CYCLE_2) | instskip(NEXT) | instid1(SALU_CYCLE_3)
	s_fmamk_f32 s3, s52, 0x0, s3
	v_s_rcp_f32 s3, s3
	s_delay_alu instid0(TRANS32_DEP_1) | instskip(NEXT) | instid1(SALU_CYCLE_3)
	s_mul_f32 s3, s3, 0x5f7ffffc
	s_mul_f32 s10, s3, 0x2f800000
	s_delay_alu instid0(SALU_CYCLE_3) | instskip(NEXT) | instid1(SALU_CYCLE_3)
	s_trunc_f32 s10, s10
	s_fmamk_f32 s3, s10, 0xcf800000, s3
	s_cvt_u32_f32 s11, s10
	s_delay_alu instid0(SALU_CYCLE_2) | instskip(NEXT) | instid1(SALU_CYCLE_3)
	s_cvt_u32_f32 s10, s3
	s_mul_u64 s[76:77], s[20:21], s[10:11]
	s_delay_alu instid0(SALU_CYCLE_1)
	s_mul_hi_u32 s79, s10, s77
	s_mul_i32 s78, s10, s77
	s_mul_hi_u32 s28, s10, s76
	s_mul_i32 s23, s11, s76
	s_add_nc_u64 s[78:79], s[28:29], s[78:79]
	s_mul_hi_u32 s3, s11, s76
	s_mul_hi_u32 s95, s11, s77
	s_add_co_u32 s23, s78, s23
	s_add_co_ci_u32 s28, s79, s3
	s_mul_i32 s76, s11, s77
	s_add_co_ci_u32 s77, s95, 0
	s_delay_alu instid0(SALU_CYCLE_1) | instskip(NEXT) | instid1(SALU_CYCLE_1)
	s_add_nc_u64 s[76:77], s[28:29], s[76:77]
	s_add_co_u32 s10, s10, s76
	s_cselect_b32 s3, -1, 0
	s_delay_alu instid0(SALU_CYCLE_1) | instskip(SKIP_1) | instid1(SALU_CYCLE_1)
	s_cmp_lg_u32 s3, 0
	s_add_co_ci_u32 s11, s11, s77
	s_mul_u64 s[20:21], s[20:21], s[10:11]
	s_delay_alu instid0(SALU_CYCLE_1)
	s_mul_hi_u32 s77, s10, s21
	s_mul_i32 s76, s10, s21
	s_mul_hi_u32 s28, s10, s20
	s_mul_i32 s23, s11, s20
	s_add_nc_u64 s[76:77], s[28:29], s[76:77]
	s_mul_hi_u32 s3, s11, s20
	s_mul_hi_u32 s78, s11, s21
	s_mul_i32 s20, s11, s21
	s_add_co_u32 s21, s76, s23
	s_add_co_ci_u32 s28, s77, s3
	s_add_co_ci_u32 s21, s78, 0
	s_delay_alu instid0(SALU_CYCLE_1) | instskip(NEXT) | instid1(SALU_CYCLE_1)
	s_add_nc_u64 s[20:21], s[28:29], s[20:21]
	s_add_co_u32 s3, s10, s20
	s_cselect_b32 s10, -1, 0
	s_mul_hi_u32 s28, s66, s3
	s_cmp_lg_u32 s10, 0
	s_mul_hi_u32 s23, s67, s3
	s_add_co_ci_u32 s20, s11, s21
	s_mul_i32 s3, s67, s3
	s_mul_hi_u32 s11, s66, s20
	s_mul_i32 s10, s66, s20
	s_mul_hi_u32 s21, s67, s20
	s_add_nc_u64 s[10:11], s[28:29], s[10:11]
	s_mul_i32 s20, s67, s20
	s_add_co_u32 s3, s10, s3
	s_add_co_ci_u32 s28, s11, s23
	s_add_co_ci_u32 s21, s21, 0
	s_delay_alu instid0(SALU_CYCLE_1) | instskip(NEXT) | instid1(SALU_CYCLE_1)
	s_add_nc_u64 s[10:11], s[28:29], s[20:21]
	s_and_b64 s[20:21], s[10:11], 0xffffffff00000000
	s_delay_alu instid0(SALU_CYCLE_1) | instskip(NEXT) | instid1(SALU_CYCLE_1)
	s_or_b32 s20, s20, s10
	s_mul_u64 s[10:11], s[40:41], s[20:21]
	s_delay_alu instid0(SALU_CYCLE_1) | instskip(SKIP_1) | instid1(SALU_CYCLE_1)
	s_sub_co_u32 s3, s66, s10
	s_cselect_b32 s10, -1, 0
	s_cmp_lg_u32 s10, 0
	s_sub_co_ci_u32 s10, s67, s11
	s_sub_co_u32 s11, s3, s40
	s_cselect_b32 s20, -1, 0
	s_delay_alu instid0(SALU_CYCLE_1) | instskip(SKIP_3) | instid1(SALU_CYCLE_1)
	s_cmp_lg_u32 s20, 0
	s_sub_co_ci_u32 s20, s10, 0
	s_sub_co_u32 s21, s11, s40
	s_cselect_b32 s23, -1, 0
	s_cmp_lg_u32 s23, 0
	s_sub_co_ci_u32 s23, s20, 0
	s_cmp_ge_u32 s11, s40
	s_cselect_b32 s28, -1, 0
	s_cmp_eq_u32 s20, 0
	s_cselect_b32 s28, s28, -1
	s_delay_alu instid0(SALU_CYCLE_1)
	s_cmp_lg_u32 s28, 0
	s_cselect_b32 s20, s23, s20
	s_cselect_b32 s21, s21, s11
	s_cmp_ge_u32 s3, s40
	s_cselect_b32 s11, -1, 0
	s_cmp_eq_u32 s10, 0
	s_cselect_b32 s11, s11, -1
	s_delay_alu instid0(SALU_CYCLE_1)
	s_cmp_lg_u32 s11, 0
	s_cselect_b32 s11, s20, s10
	s_cselect_b32 s10, s21, s3
	s_mov_b32 s3, 0
	s_branch .LBB177_264
.LBB177_263:                            ;   in Loop: Header=BB177_31 Depth=1
	s_mov_b32 s3, -1
                                        ; implicit-def: $sgpr10_sgpr11
.LBB177_264:                            ;   in Loop: Header=BB177_31 Depth=1
	s_delay_alu instid0(SALU_CYCLE_1)
	s_and_not1_b32 vcc_lo, exec_lo, s3
	s_cbranch_vccnz .LBB177_266
; %bb.265:                              ;   in Loop: Header=BB177_31 Depth=1
	v_cvt_f32_u32_e32 v6, s40
	s_sub_co_i32 s10, 0, s40
	s_delay_alu instid0(VALU_DEP_1) | instskip(SKIP_1) | instid1(TRANS32_DEP_1)
	v_rcp_iflag_f32_e32 v6, v6
	v_nop
	v_mul_f32_e32 v6, 0x4f7ffffe, v6
	s_delay_alu instid0(VALU_DEP_1) | instskip(NEXT) | instid1(VALU_DEP_1)
	v_cvt_u32_f32_e32 v6, v6
	v_readfirstlane_b32 s3, v6
	s_mul_i32 s10, s10, s3
	s_delay_alu instid0(SALU_CYCLE_1) | instskip(NEXT) | instid1(SALU_CYCLE_1)
	s_mul_hi_u32 s10, s3, s10
	s_add_co_i32 s3, s3, s10
	s_delay_alu instid0(SALU_CYCLE_1) | instskip(NEXT) | instid1(SALU_CYCLE_1)
	s_mul_hi_u32 s3, s66, s3
	s_mul_i32 s3, s3, s40
	s_delay_alu instid0(SALU_CYCLE_1) | instskip(NEXT) | instid1(SALU_CYCLE_1)
	s_sub_co_i32 s3, s66, s3
	s_sub_co_i32 s10, s3, s40
	s_cmp_ge_u32 s3, s40
	s_cselect_b32 s3, s10, s3
	s_delay_alu instid0(SALU_CYCLE_1) | instskip(SKIP_2) | instid1(SALU_CYCLE_1)
	s_sub_co_i32 s10, s3, s40
	s_cmp_ge_u32 s3, s40
	s_cselect_b32 s28, s10, s3
	s_mov_b64 s[10:11], s[28:29]
.LBB177_266:                            ;   in Loop: Header=BB177_31 Depth=1
	s_delay_alu instid0(SALU_CYCLE_1)
	s_sub_nc_u64 s[10:11], s[66:67], s[10:11]
	s_mov_b32 s3, exec_lo
                                        ; implicit-def: $vgpr8
	v_cmpx_gt_u64_e64 s[10:11], v[0:1]
	s_cbranch_execz .LBB177_275
; %bb.267:                              ;   in Loop: Header=BB177_31 Depth=1
	v_mov_b64_e32 v[6:7], v[30:31]
	v_mov_b64_e32 v[8:9], v[0:1]
	s_mov_b32 s20, 0
                                        ; implicit-def: $sgpr21
	s_branch .LBB177_270
.LBB177_268:                            ;   in Loop: Header=BB177_270 Depth=2
	s_or_b32 exec_lo, exec_lo, s23
	s_wait_dscnt 0x0
	s_barrier_signal -1
	s_barrier_wait -1
	ds_load_b32 v34, v3 offset:3072
	s_mov_b32 s23, -1
	s_mov_b32 s28, -1
	s_wait_dscnt 0x0
	s_barrier_signal -1
	s_barrier_wait -1
	v_and_b32_e32 v35, 0xffff, v34
	s_delay_alu instid0(VALU_DEP_1)
	v_cmp_eq_u32_e32 vcc_lo, 0, v35
	s_cbranch_vccnz .LBB177_273
.LBB177_269:                            ;   in Loop: Header=BB177_270 Depth=2
	s_and_b32 s23, exec_lo, s23
	s_delay_alu instid0(SALU_CYCLE_1) | instskip(SKIP_2) | instid1(SALU_CYCLE_1)
	s_or_b32 s20, s23, s20
	s_and_not1_b32 s21, s21, exec_lo
	s_and_b32 s23, s28, exec_lo
	s_or_b32 s21, s21, s23
	s_and_not1_b32 exec_lo, exec_lo, s20
	s_cbranch_execz .LBB177_274
.LBB177_270:                            ;   Parent Loop BB177_31 Depth=1
                                        ; =>  This Inner Loop Header: Depth=2
	s_mov_b32 s23, exec_lo
	s_delay_alu instid0(VALU_DEP_1)
	v_cmpx_gt_u64_e64 s[36:37], v[8:9]
	s_cbranch_execz .LBB177_268
; %bb.271:                              ;   in Loop: Header=BB177_270 Depth=2
	global_load_u16 v34, v[6:7], off
	s_wait_loadcnt 0x0
	v_bfe_i32 v35, v34, 0, 16
	s_delay_alu instid0(VALU_DEP_1) | instskip(NEXT) | instid1(VALU_DEP_1)
	v_add_nc_u32_e32 v35, 0x8000, v35
	v_and_b32_e32 v35, v35, v11
	s_delay_alu instid0(VALU_DEP_1)
	v_cmp_eq_u32_e32 vcc_lo, v35, v10
	s_and_b32 exec_lo, exec_lo, vcc_lo
	s_cbranch_execz .LBB177_268
; %bb.272:                              ;   in Loop: Header=BB177_270 Depth=2
	v_perm_b32 v34, v34, 1, 0x5040100
	ds_store_b32 v3, v34 offset:3072
	s_branch .LBB177_268
.LBB177_273:                            ;   in Loop: Header=BB177_270 Depth=2
	v_add_nc_u64_e32 v[8:9], s[40:41], v[8:9]
	v_add_nc_u64_e32 v[6:7], s[44:45], v[6:7]
	s_mov_b32 s28, 0
	s_delay_alu instid0(VALU_DEP_2)
	v_cmp_le_u64_e32 vcc_lo, s[10:11], v[8:9]
	s_or_not1_b32 s23, vcc_lo, exec_lo
	s_branch .LBB177_269
.LBB177_274:                            ;   in Loop: Header=BB177_31 Depth=1
	s_or_b32 exec_lo, exec_lo, s20
	v_lshrrev_b32_e32 v8, 16, v34
	s_and_not1_b32 s10, s22, exec_lo
	s_and_b32 s11, s21, exec_lo
	s_delay_alu instid0(SALU_CYCLE_1)
	s_or_b32 s22, s10, s11
.LBB177_275:                            ;   in Loop: Header=BB177_31 Depth=1
	s_or_b32 exec_lo, exec_lo, s3
	s_mov_b32 s28, 0
	s_mov_b32 s3, -1
.LBB177_276:                            ;   in Loop: Header=BB177_31 Depth=1
	s_or_not1_b32 s11, s22, exec_lo
.LBB177_277:                            ;   in Loop: Header=BB177_31 Depth=1
	s_or_b32 exec_lo, exec_lo, s104
	s_mov_b32 s20, 0
	s_and_saveexec_b32 s10, s11
	s_cbranch_execz .LBB177_288
; %bb.278:                              ;   in Loop: Header=BB177_31 Depth=1
	v_mov_b64_e32 v[6:7], 1
	v_mov_b32_e32 v2, 1
	s_xor_b32 s20, s96, -1
	s_delay_alu instid0(SALU_CYCLE_1)
	s_and_saveexec_b32 s11, s20
	s_cbranch_execz .LBB177_287
; %bb.279:                              ;   in Loop: Header=BB177_31 Depth=1
	s_mov_b32 s20, exec_lo
	v_cmpx_ge_u64_e64 s[18:19], v[4:5]
	s_xor_b32 s20, exec_lo, s20
	s_cbranch_execz .LBB177_284
; %bb.280:                              ;   in Loop: Header=BB177_31 Depth=1
	ds_load_b64 v[6:7], v3 offset:5120
	v_or_b32_e32 v10, s24, v10
	v_or_b32_e32 v11, s24, v11
	s_wait_dscnt 0x0
	v_cmp_ne_u64_e32 vcc_lo, 0, v[6:7]
	s_cbranch_vccnz .LBB177_284
; %bb.281:                              ;   in Loop: Header=BB177_31 Depth=1
	s_and_saveexec_b32 s21, s5
; %bb.282:                              ;   in Loop: Header=BB177_31 Depth=1
	v_mov_b64_e32 v[6:7], s[18:19]
	ds_store_b64 v3, v[6:7] offset:5128
; %bb.283:                              ;   in Loop: Header=BB177_31 Depth=1
	s_or_b32 exec_lo, exec_lo, s21
	s_wait_dscnt 0x0
	s_barrier_signal -1
	s_barrier_wait -1
.LBB177_284:                            ;   in Loop: Header=BB177_31 Depth=1
	s_and_not1_saveexec_b32 s20, s20
; %bb.285:                              ;   in Loop: Header=BB177_31 Depth=1
	v_sub_nc_u64_e64 v[4:5], v[4:5], s[18:19]
; %bb.286:                              ;   in Loop: Header=BB177_31 Depth=1
	s_or_b32 exec_lo, exec_lo, s20
	s_delay_alu instid0(VALU_DEP_1)
	v_mov_b64_e32 v[6:7], v[4:5]
	v_mov_b32_e32 v2, 8
.LBB177_287:                            ;   in Loop: Header=BB177_31 Depth=1
	s_or_b32 exec_lo, exec_lo, s11
	s_delay_alu instid0(VALU_DEP_2)
	v_mov_b64_e32 v[4:5], v[6:7]
	s_mov_b32 s20, exec_lo
.LBB177_288:                            ;   in Loop: Header=BB177_31 Depth=1
	s_or_b32 exec_lo, exec_lo, s10
	s_delay_alu instid0(SALU_CYCLE_1)
	s_or_not1_b32 s10, s20, exec_lo
.LBB177_289:                            ;   in Loop: Header=BB177_31 Depth=1
	s_or_b32 exec_lo, exec_lo, s94
	s_delay_alu instid0(VALU_DEP_1)
	v_mov_b64_e32 v[6:7], v[4:5]
	s_and_not1_b32 s11, s92, exec_lo
	s_and_b32 s3, s3, exec_lo
	s_and_not1_b32 s20, s91, exec_lo
	s_and_b32 s21, s28, exec_lo
	s_or_b32 s92, s11, s3
	s_or_b32 s91, s20, s21
	s_and_b32 s10, s10, exec_lo
.LBB177_290:                            ;   in Loop: Header=BB177_31 Depth=1
	s_or_b32 exec_lo, exec_lo, s93
	s_delay_alu instid0(SALU_CYCLE_1)
	s_or_not1_b32 s3, s10, exec_lo
.LBB177_291:                            ;   in Loop: Header=BB177_31 Depth=1
	s_or_b32 exec_lo, exec_lo, s90
	v_mov_b64_e32 v[4:5], v[6:7]
	s_and_not1_b32 s10, s88, exec_lo
	s_and_b32 s11, s92, exec_lo
	s_and_not1_b32 s20, s75, exec_lo
	s_and_b32 s21, s91, exec_lo
	s_or_b32 s88, s10, s11
	s_or_b32 s75, s20, s21
	s_and_b32 s10, s3, exec_lo
.LBB177_292:                            ;   in Loop: Header=BB177_31 Depth=1
	s_or_b32 exec_lo, exec_lo, s89
	s_delay_alu instid0(SALU_CYCLE_1)
	s_or_not1_b32 s3, s10, exec_lo
.LBB177_293:                            ;   in Loop: Header=BB177_31 Depth=1
	s_or_b32 exec_lo, exec_lo, s27
	s_mov_b32 s10, 0
	s_mov_b32 s11, 0
	s_and_saveexec_b32 s20, s3
	s_delay_alu instid0(SALU_CYCLE_1)
	s_xor_b32 s3, exec_lo, s20
; %bb.294:                              ;   in Loop: Header=BB177_31 Depth=1
	v_cmp_ne_u32_e32 vcc_lo, 8, v2
	v_cmp_eq_u32_e64 s10, 8, v2
	s_and_b32 s11, vcc_lo, exec_lo
	s_and_b32 s10, s10, exec_lo
; %bb.295:                              ;   in Loop: Header=BB177_31 Depth=1
	s_or_b32 exec_lo, exec_lo, s3
	s_delay_alu instid0(SALU_CYCLE_1)
	s_and_not1_b32 s3, s85, exec_lo
	s_and_b32 s20, s88, exec_lo
	s_and_not1_b32 s21, s84, exec_lo
	s_and_b32 s22, s75, exec_lo
	s_or_b32 s85, s3, s20
	s_or_b32 s84, s21, s22
	s_and_b32 s27, s11, exec_lo
	s_and_b32 s75, s10, exec_lo
.LBB177_296:                            ;   in Loop: Header=BB177_31 Depth=1
	s_or_b32 exec_lo, exec_lo, s87
.LBB177_297:                            ;   in Loop: Header=BB177_31 Depth=1
	s_delay_alu instid0(SALU_CYCLE_1)
	s_and_b32 vcc_lo, exec_lo, s86
	s_cbranch_vccz .LBB177_313
; %bb.298:                              ;   in Loop: Header=BB177_31 Depth=1
	s_cmp_eq_u64 s[18:19], 1
                                        ; implicit-def: $sgpr86
                                        ; implicit-def: $sgpr26
	s_cselect_b32 s3, -1, 0
	s_delay_alu instid0(SALU_CYCLE_1)
	s_and_b32 s9, s3, s9
	s_mov_b32 s3, -1
	s_and_saveexec_b32 s84, s9
	s_cbranch_execz .LBB177_331
; %bb.299:                              ;   in Loop: Header=BB177_31 Depth=1
	ds_load_b64 v[4:5], v3 offset:5120
	s_wait_dscnt 0x0
	s_barrier_signal -1
	s_barrier_wait -1
	v_readfirstlane_b32 s10, v4
	v_readfirstlane_b32 s11, v5
	s_and_saveexec_b32 s3, s6
; %bb.300:                              ;   in Loop: Header=BB177_31 Depth=1
	ds_store_b16 v47, v3
; %bb.301:                              ;   in Loop: Header=BB177_31 Depth=1
	s_or_b32 exec_lo, exec_lo, s3
	v_or_b32_e32 v50, s24, v50
	v_or_b32_e32 v52, s24, v52
	s_mov_b32 s26, -1
	s_mov_b32 s86, 0
	s_cmp_eq_u64 s[10:11], 0
	s_mov_b32 s3, 0
	s_mov_b32 s22, -1
	s_wait_dscnt 0x0
	s_barrier_signal -1
	s_barrier_wait -1
                                        ; implicit-def: $vgpr53
	s_cbranch_scc1 .LBB177_316
; %bb.302:                              ;   in Loop: Header=BB177_31 Depth=1
	s_add_nc_u64 s[20:21], s[10:11], s[64:65]
	s_delay_alu instid0(SALU_CYCLE_1) | instskip(NEXT) | instid1(SALU_CYCLE_1)
	s_and_b64 s[22:23], s[20:21], 0xffffffff00000000
	s_cmp_lg_u64 s[22:23], 0
	s_cbranch_scc0 .LBB177_357
; %bb.303:                              ;   in Loop: Header=BB177_31 Depth=1
	s_cvt_f32_u32 s3, s40
	s_sub_nc_u64 s[88:89], 0, s[40:41]
	s_delay_alu instid0(SALU_CYCLE_2) | instskip(NEXT) | instid1(SALU_CYCLE_3)
	s_fmamk_f32 s3, s52, 0x0, s3
	v_s_rcp_f32 s3, s3
	s_delay_alu instid0(TRANS32_DEP_1) | instskip(NEXT) | instid1(SALU_CYCLE_3)
	s_mul_f32 s3, s3, 0x5f7ffffc
	s_mul_f32 s22, s3, 0x2f800000
	s_delay_alu instid0(SALU_CYCLE_3) | instskip(NEXT) | instid1(SALU_CYCLE_3)
	s_trunc_f32 s22, s22
	s_fmamk_f32 s3, s22, 0xcf800000, s3
	s_cvt_u32_f32 s23, s22
	s_delay_alu instid0(SALU_CYCLE_2) | instskip(NEXT) | instid1(SALU_CYCLE_3)
	s_cvt_u32_f32 s22, s3
	s_mul_u64 s[90:91], s[88:89], s[22:23]
	s_delay_alu instid0(SALU_CYCLE_1)
	s_mul_hi_u32 s93, s22, s91
	s_mul_i32 s92, s22, s91
	s_mul_hi_u32 s28, s22, s90
	s_mul_i32 s76, s23, s90
	s_add_nc_u64 s[92:93], s[28:29], s[92:93]
	s_mul_hi_u32 s3, s23, s90
	s_mul_hi_u32 s77, s23, s91
	s_add_co_u32 s28, s92, s76
	s_add_co_ci_u32 s28, s93, s3
	s_mul_i32 s90, s23, s91
	s_add_co_ci_u32 s91, s77, 0
	s_delay_alu instid0(SALU_CYCLE_1) | instskip(NEXT) | instid1(SALU_CYCLE_1)
	s_add_nc_u64 s[90:91], s[28:29], s[90:91]
	s_add_co_u32 s22, s22, s90
	s_cselect_b32 s3, -1, 0
	s_delay_alu instid0(SALU_CYCLE_1) | instskip(SKIP_1) | instid1(SALU_CYCLE_1)
	s_cmp_lg_u32 s3, 0
	s_add_co_ci_u32 s23, s23, s91
	s_mul_u64 s[88:89], s[88:89], s[22:23]
	s_delay_alu instid0(SALU_CYCLE_1)
	s_mul_hi_u32 s91, s22, s89
	s_mul_i32 s90, s22, s89
	s_mul_hi_u32 s28, s22, s88
	s_mul_i32 s76, s23, s88
	s_add_nc_u64 s[90:91], s[28:29], s[90:91]
	s_mul_hi_u32 s3, s23, s88
	s_mul_hi_u32 s77, s23, s89
	s_add_co_u32 s28, s90, s76
	s_add_co_ci_u32 s28, s91, s3
	s_mul_i32 s88, s23, s89
	s_add_co_ci_u32 s89, s77, 0
	s_delay_alu instid0(SALU_CYCLE_1) | instskip(NEXT) | instid1(SALU_CYCLE_1)
	s_add_nc_u64 s[88:89], s[28:29], s[88:89]
	s_add_co_u32 s3, s22, s88
	s_cselect_b32 s22, -1, 0
	s_mul_hi_u32 s28, s20, s3
	s_cmp_lg_u32 s22, 0
	s_mul_hi_u32 s76, s21, s3
	s_add_co_ci_u32 s77, s23, s89
	s_mul_i32 s3, s21, s3
	s_mul_hi_u32 s23, s20, s77
	s_mul_i32 s22, s20, s77
	s_mul_hi_u32 s78, s21, s77
	s_add_nc_u64 s[22:23], s[28:29], s[22:23]
	s_mul_i32 s88, s21, s77
	s_add_co_u32 s3, s22, s3
	s_add_co_ci_u32 s28, s23, s76
	s_add_co_ci_u32 s89, s78, 0
	s_delay_alu instid0(SALU_CYCLE_1) | instskip(NEXT) | instid1(SALU_CYCLE_1)
	s_add_nc_u64 s[22:23], s[28:29], s[88:89]
	s_and_b64 s[88:89], s[22:23], 0xffffffff00000000
	s_delay_alu instid0(SALU_CYCLE_1) | instskip(NEXT) | instid1(SALU_CYCLE_1)
	s_or_b32 s88, s88, s22
	s_mul_u64 s[22:23], s[40:41], s[88:89]
	s_delay_alu instid0(SALU_CYCLE_1) | instskip(SKIP_1) | instid1(SALU_CYCLE_1)
	s_sub_co_u32 s3, s20, s22
	s_cselect_b32 s22, -1, 0
	s_cmp_lg_u32 s22, 0
	s_sub_co_ci_u32 s22, s21, s23
	s_sub_co_u32 s23, s3, s40
	s_cselect_b32 s28, -1, 0
	s_delay_alu instid0(SALU_CYCLE_1) | instskip(SKIP_3) | instid1(SALU_CYCLE_1)
	s_cmp_lg_u32 s28, 0
	s_sub_co_ci_u32 s28, s22, 0
	s_sub_co_u32 s76, s23, s40
	s_cselect_b32 s77, -1, 0
	s_cmp_lg_u32 s77, 0
	s_sub_co_ci_u32 s77, s28, 0
	s_cmp_ge_u32 s23, s40
	s_cselect_b32 s78, -1, 0
	s_cmp_eq_u32 s28, 0
	s_cselect_b32 s78, s78, -1
	s_delay_alu instid0(SALU_CYCLE_1)
	s_cmp_lg_u32 s78, 0
	s_cselect_b32 s28, s77, s28
	s_cselect_b32 s76, s76, s23
	s_cmp_ge_u32 s3, s40
	s_cselect_b32 s23, -1, 0
	s_cmp_eq_u32 s22, 0
	s_cselect_b32 s23, s23, -1
	s_delay_alu instid0(SALU_CYCLE_1)
	s_cmp_lg_u32 s23, 0
	s_cselect_b32 s23, s28, s22
	s_cselect_b32 s22, s76, s3
	s_cbranch_execnz .LBB177_305
.LBB177_304:                            ;   in Loop: Header=BB177_31 Depth=1
	v_cvt_f32_u32_e32 v2, s40
	s_sub_co_i32 s22, 0, s40
	s_delay_alu instid0(VALU_DEP_1) | instskip(SKIP_1) | instid1(TRANS32_DEP_1)
	v_rcp_iflag_f32_e32 v2, v2
	v_nop
	v_mul_f32_e32 v2, 0x4f7ffffe, v2
	s_delay_alu instid0(VALU_DEP_1) | instskip(NEXT) | instid1(VALU_DEP_1)
	v_cvt_u32_f32_e32 v2, v2
	v_readfirstlane_b32 s3, v2
	s_mul_i32 s22, s22, s3
	s_delay_alu instid0(SALU_CYCLE_1) | instskip(NEXT) | instid1(SALU_CYCLE_1)
	s_mul_hi_u32 s22, s3, s22
	s_add_co_i32 s3, s3, s22
	s_delay_alu instid0(SALU_CYCLE_1) | instskip(NEXT) | instid1(SALU_CYCLE_1)
	s_mul_hi_u32 s3, s20, s3
	s_mul_i32 s3, s3, s40
	s_delay_alu instid0(SALU_CYCLE_1) | instskip(NEXT) | instid1(SALU_CYCLE_1)
	s_sub_co_i32 s3, s20, s3
	s_sub_co_i32 s22, s3, s40
	s_cmp_ge_u32 s3, s40
	s_cselect_b32 s3, s22, s3
	s_delay_alu instid0(SALU_CYCLE_1) | instskip(SKIP_2) | instid1(SALU_CYCLE_1)
	s_sub_co_i32 s22, s3, s40
	s_cmp_ge_u32 s3, s40
	s_cselect_b32 s28, s22, s3
	s_mov_b64 s[22:23], s[28:29]
.LBB177_305:                            ;   in Loop: Header=BB177_31 Depth=1
	s_delay_alu instid0(SALU_CYCLE_1)
	s_sub_nc_u64 s[20:21], s[20:21], s[22:23]
	s_mov_b32 s22, 0
	s_mov_b32 s3, 0
	s_mov_b32 s23, exec_lo
                                        ; implicit-def: $vgpr53
	v_cmpx_gt_u64_e64 s[20:21], v[0:1]
	s_cbranch_execz .LBB177_315
; %bb.306:                              ;   in Loop: Header=BB177_31 Depth=1
	v_mov_b64_e32 v[4:5], v[0:1]
	v_mov_b32_e32 v2, v46
                                        ; implicit-def: $sgpr28
	s_branch .LBB177_309
.LBB177_307:                            ;   in Loop: Header=BB177_309 Depth=2
	s_or_b32 exec_lo, exec_lo, s85
	s_wait_dscnt 0x0
	s_barrier_signal -1
	s_barrier_wait -1
	ds_load_b32 v6, v3 offset:3072
	s_mov_b32 s85, -1
	s_mov_b32 s87, -1
	s_wait_dscnt 0x0
	s_barrier_signal -1
	s_barrier_wait -1
	v_and_b32_e32 v7, 0xffff, v6
	s_delay_alu instid0(VALU_DEP_1)
	v_cmp_ne_u32_e32 vcc_lo, 0, v7
	s_cbranch_vccz .LBB177_312
.LBB177_308:                            ;   in Loop: Header=BB177_309 Depth=2
	s_and_b32 s76, exec_lo, s85
	s_delay_alu instid0(SALU_CYCLE_1) | instskip(SKIP_2) | instid1(SALU_CYCLE_1)
	s_or_b32 s3, s76, s3
	s_and_not1_b32 s28, s28, exec_lo
	s_and_b32 s76, s87, exec_lo
	s_or_b32 s28, s28, s76
	s_and_not1_b32 exec_lo, exec_lo, s3
	s_cbranch_execz .LBB177_314
.LBB177_309:                            ;   Parent Loop BB177_31 Depth=1
                                        ; =>  This Inner Loop Header: Depth=2
	s_mov_b32 s85, exec_lo
	s_delay_alu instid0(VALU_DEP_2)
	v_cmpx_gt_u64_e64 s[10:11], v[4:5]
	s_cbranch_execz .LBB177_307
; %bb.310:                              ;   in Loop: Header=BB177_309 Depth=2
	ds_load_u16 v6, v2
	s_wait_dscnt 0x0
	v_bfe_i32 v7, v6, 0, 16
	s_delay_alu instid0(VALU_DEP_1) | instskip(NEXT) | instid1(VALU_DEP_1)
	v_add_nc_u32_e32 v7, 0x8000, v7
	v_and_b32_e32 v7, v7, v52
	s_delay_alu instid0(VALU_DEP_1)
	v_cmp_eq_u32_e32 vcc_lo, v7, v50
	s_and_b32 exec_lo, exec_lo, vcc_lo
	s_cbranch_execz .LBB177_307
; %bb.311:                              ;   in Loop: Header=BB177_309 Depth=2
	v_perm_b32 v6, v6, 1, 0x5040100
	ds_store_b32 v3, v6 offset:3072
	s_branch .LBB177_307
.LBB177_312:                            ;   in Loop: Header=BB177_309 Depth=2
	v_add_nc_u64_e32 v[4:5], s[40:41], v[4:5]
	v_add_nc_u32_e32 v2, vcc_hi, v2
	s_mov_b32 s87, 0
	s_delay_alu instid0(VALU_DEP_2)
	v_cmp_le_u64_e32 vcc_lo, s[20:21], v[4:5]
	s_or_not1_b32 s85, vcc_lo, exec_lo
	s_branch .LBB177_308
.LBB177_313:                            ;   in Loop: Header=BB177_31 Depth=1
	v_dual_mov_b32 v50, v10 :: v_dual_mov_b32 v52, v11
	v_mov_b32_e32 v53, v8
	s_mov_b32 s86, 0
	s_and_saveexec_b32 s3, s75
	s_cbranch_execnz .LBB177_490
	s_branch .LBB177_491
.LBB177_314:                            ;   in Loop: Header=BB177_31 Depth=1
	s_or_b32 exec_lo, exec_lo, s3
	v_lshrrev_b32_e32 v53, 16, v6
	s_and_b32 s3, s28, exec_lo
.LBB177_315:                            ;   in Loop: Header=BB177_31 Depth=1
	s_or_b32 exec_lo, exec_lo, s23
.LBB177_316:                            ;   in Loop: Header=BB177_31 Depth=1
	s_delay_alu instid0(SALU_CYCLE_1)
	s_and_b32 vcc_lo, exec_lo, s22
	s_cbranch_vccz .LBB177_330
; %bb.317:                              ;   in Loop: Header=BB177_31 Depth=1
	s_and_b64 s[10:11], s[66:67], 0xffffffff00000000
	s_delay_alu instid0(SALU_CYCLE_1)
	s_cmp_lg_u64 s[10:11], 0
	s_cbranch_scc0 .LBB177_358
; %bb.318:                              ;   in Loop: Header=BB177_31 Depth=1
	s_cvt_f32_u32 s10, s40
	s_sub_nc_u64 s[20:21], 0, s[40:41]
	s_delay_alu instid0(SALU_CYCLE_2) | instskip(NEXT) | instid1(SALU_CYCLE_3)
	s_fmamk_f32 s10, s52, 0x0, s10
	v_s_rcp_f32 s10, s10
	s_delay_alu instid0(TRANS32_DEP_1) | instskip(NEXT) | instid1(SALU_CYCLE_3)
	s_mul_f32 s10, s10, 0x5f7ffffc
	s_mul_f32 s11, s10, 0x2f800000
	s_delay_alu instid0(SALU_CYCLE_3) | instskip(NEXT) | instid1(SALU_CYCLE_3)
	s_trunc_f32 s11, s11
	s_fmamk_f32 s10, s11, 0xcf800000, s10
	s_cvt_u32_f32 s11, s11
	s_delay_alu instid0(SALU_CYCLE_2) | instskip(NEXT) | instid1(SALU_CYCLE_3)
	s_cvt_u32_f32 s10, s10
	s_mul_u64 s[22:23], s[20:21], s[10:11]
	s_delay_alu instid0(SALU_CYCLE_1)
	s_mul_hi_u32 s87, s10, s23
	s_mul_i32 s86, s10, s23
	s_mul_hi_u32 s28, s10, s22
	s_mul_i32 s76, s11, s22
	s_add_nc_u64 s[86:87], s[28:29], s[86:87]
	s_mul_hi_u32 s26, s11, s22
	s_mul_hi_u32 s77, s11, s23
	s_mul_i32 s22, s11, s23
	s_add_co_u32 s23, s86, s76
	s_add_co_ci_u32 s28, s87, s26
	s_add_co_ci_u32 s23, s77, 0
	s_delay_alu instid0(SALU_CYCLE_1) | instskip(NEXT) | instid1(SALU_CYCLE_1)
	s_add_nc_u64 s[22:23], s[28:29], s[22:23]
	s_add_co_u32 s10, s10, s22
	s_cselect_b32 s22, -1, 0
	s_delay_alu instid0(SALU_CYCLE_1) | instskip(SKIP_1) | instid1(SALU_CYCLE_1)
	s_cmp_lg_u32 s22, 0
	s_add_co_ci_u32 s11, s11, s23
	s_mul_u64 s[20:21], s[20:21], s[10:11]
	s_delay_alu instid0(SALU_CYCLE_1)
	s_mul_hi_u32 s23, s10, s21
	s_mul_i32 s22, s10, s21
	s_mul_hi_u32 s28, s10, s20
	s_mul_i32 s76, s11, s20
	s_add_nc_u64 s[22:23], s[28:29], s[22:23]
	s_mul_hi_u32 s26, s11, s20
	s_mul_hi_u32 s77, s11, s21
	s_mul_i32 s20, s11, s21
	s_add_co_u32 s21, s22, s76
	s_add_co_ci_u32 s28, s23, s26
	s_add_co_ci_u32 s21, s77, 0
	s_delay_alu instid0(SALU_CYCLE_1) | instskip(NEXT) | instid1(SALU_CYCLE_1)
	s_add_nc_u64 s[20:21], s[28:29], s[20:21]
	s_add_co_u32 s10, s10, s20
	s_cselect_b32 s20, -1, 0
	s_mul_hi_u32 s28, s66, s10
	s_cmp_lg_u32 s20, 0
	s_mul_hi_u32 s22, s67, s10
	s_add_co_ci_u32 s20, s11, s21
	s_mul_i32 s21, s67, s10
	s_mul_hi_u32 s11, s66, s20
	s_mul_i32 s10, s66, s20
	s_mul_hi_u32 s23, s67, s20
	s_add_nc_u64 s[10:11], s[28:29], s[10:11]
	s_mul_i32 s20, s67, s20
	s_add_co_u32 s10, s10, s21
	s_add_co_ci_u32 s28, s11, s22
	s_add_co_ci_u32 s21, s23, 0
	s_delay_alu instid0(SALU_CYCLE_1) | instskip(NEXT) | instid1(SALU_CYCLE_1)
	s_add_nc_u64 s[10:11], s[28:29], s[20:21]
	s_and_b64 s[20:21], s[10:11], 0xffffffff00000000
	s_delay_alu instid0(SALU_CYCLE_1) | instskip(NEXT) | instid1(SALU_CYCLE_1)
	s_or_b32 s20, s20, s10
	s_mul_u64 s[10:11], s[40:41], s[20:21]
	s_delay_alu instid0(SALU_CYCLE_1) | instskip(SKIP_1) | instid1(SALU_CYCLE_1)
	s_sub_co_u32 s10, s66, s10
	s_cselect_b32 s20, -1, 0
	s_cmp_lg_u32 s20, 0
	s_sub_co_ci_u32 s11, s67, s11
	s_sub_co_u32 s20, s10, s40
	s_cselect_b32 s21, -1, 0
	s_delay_alu instid0(SALU_CYCLE_1) | instskip(SKIP_3) | instid1(SALU_CYCLE_1)
	s_cmp_lg_u32 s21, 0
	s_sub_co_ci_u32 s21, s11, 0
	s_sub_co_u32 s22, s20, s40
	s_cselect_b32 s23, -1, 0
	s_cmp_lg_u32 s23, 0
	s_sub_co_ci_u32 s23, s21, 0
	s_cmp_ge_u32 s20, s40
	s_cselect_b32 s26, -1, 0
	s_cmp_eq_u32 s21, 0
	s_cselect_b32 s26, s26, -1
	s_delay_alu instid0(SALU_CYCLE_1)
	s_cmp_lg_u32 s26, 0
	s_cselect_b32 s21, s23, s21
	s_cselect_b32 s20, s22, s20
	s_cmp_ge_u32 s10, s40
	s_cselect_b32 s22, -1, 0
	s_cmp_eq_u32 s11, 0
	s_cselect_b32 s22, s22, -1
	s_delay_alu instid0(SALU_CYCLE_1)
	s_cmp_lg_u32 s22, 0
	s_cselect_b32 s11, s21, s11
	s_cselect_b32 s10, s20, s10
	s_cbranch_execnz .LBB177_320
.LBB177_319:                            ;   in Loop: Header=BB177_31 Depth=1
	v_cvt_f32_u32_e32 v2, s40
	s_sub_co_i32 s11, 0, s40
	s_delay_alu instid0(VALU_DEP_1) | instskip(SKIP_1) | instid1(TRANS32_DEP_1)
	v_rcp_iflag_f32_e32 v2, v2
	v_nop
	v_mul_f32_e32 v2, 0x4f7ffffe, v2
	s_delay_alu instid0(VALU_DEP_1) | instskip(NEXT) | instid1(VALU_DEP_1)
	v_cvt_u32_f32_e32 v2, v2
	v_readfirstlane_b32 s10, v2
	s_mul_i32 s11, s11, s10
	s_delay_alu instid0(SALU_CYCLE_1) | instskip(NEXT) | instid1(SALU_CYCLE_1)
	s_mul_hi_u32 s11, s10, s11
	s_add_co_i32 s10, s10, s11
	s_delay_alu instid0(SALU_CYCLE_1) | instskip(NEXT) | instid1(SALU_CYCLE_1)
	s_mul_hi_u32 s10, s66, s10
	s_mul_i32 s10, s10, s40
	s_delay_alu instid0(SALU_CYCLE_1) | instskip(NEXT) | instid1(SALU_CYCLE_1)
	s_sub_co_i32 s10, s66, s10
	s_sub_co_i32 s11, s10, s40
	s_cmp_ge_u32 s10, s40
	s_cselect_b32 s10, s11, s10
	s_delay_alu instid0(SALU_CYCLE_1) | instskip(SKIP_2) | instid1(SALU_CYCLE_1)
	s_sub_co_i32 s11, s10, s40
	s_cmp_ge_u32 s10, s40
	s_cselect_b32 s28, s11, s10
	s_mov_b64 s[10:11], s[28:29]
.LBB177_320:                            ;   in Loop: Header=BB177_31 Depth=1
	s_delay_alu instid0(SALU_CYCLE_1)
	s_sub_nc_u64 s[10:11], s[66:67], s[10:11]
	s_mov_b32 s20, exec_lo
                                        ; implicit-def: $vgpr53
	v_nop
	v_cmpx_gt_u64_e64 s[10:11], v[0:1]
	s_cbranch_execz .LBB177_329
; %bb.321:                              ;   in Loop: Header=BB177_31 Depth=1
	v_mov_b64_e32 v[4:5], v[30:31]
	v_mov_b64_e32 v[6:7], v[0:1]
	s_mov_b32 s21, 0
                                        ; implicit-def: $sgpr22
	s_branch .LBB177_324
.LBB177_322:                            ;   in Loop: Header=BB177_324 Depth=2
	s_or_b32 exec_lo, exec_lo, s23
	s_wait_dscnt 0x0
	s_barrier_signal -1
	s_barrier_wait -1
	ds_load_b32 v2, v3 offset:3072
	s_mov_b32 s23, -1
	s_mov_b32 s26, -1
	s_wait_dscnt 0x0
	s_barrier_signal -1
	s_barrier_wait -1
	v_and_b32_e32 v8, 0xffff, v2
	s_delay_alu instid0(VALU_DEP_1)
	v_cmp_ne_u32_e32 vcc_lo, 0, v8
	s_cbranch_vccz .LBB177_327
.LBB177_323:                            ;   in Loop: Header=BB177_324 Depth=2
	s_and_b32 s23, exec_lo, s23
	s_delay_alu instid0(SALU_CYCLE_1) | instskip(SKIP_2) | instid1(SALU_CYCLE_1)
	s_or_b32 s21, s23, s21
	s_and_not1_b32 s22, s22, exec_lo
	s_and_b32 s23, s26, exec_lo
	s_or_b32 s22, s22, s23
	s_and_not1_b32 exec_lo, exec_lo, s21
	s_cbranch_execz .LBB177_328
.LBB177_324:                            ;   Parent Loop BB177_31 Depth=1
                                        ; =>  This Inner Loop Header: Depth=2
	s_mov_b32 s23, exec_lo
	s_delay_alu instid0(VALU_DEP_1)
	v_cmpx_gt_u64_e64 s[36:37], v[6:7]
	s_cbranch_execz .LBB177_322
; %bb.325:                              ;   in Loop: Header=BB177_324 Depth=2
	global_load_u16 v2, v[4:5], off
	s_wait_loadcnt 0x0
	v_bfe_i32 v8, v2, 0, 16
	s_delay_alu instid0(VALU_DEP_1) | instskip(NEXT) | instid1(VALU_DEP_1)
	v_add_nc_u32_e32 v8, 0x8000, v8
	v_and_b32_e32 v8, v8, v52
	s_delay_alu instid0(VALU_DEP_1)
	v_cmp_eq_u32_e32 vcc_lo, v8, v50
	s_and_b32 exec_lo, exec_lo, vcc_lo
	s_cbranch_execz .LBB177_322
; %bb.326:                              ;   in Loop: Header=BB177_324 Depth=2
	v_perm_b32 v2, v2, 1, 0x5040100
	ds_store_b32 v3, v2 offset:3072
	s_branch .LBB177_322
.LBB177_327:                            ;   in Loop: Header=BB177_324 Depth=2
	v_add_nc_u64_e32 v[6:7], s[40:41], v[6:7]
	v_add_nc_u64_e32 v[4:5], s[44:45], v[4:5]
	s_mov_b32 s26, 0
	s_delay_alu instid0(VALU_DEP_2)
	v_cmp_le_u64_e32 vcc_lo, s[10:11], v[6:7]
	s_or_not1_b32 s23, vcc_lo, exec_lo
	s_branch .LBB177_323
.LBB177_328:                            ;   in Loop: Header=BB177_31 Depth=1
	s_or_b32 exec_lo, exec_lo, s21
	v_lshrrev_b32_e32 v53, 16, v2
	s_and_not1_b32 s3, s3, exec_lo
	s_and_b32 s10, s22, exec_lo
	s_delay_alu instid0(SALU_CYCLE_1)
	s_or_b32 s3, s3, s10
.LBB177_329:                            ;   in Loop: Header=BB177_31 Depth=1
	s_or_b32 exec_lo, exec_lo, s20
	s_mov_b32 s26, 0
	s_mov_b32 s86, -1
.LBB177_330:                            ;   in Loop: Header=BB177_31 Depth=1
	s_or_not1_b32 s3, s3, exec_lo
.LBB177_331:                            ;   in Loop: Header=BB177_31 Depth=1
	s_or_b32 exec_lo, exec_lo, s84
                                        ; implicit-def: $vgpr4_vgpr5
                                        ; implicit-def: $vgpr2
	s_and_saveexec_b32 s22, s3
	s_cbranch_execz .LBB177_489
; %bb.332:                              ;   in Loop: Header=BB177_31 Depth=1
	v_mov_b64_e32 v[4:5], 1
	v_mov_b32_e32 v2, 1
	s_xor_b32 s10, s9, -1
	s_mov_b32 s9, 0
	s_and_saveexec_b32 s3, s10
	s_cbranch_execz .LBB177_341
; %bb.333:                              ;   in Loop: Header=BB177_31 Depth=1
	s_mov_b32 s9, exec_lo
	v_cmpx_ge_u64_e64 s[18:19], v[32:33]
	s_xor_b32 s9, exec_lo, s9
	s_cbranch_execz .LBB177_338
; %bb.334:                              ;   in Loop: Header=BB177_31 Depth=1
	ds_load_b64 v[4:5], v3 offset:5120
	v_or_b32_e32 v50, s24, v50
	v_or_b32_e32 v52, s24, v52
	s_wait_dscnt 0x0
	v_cmp_ne_u64_e32 vcc_lo, 0, v[4:5]
	s_cbranch_vccnz .LBB177_338
; %bb.335:                              ;   in Loop: Header=BB177_31 Depth=1
	s_and_saveexec_b32 s10, s5
; %bb.336:                              ;   in Loop: Header=BB177_31 Depth=1
	v_mov_b64_e32 v[4:5], s[18:19]
	ds_store_b64 v3, v[4:5] offset:5128
; %bb.337:                              ;   in Loop: Header=BB177_31 Depth=1
	s_or_b32 exec_lo, exec_lo, s10
	s_wait_dscnt 0x0
	s_barrier_signal -1
	s_barrier_wait -1
.LBB177_338:                            ;   in Loop: Header=BB177_31 Depth=1
	s_or_saveexec_b32 s9, s9
	v_mov_b32_e32 v2, 5
	s_mov_b32 s10, 0
	s_xor_b32 exec_lo, exec_lo, s9
; %bb.339:                              ;   in Loop: Header=BB177_31 Depth=1
	v_sub_nc_u64_e64 v[32:33], v[32:33], s[18:19]
	v_mov_b32_e32 v2, 0
	s_mov_b32 s10, exec_lo
; %bb.340:                              ;   in Loop: Header=BB177_31 Depth=1
	s_or_b32 exec_lo, exec_lo, s9
	s_delay_alu instid0(VALU_DEP_2)
	v_mov_b64_e32 v[4:5], v[32:33]
	s_and_b32 s9, s10, exec_lo
.LBB177_341:                            ;   in Loop: Header=BB177_31 Depth=1
	s_or_b32 exec_lo, exec_lo, s3
	s_mov_b32 s3, -1
                                        ; implicit-def: $sgpr23
                                        ; implicit-def: $sgpr84
	s_and_saveexec_b32 s10, s9
	s_delay_alu instid0(SALU_CYCLE_1)
	s_xor_b32 s9, exec_lo, s10
	s_cbranch_execz .LBB177_486
; %bb.342:                              ;   in Loop: Header=BB177_31 Depth=1
	v_cmp_eq_u64_e32 vcc_lo, 1, v[4:5]
	s_cmp_eq_u64 s[16:17], 1
                                        ; implicit-def: $sgpr84
                                        ; implicit-def: $sgpr23
	s_cselect_b32 s3, -1, 0
	s_delay_alu instid0(SALU_CYCLE_1)
	s_and_b32 s85, s3, vcc_lo
	s_mov_b32 s3, -1
	s_and_saveexec_b32 s87, s85
	s_cbranch_execz .LBB177_376
; %bb.343:                              ;   in Loop: Header=BB177_31 Depth=1
	ds_load_b64 v[6:7], v3 offset:5120
	s_wait_dscnt 0x0
	s_barrier_signal -1
	s_barrier_wait -1
	v_readfirstlane_b32 s10, v6
	v_readfirstlane_b32 s11, v7
	s_and_saveexec_b32 s3, s6
; %bb.344:                              ;   in Loop: Header=BB177_31 Depth=1
	ds_store_b16 v47, v3
; %bb.345:                              ;   in Loop: Header=BB177_31 Depth=1
	s_or_b32 exec_lo, exec_lo, s3
	s_lshl_b32 s3, 2, s53
	v_or_b32_e32 v52, s24, v52
	v_and_or_b32 v50, v50, s25, s3
	s_mov_b32 s23, -1
	s_mov_b32 s84, 0
	s_cmp_eq_u64 s[10:11], 0
	s_mov_b32 s3, 0
	s_mov_b32 s20, -1
	s_wait_dscnt 0x0
	s_barrier_signal -1
	s_barrier_wait -1
                                        ; implicit-def: $vgpr53
	s_cbranch_scc1 .LBB177_361
; %bb.346:                              ;   in Loop: Header=BB177_31 Depth=1
	s_add_nc_u64 s[18:19], s[10:11], s[64:65]
	s_delay_alu instid0(SALU_CYCLE_1) | instskip(NEXT) | instid1(SALU_CYCLE_1)
	s_and_b64 s[20:21], s[18:19], 0xffffffff00000000
	s_cmp_lg_u64 s[20:21], 0
	s_cbranch_scc0 .LBB177_402
; %bb.347:                              ;   in Loop: Header=BB177_31 Depth=1
	s_cvt_f32_u32 s3, s40
	s_sub_nc_u64 s[88:89], 0, s[40:41]
	s_delay_alu instid0(SALU_CYCLE_2) | instskip(NEXT) | instid1(SALU_CYCLE_3)
	s_fmamk_f32 s3, s52, 0x0, s3
	v_s_rcp_f32 s3, s3
	s_delay_alu instid0(TRANS32_DEP_1) | instskip(NEXT) | instid1(SALU_CYCLE_3)
	s_mul_f32 s3, s3, 0x5f7ffffc
	s_mul_f32 s20, s3, 0x2f800000
	s_delay_alu instid0(SALU_CYCLE_3) | instskip(NEXT) | instid1(SALU_CYCLE_3)
	s_trunc_f32 s20, s20
	s_fmamk_f32 s3, s20, 0xcf800000, s3
	s_cvt_u32_f32 s21, s20
	s_delay_alu instid0(SALU_CYCLE_2) | instskip(NEXT) | instid1(SALU_CYCLE_3)
	s_cvt_u32_f32 s20, s3
	s_mul_u64 s[90:91], s[88:89], s[20:21]
	s_delay_alu instid0(SALU_CYCLE_1)
	s_mul_hi_u32 s93, s20, s91
	s_mul_i32 s92, s20, s91
	s_mul_hi_u32 s28, s20, s90
	s_mul_i32 s76, s21, s90
	s_add_nc_u64 s[92:93], s[28:29], s[92:93]
	s_mul_hi_u32 s3, s21, s90
	s_mul_hi_u32 s77, s21, s91
	s_add_co_u32 s28, s92, s76
	s_add_co_ci_u32 s28, s93, s3
	s_mul_i32 s90, s21, s91
	s_add_co_ci_u32 s91, s77, 0
	s_delay_alu instid0(SALU_CYCLE_1) | instskip(NEXT) | instid1(SALU_CYCLE_1)
	s_add_nc_u64 s[90:91], s[28:29], s[90:91]
	s_add_co_u32 s20, s20, s90
	s_cselect_b32 s3, -1, 0
	s_delay_alu instid0(SALU_CYCLE_1) | instskip(SKIP_1) | instid1(SALU_CYCLE_1)
	s_cmp_lg_u32 s3, 0
	s_add_co_ci_u32 s21, s21, s91
	s_mul_u64 s[88:89], s[88:89], s[20:21]
	s_delay_alu instid0(SALU_CYCLE_1)
	s_mul_hi_u32 s91, s20, s89
	s_mul_i32 s90, s20, s89
	s_mul_hi_u32 s28, s20, s88
	s_mul_i32 s76, s21, s88
	s_add_nc_u64 s[90:91], s[28:29], s[90:91]
	s_mul_hi_u32 s3, s21, s88
	s_mul_hi_u32 s77, s21, s89
	s_add_co_u32 s28, s90, s76
	s_add_co_ci_u32 s28, s91, s3
	s_mul_i32 s88, s21, s89
	s_add_co_ci_u32 s89, s77, 0
	s_delay_alu instid0(SALU_CYCLE_1) | instskip(NEXT) | instid1(SALU_CYCLE_1)
	s_add_nc_u64 s[88:89], s[28:29], s[88:89]
	s_add_co_u32 s3, s20, s88
	s_cselect_b32 s20, -1, 0
	s_mul_hi_u32 s28, s18, s3
	s_cmp_lg_u32 s20, 0
	s_mul_hi_u32 s76, s19, s3
	s_add_co_ci_u32 s77, s21, s89
	s_mul_i32 s3, s19, s3
	s_mul_hi_u32 s21, s18, s77
	s_mul_i32 s20, s18, s77
	s_mul_hi_u32 s78, s19, s77
	s_add_nc_u64 s[20:21], s[28:29], s[20:21]
	s_mul_i32 s88, s19, s77
	s_add_co_u32 s3, s20, s3
	s_add_co_ci_u32 s28, s21, s76
	s_add_co_ci_u32 s89, s78, 0
	s_delay_alu instid0(SALU_CYCLE_1) | instskip(NEXT) | instid1(SALU_CYCLE_1)
	s_add_nc_u64 s[20:21], s[28:29], s[88:89]
	s_and_b64 s[88:89], s[20:21], 0xffffffff00000000
	s_delay_alu instid0(SALU_CYCLE_1) | instskip(NEXT) | instid1(SALU_CYCLE_1)
	s_or_b32 s88, s88, s20
	s_mul_u64 s[20:21], s[40:41], s[88:89]
	s_delay_alu instid0(SALU_CYCLE_1) | instskip(SKIP_1) | instid1(SALU_CYCLE_1)
	s_sub_co_u32 s3, s18, s20
	s_cselect_b32 s20, -1, 0
	s_cmp_lg_u32 s20, 0
	s_sub_co_ci_u32 s20, s19, s21
	s_sub_co_u32 s21, s3, s40
	s_cselect_b32 s28, -1, 0
	s_delay_alu instid0(SALU_CYCLE_1) | instskip(SKIP_3) | instid1(SALU_CYCLE_1)
	s_cmp_lg_u32 s28, 0
	s_sub_co_ci_u32 s28, s20, 0
	s_sub_co_u32 s76, s21, s40
	s_cselect_b32 s77, -1, 0
	s_cmp_lg_u32 s77, 0
	s_sub_co_ci_u32 s77, s28, 0
	s_cmp_ge_u32 s21, s40
	s_cselect_b32 s78, -1, 0
	s_cmp_eq_u32 s28, 0
	s_cselect_b32 s78, s78, -1
	s_delay_alu instid0(SALU_CYCLE_1)
	s_cmp_lg_u32 s78, 0
	s_cselect_b32 s28, s77, s28
	s_cselect_b32 s76, s76, s21
	s_cmp_ge_u32 s3, s40
	s_cselect_b32 s21, -1, 0
	s_cmp_eq_u32 s20, 0
	s_cselect_b32 s21, s21, -1
	s_delay_alu instid0(SALU_CYCLE_1)
	s_cmp_lg_u32 s21, 0
	s_cselect_b32 s21, s28, s20
	s_cselect_b32 s20, s76, s3
	s_cbranch_execnz .LBB177_349
.LBB177_348:                            ;   in Loop: Header=BB177_31 Depth=1
	v_cvt_f32_u32_e32 v6, s40
	s_sub_co_i32 s20, 0, s40
	s_delay_alu instid0(VALU_DEP_1) | instskip(SKIP_1) | instid1(TRANS32_DEP_1)
	v_rcp_iflag_f32_e32 v6, v6
	v_nop
	v_mul_f32_e32 v6, 0x4f7ffffe, v6
	s_delay_alu instid0(VALU_DEP_1) | instskip(NEXT) | instid1(VALU_DEP_1)
	v_cvt_u32_f32_e32 v6, v6
	v_readfirstlane_b32 s3, v6
	s_mul_i32 s20, s20, s3
	s_delay_alu instid0(SALU_CYCLE_1) | instskip(NEXT) | instid1(SALU_CYCLE_1)
	s_mul_hi_u32 s20, s3, s20
	s_add_co_i32 s3, s3, s20
	s_delay_alu instid0(SALU_CYCLE_1) | instskip(NEXT) | instid1(SALU_CYCLE_1)
	s_mul_hi_u32 s3, s18, s3
	s_mul_i32 s3, s3, s40
	s_delay_alu instid0(SALU_CYCLE_1) | instskip(NEXT) | instid1(SALU_CYCLE_1)
	s_sub_co_i32 s3, s18, s3
	s_sub_co_i32 s20, s3, s40
	s_cmp_ge_u32 s3, s40
	s_cselect_b32 s3, s20, s3
	s_delay_alu instid0(SALU_CYCLE_1) | instskip(SKIP_2) | instid1(SALU_CYCLE_1)
	s_sub_co_i32 s20, s3, s40
	s_cmp_ge_u32 s3, s40
	s_cselect_b32 s28, s20, s3
	s_mov_b64 s[20:21], s[28:29]
.LBB177_349:                            ;   in Loop: Header=BB177_31 Depth=1
	s_delay_alu instid0(SALU_CYCLE_1)
	s_sub_nc_u64 s[18:19], s[18:19], s[20:21]
	s_mov_b32 s20, 0
	s_mov_b32 s3, 0
	s_mov_b32 s21, exec_lo
                                        ; implicit-def: $vgpr53
	v_cmpx_gt_u64_e64 s[18:19], v[0:1]
	s_cbranch_execz .LBB177_360
; %bb.350:                              ;   in Loop: Header=BB177_31 Depth=1
	v_mov_b64_e32 v[6:7], v[0:1]
	v_mov_b32_e32 v8, v46
                                        ; implicit-def: $sgpr28
	s_branch .LBB177_353
.LBB177_351:                            ;   in Loop: Header=BB177_353 Depth=2
	s_or_b32 exec_lo, exec_lo, s88
	s_wait_dscnt 0x0
	s_barrier_signal -1
	s_barrier_wait -1
	ds_load_b32 v9, v3 offset:3072
	s_mov_b32 s88, -1
	s_mov_b32 s89, -1
	s_wait_dscnt 0x0
	s_barrier_signal -1
	s_barrier_wait -1
	v_and_b32_e32 v10, 0xffff, v9
	s_delay_alu instid0(VALU_DEP_1)
	v_cmp_ne_u32_e32 vcc_lo, 0, v10
	s_cbranch_vccz .LBB177_356
.LBB177_352:                            ;   in Loop: Header=BB177_353 Depth=2
	s_and_b32 s76, exec_lo, s88
	s_delay_alu instid0(SALU_CYCLE_1) | instskip(SKIP_2) | instid1(SALU_CYCLE_1)
	s_or_b32 s3, s76, s3
	s_and_not1_b32 s28, s28, exec_lo
	s_and_b32 s76, s89, exec_lo
	s_or_b32 s28, s28, s76
	s_and_not1_b32 exec_lo, exec_lo, s3
	s_cbranch_execz .LBB177_359
.LBB177_353:                            ;   Parent Loop BB177_31 Depth=1
                                        ; =>  This Inner Loop Header: Depth=2
	s_mov_b32 s88, exec_lo
	s_delay_alu instid0(VALU_DEP_2)
	v_cmpx_gt_u64_e64 s[10:11], v[6:7]
	s_cbranch_execz .LBB177_351
; %bb.354:                              ;   in Loop: Header=BB177_353 Depth=2
	ds_load_u16 v9, v8
	s_wait_dscnt 0x0
	v_bfe_i32 v10, v9, 0, 16
	s_delay_alu instid0(VALU_DEP_1) | instskip(NEXT) | instid1(VALU_DEP_1)
	v_add_nc_u32_e32 v10, 0x8000, v10
	v_and_b32_e32 v10, v10, v52
	s_delay_alu instid0(VALU_DEP_1)
	v_cmp_eq_u32_e32 vcc_lo, v10, v50
	s_and_b32 exec_lo, exec_lo, vcc_lo
	s_cbranch_execz .LBB177_351
; %bb.355:                              ;   in Loop: Header=BB177_353 Depth=2
	v_perm_b32 v9, v9, 1, 0x5040100
	ds_store_b32 v3, v9 offset:3072
	s_branch .LBB177_351
.LBB177_356:                            ;   in Loop: Header=BB177_353 Depth=2
	v_add_nc_u64_e32 v[6:7], s[40:41], v[6:7]
	v_add_nc_u32_e32 v8, vcc_hi, v8
	s_mov_b32 s89, 0
	s_delay_alu instid0(VALU_DEP_2)
	v_cmp_le_u64_e32 vcc_lo, s[18:19], v[6:7]
	s_or_not1_b32 s88, vcc_lo, exec_lo
	s_branch .LBB177_352
.LBB177_357:                            ;   in Loop: Header=BB177_31 Depth=1
                                        ; implicit-def: $sgpr22_sgpr23
	s_branch .LBB177_304
.LBB177_358:                            ;   in Loop: Header=BB177_31 Depth=1
                                        ; implicit-def: $sgpr10_sgpr11
	s_branch .LBB177_319
.LBB177_359:                            ;   in Loop: Header=BB177_31 Depth=1
	s_or_b32 exec_lo, exec_lo, s3
	v_lshrrev_b32_e32 v53, 16, v9
	s_and_b32 s3, s28, exec_lo
.LBB177_360:                            ;   in Loop: Header=BB177_31 Depth=1
	s_or_b32 exec_lo, exec_lo, s21
.LBB177_361:                            ;   in Loop: Header=BB177_31 Depth=1
	s_delay_alu instid0(SALU_CYCLE_1)
	s_and_b32 vcc_lo, exec_lo, s20
	s_cbranch_vccz .LBB177_375
; %bb.362:                              ;   in Loop: Header=BB177_31 Depth=1
	s_and_b64 s[10:11], s[66:67], 0xffffffff00000000
	s_delay_alu instid0(SALU_CYCLE_1)
	s_cmp_lg_u64 s[10:11], 0
	s_cbranch_scc0 .LBB177_403
; %bb.363:                              ;   in Loop: Header=BB177_31 Depth=1
	s_cvt_f32_u32 s10, s40
	s_sub_nc_u64 s[18:19], 0, s[40:41]
	s_delay_alu instid0(SALU_CYCLE_2) | instskip(NEXT) | instid1(SALU_CYCLE_3)
	s_fmamk_f32 s10, s52, 0x0, s10
	v_s_rcp_f32 s10, s10
	s_delay_alu instid0(TRANS32_DEP_1) | instskip(NEXT) | instid1(SALU_CYCLE_3)
	s_mul_f32 s10, s10, 0x5f7ffffc
	s_mul_f32 s11, s10, 0x2f800000
	s_delay_alu instid0(SALU_CYCLE_3) | instskip(NEXT) | instid1(SALU_CYCLE_3)
	s_trunc_f32 s11, s11
	s_fmamk_f32 s10, s11, 0xcf800000, s10
	s_cvt_u32_f32 s11, s11
	s_delay_alu instid0(SALU_CYCLE_2) | instskip(NEXT) | instid1(SALU_CYCLE_3)
	s_cvt_u32_f32 s10, s10
	s_mul_u64 s[20:21], s[18:19], s[10:11]
	s_delay_alu instid0(SALU_CYCLE_1)
	s_mul_hi_u32 s89, s10, s21
	s_mul_i32 s88, s10, s21
	s_mul_hi_u32 s28, s10, s20
	s_mul_i32 s76, s11, s20
	s_add_nc_u64 s[88:89], s[28:29], s[88:89]
	s_mul_hi_u32 s23, s11, s20
	s_mul_hi_u32 s77, s11, s21
	s_mul_i32 s20, s11, s21
	s_add_co_u32 s21, s88, s76
	s_add_co_ci_u32 s28, s89, s23
	s_add_co_ci_u32 s21, s77, 0
	s_delay_alu instid0(SALU_CYCLE_1) | instskip(NEXT) | instid1(SALU_CYCLE_1)
	s_add_nc_u64 s[20:21], s[28:29], s[20:21]
	s_add_co_u32 s10, s10, s20
	s_cselect_b32 s20, -1, 0
	s_delay_alu instid0(SALU_CYCLE_1) | instskip(SKIP_1) | instid1(SALU_CYCLE_1)
	s_cmp_lg_u32 s20, 0
	s_add_co_ci_u32 s11, s11, s21
	s_mul_u64 s[18:19], s[18:19], s[10:11]
	s_delay_alu instid0(SALU_CYCLE_1)
	s_mul_hi_u32 s21, s10, s19
	s_mul_i32 s20, s10, s19
	s_mul_hi_u32 s28, s10, s18
	s_mul_i32 s76, s11, s18
	s_add_nc_u64 s[20:21], s[28:29], s[20:21]
	s_mul_hi_u32 s23, s11, s18
	s_mul_hi_u32 s77, s11, s19
	s_mul_i32 s18, s11, s19
	s_add_co_u32 s19, s20, s76
	s_add_co_ci_u32 s28, s21, s23
	s_add_co_ci_u32 s19, s77, 0
	s_delay_alu instid0(SALU_CYCLE_1) | instskip(NEXT) | instid1(SALU_CYCLE_1)
	s_add_nc_u64 s[18:19], s[28:29], s[18:19]
	s_add_co_u32 s10, s10, s18
	s_cselect_b32 s18, -1, 0
	s_mul_hi_u32 s28, s66, s10
	s_cmp_lg_u32 s18, 0
	s_mul_hi_u32 s20, s67, s10
	s_add_co_ci_u32 s18, s11, s19
	s_mul_i32 s19, s67, s10
	s_mul_hi_u32 s11, s66, s18
	s_mul_i32 s10, s66, s18
	s_mul_hi_u32 s21, s67, s18
	s_add_nc_u64 s[10:11], s[28:29], s[10:11]
	s_mul_i32 s18, s67, s18
	s_add_co_u32 s10, s10, s19
	s_add_co_ci_u32 s28, s11, s20
	s_add_co_ci_u32 s19, s21, 0
	s_delay_alu instid0(SALU_CYCLE_1) | instskip(NEXT) | instid1(SALU_CYCLE_1)
	s_add_nc_u64 s[10:11], s[28:29], s[18:19]
	s_and_b64 s[18:19], s[10:11], 0xffffffff00000000
	s_delay_alu instid0(SALU_CYCLE_1) | instskip(NEXT) | instid1(SALU_CYCLE_1)
	s_or_b32 s18, s18, s10
	s_mul_u64 s[10:11], s[40:41], s[18:19]
	s_delay_alu instid0(SALU_CYCLE_1) | instskip(SKIP_1) | instid1(SALU_CYCLE_1)
	s_sub_co_u32 s10, s66, s10
	s_cselect_b32 s18, -1, 0
	s_cmp_lg_u32 s18, 0
	s_sub_co_ci_u32 s11, s67, s11
	s_sub_co_u32 s18, s10, s40
	s_cselect_b32 s19, -1, 0
	s_delay_alu instid0(SALU_CYCLE_1) | instskip(SKIP_3) | instid1(SALU_CYCLE_1)
	s_cmp_lg_u32 s19, 0
	s_sub_co_ci_u32 s19, s11, 0
	s_sub_co_u32 s20, s18, s40
	s_cselect_b32 s21, -1, 0
	s_cmp_lg_u32 s21, 0
	s_sub_co_ci_u32 s21, s19, 0
	s_cmp_ge_u32 s18, s40
	s_cselect_b32 s23, -1, 0
	s_cmp_eq_u32 s19, 0
	s_cselect_b32 s23, s23, -1
	s_delay_alu instid0(SALU_CYCLE_1)
	s_cmp_lg_u32 s23, 0
	s_cselect_b32 s19, s21, s19
	s_cselect_b32 s18, s20, s18
	s_cmp_ge_u32 s10, s40
	s_cselect_b32 s20, -1, 0
	s_cmp_eq_u32 s11, 0
	s_cselect_b32 s20, s20, -1
	s_delay_alu instid0(SALU_CYCLE_1)
	s_cmp_lg_u32 s20, 0
	s_cselect_b32 s11, s19, s11
	s_cselect_b32 s10, s18, s10
	s_cbranch_execnz .LBB177_365
.LBB177_364:                            ;   in Loop: Header=BB177_31 Depth=1
	v_cvt_f32_u32_e32 v6, s40
	s_sub_co_i32 s11, 0, s40
	s_delay_alu instid0(VALU_DEP_1) | instskip(SKIP_1) | instid1(TRANS32_DEP_1)
	v_rcp_iflag_f32_e32 v6, v6
	v_nop
	v_mul_f32_e32 v6, 0x4f7ffffe, v6
	s_delay_alu instid0(VALU_DEP_1) | instskip(NEXT) | instid1(VALU_DEP_1)
	v_cvt_u32_f32_e32 v6, v6
	v_readfirstlane_b32 s10, v6
	s_mul_i32 s11, s11, s10
	s_delay_alu instid0(SALU_CYCLE_1) | instskip(NEXT) | instid1(SALU_CYCLE_1)
	s_mul_hi_u32 s11, s10, s11
	s_add_co_i32 s10, s10, s11
	s_delay_alu instid0(SALU_CYCLE_1) | instskip(NEXT) | instid1(SALU_CYCLE_1)
	s_mul_hi_u32 s10, s66, s10
	s_mul_i32 s10, s10, s40
	s_delay_alu instid0(SALU_CYCLE_1) | instskip(NEXT) | instid1(SALU_CYCLE_1)
	s_sub_co_i32 s10, s66, s10
	s_sub_co_i32 s11, s10, s40
	s_cmp_ge_u32 s10, s40
	s_cselect_b32 s10, s11, s10
	s_delay_alu instid0(SALU_CYCLE_1) | instskip(SKIP_2) | instid1(SALU_CYCLE_1)
	s_sub_co_i32 s11, s10, s40
	s_cmp_ge_u32 s10, s40
	s_cselect_b32 s28, s11, s10
	s_mov_b64 s[10:11], s[28:29]
.LBB177_365:                            ;   in Loop: Header=BB177_31 Depth=1
	s_delay_alu instid0(SALU_CYCLE_1)
	s_sub_nc_u64 s[10:11], s[66:67], s[10:11]
	s_mov_b32 s18, exec_lo
                                        ; implicit-def: $vgpr53
	v_nop
	v_cmpx_gt_u64_e64 s[10:11], v[0:1]
	s_cbranch_execz .LBB177_374
; %bb.366:                              ;   in Loop: Header=BB177_31 Depth=1
	v_mov_b64_e32 v[6:7], v[30:31]
	v_mov_b64_e32 v[8:9], v[0:1]
	s_mov_b32 s19, 0
                                        ; implicit-def: $sgpr20
	s_branch .LBB177_369
.LBB177_367:                            ;   in Loop: Header=BB177_369 Depth=2
	s_or_b32 exec_lo, exec_lo, s21
	s_wait_dscnt 0x0
	s_barrier_signal -1
	s_barrier_wait -1
	ds_load_b32 v10, v3 offset:3072
	s_mov_b32 s21, -1
	s_mov_b32 s23, -1
	s_wait_dscnt 0x0
	s_barrier_signal -1
	s_barrier_wait -1
	v_and_b32_e32 v11, 0xffff, v10
	s_delay_alu instid0(VALU_DEP_1)
	v_cmp_eq_u32_e32 vcc_lo, 0, v11
	s_cbranch_vccnz .LBB177_372
.LBB177_368:                            ;   in Loop: Header=BB177_369 Depth=2
	s_and_b32 s21, exec_lo, s21
	s_delay_alu instid0(SALU_CYCLE_1) | instskip(SKIP_2) | instid1(SALU_CYCLE_1)
	s_or_b32 s19, s21, s19
	s_and_not1_b32 s20, s20, exec_lo
	s_and_b32 s21, s23, exec_lo
	s_or_b32 s20, s20, s21
	s_and_not1_b32 exec_lo, exec_lo, s19
	s_cbranch_execz .LBB177_373
.LBB177_369:                            ;   Parent Loop BB177_31 Depth=1
                                        ; =>  This Inner Loop Header: Depth=2
	s_mov_b32 s21, exec_lo
	s_delay_alu instid0(VALU_DEP_1)
	v_cmpx_gt_u64_e64 s[36:37], v[8:9]
	s_cbranch_execz .LBB177_367
; %bb.370:                              ;   in Loop: Header=BB177_369 Depth=2
	global_load_u16 v10, v[6:7], off
	s_wait_loadcnt 0x0
	v_bfe_i32 v11, v10, 0, 16
	s_delay_alu instid0(VALU_DEP_1) | instskip(NEXT) | instid1(VALU_DEP_1)
	v_add_nc_u32_e32 v11, 0x8000, v11
	v_and_b32_e32 v11, v11, v52
	s_delay_alu instid0(VALU_DEP_1)
	v_cmp_eq_u32_e32 vcc_lo, v11, v50
	s_and_b32 exec_lo, exec_lo, vcc_lo
	s_cbranch_execz .LBB177_367
; %bb.371:                              ;   in Loop: Header=BB177_369 Depth=2
	v_perm_b32 v10, v10, 1, 0x5040100
	ds_store_b32 v3, v10 offset:3072
	s_branch .LBB177_367
.LBB177_372:                            ;   in Loop: Header=BB177_369 Depth=2
	v_add_nc_u64_e32 v[8:9], s[40:41], v[8:9]
	v_add_nc_u64_e32 v[6:7], s[44:45], v[6:7]
	s_mov_b32 s23, 0
	s_delay_alu instid0(VALU_DEP_2)
	v_cmp_le_u64_e32 vcc_lo, s[10:11], v[8:9]
	s_or_not1_b32 s21, vcc_lo, exec_lo
	s_branch .LBB177_368
.LBB177_373:                            ;   in Loop: Header=BB177_31 Depth=1
	s_or_b32 exec_lo, exec_lo, s19
	v_lshrrev_b32_e32 v53, 16, v10
	s_and_not1_b32 s3, s3, exec_lo
	s_and_b32 s10, s20, exec_lo
	s_delay_alu instid0(SALU_CYCLE_1)
	s_or_b32 s3, s3, s10
.LBB177_374:                            ;   in Loop: Header=BB177_31 Depth=1
	s_or_b32 exec_lo, exec_lo, s18
	s_mov_b32 s23, 0
	s_mov_b32 s84, -1
.LBB177_375:                            ;   in Loop: Header=BB177_31 Depth=1
	s_or_not1_b32 s3, s3, exec_lo
.LBB177_376:                            ;   in Loop: Header=BB177_31 Depth=1
	s_or_b32 exec_lo, exec_lo, s87
	s_mov_b32 s10, 0
	s_and_saveexec_b32 s20, s3
	s_cbranch_execz .LBB177_485
; %bb.377:                              ;   in Loop: Header=BB177_31 Depth=1
	v_mov_b64_e32 v[6:7], 1
	v_mov_b32_e32 v2, 1
	s_xor_b32 s11, s85, -1
	s_delay_alu instid0(SALU_CYCLE_1)
	s_and_saveexec_b32 s3, s11
	s_cbranch_execz .LBB177_386
; %bb.378:                              ;   in Loop: Header=BB177_31 Depth=1
	s_mov_b32 s10, exec_lo
	v_cmpx_ge_u64_e64 s[16:17], v[4:5]
	s_xor_b32 s10, exec_lo, s10
	s_cbranch_execz .LBB177_383
; %bb.379:                              ;   in Loop: Header=BB177_31 Depth=1
	ds_load_b64 v[6:7], v3 offset:5120
	s_lshl_b32 s11, 2, s53
	v_or_b32_e32 v52, s24, v52
	v_and_or_b32 v50, v50, s25, s11
	s_wait_dscnt 0x0
	v_cmp_ne_u64_e32 vcc_lo, 0, v[6:7]
	s_cbranch_vccnz .LBB177_383
; %bb.380:                              ;   in Loop: Header=BB177_31 Depth=1
	s_and_saveexec_b32 s11, s5
; %bb.381:                              ;   in Loop: Header=BB177_31 Depth=1
	v_mov_b64_e32 v[6:7], s[16:17]
	ds_store_b64 v3, v[6:7] offset:5128
; %bb.382:                              ;   in Loop: Header=BB177_31 Depth=1
	s_or_b32 exec_lo, exec_lo, s11
	s_wait_dscnt 0x0
	s_barrier_signal -1
	s_barrier_wait -1
.LBB177_383:                            ;   in Loop: Header=BB177_31 Depth=1
	s_or_saveexec_b32 s10, s10
	v_mov_b32_e32 v2, 5
	s_mov_b32 s11, 0
	s_xor_b32 exec_lo, exec_lo, s10
; %bb.384:                              ;   in Loop: Header=BB177_31 Depth=1
	v_sub_nc_u64_e64 v[4:5], v[4:5], s[16:17]
	v_mov_b32_e32 v2, 0
	s_mov_b32 s11, exec_lo
; %bb.385:                              ;   in Loop: Header=BB177_31 Depth=1
	s_or_b32 exec_lo, exec_lo, s10
	s_delay_alu instid0(VALU_DEP_2)
	v_mov_b64_e32 v[6:7], v[4:5]
	s_and_b32 s10, s11, exec_lo
.LBB177_386:                            ;   in Loop: Header=BB177_31 Depth=1
	s_or_b32 exec_lo, exec_lo, s3
	s_mov_b32 s3, -1
                                        ; implicit-def: $sgpr85
                                        ; implicit-def: $sgpr87
	s_and_saveexec_b32 s21, s10
	s_cbranch_execz .LBB177_484
; %bb.387:                              ;   in Loop: Header=BB177_31 Depth=1
	s_delay_alu instid0(VALU_DEP_1) | instskip(SKIP_2) | instid1(SALU_CYCLE_1)
	v_cmp_eq_u64_e32 vcc_lo, 1, v[6:7]
	s_cmp_eq_u64 s[14:15], 1
                                        ; implicit-def: $sgpr87
                                        ; implicit-def: $sgpr85
	s_cselect_b32 s3, -1, 0
	s_and_b32 s88, s3, vcc_lo
	s_mov_b32 s3, -1
	s_and_saveexec_b32 s89, s88
	s_cbranch_execz .LBB177_421
; %bb.388:                              ;   in Loop: Header=BB177_31 Depth=1
	ds_load_b64 v[4:5], v3 offset:5120
	s_wait_dscnt 0x0
	s_barrier_signal -1
	s_barrier_wait -1
	v_readfirstlane_b32 s10, v4
	v_readfirstlane_b32 s11, v5
	s_and_saveexec_b32 s3, s6
; %bb.389:                              ;   in Loop: Header=BB177_31 Depth=1
	ds_store_b16 v47, v3
; %bb.390:                              ;   in Loop: Header=BB177_31 Depth=1
	s_or_b32 exec_lo, exec_lo, s3
	s_lshl_b32 s3, 1, s53
	v_or_b32_e32 v52, s24, v52
	v_and_or_b32 v50, v50, s25, s3
	s_mov_b32 s85, -1
	s_mov_b32 s87, 0
	s_cmp_eq_u64 s[10:11], 0
	s_mov_b32 s3, 0
	s_mov_b32 s18, -1
	s_wait_dscnt 0x0
	s_barrier_signal -1
	s_barrier_wait -1
                                        ; implicit-def: $vgpr53
	s_cbranch_scc1 .LBB177_406
; %bb.391:                              ;   in Loop: Header=BB177_31 Depth=1
	s_add_nc_u64 s[16:17], s[10:11], s[64:65]
	s_delay_alu instid0(SALU_CYCLE_1) | instskip(NEXT) | instid1(SALU_CYCLE_1)
	s_and_b64 s[18:19], s[16:17], 0xffffffff00000000
	s_cmp_lg_u64 s[18:19], 0
	s_cbranch_scc0 .LBB177_438
; %bb.392:                              ;   in Loop: Header=BB177_31 Depth=1
	s_cvt_f32_u32 s3, s40
	s_sub_nc_u64 s[90:91], 0, s[40:41]
	s_delay_alu instid0(SALU_CYCLE_2) | instskip(NEXT) | instid1(SALU_CYCLE_3)
	s_fmamk_f32 s3, s52, 0x0, s3
	v_s_rcp_f32 s3, s3
	s_delay_alu instid0(TRANS32_DEP_1) | instskip(NEXT) | instid1(SALU_CYCLE_3)
	s_mul_f32 s3, s3, 0x5f7ffffc
	s_mul_f32 s18, s3, 0x2f800000
	s_delay_alu instid0(SALU_CYCLE_3) | instskip(NEXT) | instid1(SALU_CYCLE_3)
	s_trunc_f32 s18, s18
	s_fmamk_f32 s3, s18, 0xcf800000, s3
	s_cvt_u32_f32 s19, s18
	s_delay_alu instid0(SALU_CYCLE_2) | instskip(NEXT) | instid1(SALU_CYCLE_3)
	s_cvt_u32_f32 s18, s3
	s_mul_u64 s[92:93], s[90:91], s[18:19]
	s_delay_alu instid0(SALU_CYCLE_1)
	s_mul_hi_u32 s95, s18, s93
	s_mul_i32 s94, s18, s93
	s_mul_hi_u32 s28, s18, s92
	s_mul_i32 s76, s19, s92
	s_add_nc_u64 s[94:95], s[28:29], s[94:95]
	s_mul_hi_u32 s3, s19, s92
	s_mul_hi_u32 s77, s19, s93
	s_add_co_u32 s28, s94, s76
	s_add_co_ci_u32 s28, s95, s3
	s_mul_i32 s92, s19, s93
	s_add_co_ci_u32 s93, s77, 0
	s_delay_alu instid0(SALU_CYCLE_1) | instskip(NEXT) | instid1(SALU_CYCLE_1)
	s_add_nc_u64 s[92:93], s[28:29], s[92:93]
	s_add_co_u32 s18, s18, s92
	s_cselect_b32 s3, -1, 0
	s_delay_alu instid0(SALU_CYCLE_1) | instskip(SKIP_1) | instid1(SALU_CYCLE_1)
	s_cmp_lg_u32 s3, 0
	s_add_co_ci_u32 s19, s19, s93
	s_mul_u64 s[90:91], s[90:91], s[18:19]
	s_delay_alu instid0(SALU_CYCLE_1)
	s_mul_hi_u32 s93, s18, s91
	s_mul_i32 s92, s18, s91
	s_mul_hi_u32 s28, s18, s90
	s_mul_i32 s76, s19, s90
	s_add_nc_u64 s[92:93], s[28:29], s[92:93]
	s_mul_hi_u32 s3, s19, s90
	s_mul_hi_u32 s77, s19, s91
	s_add_co_u32 s28, s92, s76
	s_add_co_ci_u32 s28, s93, s3
	s_mul_i32 s90, s19, s91
	s_add_co_ci_u32 s91, s77, 0
	s_delay_alu instid0(SALU_CYCLE_1) | instskip(NEXT) | instid1(SALU_CYCLE_1)
	s_add_nc_u64 s[90:91], s[28:29], s[90:91]
	s_add_co_u32 s3, s18, s90
	s_cselect_b32 s18, -1, 0
	s_mul_hi_u32 s28, s16, s3
	s_cmp_lg_u32 s18, 0
	s_mul_hi_u32 s76, s17, s3
	s_add_co_ci_u32 s77, s19, s91
	s_mul_i32 s3, s17, s3
	s_mul_hi_u32 s19, s16, s77
	s_mul_i32 s18, s16, s77
	s_mul_hi_u32 s78, s17, s77
	s_add_nc_u64 s[18:19], s[28:29], s[18:19]
	s_mul_i32 s90, s17, s77
	s_add_co_u32 s3, s18, s3
	s_add_co_ci_u32 s28, s19, s76
	s_add_co_ci_u32 s91, s78, 0
	s_delay_alu instid0(SALU_CYCLE_1) | instskip(NEXT) | instid1(SALU_CYCLE_1)
	s_add_nc_u64 s[18:19], s[28:29], s[90:91]
	s_and_b64 s[90:91], s[18:19], 0xffffffff00000000
	s_delay_alu instid0(SALU_CYCLE_1) | instskip(NEXT) | instid1(SALU_CYCLE_1)
	s_or_b32 s90, s90, s18
	s_mul_u64 s[18:19], s[40:41], s[90:91]
	s_delay_alu instid0(SALU_CYCLE_1) | instskip(SKIP_1) | instid1(SALU_CYCLE_1)
	s_sub_co_u32 s3, s16, s18
	s_cselect_b32 s18, -1, 0
	s_cmp_lg_u32 s18, 0
	s_sub_co_ci_u32 s18, s17, s19
	s_sub_co_u32 s19, s3, s40
	s_cselect_b32 s28, -1, 0
	s_delay_alu instid0(SALU_CYCLE_1) | instskip(SKIP_3) | instid1(SALU_CYCLE_1)
	s_cmp_lg_u32 s28, 0
	s_sub_co_ci_u32 s28, s18, 0
	s_sub_co_u32 s76, s19, s40
	s_cselect_b32 s77, -1, 0
	s_cmp_lg_u32 s77, 0
	s_sub_co_ci_u32 s77, s28, 0
	s_cmp_ge_u32 s19, s40
	s_cselect_b32 s78, -1, 0
	s_cmp_eq_u32 s28, 0
	s_cselect_b32 s78, s78, -1
	s_delay_alu instid0(SALU_CYCLE_1)
	s_cmp_lg_u32 s78, 0
	s_cselect_b32 s28, s77, s28
	s_cselect_b32 s76, s76, s19
	s_cmp_ge_u32 s3, s40
	s_cselect_b32 s19, -1, 0
	s_cmp_eq_u32 s18, 0
	s_cselect_b32 s19, s19, -1
	s_delay_alu instid0(SALU_CYCLE_1)
	s_cmp_lg_u32 s19, 0
	s_cselect_b32 s19, s28, s18
	s_cselect_b32 s18, s76, s3
	s_cbranch_execnz .LBB177_394
.LBB177_393:                            ;   in Loop: Header=BB177_31 Depth=1
	v_cvt_f32_u32_e32 v4, s40
	s_sub_co_i32 s18, 0, s40
	s_delay_alu instid0(VALU_DEP_1) | instskip(SKIP_1) | instid1(TRANS32_DEP_1)
	v_rcp_iflag_f32_e32 v4, v4
	v_nop
	v_mul_f32_e32 v4, 0x4f7ffffe, v4
	s_delay_alu instid0(VALU_DEP_1) | instskip(NEXT) | instid1(VALU_DEP_1)
	v_cvt_u32_f32_e32 v4, v4
	v_readfirstlane_b32 s3, v4
	s_mul_i32 s18, s18, s3
	s_delay_alu instid0(SALU_CYCLE_1) | instskip(NEXT) | instid1(SALU_CYCLE_1)
	s_mul_hi_u32 s18, s3, s18
	s_add_co_i32 s3, s3, s18
	s_delay_alu instid0(SALU_CYCLE_1) | instskip(NEXT) | instid1(SALU_CYCLE_1)
	s_mul_hi_u32 s3, s16, s3
	s_mul_i32 s3, s3, s40
	s_delay_alu instid0(SALU_CYCLE_1) | instskip(NEXT) | instid1(SALU_CYCLE_1)
	s_sub_co_i32 s3, s16, s3
	s_sub_co_i32 s18, s3, s40
	s_cmp_ge_u32 s3, s40
	s_cselect_b32 s3, s18, s3
	s_delay_alu instid0(SALU_CYCLE_1) | instskip(SKIP_2) | instid1(SALU_CYCLE_1)
	s_sub_co_i32 s18, s3, s40
	s_cmp_ge_u32 s3, s40
	s_cselect_b32 s28, s18, s3
	s_mov_b64 s[18:19], s[28:29]
.LBB177_394:                            ;   in Loop: Header=BB177_31 Depth=1
	s_delay_alu instid0(SALU_CYCLE_1)
	s_sub_nc_u64 s[16:17], s[16:17], s[18:19]
	s_mov_b32 s18, 0
	s_mov_b32 s3, 0
	s_mov_b32 s19, exec_lo
                                        ; implicit-def: $vgpr53
	v_cmpx_gt_u64_e64 s[16:17], v[0:1]
	s_cbranch_execz .LBB177_405
; %bb.395:                              ;   in Loop: Header=BB177_31 Depth=1
	v_mov_b64_e32 v[4:5], v[0:1]
	v_mov_b32_e32 v8, v46
                                        ; implicit-def: $sgpr28
	s_branch .LBB177_398
.LBB177_396:                            ;   in Loop: Header=BB177_398 Depth=2
	s_or_b32 exec_lo, exec_lo, s90
	s_wait_dscnt 0x0
	s_barrier_signal -1
	s_barrier_wait -1
	ds_load_b32 v9, v3 offset:3072
	s_mov_b32 s90, -1
	s_mov_b32 s91, -1
	s_wait_dscnt 0x0
	s_barrier_signal -1
	s_barrier_wait -1
	v_and_b32_e32 v10, 0xffff, v9
	s_delay_alu instid0(VALU_DEP_1)
	v_cmp_ne_u32_e32 vcc_lo, 0, v10
	s_cbranch_vccz .LBB177_401
.LBB177_397:                            ;   in Loop: Header=BB177_398 Depth=2
	s_and_b32 s76, exec_lo, s90
	s_delay_alu instid0(SALU_CYCLE_1) | instskip(SKIP_2) | instid1(SALU_CYCLE_1)
	s_or_b32 s3, s76, s3
	s_and_not1_b32 s28, s28, exec_lo
	s_and_b32 s76, s91, exec_lo
	s_or_b32 s28, s28, s76
	s_and_not1_b32 exec_lo, exec_lo, s3
	s_cbranch_execz .LBB177_404
.LBB177_398:                            ;   Parent Loop BB177_31 Depth=1
                                        ; =>  This Inner Loop Header: Depth=2
	s_mov_b32 s90, exec_lo
	s_delay_alu instid0(VALU_DEP_2)
	v_cmpx_gt_u64_e64 s[10:11], v[4:5]
	s_cbranch_execz .LBB177_396
; %bb.399:                              ;   in Loop: Header=BB177_398 Depth=2
	ds_load_u16 v9, v8
	s_wait_dscnt 0x0
	v_bfe_i32 v10, v9, 0, 16
	s_delay_alu instid0(VALU_DEP_1) | instskip(NEXT) | instid1(VALU_DEP_1)
	v_add_nc_u32_e32 v10, 0x8000, v10
	v_and_b32_e32 v10, v10, v52
	s_delay_alu instid0(VALU_DEP_1)
	v_cmp_eq_u32_e32 vcc_lo, v10, v50
	s_and_b32 exec_lo, exec_lo, vcc_lo
	s_cbranch_execz .LBB177_396
; %bb.400:                              ;   in Loop: Header=BB177_398 Depth=2
	v_perm_b32 v9, v9, 1, 0x5040100
	ds_store_b32 v3, v9 offset:3072
	s_branch .LBB177_396
.LBB177_401:                            ;   in Loop: Header=BB177_398 Depth=2
	v_add_nc_u64_e32 v[4:5], s[40:41], v[4:5]
	v_add_nc_u32_e32 v8, vcc_hi, v8
	s_mov_b32 s91, 0
	s_delay_alu instid0(VALU_DEP_2)
	v_cmp_le_u64_e32 vcc_lo, s[16:17], v[4:5]
	s_or_not1_b32 s90, vcc_lo, exec_lo
	s_branch .LBB177_397
.LBB177_402:                            ;   in Loop: Header=BB177_31 Depth=1
                                        ; implicit-def: $sgpr20_sgpr21
	s_branch .LBB177_348
.LBB177_403:                            ;   in Loop: Header=BB177_31 Depth=1
                                        ; implicit-def: $sgpr10_sgpr11
	s_branch .LBB177_364
.LBB177_404:                            ;   in Loop: Header=BB177_31 Depth=1
	s_or_b32 exec_lo, exec_lo, s3
	v_lshrrev_b32_e32 v53, 16, v9
	s_and_b32 s3, s28, exec_lo
.LBB177_405:                            ;   in Loop: Header=BB177_31 Depth=1
	s_or_b32 exec_lo, exec_lo, s19
.LBB177_406:                            ;   in Loop: Header=BB177_31 Depth=1
	s_delay_alu instid0(SALU_CYCLE_1)
	s_and_b32 vcc_lo, exec_lo, s18
	s_cbranch_vccz .LBB177_420
; %bb.407:                              ;   in Loop: Header=BB177_31 Depth=1
	s_and_b64 s[10:11], s[66:67], 0xffffffff00000000
	s_delay_alu instid0(SALU_CYCLE_1)
	s_cmp_lg_u64 s[10:11], 0
	s_cbranch_scc0 .LBB177_439
; %bb.408:                              ;   in Loop: Header=BB177_31 Depth=1
	s_cvt_f32_u32 s10, s40
	s_sub_nc_u64 s[16:17], 0, s[40:41]
	s_delay_alu instid0(SALU_CYCLE_2) | instskip(NEXT) | instid1(SALU_CYCLE_3)
	s_fmamk_f32 s10, s52, 0x0, s10
	v_s_rcp_f32 s10, s10
	s_delay_alu instid0(TRANS32_DEP_1) | instskip(NEXT) | instid1(SALU_CYCLE_3)
	s_mul_f32 s10, s10, 0x5f7ffffc
	s_mul_f32 s11, s10, 0x2f800000
	s_delay_alu instid0(SALU_CYCLE_3) | instskip(NEXT) | instid1(SALU_CYCLE_3)
	s_trunc_f32 s11, s11
	s_fmamk_f32 s10, s11, 0xcf800000, s10
	s_cvt_u32_f32 s11, s11
	s_delay_alu instid0(SALU_CYCLE_2) | instskip(NEXT) | instid1(SALU_CYCLE_3)
	s_cvt_u32_f32 s10, s10
	s_mul_u64 s[18:19], s[16:17], s[10:11]
	s_delay_alu instid0(SALU_CYCLE_1)
	s_mul_hi_u32 s91, s10, s19
	s_mul_i32 s90, s10, s19
	s_mul_hi_u32 s28, s10, s18
	s_mul_i32 s77, s11, s18
	s_add_nc_u64 s[90:91], s[28:29], s[90:91]
	s_mul_hi_u32 s76, s11, s18
	s_mul_hi_u32 s78, s11, s19
	s_mul_i32 s18, s11, s19
	s_add_co_u32 s19, s90, s77
	s_add_co_ci_u32 s28, s91, s76
	s_add_co_ci_u32 s19, s78, 0
	s_delay_alu instid0(SALU_CYCLE_1) | instskip(NEXT) | instid1(SALU_CYCLE_1)
	s_add_nc_u64 s[18:19], s[28:29], s[18:19]
	s_add_co_u32 s10, s10, s18
	s_cselect_b32 s18, -1, 0
	s_delay_alu instid0(SALU_CYCLE_1) | instskip(SKIP_1) | instid1(SALU_CYCLE_1)
	s_cmp_lg_u32 s18, 0
	s_add_co_ci_u32 s11, s11, s19
	s_mul_u64 s[16:17], s[16:17], s[10:11]
	s_delay_alu instid0(SALU_CYCLE_1)
	s_mul_hi_u32 s19, s10, s17
	s_mul_i32 s18, s10, s17
	s_mul_hi_u32 s28, s10, s16
	s_mul_i32 s77, s11, s16
	s_add_nc_u64 s[18:19], s[28:29], s[18:19]
	s_mul_hi_u32 s76, s11, s16
	s_mul_hi_u32 s78, s11, s17
	s_mul_i32 s16, s11, s17
	s_add_co_u32 s17, s18, s77
	s_add_co_ci_u32 s28, s19, s76
	s_add_co_ci_u32 s17, s78, 0
	s_delay_alu instid0(SALU_CYCLE_1) | instskip(NEXT) | instid1(SALU_CYCLE_1)
	s_add_nc_u64 s[16:17], s[28:29], s[16:17]
	s_add_co_u32 s10, s10, s16
	s_cselect_b32 s16, -1, 0
	s_mul_hi_u32 s28, s66, s10
	s_cmp_lg_u32 s16, 0
	s_mul_hi_u32 s18, s67, s10
	s_add_co_ci_u32 s16, s11, s17
	s_mul_i32 s17, s67, s10
	s_mul_hi_u32 s11, s66, s16
	s_mul_i32 s10, s66, s16
	s_mul_hi_u32 s19, s67, s16
	s_add_nc_u64 s[10:11], s[28:29], s[10:11]
	s_mul_i32 s16, s67, s16
	s_add_co_u32 s10, s10, s17
	s_add_co_ci_u32 s28, s11, s18
	s_add_co_ci_u32 s17, s19, 0
	s_delay_alu instid0(SALU_CYCLE_1) | instskip(NEXT) | instid1(SALU_CYCLE_1)
	s_add_nc_u64 s[10:11], s[28:29], s[16:17]
	s_and_b64 s[16:17], s[10:11], 0xffffffff00000000
	s_delay_alu instid0(SALU_CYCLE_1) | instskip(NEXT) | instid1(SALU_CYCLE_1)
	s_or_b32 s16, s16, s10
	s_mul_u64 s[10:11], s[40:41], s[16:17]
	s_delay_alu instid0(SALU_CYCLE_1) | instskip(SKIP_1) | instid1(SALU_CYCLE_1)
	s_sub_co_u32 s10, s66, s10
	s_cselect_b32 s16, -1, 0
	s_cmp_lg_u32 s16, 0
	s_sub_co_ci_u32 s11, s67, s11
	s_sub_co_u32 s16, s10, s40
	s_cselect_b32 s17, -1, 0
	s_delay_alu instid0(SALU_CYCLE_1) | instskip(SKIP_3) | instid1(SALU_CYCLE_1)
	s_cmp_lg_u32 s17, 0
	s_sub_co_ci_u32 s17, s11, 0
	s_sub_co_u32 s18, s16, s40
	s_cselect_b32 s19, -1, 0
	s_cmp_lg_u32 s19, 0
	s_sub_co_ci_u32 s19, s17, 0
	s_cmp_ge_u32 s16, s40
	s_cselect_b32 s28, -1, 0
	s_cmp_eq_u32 s17, 0
	s_cselect_b32 s28, s28, -1
	s_delay_alu instid0(SALU_CYCLE_1)
	s_cmp_lg_u32 s28, 0
	s_cselect_b32 s17, s19, s17
	s_cselect_b32 s16, s18, s16
	s_cmp_ge_u32 s10, s40
	s_cselect_b32 s18, -1, 0
	s_cmp_eq_u32 s11, 0
	s_cselect_b32 s18, s18, -1
	s_delay_alu instid0(SALU_CYCLE_1)
	s_cmp_lg_u32 s18, 0
	s_cselect_b32 s11, s17, s11
	s_cselect_b32 s10, s16, s10
	s_cbranch_execnz .LBB177_410
.LBB177_409:                            ;   in Loop: Header=BB177_31 Depth=1
	v_cvt_f32_u32_e32 v4, s40
	s_sub_co_i32 s11, 0, s40
	s_delay_alu instid0(VALU_DEP_1) | instskip(SKIP_1) | instid1(TRANS32_DEP_1)
	v_rcp_iflag_f32_e32 v4, v4
	v_nop
	v_mul_f32_e32 v4, 0x4f7ffffe, v4
	s_delay_alu instid0(VALU_DEP_1) | instskip(NEXT) | instid1(VALU_DEP_1)
	v_cvt_u32_f32_e32 v4, v4
	v_readfirstlane_b32 s10, v4
	s_mul_i32 s11, s11, s10
	s_delay_alu instid0(SALU_CYCLE_1) | instskip(NEXT) | instid1(SALU_CYCLE_1)
	s_mul_hi_u32 s11, s10, s11
	s_add_co_i32 s10, s10, s11
	s_delay_alu instid0(SALU_CYCLE_1) | instskip(NEXT) | instid1(SALU_CYCLE_1)
	s_mul_hi_u32 s10, s66, s10
	s_mul_i32 s10, s10, s40
	s_delay_alu instid0(SALU_CYCLE_1) | instskip(NEXT) | instid1(SALU_CYCLE_1)
	s_sub_co_i32 s10, s66, s10
	s_sub_co_i32 s11, s10, s40
	s_cmp_ge_u32 s10, s40
	s_cselect_b32 s10, s11, s10
	s_delay_alu instid0(SALU_CYCLE_1) | instskip(SKIP_2) | instid1(SALU_CYCLE_1)
	s_sub_co_i32 s11, s10, s40
	s_cmp_ge_u32 s10, s40
	s_cselect_b32 s28, s11, s10
	s_mov_b64 s[10:11], s[28:29]
.LBB177_410:                            ;   in Loop: Header=BB177_31 Depth=1
	s_delay_alu instid0(SALU_CYCLE_1)
	s_sub_nc_u64 s[10:11], s[66:67], s[10:11]
	s_mov_b32 s16, exec_lo
                                        ; implicit-def: $vgpr53
	v_nop
	v_cmpx_gt_u64_e64 s[10:11], v[0:1]
	s_cbranch_execz .LBB177_419
; %bb.411:                              ;   in Loop: Header=BB177_31 Depth=1
	v_mov_b64_e32 v[4:5], v[30:31]
	v_mov_b64_e32 v[8:9], v[0:1]
	s_mov_b32 s17, 0
                                        ; implicit-def: $sgpr18
	s_branch .LBB177_414
.LBB177_412:                            ;   in Loop: Header=BB177_414 Depth=2
	s_or_b32 exec_lo, exec_lo, s19
	s_wait_dscnt 0x0
	s_barrier_signal -1
	s_barrier_wait -1
	ds_load_b32 v10, v3 offset:3072
	s_mov_b32 s19, -1
	s_mov_b32 s28, -1
	s_wait_dscnt 0x0
	s_barrier_signal -1
	s_barrier_wait -1
	v_and_b32_e32 v11, 0xffff, v10
	s_delay_alu instid0(VALU_DEP_1)
	v_cmp_eq_u32_e32 vcc_lo, 0, v11
	s_cbranch_vccnz .LBB177_417
.LBB177_413:                            ;   in Loop: Header=BB177_414 Depth=2
	s_and_b32 s19, exec_lo, s19
	s_delay_alu instid0(SALU_CYCLE_1) | instskip(SKIP_2) | instid1(SALU_CYCLE_1)
	s_or_b32 s17, s19, s17
	s_and_not1_b32 s18, s18, exec_lo
	s_and_b32 s19, s28, exec_lo
	s_or_b32 s18, s18, s19
	s_and_not1_b32 exec_lo, exec_lo, s17
	s_cbranch_execz .LBB177_418
.LBB177_414:                            ;   Parent Loop BB177_31 Depth=1
                                        ; =>  This Inner Loop Header: Depth=2
	s_mov_b32 s19, exec_lo
	s_delay_alu instid0(VALU_DEP_1)
	v_cmpx_gt_u64_e64 s[36:37], v[8:9]
	s_cbranch_execz .LBB177_412
; %bb.415:                              ;   in Loop: Header=BB177_414 Depth=2
	global_load_u16 v10, v[4:5], off
	s_wait_loadcnt 0x0
	v_bfe_i32 v11, v10, 0, 16
	s_delay_alu instid0(VALU_DEP_1) | instskip(NEXT) | instid1(VALU_DEP_1)
	v_add_nc_u32_e32 v11, 0x8000, v11
	v_and_b32_e32 v11, v11, v52
	s_delay_alu instid0(VALU_DEP_1)
	v_cmp_eq_u32_e32 vcc_lo, v11, v50
	s_and_b32 exec_lo, exec_lo, vcc_lo
	s_cbranch_execz .LBB177_412
; %bb.416:                              ;   in Loop: Header=BB177_414 Depth=2
	v_perm_b32 v10, v10, 1, 0x5040100
	ds_store_b32 v3, v10 offset:3072
	s_branch .LBB177_412
.LBB177_417:                            ;   in Loop: Header=BB177_414 Depth=2
	v_add_nc_u64_e32 v[8:9], s[40:41], v[8:9]
	v_add_nc_u64_e32 v[4:5], s[44:45], v[4:5]
	s_mov_b32 s28, 0
	s_delay_alu instid0(VALU_DEP_2)
	v_cmp_le_u64_e32 vcc_lo, s[10:11], v[8:9]
	s_or_not1_b32 s19, vcc_lo, exec_lo
	s_branch .LBB177_413
.LBB177_418:                            ;   in Loop: Header=BB177_31 Depth=1
	s_or_b32 exec_lo, exec_lo, s17
	v_lshrrev_b32_e32 v53, 16, v10
	s_and_not1_b32 s3, s3, exec_lo
	s_and_b32 s10, s18, exec_lo
	s_delay_alu instid0(SALU_CYCLE_1)
	s_or_b32 s3, s3, s10
.LBB177_419:                            ;   in Loop: Header=BB177_31 Depth=1
	s_or_b32 exec_lo, exec_lo, s16
	s_mov_b32 s85, 0
	s_mov_b32 s87, -1
.LBB177_420:                            ;   in Loop: Header=BB177_31 Depth=1
	s_or_not1_b32 s3, s3, exec_lo
.LBB177_421:                            ;   in Loop: Header=BB177_31 Depth=1
	s_or_b32 exec_lo, exec_lo, s89
	s_mov_b32 s10, 0
	s_and_saveexec_b32 s18, s3
	s_cbranch_execz .LBB177_483
; %bb.422:                              ;   in Loop: Header=BB177_31 Depth=1
	v_mov_b64_e32 v[4:5], 1
	v_mov_b32_e32 v2, 1
	s_xor_b32 s11, s88, -1
	s_delay_alu instid0(SALU_CYCLE_1)
	s_and_saveexec_b32 s3, s11
	s_cbranch_execz .LBB177_431
; %bb.423:                              ;   in Loop: Header=BB177_31 Depth=1
	s_mov_b32 s10, exec_lo
	v_cmpx_ge_u64_e64 s[14:15], v[6:7]
	s_xor_b32 s10, exec_lo, s10
	s_cbranch_execz .LBB177_428
; %bb.424:                              ;   in Loop: Header=BB177_31 Depth=1
	ds_load_b64 v[4:5], v3 offset:5120
	s_lshl_b32 s11, 1, s53
	v_or_b32_e32 v52, s24, v52
	v_and_or_b32 v50, v50, s25, s11
	s_wait_dscnt 0x0
	v_cmp_ne_u64_e32 vcc_lo, 0, v[4:5]
	s_cbranch_vccnz .LBB177_428
; %bb.425:                              ;   in Loop: Header=BB177_31 Depth=1
	s_and_saveexec_b32 s11, s5
; %bb.426:                              ;   in Loop: Header=BB177_31 Depth=1
	v_mov_b64_e32 v[4:5], s[14:15]
	ds_store_b64 v3, v[4:5] offset:5128
; %bb.427:                              ;   in Loop: Header=BB177_31 Depth=1
	s_or_b32 exec_lo, exec_lo, s11
	s_wait_dscnt 0x0
	s_barrier_signal -1
	s_barrier_wait -1
.LBB177_428:                            ;   in Loop: Header=BB177_31 Depth=1
	s_or_saveexec_b32 s10, s10
	v_mov_b32_e32 v2, 5
	s_mov_b32 s11, 0
	s_xor_b32 exec_lo, exec_lo, s10
; %bb.429:                              ;   in Loop: Header=BB177_31 Depth=1
	v_sub_nc_u64_e64 v[6:7], v[6:7], s[14:15]
	v_mov_b32_e32 v2, 0
	s_mov_b32 s11, exec_lo
; %bb.430:                              ;   in Loop: Header=BB177_31 Depth=1
	s_or_b32 exec_lo, exec_lo, s10
	s_delay_alu instid0(VALU_DEP_2)
	v_mov_b64_e32 v[4:5], v[6:7]
	s_and_b32 s10, s11, exec_lo
.LBB177_431:                            ;   in Loop: Header=BB177_31 Depth=1
	s_or_b32 exec_lo, exec_lo, s3
	s_mov_b32 s3, -1
                                        ; implicit-def: $sgpr91
                                        ; implicit-def: $sgpr90
	s_and_saveexec_b32 s19, s10
	s_cbranch_execz .LBB177_482
; %bb.432:                              ;   in Loop: Header=BB177_31 Depth=1
	s_delay_alu instid0(VALU_DEP_1) | instskip(SKIP_3) | instid1(SALU_CYCLE_1)
	v_cmp_eq_u64_e32 vcc_lo, 1, v[4:5]
	s_cmp_eq_u64 s[12:13], 1
	s_mov_b32 s10, -1
	s_cselect_b32 s3, -1, 0
                                        ; implicit-def: $sgpr91
                                        ; implicit-def: $sgpr90
	s_and_b32 s88, s3, vcc_lo
	s_delay_alu instid0(SALU_CYCLE_1)
	s_and_saveexec_b32 s89, s88
	s_cbranch_execz .LBB177_470
; %bb.433:                              ;   in Loop: Header=BB177_31 Depth=1
	ds_load_b64 v[6:7], v3 offset:5120
	s_wait_dscnt 0x0
	s_barrier_signal -1
	s_barrier_wait -1
	v_readfirstlane_b32 s10, v6
	v_readfirstlane_b32 s11, v7
	s_and_saveexec_b32 s3, s6
; %bb.434:                              ;   in Loop: Header=BB177_31 Depth=1
	ds_store_b16 v47, v3
; %bb.435:                              ;   in Loop: Header=BB177_31 Depth=1
	s_or_b32 exec_lo, exec_lo, s3
	v_and_b32_e32 v50, s25, v50
	v_or_b32_e32 v52, s24, v52
	s_mov_b32 s90, -1
	s_mov_b32 s91, 0
	s_cmp_eq_u64 s[10:11], 0
	s_mov_b32 s3, 0
	s_mov_b32 s16, -1
	s_wait_dscnt 0x0
	s_barrier_signal -1
	s_barrier_wait -1
                                        ; implicit-def: $vgpr53
	s_cbranch_scc1 .LBB177_453
; %bb.436:                              ;   in Loop: Header=BB177_31 Depth=1
	s_add_nc_u64 s[14:15], s[10:11], s[64:65]
	s_delay_alu instid0(SALU_CYCLE_1) | instskip(NEXT) | instid1(SALU_CYCLE_1)
	s_and_b64 s[16:17], s[14:15], 0xffffffff00000000
	s_cmp_lg_u64 s[16:17], 0
	s_cbranch_scc0 .LBB177_440
; %bb.437:                              ;   in Loop: Header=BB177_31 Depth=1
	s_cvt_f32_u32 s3, s40
	s_sub_nc_u64 s[92:93], 0, s[40:41]
	s_delay_alu instid0(SALU_CYCLE_2) | instskip(NEXT) | instid1(SALU_CYCLE_3)
	s_fmamk_f32 s3, s52, 0x0, s3
	v_s_rcp_f32 s3, s3
	s_delay_alu instid0(TRANS32_DEP_1) | instskip(NEXT) | instid1(SALU_CYCLE_3)
	s_mul_f32 s3, s3, 0x5f7ffffc
	s_mul_f32 s16, s3, 0x2f800000
	s_delay_alu instid0(SALU_CYCLE_3) | instskip(NEXT) | instid1(SALU_CYCLE_3)
	s_trunc_f32 s16, s16
	s_fmamk_f32 s3, s16, 0xcf800000, s3
	s_cvt_u32_f32 s17, s16
	s_delay_alu instid0(SALU_CYCLE_2) | instskip(NEXT) | instid1(SALU_CYCLE_3)
	s_cvt_u32_f32 s16, s3
	s_mul_u64 s[94:95], s[92:93], s[16:17]
	s_delay_alu instid0(SALU_CYCLE_1)
	s_mul_hi_u32 s97, s16, s95
	s_mul_i32 s96, s16, s95
	s_mul_hi_u32 s28, s16, s94
	s_mul_i32 s76, s17, s94
	s_add_nc_u64 s[96:97], s[28:29], s[96:97]
	s_mul_hi_u32 s3, s17, s94
	s_mul_hi_u32 s77, s17, s95
	s_add_co_u32 s28, s96, s76
	s_add_co_ci_u32 s28, s97, s3
	s_mul_i32 s94, s17, s95
	s_add_co_ci_u32 s95, s77, 0
	s_delay_alu instid0(SALU_CYCLE_1) | instskip(NEXT) | instid1(SALU_CYCLE_1)
	s_add_nc_u64 s[94:95], s[28:29], s[94:95]
	s_add_co_u32 s16, s16, s94
	s_cselect_b32 s3, -1, 0
	s_delay_alu instid0(SALU_CYCLE_1) | instskip(SKIP_1) | instid1(SALU_CYCLE_1)
	s_cmp_lg_u32 s3, 0
	s_add_co_ci_u32 s17, s17, s95
	s_mul_u64 s[92:93], s[92:93], s[16:17]
	s_delay_alu instid0(SALU_CYCLE_1)
	s_mul_hi_u32 s95, s16, s93
	s_mul_i32 s94, s16, s93
	s_mul_hi_u32 s28, s16, s92
	s_mul_i32 s76, s17, s92
	s_add_nc_u64 s[94:95], s[28:29], s[94:95]
	s_mul_hi_u32 s3, s17, s92
	s_mul_hi_u32 s77, s17, s93
	s_add_co_u32 s28, s94, s76
	s_add_co_ci_u32 s28, s95, s3
	s_mul_i32 s92, s17, s93
	s_add_co_ci_u32 s93, s77, 0
	s_delay_alu instid0(SALU_CYCLE_1) | instskip(NEXT) | instid1(SALU_CYCLE_1)
	s_add_nc_u64 s[92:93], s[28:29], s[92:93]
	s_add_co_u32 s3, s16, s92
	s_cselect_b32 s16, -1, 0
	s_mul_hi_u32 s28, s14, s3
	s_cmp_lg_u32 s16, 0
	s_mul_hi_u32 s76, s15, s3
	s_add_co_ci_u32 s77, s17, s93
	s_mul_i32 s3, s15, s3
	s_mul_hi_u32 s17, s14, s77
	s_mul_i32 s16, s14, s77
	s_mul_hi_u32 s78, s15, s77
	s_add_nc_u64 s[16:17], s[28:29], s[16:17]
	s_mul_i32 s92, s15, s77
	s_add_co_u32 s3, s16, s3
	s_add_co_ci_u32 s28, s17, s76
	s_add_co_ci_u32 s93, s78, 0
	s_delay_alu instid0(SALU_CYCLE_1) | instskip(NEXT) | instid1(SALU_CYCLE_1)
	s_add_nc_u64 s[16:17], s[28:29], s[92:93]
	s_and_b64 s[92:93], s[16:17], 0xffffffff00000000
	s_delay_alu instid0(SALU_CYCLE_1) | instskip(NEXT) | instid1(SALU_CYCLE_1)
	s_or_b32 s92, s92, s16
	s_mul_u64 s[16:17], s[40:41], s[92:93]
	s_delay_alu instid0(SALU_CYCLE_1) | instskip(SKIP_1) | instid1(SALU_CYCLE_1)
	s_sub_co_u32 s3, s14, s16
	s_cselect_b32 s16, -1, 0
	s_cmp_lg_u32 s16, 0
	s_sub_co_ci_u32 s16, s15, s17
	s_sub_co_u32 s17, s3, s40
	s_cselect_b32 s28, -1, 0
	s_delay_alu instid0(SALU_CYCLE_1) | instskip(SKIP_3) | instid1(SALU_CYCLE_1)
	s_cmp_lg_u32 s28, 0
	s_sub_co_ci_u32 s28, s16, 0
	s_sub_co_u32 s76, s17, s40
	s_cselect_b32 s77, -1, 0
	s_cmp_lg_u32 s77, 0
	s_sub_co_ci_u32 s77, s28, 0
	s_cmp_ge_u32 s17, s40
	s_cselect_b32 s78, -1, 0
	s_cmp_eq_u32 s28, 0
	s_cselect_b32 s78, s78, -1
	s_delay_alu instid0(SALU_CYCLE_1)
	s_cmp_lg_u32 s78, 0
	s_cselect_b32 s28, s77, s28
	s_cselect_b32 s76, s76, s17
	s_cmp_ge_u32 s3, s40
	s_cselect_b32 s17, -1, 0
	s_cmp_eq_u32 s16, 0
	s_cselect_b32 s17, s17, -1
	s_delay_alu instid0(SALU_CYCLE_1)
	s_cmp_lg_u32 s17, 0
	s_cselect_b32 s17, s28, s16
	s_cselect_b32 s16, s76, s3
	s_mov_b32 s3, 0
	s_branch .LBB177_441
.LBB177_438:                            ;   in Loop: Header=BB177_31 Depth=1
                                        ; implicit-def: $sgpr18_sgpr19
	s_branch .LBB177_393
.LBB177_439:                            ;   in Loop: Header=BB177_31 Depth=1
                                        ; implicit-def: $sgpr10_sgpr11
	s_branch .LBB177_409
.LBB177_440:                            ;   in Loop: Header=BB177_31 Depth=1
	s_mov_b32 s3, -1
                                        ; implicit-def: $sgpr16_sgpr17
.LBB177_441:                            ;   in Loop: Header=BB177_31 Depth=1
	s_delay_alu instid0(SALU_CYCLE_1)
	s_and_not1_b32 vcc_lo, exec_lo, s3
	s_cbranch_vccnz .LBB177_443
; %bb.442:                              ;   in Loop: Header=BB177_31 Depth=1
	v_cvt_f32_u32_e32 v6, s40
	s_sub_co_i32 s16, 0, s40
	s_delay_alu instid0(VALU_DEP_1) | instskip(SKIP_1) | instid1(TRANS32_DEP_1)
	v_rcp_iflag_f32_e32 v6, v6
	v_nop
	v_mul_f32_e32 v6, 0x4f7ffffe, v6
	s_delay_alu instid0(VALU_DEP_1) | instskip(NEXT) | instid1(VALU_DEP_1)
	v_cvt_u32_f32_e32 v6, v6
	v_readfirstlane_b32 s3, v6
	s_mul_i32 s16, s16, s3
	s_delay_alu instid0(SALU_CYCLE_1) | instskip(NEXT) | instid1(SALU_CYCLE_1)
	s_mul_hi_u32 s16, s3, s16
	s_add_co_i32 s3, s3, s16
	s_delay_alu instid0(SALU_CYCLE_1) | instskip(NEXT) | instid1(SALU_CYCLE_1)
	s_mul_hi_u32 s3, s14, s3
	s_mul_i32 s3, s3, s40
	s_delay_alu instid0(SALU_CYCLE_1) | instskip(NEXT) | instid1(SALU_CYCLE_1)
	s_sub_co_i32 s3, s14, s3
	s_sub_co_i32 s16, s3, s40
	s_cmp_ge_u32 s3, s40
	s_cselect_b32 s3, s16, s3
	s_delay_alu instid0(SALU_CYCLE_1) | instskip(SKIP_2) | instid1(SALU_CYCLE_1)
	s_sub_co_i32 s16, s3, s40
	s_cmp_ge_u32 s3, s40
	s_cselect_b32 s28, s16, s3
	s_mov_b64 s[16:17], s[28:29]
.LBB177_443:                            ;   in Loop: Header=BB177_31 Depth=1
	s_delay_alu instid0(SALU_CYCLE_1)
	s_sub_nc_u64 s[14:15], s[14:15], s[16:17]
	s_mov_b32 s16, 0
	s_mov_b32 s3, 0
	s_mov_b32 s17, exec_lo
                                        ; implicit-def: $vgpr53
	v_cmpx_gt_u64_e64 s[14:15], v[0:1]
	s_cbranch_execz .LBB177_452
; %bb.444:                              ;   in Loop: Header=BB177_31 Depth=1
	v_mov_b64_e32 v[6:7], v[0:1]
	v_mov_b32_e32 v8, v46
                                        ; implicit-def: $sgpr28
	s_branch .LBB177_447
.LBB177_445:                            ;   in Loop: Header=BB177_447 Depth=2
	s_or_b32 exec_lo, exec_lo, s92
	s_wait_dscnt 0x0
	s_barrier_signal -1
	s_barrier_wait -1
	ds_load_b32 v9, v3 offset:3072
	s_mov_b32 s92, -1
	s_mov_b32 s93, -1
	s_wait_dscnt 0x0
	s_barrier_signal -1
	s_barrier_wait -1
	v_and_b32_e32 v10, 0xffff, v9
	s_delay_alu instid0(VALU_DEP_1)
	v_cmp_ne_u32_e32 vcc_lo, 0, v10
	s_cbranch_vccz .LBB177_450
.LBB177_446:                            ;   in Loop: Header=BB177_447 Depth=2
	s_and_b32 s76, exec_lo, s92
	s_delay_alu instid0(SALU_CYCLE_1) | instskip(SKIP_2) | instid1(SALU_CYCLE_1)
	s_or_b32 s3, s76, s3
	s_and_not1_b32 s28, s28, exec_lo
	s_and_b32 s76, s93, exec_lo
	s_or_b32 s28, s28, s76
	s_and_not1_b32 exec_lo, exec_lo, s3
	s_cbranch_execz .LBB177_451
.LBB177_447:                            ;   Parent Loop BB177_31 Depth=1
                                        ; =>  This Inner Loop Header: Depth=2
	s_mov_b32 s92, exec_lo
	s_delay_alu instid0(VALU_DEP_2)
	v_cmpx_gt_u64_e64 s[10:11], v[6:7]
	s_cbranch_execz .LBB177_445
; %bb.448:                              ;   in Loop: Header=BB177_447 Depth=2
	ds_load_u16 v9, v8
	s_wait_dscnt 0x0
	v_bfe_i32 v10, v9, 0, 16
	s_delay_alu instid0(VALU_DEP_1) | instskip(NEXT) | instid1(VALU_DEP_1)
	v_add_nc_u32_e32 v10, 0x8000, v10
	v_and_b32_e32 v10, v10, v52
	s_delay_alu instid0(VALU_DEP_1)
	v_cmp_eq_u32_e32 vcc_lo, v10, v50
	s_and_b32 exec_lo, exec_lo, vcc_lo
	s_cbranch_execz .LBB177_445
; %bb.449:                              ;   in Loop: Header=BB177_447 Depth=2
	v_perm_b32 v9, v9, 1, 0x5040100
	ds_store_b32 v3, v9 offset:3072
	s_branch .LBB177_445
.LBB177_450:                            ;   in Loop: Header=BB177_447 Depth=2
	v_add_nc_u64_e32 v[6:7], s[40:41], v[6:7]
	v_add_nc_u32_e32 v8, vcc_hi, v8
	s_mov_b32 s93, 0
	s_delay_alu instid0(VALU_DEP_2)
	v_cmp_le_u64_e32 vcc_lo, s[14:15], v[6:7]
	s_or_not1_b32 s92, vcc_lo, exec_lo
	s_branch .LBB177_446
.LBB177_451:                            ;   in Loop: Header=BB177_31 Depth=1
	s_or_b32 exec_lo, exec_lo, s3
	v_lshrrev_b32_e32 v53, 16, v9
	s_and_b32 s3, s28, exec_lo
.LBB177_452:                            ;   in Loop: Header=BB177_31 Depth=1
	s_or_b32 exec_lo, exec_lo, s17
.LBB177_453:                            ;   in Loop: Header=BB177_31 Depth=1
	s_delay_alu instid0(SALU_CYCLE_1)
	s_and_b32 vcc_lo, exec_lo, s16
	s_cbranch_vccz .LBB177_469
; %bb.454:                              ;   in Loop: Header=BB177_31 Depth=1
	s_and_b64 s[10:11], s[66:67], 0xffffffff00000000
	s_delay_alu instid0(SALU_CYCLE_1)
	s_cmp_lg_u64 s[10:11], 0
	s_cbranch_scc0 .LBB177_456
; %bb.455:                              ;   in Loop: Header=BB177_31 Depth=1
	s_cvt_f32_u32 s10, s40
	s_sub_nc_u64 s[14:15], 0, s[40:41]
	s_delay_alu instid0(SALU_CYCLE_2) | instskip(NEXT) | instid1(SALU_CYCLE_3)
	s_fmamk_f32 s10, s52, 0x0, s10
	v_s_rcp_f32 s10, s10
	s_delay_alu instid0(TRANS32_DEP_1) | instskip(NEXT) | instid1(SALU_CYCLE_3)
	s_mul_f32 s10, s10, 0x5f7ffffc
	s_mul_f32 s11, s10, 0x2f800000
	s_delay_alu instid0(SALU_CYCLE_3) | instskip(NEXT) | instid1(SALU_CYCLE_3)
	s_trunc_f32 s11, s11
	s_fmamk_f32 s10, s11, 0xcf800000, s10
	s_cvt_u32_f32 s11, s11
	s_delay_alu instid0(SALU_CYCLE_2) | instskip(NEXT) | instid1(SALU_CYCLE_3)
	s_cvt_u32_f32 s10, s10
	s_mul_u64 s[16:17], s[14:15], s[10:11]
	s_delay_alu instid0(SALU_CYCLE_1)
	s_mul_hi_u32 s91, s10, s17
	s_mul_i32 s90, s10, s17
	s_mul_hi_u32 s28, s10, s16
	s_mul_i32 s77, s11, s16
	s_add_nc_u64 s[90:91], s[28:29], s[90:91]
	s_mul_hi_u32 s76, s11, s16
	s_mul_hi_u32 s78, s11, s17
	s_mul_i32 s16, s11, s17
	s_add_co_u32 s17, s90, s77
	s_add_co_ci_u32 s28, s91, s76
	s_add_co_ci_u32 s17, s78, 0
	s_delay_alu instid0(SALU_CYCLE_1) | instskip(NEXT) | instid1(SALU_CYCLE_1)
	s_add_nc_u64 s[16:17], s[28:29], s[16:17]
	s_add_co_u32 s10, s10, s16
	s_cselect_b32 s16, -1, 0
	s_delay_alu instid0(SALU_CYCLE_1) | instskip(SKIP_1) | instid1(SALU_CYCLE_1)
	s_cmp_lg_u32 s16, 0
	s_add_co_ci_u32 s11, s11, s17
	s_mul_u64 s[14:15], s[14:15], s[10:11]
	s_delay_alu instid0(SALU_CYCLE_1)
	s_mul_hi_u32 s17, s10, s15
	s_mul_i32 s16, s10, s15
	s_mul_hi_u32 s28, s10, s14
	s_mul_i32 s77, s11, s14
	s_add_nc_u64 s[16:17], s[28:29], s[16:17]
	s_mul_hi_u32 s76, s11, s14
	s_mul_hi_u32 s78, s11, s15
	s_mul_i32 s14, s11, s15
	s_add_co_u32 s15, s16, s77
	s_add_co_ci_u32 s28, s17, s76
	s_add_co_ci_u32 s15, s78, 0
	s_delay_alu instid0(SALU_CYCLE_1) | instskip(NEXT) | instid1(SALU_CYCLE_1)
	s_add_nc_u64 s[14:15], s[28:29], s[14:15]
	s_add_co_u32 s10, s10, s14
	s_cselect_b32 s14, -1, 0
	s_mul_hi_u32 s28, s66, s10
	s_cmp_lg_u32 s14, 0
	s_mul_hi_u32 s16, s67, s10
	s_add_co_ci_u32 s14, s11, s15
	s_mul_i32 s15, s67, s10
	s_mul_hi_u32 s11, s66, s14
	s_mul_i32 s10, s66, s14
	s_mul_hi_u32 s17, s67, s14
	s_add_nc_u64 s[10:11], s[28:29], s[10:11]
	s_mul_i32 s14, s67, s14
	s_add_co_u32 s10, s10, s15
	s_add_co_ci_u32 s28, s11, s16
	s_add_co_ci_u32 s15, s17, 0
	s_delay_alu instid0(SALU_CYCLE_1) | instskip(NEXT) | instid1(SALU_CYCLE_1)
	s_add_nc_u64 s[10:11], s[28:29], s[14:15]
	s_and_b64 s[14:15], s[10:11], 0xffffffff00000000
	s_delay_alu instid0(SALU_CYCLE_1) | instskip(NEXT) | instid1(SALU_CYCLE_1)
	s_or_b32 s14, s14, s10
	s_mul_u64 s[10:11], s[40:41], s[14:15]
	s_delay_alu instid0(SALU_CYCLE_1) | instskip(SKIP_1) | instid1(SALU_CYCLE_1)
	s_sub_co_u32 s10, s66, s10
	s_cselect_b32 s14, -1, 0
	s_cmp_lg_u32 s14, 0
	s_sub_co_ci_u32 s11, s67, s11
	s_sub_co_u32 s14, s10, s40
	s_cselect_b32 s15, -1, 0
	s_delay_alu instid0(SALU_CYCLE_1) | instskip(SKIP_3) | instid1(SALU_CYCLE_1)
	s_cmp_lg_u32 s15, 0
	s_sub_co_ci_u32 s15, s11, 0
	s_sub_co_u32 s16, s14, s40
	s_cselect_b32 s17, -1, 0
	s_cmp_lg_u32 s17, 0
	s_sub_co_ci_u32 s17, s15, 0
	s_cmp_ge_u32 s14, s40
	s_cselect_b32 s28, -1, 0
	s_cmp_eq_u32 s15, 0
	s_cselect_b32 s28, s28, -1
	s_delay_alu instid0(SALU_CYCLE_1)
	s_cmp_lg_u32 s28, 0
	s_cselect_b32 s15, s17, s15
	s_cselect_b32 s14, s16, s14
	s_cmp_ge_u32 s10, s40
	s_cselect_b32 s16, -1, 0
	s_cmp_eq_u32 s11, 0
	s_cselect_b32 s16, s16, -1
	s_delay_alu instid0(SALU_CYCLE_1)
	s_cmp_lg_u32 s16, 0
	s_cselect_b32 s11, s15, s11
	s_cselect_b32 s10, s14, s10
	s_mov_b32 s14, 0
	s_branch .LBB177_457
.LBB177_456:                            ;   in Loop: Header=BB177_31 Depth=1
	s_mov_b32 s14, -1
                                        ; implicit-def: $sgpr10_sgpr11
.LBB177_457:                            ;   in Loop: Header=BB177_31 Depth=1
	s_delay_alu instid0(SALU_CYCLE_1)
	s_and_not1_b32 vcc_lo, exec_lo, s14
	s_cbranch_vccnz .LBB177_459
; %bb.458:                              ;   in Loop: Header=BB177_31 Depth=1
	v_cvt_f32_u32_e32 v6, s40
	s_sub_co_i32 s11, 0, s40
	s_delay_alu instid0(VALU_DEP_1) | instskip(SKIP_1) | instid1(TRANS32_DEP_1)
	v_rcp_iflag_f32_e32 v6, v6
	v_nop
	v_mul_f32_e32 v6, 0x4f7ffffe, v6
	s_delay_alu instid0(VALU_DEP_1) | instskip(NEXT) | instid1(VALU_DEP_1)
	v_cvt_u32_f32_e32 v6, v6
	v_readfirstlane_b32 s10, v6
	s_mul_i32 s11, s11, s10
	s_delay_alu instid0(SALU_CYCLE_1) | instskip(NEXT) | instid1(SALU_CYCLE_1)
	s_mul_hi_u32 s11, s10, s11
	s_add_co_i32 s10, s10, s11
	s_delay_alu instid0(SALU_CYCLE_1) | instskip(NEXT) | instid1(SALU_CYCLE_1)
	s_mul_hi_u32 s10, s66, s10
	s_mul_i32 s10, s10, s40
	s_delay_alu instid0(SALU_CYCLE_1) | instskip(NEXT) | instid1(SALU_CYCLE_1)
	s_sub_co_i32 s10, s66, s10
	s_sub_co_i32 s11, s10, s40
	s_cmp_ge_u32 s10, s40
	s_cselect_b32 s10, s11, s10
	s_delay_alu instid0(SALU_CYCLE_1) | instskip(SKIP_2) | instid1(SALU_CYCLE_1)
	s_sub_co_i32 s11, s10, s40
	s_cmp_ge_u32 s10, s40
	s_cselect_b32 s28, s11, s10
	s_mov_b64 s[10:11], s[28:29]
.LBB177_459:                            ;   in Loop: Header=BB177_31 Depth=1
	s_delay_alu instid0(SALU_CYCLE_1)
	s_sub_nc_u64 s[10:11], s[66:67], s[10:11]
	s_mov_b32 s14, exec_lo
                                        ; implicit-def: $vgpr53
	v_nop
	v_cmpx_gt_u64_e64 s[10:11], v[0:1]
	s_cbranch_execz .LBB177_468
; %bb.460:                              ;   in Loop: Header=BB177_31 Depth=1
	v_mov_b64_e32 v[6:7], v[30:31]
	v_mov_b64_e32 v[8:9], v[0:1]
	s_mov_b32 s15, 0
                                        ; implicit-def: $sgpr16
	s_branch .LBB177_463
.LBB177_461:                            ;   in Loop: Header=BB177_463 Depth=2
	s_or_b32 exec_lo, exec_lo, s17
	s_wait_dscnt 0x0
	s_barrier_signal -1
	s_barrier_wait -1
	ds_load_b32 v10, v3 offset:3072
	s_mov_b32 s17, -1
	s_mov_b32 s28, -1
	s_wait_dscnt 0x0
	s_barrier_signal -1
	s_barrier_wait -1
	v_and_b32_e32 v11, 0xffff, v10
	s_delay_alu instid0(VALU_DEP_1)
	v_cmp_eq_u32_e32 vcc_lo, 0, v11
	s_cbranch_vccnz .LBB177_466
.LBB177_462:                            ;   in Loop: Header=BB177_463 Depth=2
	s_and_b32 s17, exec_lo, s17
	s_delay_alu instid0(SALU_CYCLE_1) | instskip(SKIP_2) | instid1(SALU_CYCLE_1)
	s_or_b32 s15, s17, s15
	s_and_not1_b32 s16, s16, exec_lo
	s_and_b32 s17, s28, exec_lo
	s_or_b32 s16, s16, s17
	s_and_not1_b32 exec_lo, exec_lo, s15
	s_cbranch_execz .LBB177_467
.LBB177_463:                            ;   Parent Loop BB177_31 Depth=1
                                        ; =>  This Inner Loop Header: Depth=2
	s_mov_b32 s17, exec_lo
	s_delay_alu instid0(VALU_DEP_1)
	v_cmpx_gt_u64_e64 s[36:37], v[8:9]
	s_cbranch_execz .LBB177_461
; %bb.464:                              ;   in Loop: Header=BB177_463 Depth=2
	global_load_u16 v10, v[6:7], off
	s_wait_loadcnt 0x0
	v_bfe_i32 v11, v10, 0, 16
	s_delay_alu instid0(VALU_DEP_1) | instskip(NEXT) | instid1(VALU_DEP_1)
	v_add_nc_u32_e32 v11, 0x8000, v11
	v_and_b32_e32 v11, v11, v52
	s_delay_alu instid0(VALU_DEP_1)
	v_cmp_eq_u32_e32 vcc_lo, v11, v50
	s_and_b32 exec_lo, exec_lo, vcc_lo
	s_cbranch_execz .LBB177_461
; %bb.465:                              ;   in Loop: Header=BB177_463 Depth=2
	v_perm_b32 v10, v10, 1, 0x5040100
	ds_store_b32 v3, v10 offset:3072
	s_branch .LBB177_461
.LBB177_466:                            ;   in Loop: Header=BB177_463 Depth=2
	v_add_nc_u64_e32 v[8:9], s[40:41], v[8:9]
	v_add_nc_u64_e32 v[6:7], s[44:45], v[6:7]
	s_mov_b32 s28, 0
	s_delay_alu instid0(VALU_DEP_2)
	v_cmp_le_u64_e32 vcc_lo, s[10:11], v[8:9]
	s_or_not1_b32 s17, vcc_lo, exec_lo
	s_branch .LBB177_462
.LBB177_467:                            ;   in Loop: Header=BB177_31 Depth=1
	s_or_b32 exec_lo, exec_lo, s15
	v_lshrrev_b32_e32 v53, 16, v10
	s_and_not1_b32 s3, s3, exec_lo
	s_and_b32 s10, s16, exec_lo
	s_delay_alu instid0(SALU_CYCLE_1)
	s_or_b32 s3, s3, s10
.LBB177_468:                            ;   in Loop: Header=BB177_31 Depth=1
	s_or_b32 exec_lo, exec_lo, s14
	s_mov_b32 s90, 0
	s_mov_b32 s91, -1
.LBB177_469:                            ;   in Loop: Header=BB177_31 Depth=1
	s_or_not1_b32 s10, s3, exec_lo
.LBB177_470:                            ;   in Loop: Header=BB177_31 Depth=1
	s_or_b32 exec_lo, exec_lo, s89
	s_mov_b32 s11, 0
	s_and_saveexec_b32 s3, s10
	s_cbranch_execz .LBB177_481
; %bb.471:                              ;   in Loop: Header=BB177_31 Depth=1
	v_mov_b64_e32 v[6:7], 1
	v_mov_b32_e32 v2, 1
	s_xor_b32 s11, s88, -1
	s_delay_alu instid0(SALU_CYCLE_1)
	s_and_saveexec_b32 s10, s11
	s_cbranch_execz .LBB177_480
; %bb.472:                              ;   in Loop: Header=BB177_31 Depth=1
	s_mov_b32 s11, exec_lo
	v_cmpx_ge_u64_e64 s[12:13], v[4:5]
	s_xor_b32 s11, exec_lo, s11
	s_cbranch_execz .LBB177_477
; %bb.473:                              ;   in Loop: Header=BB177_31 Depth=1
	ds_load_b64 v[6:7], v3 offset:5120
	v_and_b32_e32 v50, s25, v50
	v_or_b32_e32 v52, s24, v52
	s_wait_dscnt 0x0
	v_cmp_ne_u64_e32 vcc_lo, 0, v[6:7]
	s_cbranch_vccnz .LBB177_477
; %bb.474:                              ;   in Loop: Header=BB177_31 Depth=1
	s_and_saveexec_b32 s14, s5
; %bb.475:                              ;   in Loop: Header=BB177_31 Depth=1
	v_mov_b64_e32 v[6:7], s[12:13]
	ds_store_b64 v3, v[6:7] offset:5128
; %bb.476:                              ;   in Loop: Header=BB177_31 Depth=1
	s_or_b32 exec_lo, exec_lo, s14
	s_wait_dscnt 0x0
	s_barrier_signal -1
	s_barrier_wait -1
.LBB177_477:                            ;   in Loop: Header=BB177_31 Depth=1
	s_and_not1_saveexec_b32 s11, s11
; %bb.478:                              ;   in Loop: Header=BB177_31 Depth=1
	v_sub_nc_u64_e64 v[4:5], v[4:5], s[12:13]
; %bb.479:                              ;   in Loop: Header=BB177_31 Depth=1
	s_or_b32 exec_lo, exec_lo, s11
	s_delay_alu instid0(VALU_DEP_1)
	v_mov_b64_e32 v[6:7], v[4:5]
	v_mov_b32_e32 v2, 5
.LBB177_480:                            ;   in Loop: Header=BB177_31 Depth=1
	s_or_b32 exec_lo, exec_lo, s10
	s_delay_alu instid0(VALU_DEP_2)
	v_mov_b64_e32 v[4:5], v[6:7]
	s_mov_b32 s11, exec_lo
.LBB177_481:                            ;   in Loop: Header=BB177_31 Depth=1
	s_or_b32 exec_lo, exec_lo, s3
	s_delay_alu instid0(SALU_CYCLE_1)
	s_or_not1_b32 s3, s11, exec_lo
.LBB177_482:                            ;   in Loop: Header=BB177_31 Depth=1
	s_or_b32 exec_lo, exec_lo, s19
	s_delay_alu instid0(VALU_DEP_1)
	v_mov_b64_e32 v[6:7], v[4:5]
	s_and_not1_b32 s10, s87, exec_lo
	s_and_b32 s11, s91, exec_lo
	s_and_not1_b32 s12, s85, exec_lo
	s_and_b32 s13, s90, exec_lo
	s_or_b32 s87, s10, s11
	s_or_b32 s85, s12, s13
	s_and_b32 s10, s3, exec_lo
.LBB177_483:                            ;   in Loop: Header=BB177_31 Depth=1
	s_or_b32 exec_lo, exec_lo, s18
	s_delay_alu instid0(SALU_CYCLE_1)
	s_or_not1_b32 s3, s10, exec_lo
.LBB177_484:                            ;   in Loop: Header=BB177_31 Depth=1
	s_or_b32 exec_lo, exec_lo, s21
	v_mov_b64_e32 v[4:5], v[6:7]
	s_and_not1_b32 s10, s84, exec_lo
	s_and_b32 s11, s87, exec_lo
	s_and_not1_b32 s12, s23, exec_lo
	s_and_b32 s13, s85, exec_lo
	s_or_b32 s84, s10, s11
	s_or_b32 s23, s12, s13
	s_and_b32 s10, s3, exec_lo
.LBB177_485:                            ;   in Loop: Header=BB177_31 Depth=1
	s_or_b32 exec_lo, exec_lo, s20
	s_delay_alu instid0(SALU_CYCLE_1)
	s_or_not1_b32 s3, s10, exec_lo
.LBB177_486:                            ;   in Loop: Header=BB177_31 Depth=1
	s_or_b32 exec_lo, exec_lo, s9
	s_mov_b32 s9, s75
	s_mov_b32 s10, s27
	s_and_saveexec_b32 s11, s3
; %bb.487:                              ;   in Loop: Header=BB177_31 Depth=1
	v_cmp_ne_u32_e32 vcc_lo, 5, v2
	v_cmp_eq_u32_e64 s9, 5, v2
	s_and_not1_b32 s3, s27, exec_lo
	s_and_not1_b32 s12, s75, exec_lo
	s_and_b32 s10, vcc_lo, exec_lo
	s_and_b32 s9, s9, exec_lo
	s_or_b32 s10, s3, s10
	s_or_b32 s9, s12, s9
; %bb.488:                              ;   in Loop: Header=BB177_31 Depth=1
	s_or_b32 exec_lo, exec_lo, s11
	s_delay_alu instid0(SALU_CYCLE_1)
	s_and_not1_b32 s3, s86, exec_lo
	s_and_b32 s11, s84, exec_lo
	s_and_not1_b32 s12, s26, exec_lo
	s_and_b32 s13, s23, exec_lo
	s_or_b32 s86, s3, s11
	s_and_not1_b32 s3, s27, exec_lo
	s_and_b32 s10, s10, exec_lo
	s_and_not1_b32 s11, s75, exec_lo
	s_and_b32 s9, s9, exec_lo
	s_or_b32 s26, s12, s13
	s_or_b32 s27, s3, s10
	;; [unrolled: 1-line block ×3, first 2 shown]
.LBB177_489:                            ;   in Loop: Header=BB177_31 Depth=1
	s_or_b32 exec_lo, exec_lo, s22
	s_mov_b32 s84, 0
	s_mov_b32 s85, 0
	s_and_saveexec_b32 s3, s75
.LBB177_490:                            ;   in Loop: Header=BB177_31 Depth=1
	v_mov_b32_e32 v2, 0
	s_or_b32 s27, s27, exec_lo
.LBB177_491:                            ;   in Loop: Header=BB177_31 Depth=1
	s_or_b32 exec_lo, exec_lo, s3
	v_mov_b64_e32 v[32:33], v[4:5]
	s_and_not1_b32 s3, s7, exec_lo
	s_and_b32 s7, s86, exec_lo
	s_and_not1_b32 s10, s50, exec_lo
	s_and_b32 s11, s26, exec_lo
	s_or_b32 s7, s3, s7
	s_or_b32 s50, s10, s11
	s_and_not1_b32 s3, s74, exec_lo
	s_and_b32 s10, s85, exec_lo
	s_and_not1_b32 s4, s4, exec_lo
	s_and_b32 s11, s84, exec_lo
	s_mov_b32 s9, -1
	s_and_not1_b32 s51, s51, exec_lo
	s_or_b32 s74, s3, s10
	s_or_b32 s4, s4, s11
	s_and_saveexec_b32 s3, s27
	s_delay_alu instid0(SALU_CYCLE_1)
	s_xor_b32 s3, exec_lo, s3
	s_cbranch_execz .LBB177_30
; %bb.492:                              ;   in Loop: Header=BB177_31 Depth=1
	s_mov_b32 s10, -1
	s_mov_b32 s11, exec_lo
	v_cmpx_eq_u32_e32 0, v2
	s_cbranch_execz .LBB177_29
; %bb.493:                              ;   in Loop: Header=BB177_31 Depth=1
	s_xor_b32 s56, s56, 1
	s_add_co_i32 s12, s53, -2
	s_cmp_eq_u32 s53, 0
	s_mov_b32 s53, s12
	s_cselect_b32 s9, -1, 0
	s_xor_b32 s10, exec_lo, -1
	s_or_not1_b32 s9, s9, exec_lo
	s_branch .LBB177_29
.LBB177_494:
	s_or_b32 exec_lo, exec_lo, s54
	s_xor_b32 s6, s8, -1
	s_xor_b32 s8, s58, -1
	;; [unrolled: 1-line block ×5, first 2 shown]
	s_mov_b32 s7, 0
	s_and_saveexec_b32 s10, s4
	s_delay_alu instid0(SALU_CYCLE_1)
	s_xor_b32 s4, exec_lo, s10
	s_cbranch_execnz .LBB177_499
; %bb.495:
	s_and_not1_saveexec_b32 s0, s4
	s_cbranch_execnz .LBB177_518
.LBB177_496:
	s_or_b32 exec_lo, exec_lo, s0
	s_and_saveexec_b32 s0, s7
.LBB177_497:
	; divergent unreachable
.LBB177_498:
	s_endpgm
.LBB177_499:
	s_and_saveexec_b32 s10, s9
	s_delay_alu instid0(SALU_CYCLE_1)
	s_xor_b32 s16, exec_lo, s10
	s_cbranch_execz .LBB177_516
; %bb.500:
	s_and_saveexec_b32 s9, s8
	s_delay_alu instid0(SALU_CYCLE_1)
	s_xor_b32 s17, exec_lo, s9
	s_cbranch_execz .LBB177_514
; %bb.501:
	s_and_saveexec_b32 s8, s6
	s_delay_alu instid0(SALU_CYCLE_1)
	s_xor_b32 s18, exec_lo, s8
	s_cbranch_execz .LBB177_512
; %bb.502:
	s_and_saveexec_b32 s6, s3
	s_delay_alu instid0(SALU_CYCLE_1)
	s_xor_b32 s3, exec_lo, s6
; %bb.503:
	v_xor_b32_e32 v53, 0xffff8000, v50
; %bb.504:
	s_or_b32 exec_lo, exec_lo, s3
	s_and_saveexec_b32 s3, s5
	v_readlane_b32 s26, v62, 9
; %bb.505:
	v_mov_b64_e32 v[2:3], 0
	v_mov_b32_e32 v4, 0
	ds_store_b64 v4, v[2:3] offset:5136
; %bb.506:
	s_or_b32 exec_lo, exec_lo, s3
	v_mov_b32_e32 v13, 0
	s_wait_dscnt 0x0
	s_barrier_signal -1
	s_barrier_wait -1
	s_mov_b32 s3, exec_lo
	v_readlane_b32 s5, v62, 8
	s_and_b32 s5, s3, s5
	s_delay_alu instid0(SALU_CYCLE_1)
	s_mov_b32 exec_lo, s5
	s_cbranch_execz .LBB177_508
; %bb.507:
	global_load_u16 v13, v[14:15], off
.LBB177_508:
	s_wait_xcnt 0x0
	s_or_b32 exec_lo, exec_lo, s3
	v_readlane_b32 s12, v62, 0
	v_readlane_b32 s13, v62, 1
	s_clause 0x1
	s_load_b64 s[6:7], s[0:1], 0x368
	s_load_b64 s[8:9], s[0:1], 0x510
	s_wait_xcnt 0x0
	s_add_nc_u64 s[0:1], s[36:37], 31
	s_mov_b64 s[10:11], 0xffffffffffffffe0
	v_readlane_b32 s14, v62, 4
	s_mul_u64 s[12:13], s[12:13], s[42:43]
	s_and_b64 s[10:11], s[0:1], s[10:11]
	s_lshl_b64 s[0:1], s[12:13], 1
	v_readlane_b32 s12, v62, 2
	v_readlane_b32 s13, v62, 3
	;; [unrolled: 1-line block ×5, first 2 shown]
	v_cmp_gt_u64_e32 vcc_lo, s[10:11], v[0:1]
	s_mul_u64 s[12:13], s[12:13], s[48:49]
	s_lshl_b64 s[22:23], s[46:47], 3
	s_lshl_b64 s[12:13], s[12:13], 3
	s_add_nc_u64 s[0:1], s[14:15], s[0:1]
	s_lshl_b64 s[14:15], s[34:35], 1
	s_add_nc_u64 s[20:21], s[20:21], s[12:13]
	s_add_nc_u64 s[12:13], s[0:1], s[14:15]
	s_add_nc_u64 s[14:15], s[20:21], s[22:23]
	s_mov_b32 s0, -1
	s_mov_b32 s5, 0
	s_mov_b32 s1, 0
	s_and_saveexec_b32 s3, vcc_lo
	s_cbranch_execnz .LBB177_519
; %bb.509:
	s_or_b32 exec_lo, exec_lo, s3
	s_and_saveexec_b32 s3, s0
	s_cbranch_execnz .LBB177_534
.LBB177_510:
	s_or_b32 exec_lo, exec_lo, s3
	s_and_saveexec_b32 s0, s1
	s_delay_alu instid0(SALU_CYCLE_1)
	s_xor_b32 s0, exec_lo, s0
	s_cbranch_execnz .LBB177_557
.LBB177_511:
	s_or_b32 exec_lo, exec_lo, s0
	s_wait_kmcnt 0x0
	s_and_b32 s7, s5, exec_lo
.LBB177_512:
	s_and_not1_saveexec_b32 s0, s18
	s_cbranch_execnz .LBB177_559
.LBB177_513:
	s_or_b32 exec_lo, exec_lo, s0
	s_delay_alu instid0(SALU_CYCLE_1)
	s_and_b32 s7, s7, exec_lo
.LBB177_514:
	s_and_not1_saveexec_b32 s0, s17
	s_cbranch_execnz .LBB177_558
.LBB177_515:
	s_or_b32 exec_lo, exec_lo, s0
	s_delay_alu instid0(SALU_CYCLE_1)
	s_and_b32 s7, s7, exec_lo
.LBB177_516:
	s_and_not1_saveexec_b32 s0, s16
	s_cbranch_execnz .LBB177_553
.LBB177_517:
	s_or_b32 exec_lo, exec_lo, s0
	s_delay_alu instid0(SALU_CYCLE_1)
	s_and_b32 s7, s7, exec_lo
	s_and_not1_saveexec_b32 s0, s4
	s_cbranch_execz .LBB177_496
.LBB177_518:
	s_or_b32 s7, s7, exec_lo
	s_trap 2
	s_or_b32 exec_lo, exec_lo, s0
	s_and_saveexec_b32 s0, s7
	s_cbranch_execnz .LBB177_497
	s_branch .LBB177_498
.LBB177_519:
	v_add_nc_u64_e32 v[2:3], s[40:41], v[0:1]
	v_readlane_b32 s0, v62, 21
	v_readlane_b32 s1, v62, 22
	v_mov_b64_e32 v[10:11], v[0:1]
	s_mov_b32 s19, 0
                                        ; implicit-def: $sgpr20
                                        ; implicit-def: $vgpr8_vgpr9
	v_mul_u64_e32 v[4:5], s[30:31], v[2:3]
	v_bfe_i32 v2, v53, 0, 16
	s_delay_alu instid0(VALU_DEP_1) | instskip(NEXT) | instid1(VALU_DEP_3)
	v_dual_mov_b32 v3, 0 :: v_dual_add_nc_u32 v18, 0x8000, v2
	v_lshl_add_u64 v[4:5], v[4:5], 1, s[0:1]
	s_branch .LBB177_521
.LBB177_520:                            ;   in Loop: Header=BB177_521 Depth=1
	s_or_b32 exec_lo, exec_lo, s22
	s_xor_b32 s0, s21, -1
	s_and_b32 s1, exec_lo, s1
	v_mov_b64_e32 v[10:11], v[6:7]
	v_mov_b32_e32 v13, v19
	s_or_b32 s19, s1, s19
	s_and_not1_b32 s1, s20, exec_lo
	s_and_b32 s0, s0, exec_lo
	s_delay_alu instid0(SALU_CYCLE_1)
	s_or_b32 s20, s1, s0
	s_and_not1_b32 exec_lo, exec_lo, s19
	s_cbranch_execz .LBB177_533
.LBB177_521:                            ; =>This Inner Loop Header: Depth=1
	v_add_nc_u64_e32 v[6:7], s[40:41], v[10:11]
	v_mov_b32_e32 v19, 0
	s_mov_b32 s1, exec_lo
	s_delay_alu instid0(VALU_DEP_2)
	v_cmpx_gt_u64_e64 s[36:37], v[6:7]
	s_cbranch_execz .LBB177_523
; %bb.522:                              ;   in Loop: Header=BB177_521 Depth=1
	global_load_u16 v19, v[4:5], off
.LBB177_523:                            ;   in Loop: Header=BB177_521 Depth=1
	s_wait_xcnt 0x0
	s_or_b32 exec_lo, exec_lo, s1
	s_wait_loadcnt 0x0
	v_bfe_i32 v2, v13, 0, 16
	s_delay_alu instid0(VALU_DEP_1) | instskip(NEXT) | instid1(VALU_DEP_1)
	v_add_nc_u32_e32 v2, 0x8000, v2
	v_cmp_gt_u32_e64 s0, v2, v18
	s_delay_alu instid0(VALU_DEP_1) | instskip(SKIP_1) | instid1(VALU_DEP_1)
	v_cndmask_b32_e64 v16, 0, 1, s0
	v_cmp_lt_u32_e64 s0, v2, v18
	v_cndmask_b32_e64 v2, 0, 1, s0
	v_cmp_gt_u64_e64 s0, s[36:37], v[10:11]
	s_delay_alu instid0(VALU_DEP_2) | instskip(NEXT) | instid1(VALU_DEP_1)
	v_cndmask_b32_e64 v2, v2, v16, s26
	v_and_b32_e32 v2, 1, v2
	s_delay_alu instid0(VALU_DEP_1) | instskip(SKIP_1) | instid1(SALU_CYCLE_1)
	v_cmp_eq_u32_e64 s1, 1, v2
	s_and_b32 s21, s0, s1
	v_cndmask_b32_e64 v2, 0, 1, s21
	s_delay_alu instid0(VALU_DEP_1) | instskip(SKIP_2) | instid1(SALU_CYCLE_1)
	v_cmp_ne_u32_e64 s0, 0, v2
	s_cmp_lg_u32 s0, 0
	s_cselect_b32 s1, -1, 0
	s_and_b32 s1, s2, s1
	s_delay_alu instid0(SALU_CYCLE_1)
	s_and_saveexec_b32 s22, s1
	s_cbranch_execz .LBB177_527
; %bb.524:                              ;   in Loop: Header=BB177_521 Depth=1
	s_mov_b32 s25, exec_lo
	s_bcnt1_i32_b32 s23, s0
	v_mbcnt_lo_u32_b32 v16, s25, 0
	s_mov_b32 s24, exec_lo
                                        ; implicit-def: $vgpr8_vgpr9
	s_delay_alu instid0(VALU_DEP_1)
	v_cmpx_eq_u32_e32 0, v16
	s_cbranch_execz .LBB177_526
; %bb.525:                              ;   in Loop: Header=BB177_521 Depth=1
	s_bcnt1_i32_b32 s1, s25
	s_delay_alu instid0(SALU_CYCLE_1) | instskip(NEXT) | instid1(SALU_CYCLE_1)
	s_mul_i32 s1, s23, s1
	v_mov_b32_e32 v2, s1
	s_wait_dscnt 0x0
	ds_add_rtn_u64 v[8:9], v3, v[2:3] offset:5136
.LBB177_526:                            ;   in Loop: Header=BB177_521 Depth=1
	s_or_b32 exec_lo, exec_lo, s24
	s_wait_dscnt 0x0
	v_readfirstlane_b32 s25, v9
	v_readfirstlane_b32 s24, v8
	s_delay_alu instid0(VALU_DEP_1)
	v_mad_nc_u64_u32 v[8:9], s23, v16, s[24:25]
.LBB177_527:                            ;   in Loop: Header=BB177_521 Depth=1
	s_or_b32 exec_lo, exec_lo, s22
	s_wait_dscnt 0x1
	ds_bpermute_b32 v8, v3, v8
	s_wait_dscnt 0x1
	ds_bpermute_b32 v9, v3, v9
	s_mov_b32 s1, -1
	s_mov_b32 s23, -1
	s_and_saveexec_b32 s22, s21
	s_cbranch_execz .LBB177_531
; %bb.528:                              ;   in Loop: Header=BB177_521 Depth=1
	v_and_b32_e32 v2, s0, v12
	s_mov_b32 s21, 0
	s_mov_b32 s23, exec_lo
	s_delay_alu instid0(VALU_DEP_1) | instskip(SKIP_1) | instid1(VALU_DEP_1)
	v_bcnt_u32_b32 v2, v2, 0
	s_wait_dscnt 0x0
	v_add_nc_u64_e32 v[16:17], v[8:9], v[2:3]
	s_delay_alu instid0(VALU_DEP_1)
	v_cmpx_gt_u64_e64 s[38:39], v[16:17]
	s_cbranch_execz .LBB177_530
; %bb.529:                              ;   in Loop: Header=BB177_521 Depth=1
	s_wait_kmcnt 0x0
	v_mul_u64_e32 v[20:21], s[6:7], v[16:17]
	v_mul_u64_e32 v[16:17], s[8:9], v[16:17]
	s_mov_b32 s21, exec_lo
	s_delay_alu instid0(VALU_DEP_2) | instskip(NEXT) | instid1(VALU_DEP_2)
	v_lshl_add_u64 v[20:21], v[20:21], 1, s[12:13]
	v_lshl_add_u64 v[16:17], v[16:17], 3, s[14:15]
	global_store_b16 v[20:21], v13, off
	global_store_b64 v[16:17], v[10:11], off
.LBB177_530:                            ;   in Loop: Header=BB177_521 Depth=1
	s_wait_xcnt 0x0
	s_or_b32 exec_lo, exec_lo, s23
	s_delay_alu instid0(SALU_CYCLE_1)
	s_or_not1_b32 s23, s21, exec_lo
.LBB177_531:                            ;   in Loop: Header=BB177_521 Depth=1
	s_or_b32 exec_lo, exec_lo, s22
	s_mov_b32 s21, -1
	s_and_saveexec_b32 s22, s23
	s_cbranch_execz .LBB177_520
; %bb.532:                              ;   in Loop: Header=BB177_521 Depth=1
	v_cmp_le_u64_e64 s0, s[10:11], v[6:7]
	v_add_nc_u64_e32 v[4:5], s[44:45], v[4:5]
	s_xor_b32 s21, exec_lo, -1
	s_or_not1_b32 s1, s0, exec_lo
	s_branch .LBB177_520
.LBB177_533:
	s_or_b32 exec_lo, exec_lo, s19
	s_delay_alu instid0(SALU_CYCLE_1)
	s_mov_b32 s1, exec_lo
	s_or_not1_b32 s0, s20, exec_lo
	s_or_b32 exec_lo, exec_lo, s3
	s_and_saveexec_b32 s3, s0
	s_cbranch_execz .LBB177_510
.LBB177_534:
	v_mov_b32_e32 v4, 0
	s_wait_storecnt 0x0
	s_wait_loadcnt_dscnt 0x0
	s_barrier_signal -1
	s_barrier_wait -1
	s_mov_b32 s0, exec_lo
	v_readlane_b32 s5, v62, 8
	s_and_b32 s5, s0, s5
	s_delay_alu instid0(SALU_CYCLE_1)
	s_mov_b32 exec_lo, s5
	s_cbranch_execz .LBB177_536
; %bb.535:
	global_load_u16 v4, v[14:15], off
.LBB177_536:
	s_wait_xcnt 0x0
	s_or_b32 exec_lo, exec_lo, s0
	s_mov_b32 s0, 0
	s_and_saveexec_b32 s5, vcc_lo
	s_cbranch_execz .LBB177_556
; %bb.537:
	v_add_nc_u64_e32 v[2:3], s[40:41], v[0:1]
	v_readlane_b32 s20, v62, 21
	v_readlane_b32 s21, v62, 22
	v_mov_b32_e32 v5, 0
	s_mov_b32 s19, 0
                                        ; implicit-def: $vgpr8_vgpr9
	v_mul_u64_e32 v[2:3], s[30:31], v[2:3]
	s_delay_alu instid0(VALU_DEP_1)
	v_lshl_add_u64 v[2:3], v[2:3], 1, s[20:21]
                                        ; implicit-def: $sgpr20
	s_branch .LBB177_540
.LBB177_538:                            ;   in Loop: Header=BB177_540 Depth=1
	s_or_b32 exec_lo, exec_lo, s23
	s_delay_alu instid0(SALU_CYCLE_1)
	s_or_not1_b32 s23, s21, exec_lo
	s_or_not1_b32 s22, s22, exec_lo
.LBB177_539:                            ;   in Loop: Header=BB177_540 Depth=1
	s_or_b32 exec_lo, exec_lo, s0
	s_xor_b32 s0, s23, -1
	s_and_b32 s21, exec_lo, s22
	v_mov_b64_e32 v[0:1], v[6:7]
	s_or_b32 s19, s21, s19
	v_mov_b32_e32 v4, v13
	s_and_not1_b32 s20, s20, exec_lo
	s_and_b32 s0, s0, exec_lo
	s_delay_alu instid0(SALU_CYCLE_1)
	s_or_b32 s20, s20, s0
	s_and_not1_b32 exec_lo, exec_lo, s19
	s_cbranch_execz .LBB177_554
.LBB177_540:                            ; =>This Inner Loop Header: Depth=1
	v_add_nc_u64_e32 v[6:7], s[40:41], v[0:1]
	v_mov_b32_e32 v13, 0
	s_mov_b32 s0, exec_lo
	s_delay_alu instid0(VALU_DEP_2)
	v_cmpx_gt_u64_e64 s[36:37], v[6:7]
	s_cbranch_execz .LBB177_542
; %bb.541:                              ;   in Loop: Header=BB177_540 Depth=1
	global_load_u16 v13, v[2:3], off
.LBB177_542:                            ;   in Loop: Header=BB177_540 Depth=1
	s_wait_xcnt 0x0
	s_or_b32 exec_lo, exec_lo, s0
	v_cmp_gt_u64_e32 vcc_lo, s[36:37], v[0:1]
	s_wait_loadcnt 0x0
	v_cmp_eq_u16_e64 s0, v4, v53
	s_and_b32 s21, vcc_lo, s0
	s_delay_alu instid0(SALU_CYCLE_1) | instskip(NEXT) | instid1(VALU_DEP_1)
	v_cndmask_b32_e64 v4, 0, 1, s21
	v_cmp_ne_u32_e32 vcc_lo, 0, v4
	s_cmp_lg_u32 vcc_lo, 0
	s_cselect_b32 s0, -1, 0
	s_delay_alu instid0(SALU_CYCLE_1) | instskip(NEXT) | instid1(SALU_CYCLE_1)
	s_and_b32 s0, s2, s0
	s_and_saveexec_b32 s22, s0
	s_cbranch_execz .LBB177_546
; %bb.543:                              ;   in Loop: Header=BB177_540 Depth=1
	s_mov_b32 s25, exec_lo
	s_bcnt1_i32_b32 s23, vcc_lo
	v_mbcnt_lo_u32_b32 v10, s25, 0
	s_mov_b32 s24, exec_lo
                                        ; implicit-def: $vgpr8_vgpr9
	s_delay_alu instid0(VALU_DEP_1)
	v_cmpx_eq_u32_e32 0, v10
; %bb.544:                              ;   in Loop: Header=BB177_540 Depth=1
	s_bcnt1_i32_b32 s0, s25
	s_delay_alu instid0(SALU_CYCLE_1) | instskip(NEXT) | instid1(SALU_CYCLE_1)
	s_mul_i32 s0, s23, s0
	v_mov_b32_e32 v4, s0
	ds_add_rtn_u64 v[8:9], v5, v[4:5] offset:5136
; %bb.545:                              ;   in Loop: Header=BB177_540 Depth=1
	s_or_b32 exec_lo, exec_lo, s24
	s_wait_dscnt 0x0
	v_readfirstlane_b32 s25, v9
	v_readfirstlane_b32 s24, v8
	s_delay_alu instid0(VALU_DEP_1)
	v_mad_nc_u64_u32 v[8:9], s23, v10, s[24:25]
.LBB177_546:                            ;   in Loop: Header=BB177_540 Depth=1
	s_or_b32 exec_lo, exec_lo, s22
	ds_bpermute_b32 v8, v5, v8
	ds_bpermute_b32 v9, v5, v9
	s_cmp_eq_u32 vcc_lo, 0
	s_mov_b32 s22, -1
	s_cselect_b32 s23, -1, 0
	s_wait_dscnt 0x0
	v_cmp_gt_u64_e64 s0, s[38:39], v[8:9]
	s_or_b32 s24, s23, s0
	s_mov_b32 s23, -1
	s_and_saveexec_b32 s0, s24
	s_cbranch_execz .LBB177_539
; %bb.547:                              ;   in Loop: Header=BB177_540 Depth=1
	v_and_b32_e32 v4, vcc_lo, v12
	v_sub_nc_u64_e32 v[10:11], s[38:39], v[8:9]
	s_mov_b32 s24, -1
	s_delay_alu instid0(VALU_DEP_2) | instskip(NEXT) | instid1(VALU_DEP_1)
	v_bcnt_u32_b32 v4, v4, 0
	v_bcnt_u32_b32 v4, 0, v4
	s_delay_alu instid0(VALU_DEP_1)
	v_cmp_gt_u64_e32 vcc_lo, v[10:11], v[4:5]
	s_and_b32 s25, s21, vcc_lo
	s_mov_b32 s21, -1
	s_and_saveexec_b32 s23, s25
	s_cbranch_execz .LBB177_551
; %bb.548:                              ;   in Loop: Header=BB177_540 Depth=1
	v_add_nc_u64_e32 v[10:11], v[8:9], v[4:5]
	s_mov_b32 s24, 0
	s_mov_b32 s21, exec_lo
	s_delay_alu instid0(VALU_DEP_1)
	v_cmpx_gt_u64_e64 s[38:39], v[10:11]
	s_cbranch_execz .LBB177_550
; %bb.549:                              ;   in Loop: Header=BB177_540 Depth=1
	s_wait_kmcnt 0x0
	v_mul_u64_e32 v[14:15], s[6:7], v[10:11]
	v_mul_u64_e32 v[10:11], s[8:9], v[10:11]
	s_mov_b32 s24, exec_lo
	s_delay_alu instid0(VALU_DEP_2) | instskip(NEXT) | instid1(VALU_DEP_2)
	v_lshl_add_u64 v[14:15], v[14:15], 1, s[12:13]
	v_lshl_add_u64 v[10:11], v[10:11], 3, s[14:15]
	global_store_b16 v[14:15], v53, off
	global_store_b64 v[10:11], v[0:1], off
.LBB177_550:                            ;   in Loop: Header=BB177_540 Depth=1
	s_wait_xcnt 0x0
	s_or_b32 exec_lo, exec_lo, s21
	s_delay_alu instid0(SALU_CYCLE_1)
	s_xor_b32 s21, exec_lo, -1
	s_or_not1_b32 s24, s24, exec_lo
.LBB177_551:                            ;   in Loop: Header=BB177_540 Depth=1
	s_or_b32 exec_lo, exec_lo, s23
	s_and_saveexec_b32 s23, s24
	s_cbranch_execz .LBB177_538
; %bb.552:                              ;   in Loop: Header=BB177_540 Depth=1
	v_cmp_le_u64_e32 vcc_lo, s[10:11], v[6:7]
	v_add_nc_u64_e32 v[2:3], s[44:45], v[2:3]
	s_or_b32 s21, s21, exec_lo
	s_or_not1_b32 s22, vcc_lo, exec_lo
	s_branch .LBB177_538
.LBB177_553:
	s_or_b32 s7, s7, exec_lo
	s_trap 2
	s_branch .LBB177_517
.LBB177_554:
	s_or_b32 exec_lo, exec_lo, s19
	s_mov_b32 s0, 0
	s_and_saveexec_b32 s2, s20
	s_delay_alu instid0(SALU_CYCLE_1)
	s_xor_b32 s2, exec_lo, s2
	s_cbranch_execnz .LBB177_560
.LBB177_555:
	s_or_b32 exec_lo, exec_lo, s2
	s_delay_alu instid0(SALU_CYCLE_1)
	s_and_b32 s0, s0, exec_lo
.LBB177_556:
	s_or_b32 exec_lo, exec_lo, s5
	s_delay_alu instid0(SALU_CYCLE_1) | instskip(SKIP_3) | instid1(SALU_CYCLE_1)
	s_and_b32 s5, s0, exec_lo
	s_and_not1_b32 s1, s1, exec_lo
	s_or_b32 exec_lo, exec_lo, s3
	s_and_saveexec_b32 s0, s1
	s_xor_b32 s0, exec_lo, s0
	s_cbranch_execz .LBB177_511
.LBB177_557:
	s_or_b32 s5, s5, exec_lo
	s_trap 2
	s_branch .LBB177_511
.LBB177_558:
	s_or_b32 s7, s7, exec_lo
	s_trap 2
	s_branch .LBB177_515
.LBB177_559:
	s_or_b32 s7, s7, exec_lo
	s_trap 2
	s_branch .LBB177_513
.LBB177_560:
	s_mov_b32 s0, exec_lo
	s_trap 2
	s_branch .LBB177_555
	.section	.rodata,"a",@progbits
	.p2align	6, 0x0
	.amdhsa_kernel _ZN2at6native6sbtopk10gatherTopKIsmLin1ELb0EEEvNS_4cuda6detail10TensorInfoIKT_T0_EES8_S8_bS8_S8_NS5_IS6_S8_EES8_NS5_IlS8_EES8_PS6_
		.amdhsa_group_segment_fixed_size 5152
		.amdhsa_private_segment_fixed_size 0
		.amdhsa_kernarg_size 1568
		.amdhsa_user_sgpr_count 2
		.amdhsa_user_sgpr_dispatch_ptr 0
		.amdhsa_user_sgpr_queue_ptr 0
		.amdhsa_user_sgpr_kernarg_segment_ptr 1
		.amdhsa_user_sgpr_dispatch_id 0
		.amdhsa_user_sgpr_kernarg_preload_length 0
		.amdhsa_user_sgpr_kernarg_preload_offset 0
		.amdhsa_user_sgpr_private_segment_size 0
		.amdhsa_wavefront_size32 1
		.amdhsa_uses_dynamic_stack 0
		.amdhsa_enable_private_segment 0
		.amdhsa_system_sgpr_workgroup_id_x 1
		.amdhsa_system_sgpr_workgroup_id_y 1
		.amdhsa_system_sgpr_workgroup_id_z 1
		.amdhsa_system_sgpr_workgroup_info 0
		.amdhsa_system_vgpr_workitem_id 0
		.amdhsa_next_free_vgpr 63
		.amdhsa_next_free_sgpr 105
		.amdhsa_named_barrier_count 0
		.amdhsa_reserve_vcc 1
		.amdhsa_float_round_mode_32 0
		.amdhsa_float_round_mode_16_64 0
		.amdhsa_float_denorm_mode_32 3
		.amdhsa_float_denorm_mode_16_64 3
		.amdhsa_fp16_overflow 0
		.amdhsa_memory_ordered 1
		.amdhsa_forward_progress 1
		.amdhsa_inst_pref_size 215
		.amdhsa_round_robin_scheduling 0
		.amdhsa_exception_fp_ieee_invalid_op 0
		.amdhsa_exception_fp_denorm_src 0
		.amdhsa_exception_fp_ieee_div_zero 0
		.amdhsa_exception_fp_ieee_overflow 0
		.amdhsa_exception_fp_ieee_underflow 0
		.amdhsa_exception_fp_ieee_inexact 0
		.amdhsa_exception_int_div_zero 0
	.end_amdhsa_kernel
	.section	.text._ZN2at6native6sbtopk10gatherTopKIsmLin1ELb0EEEvNS_4cuda6detail10TensorInfoIKT_T0_EES8_S8_bS8_S8_NS5_IS6_S8_EES8_NS5_IlS8_EES8_PS6_,"axG",@progbits,_ZN2at6native6sbtopk10gatherTopKIsmLin1ELb0EEEvNS_4cuda6detail10TensorInfoIKT_T0_EES8_S8_bS8_S8_NS5_IS6_S8_EES8_NS5_IlS8_EES8_PS6_,comdat
.Lfunc_end177:
	.size	_ZN2at6native6sbtopk10gatherTopKIsmLin1ELb0EEEvNS_4cuda6detail10TensorInfoIKT_T0_EES8_S8_bS8_S8_NS5_IS6_S8_EES8_NS5_IlS8_EES8_PS6_, .Lfunc_end177-_ZN2at6native6sbtopk10gatherTopKIsmLin1ELb0EEEvNS_4cuda6detail10TensorInfoIKT_T0_EES8_S8_bS8_S8_NS5_IS6_S8_EES8_NS5_IlS8_EES8_PS6_
                                        ; -- End function
	.set _ZN2at6native6sbtopk10gatherTopKIsmLin1ELb0EEEvNS_4cuda6detail10TensorInfoIKT_T0_EES8_S8_bS8_S8_NS5_IS6_S8_EES8_NS5_IlS8_EES8_PS6_.num_vgpr, 63
	.set _ZN2at6native6sbtopk10gatherTopKIsmLin1ELb0EEEvNS_4cuda6detail10TensorInfoIKT_T0_EES8_S8_bS8_S8_NS5_IS6_S8_EES8_NS5_IlS8_EES8_PS6_.num_agpr, 0
	.set _ZN2at6native6sbtopk10gatherTopKIsmLin1ELb0EEEvNS_4cuda6detail10TensorInfoIKT_T0_EES8_S8_bS8_S8_NS5_IS6_S8_EES8_NS5_IlS8_EES8_PS6_.numbered_sgpr, 105
	.set _ZN2at6native6sbtopk10gatherTopKIsmLin1ELb0EEEvNS_4cuda6detail10TensorInfoIKT_T0_EES8_S8_bS8_S8_NS5_IS6_S8_EES8_NS5_IlS8_EES8_PS6_.num_named_barrier, 0
	.set _ZN2at6native6sbtopk10gatherTopKIsmLin1ELb0EEEvNS_4cuda6detail10TensorInfoIKT_T0_EES8_S8_bS8_S8_NS5_IS6_S8_EES8_NS5_IlS8_EES8_PS6_.private_seg_size, 0
	.set _ZN2at6native6sbtopk10gatherTopKIsmLin1ELb0EEEvNS_4cuda6detail10TensorInfoIKT_T0_EES8_S8_bS8_S8_NS5_IS6_S8_EES8_NS5_IlS8_EES8_PS6_.uses_vcc, 1
	.set _ZN2at6native6sbtopk10gatherTopKIsmLin1ELb0EEEvNS_4cuda6detail10TensorInfoIKT_T0_EES8_S8_bS8_S8_NS5_IS6_S8_EES8_NS5_IlS8_EES8_PS6_.uses_flat_scratch, 0
	.set _ZN2at6native6sbtopk10gatherTopKIsmLin1ELb0EEEvNS_4cuda6detail10TensorInfoIKT_T0_EES8_S8_bS8_S8_NS5_IS6_S8_EES8_NS5_IlS8_EES8_PS6_.has_dyn_sized_stack, 0
	.set _ZN2at6native6sbtopk10gatherTopKIsmLin1ELb0EEEvNS_4cuda6detail10TensorInfoIKT_T0_EES8_S8_bS8_S8_NS5_IS6_S8_EES8_NS5_IlS8_EES8_PS6_.has_recursion, 0
	.set _ZN2at6native6sbtopk10gatherTopKIsmLin1ELb0EEEvNS_4cuda6detail10TensorInfoIKT_T0_EES8_S8_bS8_S8_NS5_IS6_S8_EES8_NS5_IlS8_EES8_PS6_.has_indirect_call, 0
	.section	.AMDGPU.csdata,"",@progbits
; Kernel info:
; codeLenInByte = 27460
; TotalNumSgprs: 107
; NumVgprs: 63
; ScratchSize: 0
; MemoryBound: 0
; FloatMode: 240
; IeeeMode: 1
; LDSByteSize: 5152 bytes/workgroup (compile time only)
; SGPRBlocks: 0
; VGPRBlocks: 3
; NumSGPRsForWavesPerEU: 107
; NumVGPRsForWavesPerEU: 63
; NamedBarCnt: 0
; Occupancy: 16
; WaveLimiterHint : 1
; COMPUTE_PGM_RSRC2:SCRATCH_EN: 0
; COMPUTE_PGM_RSRC2:USER_SGPR: 2
; COMPUTE_PGM_RSRC2:TRAP_HANDLER: 0
; COMPUTE_PGM_RSRC2:TGID_X_EN: 1
; COMPUTE_PGM_RSRC2:TGID_Y_EN: 1
; COMPUTE_PGM_RSRC2:TGID_Z_EN: 1
; COMPUTE_PGM_RSRC2:TIDIG_COMP_CNT: 0
	.section	.text._ZN2at6native6mbtopk23computeBlockDigitCountsIdmmLi1EEEvNS_4cuda6detail10TensorInfoIKT_T0_EEjPjjS8_iijT1_PSB_Ps,"axG",@progbits,_ZN2at6native6mbtopk23computeBlockDigitCountsIdmmLi1EEEvNS_4cuda6detail10TensorInfoIKT_T0_EEjPjjS8_iijT1_PSB_Ps,comdat
	.protected	_ZN2at6native6mbtopk23computeBlockDigitCountsIdmmLi1EEEvNS_4cuda6detail10TensorInfoIKT_T0_EEjPjjS8_iijT1_PSB_Ps ; -- Begin function _ZN2at6native6mbtopk23computeBlockDigitCountsIdmmLi1EEEvNS_4cuda6detail10TensorInfoIKT_T0_EEjPjjS8_iijT1_PSB_Ps
	.globl	_ZN2at6native6mbtopk23computeBlockDigitCountsIdmmLi1EEEvNS_4cuda6detail10TensorInfoIKT_T0_EEjPjjS8_iijT1_PSB_Ps
	.p2align	8
	.type	_ZN2at6native6mbtopk23computeBlockDigitCountsIdmmLi1EEEvNS_4cuda6detail10TensorInfoIKT_T0_EEjPjjS8_iijT1_PSB_Ps,@function
_ZN2at6native6mbtopk23computeBlockDigitCountsIdmmLi1EEEvNS_4cuda6detail10TensorInfoIKT_T0_EEjPjjS8_iijT1_PSB_Ps: ; @_ZN2at6native6mbtopk23computeBlockDigitCountsIdmmLi1EEEvNS_4cuda6detail10TensorInfoIKT_T0_EEjPjjS8_iijT1_PSB_Ps
; %bb.0:
	s_load_b96 s[8:10], s[0:1], 0x1c0
	s_bfe_u32 s2, ttmp6, 0x40010
	s_and_b32 s4, ttmp7, 0xffff
	s_add_co_i32 s5, s2, 1
	s_bfe_u32 s6, ttmp6, 0x40004
	s_mul_i32 s5, s4, s5
	s_load_b64 s[2:3], s[0:1], 0x1e8
	s_add_co_i32 s6, s6, s5
	s_bfe_u32 s7, ttmp6, 0x4000c
	s_bfe_u32 s12, ttmp6, 0x40014
	s_add_co_i32 s7, s7, 1
	s_and_b32 s11, ttmp6, 15
	s_mul_i32 s7, ttmp9, s7
	s_add_co_i32 s12, s12, 1
	s_add_co_i32 s11, s11, s7
	s_getreg_b32 s13, hwreg(HW_REG_IB_STS2, 6, 4)
	s_mov_b32 s15, 0
	s_wait_kmcnt 0x0
	s_cvt_f32_u32 s5, s10
	s_delay_alu instid0(SALU_CYCLE_3) | instskip(SKIP_1) | instid1(SALU_CYCLE_1)
	v_rcp_iflag_f32_e32 v1, s5
	s_lshr_b32 s5, ttmp7, 16
	s_mul_i32 s7, s5, s12
	s_bfe_u32 s12, ttmp6, 0x40008
	s_delay_alu instid0(SALU_CYCLE_1) | instskip(SKIP_1) | instid1(TRANS32_DEP_1)
	s_add_co_i32 s12, s12, s7
	v_nop
	v_readfirstlane_b32 s14, v1
	s_cmp_eq_u32 s13, 0
	s_cselect_b32 s5, s5, s12
	s_load_b32 s12, s[0:1], 0x1b0
	s_mul_f32 s7, s14, 0x4f7ffffe
	s_mul_i32 s3, s3, s5
	s_cselect_b32 s5, ttmp9, s11
	s_cselect_b32 s4, s4, s6
	s_cvt_u32_f32 s7, s7
	s_sub_co_i32 s6, 0, s10
	s_add_co_i32 s3, s3, s4
	s_delay_alu instid0(SALU_CYCLE_1) | instskip(SKIP_3) | instid1(SALU_CYCLE_1)
	s_mul_i32 s18, s3, s2
	s_mul_i32 s6, s6, s7
	s_add_co_i32 s18, s18, s5
	s_mul_hi_u32 s2, s7, s6
	s_add_co_i32 s7, s7, s2
	s_delay_alu instid0(SALU_CYCLE_1) | instskip(NEXT) | instid1(SALU_CYCLE_1)
	s_mul_hi_u32 s2, s18, s7
	s_mul_i32 s3, s2, s10
	s_add_co_i32 s4, s2, 1
	s_sub_co_i32 s3, s18, s3
	s_delay_alu instid0(SALU_CYCLE_1)
	s_sub_co_i32 s5, s3, s10
	s_cmp_ge_u32 s3, s10
	s_cselect_b32 s2, s4, s2
	s_cselect_b32 s3, s5, s3
	s_add_co_i32 s4, s2, 1
	s_cmp_ge_u32 s3, s10
	s_cselect_b32 s14, s4, s2
	s_wait_kmcnt 0x0
	s_cmp_ge_u32 s14, s12
	s_cbranch_scc1 .LBB178_21
; %bb.1:
	s_clause 0x1
	s_load_b64 s[2:3], s[0:1], 0x1e0
	s_load_b128 s[4:7], s[0:1], 0x1d0
	v_cmp_gt_u32_e32 vcc_lo, 0x100, v0
	v_lshlrev_b32_e32 v1, 2, v0
	s_and_saveexec_b32 s11, vcc_lo
; %bb.2:
	v_mov_b32_e32 v2, 0
	ds_store_b32 v1, v2
; %bb.3:
	s_or_b32 exec_lo, exec_lo, s11
	s_load_b32 s19, s[0:1], 0x1a0
	s_mul_i32 s11, s14, s10
	s_mov_b32 s17, 0
	s_sub_co_i32 s11, s18, s11
	s_wait_dscnt 0x0
	s_mul_i32 s12, s9, s11
	s_add_co_i32 s11, s11, 1
	s_lshl_b32 s20, s12, 8
	s_barrier_signal -1
	s_barrier_wait -1
	s_wait_kmcnt 0x0
	s_sub_co_i32 s16, s19, s20
	s_delay_alu instid0(SALU_CYCLE_1) | instskip(NEXT) | instid1(SALU_CYCLE_1)
	s_add_nc_u64 s[12:13], s[16:17], 0xff
	s_lshr_b64 s[12:13], s[12:13], 8
	s_cmp_lt_u32 s11, s10
	s_cselect_b32 s9, s9, s12
	s_delay_alu instid0(SALU_CYCLE_1)
	s_cmp_lt_i32 s9, 1
	s_cbranch_scc1 .LBB178_19
; %bb.4:
	s_clause 0x2
	s_load_b64 s[22:23], s[0:1], 0xd0
	s_load_b64 s[12:13], s[0:1], 0x1b8
	;; [unrolled: 1-line block ×3, first 2 shown]
	s_load_b64 s[10:11], s[6:7], s14 offset:0x0 scale_offset
	v_add_nc_u32_e32 v6, s20, v0
	s_wait_kmcnt 0x0
	s_mul_u64 s[0:1], s[22:23], s[14:15]
	s_delay_alu instid0(SALU_CYCLE_1)
	s_lshl_b64 s[6:7], s[0:1], 3
	s_and_b32 s1, s8, 0xff
	s_cmp_eq_u32 s9, 1
	s_add_nc_u64 s[6:7], s[24:25], s[6:7]
	s_cbranch_scc1 .LBB178_14
; %bb.5:
	v_dual_mov_b32 v3, 0 :: v_dual_mov_b32 v7, 1
	v_mov_b32_e32 v2, v6
	s_and_b32 s8, s9, 0x7ffffffe
	s_mov_b32 s14, 0
	s_branch .LBB178_7
.LBB178_6:                              ;   in Loop: Header=BB178_7 Depth=1
	s_or_b32 exec_lo, exec_lo, s15
	v_add_nc_u32_e32 v2, 0x200, v2
	s_add_co_i32 s14, s14, 2
	s_delay_alu instid0(SALU_CYCLE_1)
	s_cmp_eq_u32 s8, s14
	s_cbranch_scc1 .LBB178_13
.LBB178_7:                              ; =>This Inner Loop Header: Depth=1
	s_mov_b32 s15, exec_lo
	v_cmpx_gt_u32_e64 s19, v2
	s_cbranch_execz .LBB178_10
; %bb.8:                                ;   in Loop: Header=BB178_7 Depth=1
	v_mul_u64_e32 v[4:5], s[12:13], v[2:3]
	s_delay_alu instid0(VALU_DEP_1) | instskip(SKIP_4) | instid1(VALU_DEP_1)
	v_lshl_add_u64 v[4:5], v[4:5], 3, s[6:7]
	global_load_b64 v[4:5], v[4:5], off
	s_wait_loadcnt 0x0
	v_cmp_o_f64_e64 s0, v[4:5], v[4:5]
	v_ashrrev_i32_e32 v8, 31, v5
	v_or_b32_e32 v9, 0x80000000, v8
	s_delay_alu instid0(VALU_DEP_1) | instskip(SKIP_1) | instid1(VALU_DEP_1)
	v_xor_b32_e32 v9, v9, v5
	s_wait_xcnt 0x0
	v_dual_cndmask_b32 v5, -1, v9, s0 :: v_dual_bitop2_b32 v4, v8, v4 bitop3:0x14
	s_delay_alu instid0(VALU_DEP_1) | instskip(NEXT) | instid1(VALU_DEP_1)
	v_dual_cndmask_b32 v4, -1, v4, s0 :: v_dual_bitop2_b32 v8, s11, v5 bitop3:0x14
	v_xor_b32_e32 v10, s10, v4
	s_delay_alu instid0(VALU_DEP_2) | instskip(NEXT) | instid1(VALU_DEP_2)
	v_and_b32_e32 v9, s5, v8
	v_and_b32_e32 v8, s4, v10
	s_delay_alu instid0(VALU_DEP_1)
	v_cmp_eq_u64_e64 s0, 0, v[8:9]
	s_and_b32 exec_lo, exec_lo, s0
	s_cbranch_execz .LBB178_10
; %bb.9:                                ;   in Loop: Header=BB178_7 Depth=1
	v_lshrrev_b64 v[4:5], s1, v[4:5]
	s_delay_alu instid0(VALU_DEP_1) | instskip(NEXT) | instid1(VALU_DEP_1)
	v_and_b32_e32 v4, 0xff, v4
	v_lshlrev_b32_e32 v4, 2, v4
	ds_add_u32 v4, v7
.LBB178_10:                             ;   in Loop: Header=BB178_7 Depth=1
	s_or_b32 exec_lo, exec_lo, s15
	v_add_nc_u32_e32 v4, 0x100, v2
	s_mov_b32 s15, exec_lo
	s_delay_alu instid0(VALU_DEP_1)
	v_cmpx_gt_u32_e64 s19, v4
	s_cbranch_execz .LBB178_6
; %bb.11:                               ;   in Loop: Header=BB178_7 Depth=1
	v_mov_b32_e32 v5, v3
	s_delay_alu instid0(VALU_DEP_1) | instskip(NEXT) | instid1(VALU_DEP_1)
	v_mul_u64_e32 v[4:5], s[12:13], v[4:5]
	v_lshl_add_u64 v[4:5], v[4:5], 3, s[6:7]
	global_load_b64 v[4:5], v[4:5], off
	s_wait_loadcnt 0x0
	v_cmp_o_f64_e64 s0, v[4:5], v[4:5]
	v_ashrrev_i32_e32 v8, 31, v5
	s_delay_alu instid0(VALU_DEP_1) | instskip(NEXT) | instid1(VALU_DEP_1)
	v_or_b32_e32 v9, 0x80000000, v8
	v_xor_b32_e32 v9, v9, v5
	s_delay_alu instid0(VALU_DEP_1) | instskip(NEXT) | instid1(VALU_DEP_1)
	v_dual_cndmask_b32 v5, -1, v9, s0 :: v_dual_bitop2_b32 v4, v8, v4 bitop3:0x14
	v_dual_cndmask_b32 v4, -1, v4, s0 :: v_dual_bitop2_b32 v8, s11, v5 bitop3:0x14
	s_delay_alu instid0(VALU_DEP_1) | instskip(NEXT) | instid1(VALU_DEP_2)
	v_xor_b32_e32 v10, s10, v4
	v_and_b32_e32 v9, s5, v8
	s_delay_alu instid0(VALU_DEP_2) | instskip(NEXT) | instid1(VALU_DEP_1)
	v_and_b32_e32 v8, s4, v10
	v_cmp_eq_u64_e64 s0, 0, v[8:9]
	s_and_b32 exec_lo, exec_lo, s0
	s_cbranch_execz .LBB178_6
; %bb.12:                               ;   in Loop: Header=BB178_7 Depth=1
	v_lshrrev_b64 v[4:5], s1, v[4:5]
	s_delay_alu instid0(VALU_DEP_1) | instskip(NEXT) | instid1(VALU_DEP_1)
	v_and_b32_e32 v4, 0xff, v4
	v_lshlrev_b32_e32 v4, 2, v4
	ds_add_u32 v4, v7
	s_branch .LBB178_6
.LBB178_13:
	s_lshl_b32 s17, s8, 8
.LBB178_14:
	s_bitcmp0_b32 s9, 0
	s_cbranch_scc1 .LBB178_19
; %bb.15:
	v_add_nc_u32_e32 v2, s17, v6
	s_mov_b32 s8, exec_lo
	s_delay_alu instid0(VALU_DEP_1)
	v_cmpx_gt_u32_e64 s19, v2
	s_cbranch_execz .LBB178_18
; %bb.16:
	v_mov_b32_e32 v3, 0
	s_delay_alu instid0(VALU_DEP_1) | instskip(NEXT) | instid1(VALU_DEP_1)
	v_mul_u64_e32 v[2:3], s[12:13], v[2:3]
	v_lshl_add_u64 v[2:3], v[2:3], 3, s[6:7]
	global_load_b64 v[2:3], v[2:3], off
	s_wait_loadcnt 0x0
	v_cmp_o_f64_e64 s0, v[2:3], v[2:3]
	v_ashrrev_i32_e32 v4, 31, v3
	s_delay_alu instid0(VALU_DEP_1) | instskip(NEXT) | instid1(VALU_DEP_1)
	v_or_b32_e32 v5, 0x80000000, v4
	v_xor_b32_e32 v5, v5, v3
	s_delay_alu instid0(VALU_DEP_1) | instskip(NEXT) | instid1(VALU_DEP_1)
	v_dual_cndmask_b32 v3, -1, v5, s0 :: v_dual_bitop2_b32 v2, v4, v2 bitop3:0x14
	v_dual_cndmask_b32 v2, -1, v2, s0 :: v_dual_bitop2_b32 v4, s11, v3 bitop3:0x14
	s_delay_alu instid0(VALU_DEP_1) | instskip(NEXT) | instid1(VALU_DEP_2)
	v_xor_b32_e32 v6, s10, v2
	v_and_b32_e32 v5, s5, v4
	s_delay_alu instid0(VALU_DEP_2) | instskip(NEXT) | instid1(VALU_DEP_1)
	v_and_b32_e32 v4, s4, v6
	v_cmp_eq_u64_e64 s0, 0, v[4:5]
	s_and_b32 exec_lo, exec_lo, s0
	s_cbranch_execz .LBB178_18
; %bb.17:
	v_lshrrev_b64 v[2:3], s1, v[2:3]
	v_mov_b32_e32 v3, 1
	s_delay_alu instid0(VALU_DEP_2) | instskip(NEXT) | instid1(VALU_DEP_1)
	v_and_b32_e32 v2, 0xff, v2
	v_lshlrev_b32_e32 v2, 2, v2
	ds_add_u32 v2, v3
.LBB178_18:
	s_or_b32 exec_lo, exec_lo, s8
.LBB178_19:
	s_wait_dscnt 0x0
	s_barrier_signal -1
	s_barrier_wait -1
	s_and_saveexec_b32 s0, vcc_lo
	s_cbranch_execz .LBB178_21
; %bb.20:
	ds_load_b32 v1, v1
	v_lshl_or_b32 v0, s18, 8, v0
	s_wait_dscnt 0x0
	global_store_b16 v0, v1, s[2:3] scale_offset
.LBB178_21:
	s_endpgm
	.section	.rodata,"a",@progbits
	.p2align	6, 0x0
	.amdhsa_kernel _ZN2at6native6mbtopk23computeBlockDigitCountsIdmmLi1EEEvNS_4cuda6detail10TensorInfoIKT_T0_EEjPjjS8_iijT1_PSB_Ps
		.amdhsa_group_segment_fixed_size 1024
		.amdhsa_private_segment_fixed_size 0
		.amdhsa_kernarg_size 744
		.amdhsa_user_sgpr_count 2
		.amdhsa_user_sgpr_dispatch_ptr 0
		.amdhsa_user_sgpr_queue_ptr 0
		.amdhsa_user_sgpr_kernarg_segment_ptr 1
		.amdhsa_user_sgpr_dispatch_id 0
		.amdhsa_user_sgpr_kernarg_preload_length 0
		.amdhsa_user_sgpr_kernarg_preload_offset 0
		.amdhsa_user_sgpr_private_segment_size 0
		.amdhsa_wavefront_size32 1
		.amdhsa_uses_dynamic_stack 0
		.amdhsa_enable_private_segment 0
		.amdhsa_system_sgpr_workgroup_id_x 1
		.amdhsa_system_sgpr_workgroup_id_y 1
		.amdhsa_system_sgpr_workgroup_id_z 1
		.amdhsa_system_sgpr_workgroup_info 0
		.amdhsa_system_vgpr_workitem_id 0
		.amdhsa_next_free_vgpr 11
		.amdhsa_next_free_sgpr 26
		.amdhsa_named_barrier_count 0
		.amdhsa_reserve_vcc 1
		.amdhsa_float_round_mode_32 0
		.amdhsa_float_round_mode_16_64 0
		.amdhsa_float_denorm_mode_32 3
		.amdhsa_float_denorm_mode_16_64 3
		.amdhsa_fp16_overflow 0
		.amdhsa_memory_ordered 1
		.amdhsa_forward_progress 1
		.amdhsa_inst_pref_size 10
		.amdhsa_round_robin_scheduling 0
		.amdhsa_exception_fp_ieee_invalid_op 0
		.amdhsa_exception_fp_denorm_src 0
		.amdhsa_exception_fp_ieee_div_zero 0
		.amdhsa_exception_fp_ieee_overflow 0
		.amdhsa_exception_fp_ieee_underflow 0
		.amdhsa_exception_fp_ieee_inexact 0
		.amdhsa_exception_int_div_zero 0
	.end_amdhsa_kernel
	.section	.text._ZN2at6native6mbtopk23computeBlockDigitCountsIdmmLi1EEEvNS_4cuda6detail10TensorInfoIKT_T0_EEjPjjS8_iijT1_PSB_Ps,"axG",@progbits,_ZN2at6native6mbtopk23computeBlockDigitCountsIdmmLi1EEEvNS_4cuda6detail10TensorInfoIKT_T0_EEjPjjS8_iijT1_PSB_Ps,comdat
.Lfunc_end178:
	.size	_ZN2at6native6mbtopk23computeBlockDigitCountsIdmmLi1EEEvNS_4cuda6detail10TensorInfoIKT_T0_EEjPjjS8_iijT1_PSB_Ps, .Lfunc_end178-_ZN2at6native6mbtopk23computeBlockDigitCountsIdmmLi1EEEvNS_4cuda6detail10TensorInfoIKT_T0_EEjPjjS8_iijT1_PSB_Ps
                                        ; -- End function
	.set _ZN2at6native6mbtopk23computeBlockDigitCountsIdmmLi1EEEvNS_4cuda6detail10TensorInfoIKT_T0_EEjPjjS8_iijT1_PSB_Ps.num_vgpr, 11
	.set _ZN2at6native6mbtopk23computeBlockDigitCountsIdmmLi1EEEvNS_4cuda6detail10TensorInfoIKT_T0_EEjPjjS8_iijT1_PSB_Ps.num_agpr, 0
	.set _ZN2at6native6mbtopk23computeBlockDigitCountsIdmmLi1EEEvNS_4cuda6detail10TensorInfoIKT_T0_EEjPjjS8_iijT1_PSB_Ps.numbered_sgpr, 26
	.set _ZN2at6native6mbtopk23computeBlockDigitCountsIdmmLi1EEEvNS_4cuda6detail10TensorInfoIKT_T0_EEjPjjS8_iijT1_PSB_Ps.num_named_barrier, 0
	.set _ZN2at6native6mbtopk23computeBlockDigitCountsIdmmLi1EEEvNS_4cuda6detail10TensorInfoIKT_T0_EEjPjjS8_iijT1_PSB_Ps.private_seg_size, 0
	.set _ZN2at6native6mbtopk23computeBlockDigitCountsIdmmLi1EEEvNS_4cuda6detail10TensorInfoIKT_T0_EEjPjjS8_iijT1_PSB_Ps.uses_vcc, 1
	.set _ZN2at6native6mbtopk23computeBlockDigitCountsIdmmLi1EEEvNS_4cuda6detail10TensorInfoIKT_T0_EEjPjjS8_iijT1_PSB_Ps.uses_flat_scratch, 0
	.set _ZN2at6native6mbtopk23computeBlockDigitCountsIdmmLi1EEEvNS_4cuda6detail10TensorInfoIKT_T0_EEjPjjS8_iijT1_PSB_Ps.has_dyn_sized_stack, 0
	.set _ZN2at6native6mbtopk23computeBlockDigitCountsIdmmLi1EEEvNS_4cuda6detail10TensorInfoIKT_T0_EEjPjjS8_iijT1_PSB_Ps.has_recursion, 0
	.set _ZN2at6native6mbtopk23computeBlockDigitCountsIdmmLi1EEEvNS_4cuda6detail10TensorInfoIKT_T0_EEjPjjS8_iijT1_PSB_Ps.has_indirect_call, 0
	.section	.AMDGPU.csdata,"",@progbits
; Kernel info:
; codeLenInByte = 1188
; TotalNumSgprs: 28
; NumVgprs: 11
; ScratchSize: 0
; MemoryBound: 0
; FloatMode: 240
; IeeeMode: 1
; LDSByteSize: 1024 bytes/workgroup (compile time only)
; SGPRBlocks: 0
; VGPRBlocks: 0
; NumSGPRsForWavesPerEU: 28
; NumVGPRsForWavesPerEU: 11
; NamedBarCnt: 0
; Occupancy: 16
; WaveLimiterHint : 1
; COMPUTE_PGM_RSRC2:SCRATCH_EN: 0
; COMPUTE_PGM_RSRC2:USER_SGPR: 2
; COMPUTE_PGM_RSRC2:TRAP_HANDLER: 0
; COMPUTE_PGM_RSRC2:TGID_X_EN: 1
; COMPUTE_PGM_RSRC2:TGID_Y_EN: 1
; COMPUTE_PGM_RSRC2:TGID_Z_EN: 1
; COMPUTE_PGM_RSRC2:TIDIG_COMP_CNT: 0
	.section	.text._ZN2at6native6mbtopk10gatherTopKIdmLi1EEEvNS_4cuda6detail10TensorInfoIKT_T0_EES8_S8_bjS8_NS5_IS6_S8_EES8_NS5_IlS8_EES8_jjPS6_PjSD_j,"axG",@progbits,_ZN2at6native6mbtopk10gatherTopKIdmLi1EEEvNS_4cuda6detail10TensorInfoIKT_T0_EES8_S8_bjS8_NS5_IS6_S8_EES8_NS5_IlS8_EES8_jjPS6_PjSD_j,comdat
	.protected	_ZN2at6native6mbtopk10gatherTopKIdmLi1EEEvNS_4cuda6detail10TensorInfoIKT_T0_EES8_S8_bjS8_NS5_IS6_S8_EES8_NS5_IlS8_EES8_jjPS6_PjSD_j ; -- Begin function _ZN2at6native6mbtopk10gatherTopKIdmLi1EEEvNS_4cuda6detail10TensorInfoIKT_T0_EES8_S8_bjS8_NS5_IS6_S8_EES8_NS5_IlS8_EES8_jjPS6_PjSD_j
	.globl	_ZN2at6native6mbtopk10gatherTopKIdmLi1EEEvNS_4cuda6detail10TensorInfoIKT_T0_EES8_S8_bjS8_NS5_IS6_S8_EES8_NS5_IlS8_EES8_jjPS6_PjSD_j
	.p2align	8
	.type	_ZN2at6native6mbtopk10gatherTopKIdmLi1EEEvNS_4cuda6detail10TensorInfoIKT_T0_EES8_S8_bjS8_NS5_IS6_S8_EES8_NS5_IlS8_EES8_jjPS6_PjSD_j,@function
_ZN2at6native6mbtopk10gatherTopKIdmLi1EEEvNS_4cuda6detail10TensorInfoIKT_T0_EES8_S8_bjS8_NS5_IS6_S8_EES8_NS5_IlS8_EES8_jjPS6_PjSD_j: ; @_ZN2at6native6mbtopk10gatherTopKIdmLi1EEEvNS_4cuda6detail10TensorInfoIKT_T0_EES8_S8_bjS8_NS5_IS6_S8_EES8_NS5_IlS8_EES8_jjPS6_PjSD_j
; %bb.0:
	s_bfe_u32 s2, ttmp6, 0x40010
	s_and_b32 s4, ttmp7, 0xffff
	s_add_co_i32 s5, s2, 1
	s_clause 0x1
	s_load_b32 s6, s[0:1], 0x530
	s_load_b64 s[2:3], s[0:1], 0x538
	s_bfe_u32 s8, ttmp6, 0x4000c
	s_mul_i32 s5, s4, s5
	s_bfe_u32 s7, ttmp6, 0x40004
	s_add_co_i32 s8, s8, 1
	s_bfe_u32 s9, ttmp6, 0x40014
	s_add_co_i32 s7, s7, s5
	s_and_b32 s5, ttmp6, 15
	s_mul_i32 s8, ttmp9, s8
	s_lshr_b32 s10, ttmp7, 16
	s_add_co_i32 s9, s9, 1
	s_add_co_i32 s5, s5, s8
	s_mul_i32 s8, s10, s9
	s_bfe_u32 s9, ttmp6, 0x40008
	s_getreg_b32 s11, hwreg(HW_REG_IB_STS2, 6, 4)
	s_add_co_i32 s9, s9, s8
	s_cmp_eq_u32 s11, 0
	s_cselect_b32 s8, s10, s9
	s_cselect_b32 s4, s4, s7
	s_wait_kmcnt 0x0
	s_mul_i32 s3, s3, s8
	s_cselect_b32 s5, ttmp9, s5
	s_add_co_i32 s3, s3, s4
	s_delay_alu instid0(SALU_CYCLE_1) | instskip(NEXT) | instid1(SALU_CYCLE_1)
	s_mul_i32 s2, s3, s2
	s_add_co_i32 s2, s2, s5
	s_delay_alu instid0(SALU_CYCLE_1)
	s_cmp_ge_u32 s2, s6
	s_cbranch_scc1 .LBB179_42
; %bb.1:
	s_load_b64 s[16:17], s[0:1], 0x510
	s_wait_kmcnt 0x0
	s_cvt_f32_u32 s3, s17
	s_sub_co_i32 s4, 0, s17
	s_lshl_b32 s30, s16, 8
	s_delay_alu instid0(SALU_CYCLE_1) | instskip(SKIP_1) | instid1(TRANS32_DEP_1)
	v_rcp_iflag_f32_e32 v1, s3
	v_nop
	v_readfirstlane_b32 s3, v1
	s_mul_f32 s3, s3, 0x4f7ffffe
	s_delay_alu instid0(SALU_CYCLE_3) | instskip(NEXT) | instid1(SALU_CYCLE_3)
	s_cvt_u32_f32 s3, s3
	s_mul_i32 s4, s4, s3
	s_delay_alu instid0(SALU_CYCLE_1) | instskip(NEXT) | instid1(SALU_CYCLE_1)
	s_mul_hi_u32 s4, s3, s4
	s_add_co_i32 s3, s3, s4
	s_load_b128 s[4:7], s[0:1], 0x1a0
	s_mul_hi_u32 s3, s2, s3
	s_delay_alu instid0(SALU_CYCLE_1) | instskip(SKIP_2) | instid1(SALU_CYCLE_1)
	s_mul_i32 s8, s3, s17
	s_add_co_i32 s9, s3, 1
	s_sub_co_i32 s8, s2, s8
	s_sub_co_i32 s10, s8, s17
	s_cmp_ge_u32 s8, s17
	s_cselect_b32 s3, s9, s3
	s_cselect_b32 s8, s10, s8
	s_add_co_i32 s9, s3, 1
	s_cmp_ge_u32 s8, s17
	s_cselect_b32 s18, s9, s3
	s_delay_alu instid0(SALU_CYCLE_1) | instskip(NEXT) | instid1(SALU_CYCLE_1)
	s_mul_i32 s12, s18, s17
	s_sub_co_i32 s31, s2, s12
	s_delay_alu instid0(SALU_CYCLE_1) | instskip(NEXT) | instid1(SALU_CYCLE_1)
	s_add_co_i32 s2, s31, 1
	s_cmp_lt_u32 s2, s17
	s_cbranch_scc1 .LBB179_3
; %bb.2:
	s_mul_i32 s2, s31, s30
	s_mov_b32 s3, 0
	s_wait_kmcnt 0x0
	s_sub_nc_u64 s[8:9], s[4:5], s[2:3]
	s_delay_alu instid0(SALU_CYCLE_1) | instskip(NEXT) | instid1(SALU_CYCLE_1)
	s_add_nc_u64 s[8:9], s[8:9], 0xff
	s_ashr_i32 s2, s9, 31
	s_delay_alu instid0(SALU_CYCLE_1) | instskip(NEXT) | instid1(SALU_CYCLE_1)
	s_lshr_b32 s2, s2, 24
	s_add_nc_u64 s[2:3], s[8:9], s[2:3]
	s_delay_alu instid0(SALU_CYCLE_1) | instskip(NEXT) | instid1(SALU_CYCLE_1)
	s_lshr_b64 s[2:3], s[2:3], 8
	s_mov_b32 s16, s2
.LBB179_3:
	s_load_b128 s[8:11], s[0:1], 0x518
	v_cmp_ne_u32_e64 s2, 0, v0
	v_cmp_eq_u32_e64 s3, 0, v0
	s_mov_b32 s19, 0
	s_wait_kmcnt 0x0
	s_load_b64 s[22:23], s[8:9], s18 offset:0x0 scale_offset
	s_and_saveexec_b32 s28, s3
	s_cbranch_execz .LBB179_19
; %bb.4:
	s_load_b64 s[20:21], s[0:1], 0x528
	s_mov_b32 s13, s19
	s_delay_alu instid0(SALU_CYCLE_1)
	s_lshl_b64 s[24:25], s[12:13], 2
	s_cmp_lt_u32 s17, 4
	s_cbranch_scc1 .LBB179_16
; %bb.5:
	s_mov_b32 s29, 0
	s_wait_xcnt 0x0
	s_mov_b64 s[8:9], 0
	s_mov_b32 s33, 0
.LBB179_6:                              ; =>This Inner Loop Header: Depth=1
	s_add_nc_u64 s[26:27], s[10:11], s[24:25]
	s_cmp_ge_u32 s33, s31
	s_load_b128 s[12:15], s[26:27], 0x0
	s_wait_kmcnt 0x0
	s_add_nc_u64 s[26:27], s[20:21], s[24:25]
	s_cbranch_scc0 .LBB179_13
; %bb.7:                                ;   in Loop: Header=BB179_6 Depth=1
	s_add_co_i32 s34, s33, 1
	s_delay_alu instid0(SALU_CYCLE_1)
	s_cmp_ge_u32 s34, s31
	s_cbranch_scc0 .LBB179_14
.LBB179_8:                              ;   in Loop: Header=BB179_6 Depth=1
	s_add_co_i32 s34, s34, 1
	s_delay_alu instid0(SALU_CYCLE_1)
	s_cmp_ge_u32 s34, s31
	s_cbranch_scc0 .LBB179_15
.LBB179_9:                              ;   in Loop: Header=BB179_6 Depth=1
	s_add_co_i32 s34, s34, 1
	s_delay_alu instid0(SALU_CYCLE_1)
	s_cmp_ge_u32 s34, s31
	s_cbranch_scc1 .LBB179_11
.LBB179_10:                             ;   in Loop: Header=BB179_6 Depth=1
	s_load_b32 s26, s[26:27], 0xc
	s_add_co_i32 s9, s15, s9
	s_wait_kmcnt 0x0
	s_add_co_i32 s8, s26, s8
.LBB179_11:                             ;   in Loop: Header=BB179_6 Depth=1
	s_add_co_i32 s12, s12, s29
	s_add_nc_u64 s[10:11], s[10:11], 16
	s_add_co_i32 s12, s12, s13
	s_add_co_i32 s13, s34, 4
	;; [unrolled: 1-line block ×3, first 2 shown]
	s_add_nc_u64 s[20:21], s[20:21], 16
	s_add_co_i32 s29, s12, s15
	s_add_co_i32 s12, s34, 1
	s_cmp_ge_u32 s13, s17
	s_cbranch_scc1 .LBB179_17
; %bb.12:                               ;   in Loop: Header=BB179_6 Depth=1
	s_mov_b32 s33, s12
	s_branch .LBB179_6
.LBB179_13:                             ;   in Loop: Header=BB179_6 Depth=1
	s_load_b32 s34, s[26:27], 0x0
	s_add_co_i32 s9, s12, s9
	s_wait_kmcnt 0x0
	s_add_co_i32 s8, s34, s8
	s_add_co_i32 s34, s33, 1
	s_delay_alu instid0(SALU_CYCLE_1)
	s_cmp_ge_u32 s34, s31
	s_cbranch_scc1 .LBB179_8
.LBB179_14:                             ;   in Loop: Header=BB179_6 Depth=1
	s_load_b32 s35, s[26:27], 0x4
	s_add_co_i32 s9, s13, s9
	s_wait_kmcnt 0x0
	s_add_co_i32 s8, s35, s8
	s_add_co_i32 s34, s34, 1
	s_delay_alu instid0(SALU_CYCLE_1)
	s_cmp_ge_u32 s34, s31
	s_cbranch_scc1 .LBB179_9
.LBB179_15:                             ;   in Loop: Header=BB179_6 Depth=1
	s_load_b32 s35, s[26:27], 0x8
	s_add_co_i32 s9, s14, s9
	s_wait_kmcnt 0x0
	s_add_co_i32 s8, s35, s8
	s_add_co_i32 s34, s34, 1
	s_delay_alu instid0(SALU_CYCLE_1)
	s_cmp_ge_u32 s34, s31
	s_cbranch_scc0 .LBB179_10
	s_branch .LBB179_11
.LBB179_16:
	s_wait_xcnt 0x0
	s_mov_b64 s[8:9], 0
	s_add_nc_u64 s[10:11], s[10:11], s[24:25]
	s_wait_kmcnt 0x0
	s_add_nc_u64 s[12:13], s[20:21], s[24:25]
	s_mov_b32 s29, s19
	s_mov_b32 s14, s19
	s_delay_alu instid0(SALU_CYCLE_1)
	s_cmp_ge_u32 s14, s17
	s_cbranch_scc0 .LBB179_40
	s_branch .LBB179_18
.LBB179_17:
	s_add_co_i32 s14, s33, 4
	s_add_nc_u64 s[12:13], s[20:21], s[24:25]
	s_add_nc_u64 s[10:11], s[10:11], s[24:25]
	s_cmp_ge_u32 s14, s17
	s_cbranch_scc0 .LBB179_40
.LBB179_18:
	v_dual_mov_b32 v2, s8 :: v_dual_mov_b32 v3, s29
	v_dual_mov_b32 v4, s9 :: v_dual_mov_b32 v1, 0
	ds_store_b96 v1, v[2:4] offset:1056
.LBB179_19:
	s_or_b32 exec_lo, exec_lo, s28
	s_clause 0x1
	s_load_b64 s[20:21], s[0:1], 0x0
	s_load_b64 s[24:25], s[0:1], 0xd0
	s_wait_xcnt 0x0
	s_clause 0x3
	s_load_b128 s[8:11], s[0:1], 0x1b8
	s_load_b64 s[26:27], s[0:1], 0x290
	s_load_b128 s[12:15], s[0:1], 0x360
	s_load_b64 s[28:29], s[0:1], 0x438
	s_cmp_eq_u32 s16, 0
	s_wait_dscnt 0x0
	s_barrier_signal -1
	s_barrier_wait -1
	s_cbranch_scc1 .LBB179_42
; %bb.20:
	s_wait_kmcnt 0x0
	v_cmp_o_f64_e64 s17, s[22:23], s[22:23]
	v_dual_mov_b32 v7, 0 :: v_dual_lshrrev_b32 v1, 3, v0
	s_mul_u64 s[24:25], s[24:25], s[18:19]
	s_mul_u64 s[26:27], s[26:27], s[18:19]
	;; [unrolled: 1-line block ×3, first 2 shown]
	s_clause 0x1
	s_load_b32 s33, s[0:1], 0x1b0
	s_load_b64 s[18:19], s[0:1], 0x508
	ds_load_b96 v[2:4], v7 offset:1056
	v_dual_lshlrev_b32 v9, 5, v0 :: v_dual_add_nc_u32 v12, -1, v0
	s_ashr_i32 s34, s23, 31
	v_mad_u32 v6, s31, s30, v0
	v_and_b32_e32 v8, 0xfc, v0
	v_mbcnt_lo_u32_b32 v5, -1, 0
	v_dual_lshrrev_b32 v10, 3, v12 :: v_dual_bitop2_b32 v1, 28, v1 bitop3:0x40
	s_lshl_b64 s[24:25], s[24:25], 3
	s_mov_b32 s35, s34
	s_add_nc_u64 s[20:21], s[20:21], s[24:25]
	s_delay_alu instid0(VALU_DEP_1)
	v_and_b32_e32 v13, 0x1ffffffc, v10
	s_or_b64 s[24:25], s[34:35], 0x8000000000000000
	s_lshl_b64 s[26:27], s[26:27], 3
	s_lshl_b64 s[28:29], s[28:29], 3
	s_xor_b64 s[22:23], s[24:25], s[22:23]
	s_wait_xcnt 0x0
	v_cmp_gt_u32_e64 s0, 32, v0
	v_add_nc_u32_e32 v10, v8, v9
	v_lshl_add_u32 v11, v0, 2, v1
	v_lshl_add_u32 v12, v12, 2, v13
	s_wait_dscnt 0x0
	v_dual_add_nc_u32 v0, v2, v3 :: v_dual_bitop2_b32 v13, 15, v5 bitop3:0x40
	v_add_nc_u32_e32 v15, -1, v5
	v_bfe_i32 v14, v5, 4, 1
	s_and_b32 s1, s17, exec_lo
	s_cselect_b32 s23, s23, -1
	s_cselect_b32 s22, s22, -1
	s_wait_kmcnt 0x0
	s_bitcmp1_b32 s33, 0
	s_add_nc_u64 s[10:11], s[10:11], s[26:27]
	s_add_nc_u64 s[14:15], s[14:15], s[28:29]
	s_cselect_b32 s1, -1, 0
                                        ; implicit-def: $vgpr2_vgpr3
	s_branch .LBB179_23
.LBB179_21:                             ;   in Loop: Header=BB179_23 Depth=1
	s_wait_xcnt 0x0
	s_or_b32 exec_lo, exec_lo, s17
	v_add_nc_u32_e32 v0, v1, v0
.LBB179_22:                             ;   in Loop: Header=BB179_23 Depth=1
	v_add_nc_u32_e32 v4, v16, v4
	v_add_nc_u32_e32 v6, 0x100, v6
	s_add_co_i32 s16, s16, -1
	s_delay_alu instid0(SALU_CYCLE_1)
	s_cmp_lg_u32 s16, 0
	s_cbranch_scc0 .LBB179_42
.LBB179_23:                             ; =>This Inner Loop Header: Depth=1
	v_dual_mov_b32 v1, v7 :: v_dual_mov_b32 v8, v7
	s_mov_b32 s17, exec_lo
	v_cmpx_gt_u64_e64 s[4:5], v[6:7]
	s_cbranch_execz .LBB179_25
; %bb.24:                               ;   in Loop: Header=BB179_23 Depth=1
	v_mul_u64_e32 v[2:3], s[8:9], v[6:7]
	s_delay_alu instid0(VALU_DEP_1) | instskip(SKIP_4) | instid1(VALU_DEP_1)
	v_lshl_add_u64 v[2:3], v[2:3], 3, s[20:21]
	global_load_b64 v[2:3], v[2:3], off
	s_wait_loadcnt 0x0
	v_cmp_o_f64_e32 vcc_lo, v[2:3], v[2:3]
	v_ashrrev_i32_e32 v1, 31, v3
	v_or_b32_e32 v8, 0x80000000, v1
	s_delay_alu instid0(VALU_DEP_1) | instskip(NEXT) | instid1(VALU_DEP_1)
	v_xor_b32_e32 v8, v8, v3
	v_dual_cndmask_b32 v9, -1, v8, vcc_lo :: v_dual_bitop2_b32 v1, v1, v2 bitop3:0x14
	s_delay_alu instid0(VALU_DEP_1) | instskip(NEXT) | instid1(VALU_DEP_1)
	v_cndmask_b32_e32 v8, -1, v1, vcc_lo
	v_cmp_lt_u64_e32 vcc_lo, s[22:23], v[8:9]
	v_cndmask_b32_e64 v1, 0, 1, vcc_lo
	v_cmp_gt_u64_e32 vcc_lo, s[22:23], v[8:9]
	v_cndmask_b32_e64 v16, 0, 1, vcc_lo
	s_delay_alu instid0(VALU_DEP_1) | instskip(SKIP_1) | instid1(VALU_DEP_2)
	v_cndmask_b32_e64 v1, v16, v1, s1
	v_cmp_eq_u64_e32 vcc_lo, s[22:23], v[8:9]
	v_and_b32_e32 v1, 1, v1
	v_cndmask_b32_e64 v8, 0, 1, vcc_lo
.LBB179_25:                             ;   in Loop: Header=BB179_23 Depth=1
	s_wait_xcnt 0x0
	s_or_b32 exec_lo, exec_lo, s17
	ds_store_b32 v11, v1
	s_wait_dscnt 0x0
	s_barrier_signal -1
	s_barrier_wait -1
	s_and_saveexec_b32 s17, s0
	s_cbranch_execz .LBB179_27
; %bb.26:                               ;   in Loop: Header=BB179_23 Depth=1
	ds_load_2addr_b32 v[16:17], v10 offset1:1
	ds_load_2addr_b32 v[18:19], v10 offset0:2 offset1:3
	ds_load_2addr_b32 v[20:21], v10 offset0:4 offset1:5
	;; [unrolled: 1-line block ×3, first 2 shown]
	v_cmp_ne_u32_e32 vcc_lo, 0, v13
	; wave barrier
	s_wait_dscnt 0x3
	v_add_nc_u32_e32 v9, v17, v16
	s_wait_dscnt 0x2
	s_delay_alu instid0(VALU_DEP_1) | instskip(SKIP_1) | instid1(VALU_DEP_1)
	v_add3_u32 v9, v9, v18, v19
	s_wait_dscnt 0x1
	v_add3_u32 v9, v9, v20, v21
	s_wait_dscnt 0x0
	s_delay_alu instid0(VALU_DEP_1) | instskip(NEXT) | instid1(VALU_DEP_1)
	v_add3_u32 v9, v9, v22, v23
	v_mov_b32_dpp v17, v9 row_shr:1 row_mask:0xf bank_mask:0xf
	s_delay_alu instid0(VALU_DEP_1) | instskip(SKIP_1) | instid1(VALU_DEP_2)
	v_cndmask_b32_e32 v17, 0, v17, vcc_lo
	v_cmp_lt_u32_e32 vcc_lo, 1, v13
	v_add_nc_u32_e32 v9, v17, v9
	s_delay_alu instid0(VALU_DEP_1) | instskip(NEXT) | instid1(VALU_DEP_1)
	v_mov_b32_dpp v17, v9 row_shr:2 row_mask:0xf bank_mask:0xf
	v_cndmask_b32_e32 v17, 0, v17, vcc_lo
	v_cmp_lt_u32_e32 vcc_lo, 3, v13
	s_delay_alu instid0(VALU_DEP_2) | instskip(NEXT) | instid1(VALU_DEP_1)
	v_add_nc_u32_e32 v9, v9, v17
	v_mov_b32_dpp v17, v9 row_shr:4 row_mask:0xf bank_mask:0xf
	s_delay_alu instid0(VALU_DEP_1) | instskip(SKIP_1) | instid1(VALU_DEP_2)
	v_cndmask_b32_e32 v17, 0, v17, vcc_lo
	v_cmp_lt_u32_e32 vcc_lo, 7, v13
	v_add_nc_u32_e32 v9, v9, v17
	s_delay_alu instid0(VALU_DEP_1) | instskip(NEXT) | instid1(VALU_DEP_1)
	v_mov_b32_dpp v17, v9 row_shr:8 row_mask:0xf bank_mask:0xf
	v_cndmask_b32_e32 v17, 0, v17, vcc_lo
	v_cmp_gt_i32_e32 vcc_lo, 0, v15
	s_delay_alu instid0(VALU_DEP_2) | instskip(SKIP_4) | instid1(VALU_DEP_1)
	v_add_nc_u32_e32 v9, v9, v17
	v_cndmask_b32_e32 v18, v15, v5, vcc_lo
	ds_swizzle_b32 v17, v9 offset:swizzle(BROADCAST,32,15)
	s_wait_dscnt 0x0
	v_dual_lshlrev_b32 v18, 2, v18 :: v_dual_bitop2_b32 v17, v14, v17 bitop3:0x40
	v_add_nc_u32_e32 v9, v9, v17
	ds_bpermute_b32 v9, v18, v9
	s_wait_dscnt 0x0
	v_add_nc_u32_e32 v9, v9, v16
	s_delay_alu instid0(VALU_DEP_1)
	v_cndmask_b32_e64 v9, v9, v1, s3
	ds_store_b32 v10, v9
	; wave barrier
	ds_load_2addr_b32 v[16:17], v10 offset0:1 offset1:2
	ds_load_2addr_b32 v[18:19], v10 offset0:3 offset1:4
	ds_load_2addr_b32 v[20:21], v10 offset0:5 offset1:6
	ds_load_b32 v22, v10 offset:28
	s_wait_dscnt 0x3
	v_add_nc_u32_e32 v9, v16, v9
	s_delay_alu instid0(VALU_DEP_1) | instskip(SKIP_1) | instid1(VALU_DEP_1)
	v_add_nc_u32_e32 v16, v17, v9
	s_wait_dscnt 0x2
	v_add_nc_u32_e32 v17, v18, v16
	s_delay_alu instid0(VALU_DEP_1) | instskip(SKIP_1) | instid1(VALU_DEP_1)
	v_add_nc_u32_e32 v18, v19, v17
	s_wait_dscnt 0x1
	v_add_nc_u32_e32 v19, v20, v18
	s_delay_alu instid0(VALU_DEP_1) | instskip(SKIP_1) | instid1(VALU_DEP_1)
	v_add_nc_u32_e32 v20, v21, v19
	s_wait_dscnt 0x0
	v_add_nc_u32_e32 v21, v22, v20
	ds_store_2addr_b32 v10, v9, v16 offset0:1 offset1:2
	ds_store_2addr_b32 v10, v17, v18 offset0:3 offset1:4
	;; [unrolled: 1-line block ×3, first 2 shown]
	ds_store_b32 v10, v21 offset:28
.LBB179_27:                             ;   in Loop: Header=BB179_23 Depth=1
	s_or_b32 exec_lo, exec_lo, s17
	v_mov_b32_e32 v9, 0
	s_wait_dscnt 0x0
	s_barrier_signal -1
	s_barrier_wait -1
	s_and_saveexec_b32 s17, s2
; %bb.28:                               ;   in Loop: Header=BB179_23 Depth=1
	ds_load_b32 v9, v12
; %bb.29:                               ;   in Loop: Header=BB179_23 Depth=1
	s_or_b32 exec_lo, exec_lo, s17
	ds_load_b32 v16, v7 offset:1048
	s_mov_b32 s17, exec_lo
	s_wait_dscnt 0x0
	s_barrier_signal -1
	s_barrier_wait -1
	v_cmpx_ne_u32_e32 0, v1
	s_cbranch_execz .LBB179_31
; %bb.30:                               ;   in Loop: Header=BB179_23 Depth=1
	v_dual_mov_b32 v19, v7 :: v_dual_add_nc_u32 v18, v9, v4
	s_delay_alu instid0(VALU_DEP_1) | instskip(SKIP_1) | instid1(VALU_DEP_2)
	v_mul_u64_e32 v[20:21], s[12:13], v[18:19]
	v_mul_u64_e32 v[18:19], s[18:19], v[18:19]
	v_lshl_add_u64 v[20:21], v[20:21], 3, s[10:11]
	s_delay_alu instid0(VALU_DEP_2)
	v_lshl_add_u64 v[18:19], v[18:19], 3, s[14:15]
	global_store_b64 v[20:21], v[2:3], off
	global_store_b64 v[18:19], v[6:7], off
.LBB179_31:                             ;   in Loop: Header=BB179_23 Depth=1
	s_wait_xcnt 0x0
	s_or_b32 exec_lo, exec_lo, s17
	v_mov_b32_e32 v1, v7
	s_delay_alu instid0(VALU_DEP_1)
	v_cmp_le_u64_e32 vcc_lo, s[6:7], v[0:1]
	s_cbranch_vccnz .LBB179_22
; %bb.32:                               ;   in Loop: Header=BB179_23 Depth=1
	ds_store_b32 v11, v8
	s_wait_storecnt_dscnt 0x0
	s_barrier_signal -1
	s_barrier_wait -1
	s_and_saveexec_b32 s17, s0
	s_cbranch_execz .LBB179_34
; %bb.33:                               ;   in Loop: Header=BB179_23 Depth=1
	ds_load_2addr_b32 v[18:19], v10 offset1:1
	ds_load_2addr_b32 v[20:21], v10 offset0:2 offset1:3
	ds_load_2addr_b32 v[22:23], v10 offset0:4 offset1:5
	;; [unrolled: 1-line block ×3, first 2 shown]
	v_cmp_ne_u32_e32 vcc_lo, 0, v13
	; wave barrier
	s_wait_dscnt 0x3
	v_add_nc_u32_e32 v1, v19, v18
	s_wait_dscnt 0x2
	s_delay_alu instid0(VALU_DEP_1) | instskip(SKIP_1) | instid1(VALU_DEP_1)
	v_add3_u32 v1, v1, v20, v21
	s_wait_dscnt 0x1
	v_add3_u32 v1, v1, v22, v23
	s_wait_dscnt 0x0
	s_delay_alu instid0(VALU_DEP_1) | instskip(NEXT) | instid1(VALU_DEP_1)
	v_add3_u32 v1, v1, v24, v25
	v_mov_b32_dpp v9, v1 row_shr:1 row_mask:0xf bank_mask:0xf
	s_delay_alu instid0(VALU_DEP_1) | instskip(SKIP_1) | instid1(VALU_DEP_2)
	v_cndmask_b32_e32 v9, 0, v9, vcc_lo
	v_cmp_lt_u32_e32 vcc_lo, 1, v13
	v_add_nc_u32_e32 v1, v9, v1
	s_delay_alu instid0(VALU_DEP_1) | instskip(NEXT) | instid1(VALU_DEP_1)
	v_mov_b32_dpp v9, v1 row_shr:2 row_mask:0xf bank_mask:0xf
	v_cndmask_b32_e32 v9, 0, v9, vcc_lo
	v_cmp_lt_u32_e32 vcc_lo, 3, v13
	s_delay_alu instid0(VALU_DEP_2) | instskip(NEXT) | instid1(VALU_DEP_1)
	v_add_nc_u32_e32 v1, v1, v9
	v_mov_b32_dpp v9, v1 row_shr:4 row_mask:0xf bank_mask:0xf
	s_delay_alu instid0(VALU_DEP_1) | instskip(SKIP_1) | instid1(VALU_DEP_2)
	v_cndmask_b32_e32 v9, 0, v9, vcc_lo
	v_cmp_lt_u32_e32 vcc_lo, 7, v13
	v_add_nc_u32_e32 v1, v1, v9
	s_delay_alu instid0(VALU_DEP_1) | instskip(NEXT) | instid1(VALU_DEP_1)
	v_mov_b32_dpp v9, v1 row_shr:8 row_mask:0xf bank_mask:0xf
	v_cndmask_b32_e32 v9, 0, v9, vcc_lo
	v_cmp_gt_i32_e32 vcc_lo, 0, v15
	s_delay_alu instid0(VALU_DEP_2)
	v_add_nc_u32_e32 v1, v1, v9
	v_cndmask_b32_e32 v17, v15, v5, vcc_lo
	ds_swizzle_b32 v9, v1 offset:swizzle(BROADCAST,32,15)
	v_lshlrev_b32_e32 v17, 2, v17
	s_wait_dscnt 0x0
	v_and_b32_e32 v9, v14, v9
	s_delay_alu instid0(VALU_DEP_1) | instskip(SKIP_3) | instid1(VALU_DEP_1)
	v_add_nc_u32_e32 v1, v1, v9
	ds_bpermute_b32 v1, v17, v1
	s_wait_dscnt 0x0
	v_add_nc_u32_e32 v1, v1, v18
	v_cndmask_b32_e64 v1, v1, v8, s3
	ds_store_b32 v10, v1
	; wave barrier
	ds_load_2addr_b32 v[18:19], v10 offset0:1 offset1:2
	ds_load_2addr_b32 v[20:21], v10 offset0:3 offset1:4
	;; [unrolled: 1-line block ×3, first 2 shown]
	ds_load_b32 v9, v10 offset:28
	s_wait_dscnt 0x3
	v_add_nc_u32_e32 v1, v18, v1
	s_delay_alu instid0(VALU_DEP_1) | instskip(SKIP_1) | instid1(VALU_DEP_1)
	v_add_nc_u32_e32 v17, v19, v1
	s_wait_dscnt 0x2
	v_add_nc_u32_e32 v18, v20, v17
	s_delay_alu instid0(VALU_DEP_1) | instskip(SKIP_1) | instid1(VALU_DEP_1)
	v_add_nc_u32_e32 v19, v21, v18
	;; [unrolled: 4-line block ×3, first 2 shown]
	s_wait_dscnt 0x0
	v_add_nc_u32_e32 v9, v9, v21
	ds_store_2addr_b32 v10, v1, v17 offset0:1 offset1:2
	ds_store_2addr_b32 v10, v18, v19 offset0:3 offset1:4
	;; [unrolled: 1-line block ×3, first 2 shown]
	ds_store_b32 v10, v9 offset:28
.LBB179_34:                             ;   in Loop: Header=BB179_23 Depth=1
	s_or_b32 exec_lo, exec_lo, s17
	v_mov_b32_e32 v9, 0
	s_wait_dscnt 0x0
	s_barrier_signal -1
	s_barrier_wait -1
	s_and_saveexec_b32 s17, s2
; %bb.35:                               ;   in Loop: Header=BB179_23 Depth=1
	ds_load_b32 v9, v12
; %bb.36:                               ;   in Loop: Header=BB179_23 Depth=1
	s_or_b32 exec_lo, exec_lo, s17
	ds_load_b32 v1, v7 offset:1048
	s_mov_b32 s17, exec_lo
	s_wait_dscnt 0x0
	s_barrier_signal -1
	s_barrier_wait -1
	v_cmpx_ne_u32_e32 0, v8
	s_cbranch_execz .LBB179_21
; %bb.37:                               ;   in Loop: Header=BB179_23 Depth=1
	v_dual_mov_b32 v9, v7 :: v_dual_add_nc_u32 v8, v9, v0
	s_delay_alu instid0(VALU_DEP_1)
	v_cmp_gt_u64_e32 vcc_lo, s[6:7], v[8:9]
	s_and_b32 exec_lo, exec_lo, vcc_lo
	s_cbranch_execz .LBB179_21
; %bb.38:                               ;   in Loop: Header=BB179_23 Depth=1
	v_mul_u64_e32 v[18:19], s[12:13], v[8:9]
	v_mul_u64_e32 v[8:9], s[18:19], v[8:9]
	s_delay_alu instid0(VALU_DEP_2) | instskip(NEXT) | instid1(VALU_DEP_2)
	v_lshl_add_u64 v[18:19], v[18:19], 3, s[10:11]
	v_lshl_add_u64 v[8:9], v[8:9], 3, s[14:15]
	global_store_b64 v[18:19], v[2:3], off
	global_store_b64 v[8:9], v[6:7], off
	s_branch .LBB179_21
.LBB179_39:                             ;   in Loop: Header=BB179_40 Depth=1
	s_add_co_i32 s14, s14, 1
	s_wait_kmcnt 0x0
	s_add_co_i32 s29, s15, s29
	s_add_nc_u64 s[10:11], s[10:11], 4
	s_cmp_lt_u32 s14, s17
	s_add_nc_u64 s[12:13], s[12:13], 4
	s_cbranch_scc0 .LBB179_18
.LBB179_40:                             ; =>This Inner Loop Header: Depth=1
	s_load_b32 s15, s[10:11], 0x0
	s_cmp_ge_u32 s14, s31
	s_cbranch_scc1 .LBB179_39
; %bb.41:                               ;   in Loop: Header=BB179_40 Depth=1
	s_load_b32 s20, s[12:13], 0x0
	s_wait_kmcnt 0x0
	s_add_co_i32 s9, s15, s9
	s_add_co_i32 s8, s20, s8
	s_branch .LBB179_39
.LBB179_42:
	s_endpgm
	.section	.rodata,"a",@progbits
	.p2align	6, 0x0
	.amdhsa_kernel _ZN2at6native6mbtopk10gatherTopKIdmLi1EEEvNS_4cuda6detail10TensorInfoIKT_T0_EES8_S8_bjS8_NS5_IS6_S8_EES8_NS5_IlS8_EES8_jjPS6_PjSD_j
		.amdhsa_group_segment_fixed_size 1068
		.amdhsa_private_segment_fixed_size 0
		.amdhsa_kernarg_size 1592
		.amdhsa_user_sgpr_count 2
		.amdhsa_user_sgpr_dispatch_ptr 0
		.amdhsa_user_sgpr_queue_ptr 0
		.amdhsa_user_sgpr_kernarg_segment_ptr 1
		.amdhsa_user_sgpr_dispatch_id 0
		.amdhsa_user_sgpr_kernarg_preload_length 0
		.amdhsa_user_sgpr_kernarg_preload_offset 0
		.amdhsa_user_sgpr_private_segment_size 0
		.amdhsa_wavefront_size32 1
		.amdhsa_uses_dynamic_stack 0
		.amdhsa_enable_private_segment 0
		.amdhsa_system_sgpr_workgroup_id_x 1
		.amdhsa_system_sgpr_workgroup_id_y 1
		.amdhsa_system_sgpr_workgroup_id_z 1
		.amdhsa_system_sgpr_workgroup_info 0
		.amdhsa_system_vgpr_workitem_id 0
		.amdhsa_next_free_vgpr 26
		.amdhsa_next_free_sgpr 36
		.amdhsa_named_barrier_count 0
		.amdhsa_reserve_vcc 1
		.amdhsa_float_round_mode_32 0
		.amdhsa_float_round_mode_16_64 0
		.amdhsa_float_denorm_mode_32 3
		.amdhsa_float_denorm_mode_16_64 3
		.amdhsa_fp16_overflow 0
		.amdhsa_memory_ordered 1
		.amdhsa_forward_progress 1
		.amdhsa_inst_pref_size 20
		.amdhsa_round_robin_scheduling 0
		.amdhsa_exception_fp_ieee_invalid_op 0
		.amdhsa_exception_fp_denorm_src 0
		.amdhsa_exception_fp_ieee_div_zero 0
		.amdhsa_exception_fp_ieee_overflow 0
		.amdhsa_exception_fp_ieee_underflow 0
		.amdhsa_exception_fp_ieee_inexact 0
		.amdhsa_exception_int_div_zero 0
	.end_amdhsa_kernel
	.section	.text._ZN2at6native6mbtopk10gatherTopKIdmLi1EEEvNS_4cuda6detail10TensorInfoIKT_T0_EES8_S8_bjS8_NS5_IS6_S8_EES8_NS5_IlS8_EES8_jjPS6_PjSD_j,"axG",@progbits,_ZN2at6native6mbtopk10gatherTopKIdmLi1EEEvNS_4cuda6detail10TensorInfoIKT_T0_EES8_S8_bjS8_NS5_IS6_S8_EES8_NS5_IlS8_EES8_jjPS6_PjSD_j,comdat
.Lfunc_end179:
	.size	_ZN2at6native6mbtopk10gatherTopKIdmLi1EEEvNS_4cuda6detail10TensorInfoIKT_T0_EES8_S8_bjS8_NS5_IS6_S8_EES8_NS5_IlS8_EES8_jjPS6_PjSD_j, .Lfunc_end179-_ZN2at6native6mbtopk10gatherTopKIdmLi1EEEvNS_4cuda6detail10TensorInfoIKT_T0_EES8_S8_bjS8_NS5_IS6_S8_EES8_NS5_IlS8_EES8_jjPS6_PjSD_j
                                        ; -- End function
	.set _ZN2at6native6mbtopk10gatherTopKIdmLi1EEEvNS_4cuda6detail10TensorInfoIKT_T0_EES8_S8_bjS8_NS5_IS6_S8_EES8_NS5_IlS8_EES8_jjPS6_PjSD_j.num_vgpr, 26
	.set _ZN2at6native6mbtopk10gatherTopKIdmLi1EEEvNS_4cuda6detail10TensorInfoIKT_T0_EES8_S8_bjS8_NS5_IS6_S8_EES8_NS5_IlS8_EES8_jjPS6_PjSD_j.num_agpr, 0
	.set _ZN2at6native6mbtopk10gatherTopKIdmLi1EEEvNS_4cuda6detail10TensorInfoIKT_T0_EES8_S8_bjS8_NS5_IS6_S8_EES8_NS5_IlS8_EES8_jjPS6_PjSD_j.numbered_sgpr, 36
	.set _ZN2at6native6mbtopk10gatherTopKIdmLi1EEEvNS_4cuda6detail10TensorInfoIKT_T0_EES8_S8_bjS8_NS5_IS6_S8_EES8_NS5_IlS8_EES8_jjPS6_PjSD_j.num_named_barrier, 0
	.set _ZN2at6native6mbtopk10gatherTopKIdmLi1EEEvNS_4cuda6detail10TensorInfoIKT_T0_EES8_S8_bjS8_NS5_IS6_S8_EES8_NS5_IlS8_EES8_jjPS6_PjSD_j.private_seg_size, 0
	.set _ZN2at6native6mbtopk10gatherTopKIdmLi1EEEvNS_4cuda6detail10TensorInfoIKT_T0_EES8_S8_bjS8_NS5_IS6_S8_EES8_NS5_IlS8_EES8_jjPS6_PjSD_j.uses_vcc, 1
	.set _ZN2at6native6mbtopk10gatherTopKIdmLi1EEEvNS_4cuda6detail10TensorInfoIKT_T0_EES8_S8_bjS8_NS5_IS6_S8_EES8_NS5_IlS8_EES8_jjPS6_PjSD_j.uses_flat_scratch, 0
	.set _ZN2at6native6mbtopk10gatherTopKIdmLi1EEEvNS_4cuda6detail10TensorInfoIKT_T0_EES8_S8_bjS8_NS5_IS6_S8_EES8_NS5_IlS8_EES8_jjPS6_PjSD_j.has_dyn_sized_stack, 0
	.set _ZN2at6native6mbtopk10gatherTopKIdmLi1EEEvNS_4cuda6detail10TensorInfoIKT_T0_EES8_S8_bjS8_NS5_IS6_S8_EES8_NS5_IlS8_EES8_jjPS6_PjSD_j.has_recursion, 0
	.set _ZN2at6native6mbtopk10gatherTopKIdmLi1EEEvNS_4cuda6detail10TensorInfoIKT_T0_EES8_S8_bjS8_NS5_IS6_S8_EES8_NS5_IlS8_EES8_jjPS6_PjSD_j.has_indirect_call, 0
	.section	.AMDGPU.csdata,"",@progbits
; Kernel info:
; codeLenInByte = 2548
; TotalNumSgprs: 38
; NumVgprs: 26
; ScratchSize: 0
; MemoryBound: 0
; FloatMode: 240
; IeeeMode: 1
; LDSByteSize: 1068 bytes/workgroup (compile time only)
; SGPRBlocks: 0
; VGPRBlocks: 1
; NumSGPRsForWavesPerEU: 38
; NumVGPRsForWavesPerEU: 26
; NamedBarCnt: 0
; Occupancy: 16
; WaveLimiterHint : 1
; COMPUTE_PGM_RSRC2:SCRATCH_EN: 0
; COMPUTE_PGM_RSRC2:USER_SGPR: 2
; COMPUTE_PGM_RSRC2:TRAP_HANDLER: 0
; COMPUTE_PGM_RSRC2:TGID_X_EN: 1
; COMPUTE_PGM_RSRC2:TGID_Y_EN: 1
; COMPUTE_PGM_RSRC2:TGID_Z_EN: 1
; COMPUTE_PGM_RSRC2:TIDIG_COMP_CNT: 0
	.section	.text._ZN2at6native6sbtopk10gatherTopKIdmLi1ELb0EEEvNS_4cuda6detail10TensorInfoIKT_T0_EES8_S8_bS8_S8_NS5_IS6_S8_EES8_NS5_IlS8_EES8_PS6_,"axG",@progbits,_ZN2at6native6sbtopk10gatherTopKIdmLi1ELb0EEEvNS_4cuda6detail10TensorInfoIKT_T0_EES8_S8_bS8_S8_NS5_IS6_S8_EES8_NS5_IlS8_EES8_PS6_,comdat
	.protected	_ZN2at6native6sbtopk10gatherTopKIdmLi1ELb0EEEvNS_4cuda6detail10TensorInfoIKT_T0_EES8_S8_bS8_S8_NS5_IS6_S8_EES8_NS5_IlS8_EES8_PS6_ ; -- Begin function _ZN2at6native6sbtopk10gatherTopKIdmLi1ELb0EEEvNS_4cuda6detail10TensorInfoIKT_T0_EES8_S8_bS8_S8_NS5_IS6_S8_EES8_NS5_IlS8_EES8_PS6_
	.globl	_ZN2at6native6sbtopk10gatherTopKIdmLi1ELb0EEEvNS_4cuda6detail10TensorInfoIKT_T0_EES8_S8_bS8_S8_NS5_IS6_S8_EES8_NS5_IlS8_EES8_PS6_
	.p2align	8
	.type	_ZN2at6native6sbtopk10gatherTopKIdmLi1ELb0EEEvNS_4cuda6detail10TensorInfoIKT_T0_EES8_S8_bS8_S8_NS5_IS6_S8_EES8_NS5_IlS8_EES8_PS6_,@function
_ZN2at6native6sbtopk10gatherTopKIdmLi1ELb0EEEvNS_4cuda6detail10TensorInfoIKT_T0_EES8_S8_bS8_S8_NS5_IS6_S8_EES8_NS5_IlS8_EES8_PS6_: ; @_ZN2at6native6sbtopk10gatherTopKIdmLi1ELb0EEEvNS_4cuda6detail10TensorInfoIKT_T0_EES8_S8_bS8_S8_NS5_IS6_S8_EES8_NS5_IlS8_EES8_PS6_
; %bb.0:
	s_clause 0x1
	s_load_b128 s[36:39], s[0:1], 0x1b8
	s_load_b64 s[8:9], s[0:1], 0x520
	s_bfe_u32 s2, ttmp6, 0x40010
	s_and_b32 s3, ttmp7, 0xffff
	s_add_co_i32 s2, s2, 1
	s_bfe_u32 s5, ttmp6, 0x4000c
	s_mul_i32 s2, s3, s2
	s_bfe_u32 s4, ttmp6, 0x40004
	s_add_co_i32 s5, s5, 1
	s_bfe_u32 s6, ttmp6, 0x40014
	s_add_co_i32 s4, s4, s2
	s_and_b32 s2, ttmp6, 15
	s_mul_i32 s5, ttmp9, s5
	s_lshr_b32 s7, ttmp7, 16
	s_add_co_i32 s6, s6, 1
	s_add_co_i32 s2, s2, s5
	s_mul_i32 s5, s7, s6
	s_bfe_u32 s6, ttmp6, 0x40008
	s_getreg_b32 s10, hwreg(HW_REG_IB_STS2, 6, 4)
	s_add_co_i32 s6, s6, s5
	s_cmp_eq_u32 s10, 0
	s_mov_b32 s43, 0
	s_cselect_b32 s5, s7, s6
	s_cselect_b32 s3, s3, s4
	s_wait_kmcnt 0x0
	s_mul_i32 s5, s9, s5
	s_cselect_b32 s9, ttmp9, s2
	s_add_co_i32 s2, s5, s3
	s_delay_alu instid0(SALU_CYCLE_1) | instskip(NEXT) | instid1(SALU_CYCLE_1)
	s_mul_i32 s2, s2, s8
	s_add_co_i32 s42, s2, s9
	s_delay_alu instid0(SALU_CYCLE_1)
	v_cmp_le_u64_e64 s2, s[36:37], s[42:43]
	s_and_b32 vcc_lo, exec_lo, s2
	s_cbranch_vccnz .LBB180_483
; %bb.1:
	s_clause 0x2
	s_load_b128 s[28:31], s[0:1], 0x1a0
	s_load_b64 s[6:7], s[0:1], 0xd0
	s_load_b64 s[2:3], s[0:1], 0x0
	v_cmp_eq_u32_e64 s5, 0, v0
	s_add_nc_u64 s[10:11], s[0:1], 0x520
	s_and_saveexec_b32 s4, s5
	s_cbranch_execz .LBB180_3
; %bb.2:
	s_wait_kmcnt 0x0
	v_dual_mov_b32 v2, 0 :: v_dual_mov_b32 v4, s28
	s_delay_alu instid0(VALU_DEP_1)
	v_dual_mov_b32 v5, s29 :: v_dual_mov_b32 v3, v2
	ds_store_b32 v2, v2 offset:5144
	ds_store_b128 v2, v[2:5] offset:5120
.LBB180_3:
	s_or_b32 exec_lo, exec_lo, s4
	s_load_b64 s[12:13], s[0:1], 0x440
                                        ; implicit-def: $vgpr66 : SGPR spill to VGPR lane
	v_dual_mov_b32 v21, 0 :: v_dual_lshlrev_b32 v22, 2, v0
	v_mbcnt_lo_u32_b32 v17, -1, 0
	v_cmp_gt_u32_e32 vcc_lo, 32, v0
	s_delay_alu instid0(VALU_DEP_3) | instskip(SKIP_1) | instid1(VALU_DEP_4)
	v_dual_mov_b32 v1, v21 :: v_dual_lshlrev_b32 v46, 5, v0
	v_lshlrev_b32_e32 v47, 3, v0
	v_lshlrev_b64_e64 v[4:5], v17, -1
	s_mov_b32 s27, 0
	s_delay_alu instid0(VALU_DEP_3)
	v_or_b32_e32 v20, 24, v46
	v_mul_u64_e32 v[2:3], s[38:39], v[0:1]
	s_wait_kmcnt 0x0
	v_cmp_lt_u64_e64 s33, 0x180, s[28:29]
	v_mov_b64_e32 v[34:35], 0
	v_mov_b64_e32 v[6:7], 0
	v_mul_u64_e32 v[24:25], s[38:39], v[20:21]
	v_or_b32_e32 v20, 16, v46
	v_mov_b64_e32 v[38:39], s[30:31]
	v_mov_b64_e32 v[32:33], 0
	;; [unrolled: 1-line block ×3, first 2 shown]
	v_writelane_b32 v66, s12, 0
	v_mul_u64_e32 v[26:27], s[38:39], v[20:21]
	v_or_b32_e32 v20, 8, v46
	s_mov_b32 s35, s27
	v_dual_mov_b32 v23, v21 :: v_dual_add_nc_u32 v48, 0xc00, v47
	v_writelane_b32 v66, s13, 1
	s_mul_u64 s[12:13], s[6:7], s[42:43]
	s_clause 0x1
	s_load_b64 s[6:7], s[0:1], 0x370
	s_load_b32 s4, s[0:1], 0x1b0
	v_mul_u64_e32 v[28:29], s[38:39], v[20:21]
	s_lshl_b64 s[12:13], s[12:13], 3
	v_not_b32_e32 v16, v4
	s_add_nc_u64 s[40:41], s[2:3], s[12:13]
	v_cmp_gt_u64_e64 s3, s[28:29], v[0:1]
	v_cmp_eq_u32_e64 s2, 0, v17
	v_lshl_or_b32 v50, v17, 3, 0xc00
	s_mov_b32 s86, 62
	s_mov_b32 s88, 0x4f800000
	;; [unrolled: 1-line block ×4, first 2 shown]
                                        ; implicit-def: $sgpr89
                                        ; implicit-def: $sgpr93
                                        ; implicit-def: $sgpr92
                                        ; implicit-def: $sgpr94
                                        ; implicit-def: $sgpr91
                                        ; implicit-def: $sgpr98
                                        ; implicit-def: $sgpr99
                                        ; implicit-def: $sgpr95
                                        ; implicit-def: $sgpr97
                                        ; implicit-def: $sgpr96
	v_lshlrev_b64_e32 v[30:31], 5, v[2:3]
	v_lshl_add_u64 v[18:19], v[2:3], 3, s[40:41]
	v_mov_b32_e32 v3, 0x3ff00000
	s_wait_kmcnt 0x0
	v_writelane_b32 v66, s6, 2
	s_bitcmp1_b32 s4, 0
	s_cselect_b32 s4, -1, 0
	v_writelane_b32 v66, s7, 3
	s_clause 0x1
	s_load_b64 s[50:51], s[0:1], 0x298
	s_load_b64 s[6:7], s[0:1], 0x1c8
	s_wait_dscnt 0x0
	s_barrier_signal -1
	s_barrier_wait -1
	s_load_b32 s14, s[10:11], 0xc
	s_xor_b32 s79, s4, -1
	s_wait_kmcnt 0x0
	v_writelane_b32 v66, s6, 4
	v_writelane_b32 v66, s7, 5
	v_cmp_gt_i32_e64 s7, 4, v17
	s_and_b32 s34, s14, 0xffff
	v_cmp_gt_u32_e64 s6, 2, v0
	s_add_nc_u64 s[52:53], s[34:35], -1
	s_and_b32 s78, vcc_lo, s7
	s_bfe_u32 s7, s14, 0xb0005
	s_cmp_gt_u32 s34, 31
	s_add_nc_u64 s[54:55], s[52:53], s[28:29]
	s_cselect_b32 s80, -1, 0
	s_cmp_lt_u32 s9, s8
	s_cselect_b32 s26, 12, 18
	s_add_co_i32 s8, s7, -1
	s_bfe_u32 s81, s34, 0x30005
	s_and_b32 s8, s8, 0xffff
	s_add_nc_u64 s[60:61], s[10:11], s[26:27]
	s_cmp_gt_u32 s8, 6
	s_movk_i32 s8, 0x3e0
	s_cselect_b32 s82, -1, 0
	s_and_b32 s83, s7, 0x7f8
	v_and_or_b32 v49, v0, s8, 0xc00
	s_cmp_lg_u32 s81, 0
	s_mul_u64 s[8:9], s[38:39], s[34:35]
	s_cselect_b32 s84, -1, 0
	s_lshl_b64 s[56:57], s[38:39], 3
	s_lshl_b64 s[58:59], s[38:39], 5
	s_lshl_b32 s85, s34, 3
	s_lshl_b64 s[36:37], s[8:9], 3
	s_and_b64 s[62:63], s[28:29], 0xffffffff00000000
	s_branch .LBB180_6
.LBB180_4:                              ;   in Loop: Header=BB180_6 Depth=1
	s_or_b32 exec_lo, exec_lo, s10
	v_mov_b64_e32 v[38:39], v[40:41]
	s_and_not1_b32 s10, s96, exec_lo
	s_and_b32 s9, s9, exec_lo
	s_and_not1_b32 s97, s97, exec_lo
	s_or_b32 s96, s10, s9
	s_and_not1_b32 s95, s95, exec_lo
	s_and_not1_b32 s99, s99, exec_lo
	;; [unrolled: 1-line block ×3, first 2 shown]
	s_or_not1_b32 s8, s8, exec_lo
.LBB180_5:                              ;   in Loop: Header=BB180_6 Depth=1
	s_or_b32 exec_lo, exec_lo, s7
	s_delay_alu instid0(SALU_CYCLE_1) | instskip(NEXT) | instid1(SALU_CYCLE_1)
	s_and_b32 s7, exec_lo, s8
	s_or_b32 s87, s7, s87
	s_and_not1_b32 s7, s91, exec_lo
	s_and_b32 s8, s96, exec_lo
	s_and_not1_b32 s9, s94, exec_lo
	s_or_b32 s91, s7, s8
	s_and_b32 s7, s97, exec_lo
	s_and_not1_b32 s8, s92, exec_lo
	s_and_b32 s10, s95, exec_lo
	s_or_b32 s94, s9, s7
	s_or_b32 s92, s8, s10
	s_and_not1_b32 s7, s93, exec_lo
	s_and_b32 s8, s99, exec_lo
	s_and_not1_b32 s9, s89, exec_lo
	s_and_b32 s10, s98, exec_lo
	s_or_b32 s93, s7, s8
	s_or_b32 s89, s9, s10
	s_and_not1_b32 exec_lo, exec_lo, s87
	s_cbranch_execz .LBB180_479
.LBB180_6:                              ; =>This Loop Header: Depth=1
                                        ;     Child Loop BB180_12 Depth 2
                                        ;     Child Loop BB180_25 Depth 2
	;; [unrolled: 1-line block ×24, first 2 shown]
	ds_load_b128 v[8:11], v21 offset:5120
	s_wait_dscnt 0x0
	v_readfirstlane_b32 s65, v9
	v_readfirstlane_b32 s64, v8
	s_cmp_lg_u64 s[64:65], 0
	s_cbranch_scc1 .LBB180_33
; %bb.7:                                ;   in Loop: Header=BB180_6 Depth=1
	s_and_b32 vcc_lo, exec_lo, s33
	s_cbranch_vccz .LBB180_20
; %bb.8:                                ;   in Loop: Header=BB180_6 Depth=1
	v_cmp_gt_u64_e32 vcc_lo, 0x181, v[10:11]
	s_mov_b32 s9, 0
	s_mov_b32 s7, 0
	s_cbranch_vccz .LBB180_21
; %bb.9:                                ;   in Loop: Header=BB180_6 Depth=1
	s_and_saveexec_b32 s10, s3
	s_cbranch_execz .LBB180_88
; %bb.10:                               ;   in Loop: Header=BB180_6 Depth=1
	global_load_u16 v2, v21, s[60:61]
	global_load_b64 v[4:5], v[18:19], off
	v_mov_b64_e32 v[12:13], v[0:1]
	s_mov_b32 s11, 0
	s_wait_loadcnt 0x1
	v_and_b32_e32 v20, 0xffff, v2
	s_delay_alu instid0(VALU_DEP_1) | instskip(SKIP_1) | instid1(VALU_DEP_1)
	v_mul_u64_e32 v[8:9], s[56:57], v[20:21]
	v_add_nc_u32_e32 v2, v0, v20
	v_mad_nc_u64_u32 v[10:11], s56, v2, s[40:41]
	s_delay_alu instid0(VALU_DEP_1)
	v_mad_u32 v11, s57, v2, v11
	s_branch .LBB180_12
.LBB180_11:                             ;   in Loop: Header=BB180_12 Depth=2
	s_or_b32 exec_lo, exec_lo, s8
	v_add_nc_u64_e32 v[10:11], v[10:11], v[8:9]
	v_mov_b64_e32 v[4:5], v[14:15]
	s_and_not1_b32 exec_lo, exec_lo, s11
	s_cbranch_execz .LBB180_88
.LBB180_12:                             ;   Parent Loop BB180_6 Depth=1
                                        ; =>  This Inner Loop Header: Depth=2
	v_add_nc_u64_e32 v[12:13], v[12:13], v[20:21]
	v_mov_b64_e32 v[14:15], 0
	s_mov_b32 s8, exec_lo
	s_delay_alu instid0(VALU_DEP_2)
	v_cmp_le_u64_e32 vcc_lo, s[28:29], v[12:13]
	s_wait_xcnt 0x0
	v_cmpx_gt_u64_e64 s[28:29], v[12:13]
	s_cbranch_execz .LBB180_14
; %bb.13:                               ;   in Loop: Header=BB180_12 Depth=2
	global_load_b64 v[14:15], v[10:11], off
.LBB180_14:                             ;   in Loop: Header=BB180_12 Depth=2
	s_wait_xcnt 0x0
	s_or_b32 exec_lo, exec_lo, s8
	s_wait_loadcnt 0x0
	v_cmp_o_f64_e64 s7, v[4:5], v[4:5]
	s_wait_dscnt 0x0
	v_ashrrev_i32_e32 v2, 31, v5
	s_delay_alu instid0(VALU_DEP_1) | instskip(NEXT) | instid1(VALU_DEP_1)
	v_or_b32_e32 v40, 0x80000000, v2
	v_xor_b32_e32 v40, v40, v5
	v_xor_b32_e32 v2, v2, v4
	s_delay_alu instid0(VALU_DEP_1) | instskip(NEXT) | instid1(VALU_DEP_1)
	v_dual_cndmask_b32 v40, -1, v40, s7 :: v_dual_cndmask_b32 v2, -1, v2, s7
	v_and_b32_e32 v41, v40, v37
	s_delay_alu instid0(VALU_DEP_2) | instskip(NEXT) | instid1(VALU_DEP_1)
	v_dual_mov_b32 v2, 0 :: v_dual_bitop2_b32 v40, v2, v36 bitop3:0x40
	v_cmp_eq_u64_e64 s7, v[40:41], v[32:33]
	s_cmp_lg_u32 s7, 0
	s_cselect_b32 s8, -1, 0
	s_delay_alu instid0(SALU_CYCLE_1) | instskip(NEXT) | instid1(SALU_CYCLE_1)
	s_and_b32 s8, s2, s8
	s_and_saveexec_b32 s12, s8
	s_cbranch_execz .LBB180_18
; %bb.15:                               ;   in Loop: Header=BB180_12 Depth=2
	s_mov_b32 s15, exec_lo
	s_bcnt1_i32_b32 s13, s7
	v_mbcnt_lo_u32_b32 v2, s15, 0
	s_mov_b32 s14, exec_lo
                                        ; implicit-def: $vgpr40
	s_delay_alu instid0(VALU_DEP_1)
	v_cmpx_eq_u32_e32 0, v2
; %bb.16:                               ;   in Loop: Header=BB180_12 Depth=2
	s_bcnt1_i32_b32 s8, s15
	s_delay_alu instid0(SALU_CYCLE_1) | instskip(NEXT) | instid1(SALU_CYCLE_1)
	s_mul_i32 s8, s13, s8
	v_mov_b32_e32 v40, s8
	ds_add_rtn_u32 v40, v21, v40 offset:5144
; %bb.17:                               ;   in Loop: Header=BB180_12 Depth=2
	s_or_b32 exec_lo, exec_lo, s14
	s_wait_dscnt 0x0
	v_readfirstlane_b32 s8, v40
	s_delay_alu instid0(VALU_DEP_1)
	v_mad_u32_u24 v2, s13, v2, s8
.LBB180_18:                             ;   in Loop: Header=BB180_12 Depth=2
	s_or_b32 exec_lo, exec_lo, s12
	ds_bpermute_b32 v2, v21, v2
	s_and_b32 s8, exec_lo, vcc_lo
	s_delay_alu instid0(SALU_CYCLE_1)
	s_or_b32 s11, s8, s11
	s_and_saveexec_b32 s8, s7
	s_cbranch_execz .LBB180_11
; %bb.19:                               ;   in Loop: Header=BB180_12 Depth=2
	v_and_b32_e32 v40, s7, v16
	s_delay_alu instid0(VALU_DEP_1) | instskip(NEXT) | instid1(VALU_DEP_1)
	v_bcnt_u32_b32 v40, v40, 0
	v_lshlrev_b32_e32 v40, 3, v40
	s_wait_dscnt 0x0
	s_delay_alu instid0(VALU_DEP_1)
	v_lshl_add_u32 v2, v2, 3, v40
	ds_store_b64 v2, v[4:5]
	s_branch .LBB180_11
.LBB180_20:                             ;   in Loop: Header=BB180_6 Depth=1
	s_mov_b32 s9, -1
	s_mov_b32 s7, 0
.LBB180_21:                             ;   in Loop: Header=BB180_6 Depth=1
	s_and_b32 vcc_lo, exec_lo, s9
	s_cbranch_vccz .LBB180_31
.LBB180_22:                             ;   in Loop: Header=BB180_6 Depth=1
	s_and_saveexec_b32 s7, s3
	s_cbranch_execz .LBB180_28
; %bb.23:                               ;   in Loop: Header=BB180_6 Depth=1
	global_load_u16 v2, v21, s[60:61]
	global_load_b64 v[4:5], v[18:19], off
	s_mov_b32 s8, exec_lo
	s_wait_loadcnt 0x1
	v_and_b32_e32 v8, 0xffff, v2
	v_mov_b32_e32 v2, v0
	s_delay_alu instid0(VALU_DEP_2) | instskip(SKIP_1) | instid1(VALU_DEP_1)
	v_add_nc_u32_e32 v20, v8, v0
	s_wait_xcnt 0x0
	v_cmpx_gt_u64_e64 s[28:29], v[20:21]
	s_cbranch_execz .LBB180_27
; %bb.24:                               ;   in Loop: Header=BB180_6 Depth=1
	v_mov_b32_e32 v9, v21
	v_mad_nc_u64_u32 v[12:13], s56, v20, s[40:41]
	v_mov_b64_e32 v[14:15], v[20:21]
	v_mov_b64_e32 v[42:43], v[0:1]
	s_mov_b32 s9, 0
	v_mul_u64_e32 v[10:11], s[56:57], v[8:9]
	s_delay_alu instid0(VALU_DEP_4)
	v_mad_u32 v13, s57, v20, v13
.LBB180_25:                             ;   Parent Loop BB180_6 Depth=1
                                        ; =>  This Inner Loop Header: Depth=2
	global_load_b64 v[40:41], v[12:13], off
	v_mov_b64_e32 v[44:45], v[14:15]
	v_lshlrev_b32_e32 v2, 3, v42
	s_wait_xcnt 0x0
	v_add_nc_u64_e32 v[12:13], v[12:13], v[10:11]
	s_wait_loadcnt 0x1
	ds_store_b64 v2, v[4:5]
	v_add_nc_u64_e32 v[14:15], v[44:45], v[8:9]
	v_mov_b64_e32 v[42:43], v[44:45]
	s_delay_alu instid0(VALU_DEP_2)
	v_cmp_le_u64_e32 vcc_lo, s[28:29], v[14:15]
	s_or_b32 s9, vcc_lo, s9
	s_wait_loadcnt 0x0
	v_mov_b64_e32 v[4:5], v[40:41]
	s_and_not1_b32 exec_lo, exec_lo, s9
	s_cbranch_execnz .LBB180_25
; %bb.26:                               ;   in Loop: Header=BB180_6 Depth=1
	s_or_b32 exec_lo, exec_lo, s9
	v_mov_b64_e32 v[4:5], v[40:41]
	v_sub_nc_u32_e32 v2, v14, v8
.LBB180_27:                             ;   in Loop: Header=BB180_6 Depth=1
	s_or_b32 exec_lo, exec_lo, s8
	s_delay_alu instid0(VALU_DEP_1)
	v_lshlrev_b32_e32 v2, 3, v2
	s_wait_loadcnt 0x0
	ds_store_b64 v2, v[4:5]
.LBB180_28:                             ;   in Loop: Header=BB180_6 Depth=1
	s_or_b32 exec_lo, exec_lo, s7
	s_wait_dscnt 0x0
	s_barrier_signal -1
	s_barrier_wait -1
	s_and_saveexec_b32 s7, s5
; %bb.29:                               ;   in Loop: Header=BB180_6 Depth=1
	v_mov_b64_e32 v[4:5], s[28:29]
	ds_store_b64 v21, v[4:5] offset:5120
; %bb.30:                               ;   in Loop: Header=BB180_6 Depth=1
	s_or_b32 exec_lo, exec_lo, s7
	s_mov_b32 s7, -1
	s_wait_dscnt 0x0
	s_barrier_signal -1
	s_barrier_wait -1
.LBB180_31:                             ;   in Loop: Header=BB180_6 Depth=1
	s_and_b32 vcc_lo, exec_lo, s7
	s_mov_b64 s[64:65], 0
	s_cbranch_vccz .LBB180_33
; %bb.32:                               ;   in Loop: Header=BB180_6 Depth=1
	ds_load_b64 v[4:5], v21 offset:5120
	s_wait_dscnt 0x0
	v_readfirstlane_b32 s64, v4
	v_readfirstlane_b32 s65, v5
.LBB180_33:                             ;   in Loop: Header=BB180_6 Depth=1
	s_delay_alu instid0(VALU_DEP_2)
	s_cmp_lt_i32 s64, 1
	s_mov_b32 s7, -1
                                        ; implicit-def: $vgpr8_vgpr9
                                        ; implicit-def: $vgpr12_vgpr13
	s_cbranch_scc1 .LBB180_43
; %bb.34:                               ;   in Loop: Header=BB180_6 Depth=1
	s_and_b32 vcc_lo, exec_lo, s7
	s_cbranch_vccnz .LBB180_57
.LBB180_35:                             ;   in Loop: Header=BB180_6 Depth=1
	s_lshl_b32 s7, s90, 7
	s_and_saveexec_b32 s8, s2
	s_cbranch_execz .LBB180_37
.LBB180_36:                             ;   in Loop: Header=BB180_6 Depth=1
	v_lshl_add_u32 v2, s7, 3, v49
	ds_store_b128 v2, v[8:11]
	ds_store_b128 v2, v[12:15] offset:16
.LBB180_37:                             ;   in Loop: Header=BB180_6 Depth=1
	s_or_b32 exec_lo, exec_lo, s8
	s_wait_dscnt 0x0
	s_barrier_signal -1
	s_barrier_wait -1
	s_and_saveexec_b32 s8, s78
	s_cbranch_execz .LBB180_71
; %bb.38:                               ;   in Loop: Header=BB180_6 Depth=1
	v_mov_b64_e32 v[4:5], 0
	s_and_not1_b32 vcc_lo, exec_lo, s80
	s_cbranch_vccnz .LBB180_70
; %bb.39:                               ;   in Loop: Header=BB180_6 Depth=1
	v_mov_b64_e32 v[4:5], 0
	s_and_not1_b32 vcc_lo, exec_lo, s82
	s_cbranch_vccnz .LBB180_67
; %bb.40:                               ;   in Loop: Header=BB180_6 Depth=1
	v_lshl_add_u32 v2, s90, 10, v50
	s_mov_b32 s9, 0
.LBB180_41:                             ;   Parent Loop BB180_6 Depth=1
                                        ; =>  This Inner Loop Header: Depth=2
	ds_load_2addr_b64 v[8:11], v2 offset1:4
	ds_load_2addr_b64 v[12:15], v2 offset0:8 offset1:12
	s_add_co_i32 s9, s9, 8
	s_delay_alu instid0(SALU_CYCLE_1) | instskip(SKIP_2) | instid1(VALU_DEP_1)
	s_cmp_eq_u32 s83, s9
	s_wait_dscnt 0x1
	v_add_nc_u64_e32 v[4:5], v[8:9], v[4:5]
	v_add_nc_u64_e32 v[4:5], v[10:11], v[4:5]
	ds_load_2addr_b64 v[8:11], v2 offset0:16 offset1:20
	s_wait_dscnt 0x1
	v_add_nc_u64_e32 v[4:5], v[12:13], v[4:5]
	s_delay_alu instid0(VALU_DEP_1) | instskip(SKIP_4) | instid1(VALU_DEP_1)
	v_add_nc_u64_e32 v[4:5], v[14:15], v[4:5]
	ds_load_2addr_b64 v[12:15], v2 offset0:24 offset1:28
	v_add_nc_u32_e32 v2, 0x100, v2
	s_wait_dscnt 0x1
	v_add_nc_u64_e32 v[4:5], v[8:9], v[4:5]
	v_add_nc_u64_e32 v[4:5], v[10:11], v[4:5]
	s_wait_dscnt 0x0
	s_delay_alu instid0(VALU_DEP_1) | instskip(NEXT) | instid1(VALU_DEP_1)
	v_add_nc_u64_e32 v[4:5], v[12:13], v[4:5]
	v_add_nc_u64_e32 v[4:5], v[14:15], v[4:5]
	s_cbranch_scc0 .LBB180_41
; %bb.42:                               ;   in Loop: Header=BB180_6 Depth=1
	s_mov_b32 s9, s83
	s_and_not1_b32 vcc_lo, exec_lo, s84
	s_cbranch_vccz .LBB180_68
	s_branch .LBB180_70
.LBB180_43:                             ;   in Loop: Header=BB180_6 Depth=1
	global_load_u16 v2, v21, s[60:61]
	s_mov_b32 s67, s27
	s_wait_loadcnt 0x0
	v_readfirstlane_b32 s7, v2
	s_and_b32 s7, 0xffff, s7
	s_delay_alu instid0(SALU_CYCLE_1)
	s_lshl_b32 s66, s7, 2
	s_cmp_lg_u64 s[62:63], 0
	s_cbranch_scc0 .LBB180_66
; %bb.44:                               ;   in Loop: Header=BB180_6 Depth=1
	s_cvt_f32_u32 s7, s66
	s_sub_nc_u64 s[10:11], 0, s[66:67]
	s_delay_alu instid0(SALU_CYCLE_2) | instskip(NEXT) | instid1(SALU_CYCLE_3)
	s_fmamk_f32 s7, s88, 0x0, s7
	v_s_rcp_f32 s7, s7
	s_delay_alu instid0(TRANS32_DEP_1) | instskip(NEXT) | instid1(SALU_CYCLE_3)
	s_mul_f32 s7, s7, 0x5f7ffffc
	s_mul_f32 s8, s7, 0x2f800000
	s_delay_alu instid0(SALU_CYCLE_3) | instskip(NEXT) | instid1(SALU_CYCLE_3)
	s_trunc_f32 s8, s8
	s_fmamk_f32 s7, s8, 0xcf800000, s7
	s_cvt_u32_f32 s9, s8
	s_delay_alu instid0(SALU_CYCLE_2) | instskip(NEXT) | instid1(SALU_CYCLE_3)
	s_cvt_u32_f32 s8, s7
	s_mul_u64 s[12:13], s[10:11], s[8:9]
	s_delay_alu instid0(SALU_CYCLE_1)
	s_mul_hi_u32 s15, s8, s13
	s_mul_i32 s14, s8, s13
	s_mul_hi_u32 s26, s8, s12
	s_mul_i32 s16, s9, s12
	s_add_nc_u64 s[14:15], s[26:27], s[14:15]
	s_mul_hi_u32 s7, s9, s12
	s_mul_hi_u32 s17, s9, s13
	s_mul_i32 s12, s9, s13
	s_add_co_u32 s13, s14, s16
	s_add_co_ci_u32 s26, s15, s7
	s_add_co_ci_u32 s13, s17, 0
	s_delay_alu instid0(SALU_CYCLE_1) | instskip(NEXT) | instid1(SALU_CYCLE_1)
	s_add_nc_u64 s[12:13], s[26:27], s[12:13]
	s_add_co_u32 s8, s8, s12
	s_cselect_b32 s7, -1, 0
	s_delay_alu instid0(SALU_CYCLE_1) | instskip(SKIP_1) | instid1(SALU_CYCLE_1)
	s_cmp_lg_u32 s7, 0
	s_add_co_ci_u32 s9, s9, s13
	s_mul_u64 s[10:11], s[10:11], s[8:9]
	s_delay_alu instid0(SALU_CYCLE_1)
	s_mul_hi_u32 s13, s8, s11
	s_mul_i32 s12, s8, s11
	s_mul_hi_u32 s26, s8, s10
	s_mul_i32 s14, s9, s10
	s_add_nc_u64 s[12:13], s[26:27], s[12:13]
	s_mul_hi_u32 s7, s9, s10
	s_mul_hi_u32 s15, s9, s11
	s_mul_i32 s10, s9, s11
	s_add_co_u32 s11, s12, s14
	s_add_co_ci_u32 s26, s13, s7
	s_add_co_ci_u32 s11, s15, 0
	s_delay_alu instid0(SALU_CYCLE_1) | instskip(NEXT) | instid1(SALU_CYCLE_1)
	s_add_nc_u64 s[10:11], s[26:27], s[10:11]
	s_add_co_u32 s7, s8, s10
	s_cselect_b32 s8, -1, 0
	s_mul_hi_u32 s26, s28, s7
	s_cmp_lg_u32 s8, 0
	s_mul_hi_u32 s12, s29, s7
	s_add_co_ci_u32 s10, s9, s11
	s_mul_i32 s7, s29, s7
	s_mul_hi_u32 s9, s28, s10
	s_mul_i32 s8, s28, s10
	s_mul_hi_u32 s11, s29, s10
	s_add_nc_u64 s[8:9], s[26:27], s[8:9]
	s_mul_i32 s10, s29, s10
	s_add_co_u32 s7, s8, s7
	s_add_co_ci_u32 s26, s9, s12
	s_add_co_ci_u32 s11, s11, 0
	s_delay_alu instid0(SALU_CYCLE_1) | instskip(NEXT) | instid1(SALU_CYCLE_1)
	s_add_nc_u64 s[8:9], s[26:27], s[10:11]
	s_and_b64 s[10:11], s[8:9], 0xffffffff00000000
	s_delay_alu instid0(SALU_CYCLE_1) | instskip(NEXT) | instid1(SALU_CYCLE_1)
	s_or_b32 s10, s10, s8
	s_mul_u64 s[8:9], s[66:67], s[10:11]
	s_delay_alu instid0(SALU_CYCLE_1) | instskip(SKIP_1) | instid1(SALU_CYCLE_1)
	s_sub_co_u32 s7, s28, s8
	s_cselect_b32 s8, -1, 0
	s_cmp_lg_u32 s8, 0
	s_sub_co_ci_u32 s8, s29, s9
	s_sub_co_u32 s9, s7, s66
	s_cselect_b32 s10, -1, 0
	s_delay_alu instid0(SALU_CYCLE_1) | instskip(SKIP_3) | instid1(SALU_CYCLE_1)
	s_cmp_lg_u32 s10, 0
	s_sub_co_ci_u32 s10, s8, 0
	s_sub_co_u32 s11, s9, s66
	s_cselect_b32 s12, -1, 0
	s_cmp_lg_u32 s12, 0
	s_sub_co_ci_u32 s12, s10, 0
	s_cmp_ge_u32 s9, s66
	s_cselect_b32 s13, -1, 0
	s_cmp_eq_u32 s10, 0
	s_cselect_b32 s13, s13, -1
	s_delay_alu instid0(SALU_CYCLE_1)
	s_cmp_lg_u32 s13, 0
	s_cselect_b32 s10, s12, s10
	s_cselect_b32 s11, s11, s9
	s_cmp_ge_u32 s7, s66
	s_cselect_b32 s9, -1, 0
	s_cmp_eq_u32 s8, 0
	s_cselect_b32 s9, s9, -1
	s_delay_alu instid0(SALU_CYCLE_1)
	s_cmp_lg_u32 s9, 0
	s_cselect_b32 s9, s10, s8
	s_cselect_b32 s8, s11, s7
	s_cbranch_execnz .LBB180_46
.LBB180_45:                             ;   in Loop: Header=BB180_6 Depth=1
	v_cvt_f32_u32_e32 v4, s66
	s_sub_co_i32 s8, 0, s66
	s_delay_alu instid0(VALU_DEP_1) | instskip(SKIP_1) | instid1(TRANS32_DEP_1)
	v_rcp_iflag_f32_e32 v4, v4
	v_nop
	v_mul_f32_e32 v4, 0x4f7ffffe, v4
	s_delay_alu instid0(VALU_DEP_1) | instskip(NEXT) | instid1(VALU_DEP_1)
	v_cvt_u32_f32_e32 v4, v4
	v_readfirstlane_b32 s7, v4
	s_mul_i32 s8, s8, s7
	s_delay_alu instid0(SALU_CYCLE_1) | instskip(NEXT) | instid1(SALU_CYCLE_1)
	s_mul_hi_u32 s8, s7, s8
	s_add_co_i32 s7, s7, s8
	s_delay_alu instid0(SALU_CYCLE_1) | instskip(NEXT) | instid1(SALU_CYCLE_1)
	s_mul_hi_u32 s7, s28, s7
	s_mul_i32 s7, s7, s66
	s_delay_alu instid0(SALU_CYCLE_1) | instskip(NEXT) | instid1(SALU_CYCLE_1)
	s_sub_co_i32 s7, s28, s7
	s_sub_co_i32 s8, s7, s66
	s_cmp_ge_u32 s7, s66
	s_cselect_b32 s7, s8, s7
	s_delay_alu instid0(SALU_CYCLE_1) | instskip(SKIP_2) | instid1(SALU_CYCLE_1)
	s_sub_co_i32 s8, s7, s66
	s_cmp_ge_u32 s7, s66
	s_cselect_b32 s26, s8, s7
	s_mov_b64 s[8:9], s[26:27]
.LBB180_46:                             ;   in Loop: Header=BB180_6 Depth=1
	v_mov_b64_e32 v[8:9], 0
	v_mov_b64_e32 v[10:11], 0
	;; [unrolled: 1-line block ×4, first 2 shown]
	v_and_b32_e32 v4, 0xffff, v2
	v_mov_b32_e32 v5, v21
	s_sub_nc_u64 s[68:69], s[28:29], s[8:9]
	s_mov_b32 s100, exec_lo
	v_cmpx_gt_u64_e64 s[68:69], v[22:23]
	s_cbranch_execz .LBB180_50
; %bb.47:                               ;   in Loop: Header=BB180_6 Depth=1
	v_mul_u64_e32 v[40:41], s[58:59], v[4:5]
	v_mov_b64_e32 v[42:43], s[40:41]
	v_mov_b64_e32 v[44:45], v[22:23]
	s_mov_b64 s[70:71], 0
	s_mov_b32 s101, 0
	s_mov_b64 s[72:73], 0
	s_mov_b64 s[74:75], 0
	;; [unrolled: 1-line block ×3, first 2 shown]
.LBB180_48:                             ;   Parent Loop BB180_6 Depth=1
                                        ; =>  This Inner Loop Header: Depth=2
	v_add_nc_u64_e32 v[8:9], v[42:43], v[30:31]
	v_add_nc_u64_e32 v[10:11], v[42:43], v[28:29]
	;; [unrolled: 1-line block ×6, first 2 shown]
	s_clause 0x3
	global_load_b64 v[14:15], v[8:9], off
	global_load_b64 v[12:13], v[10:11], off
	;; [unrolled: 1-line block ×4, first 2 shown]
	s_wait_xcnt 0x1
	v_dual_mov_b32 v57, v21 :: v_dual_mov_b32 v53, v21
	s_wait_xcnt 0x0
	v_mov_b32_e32 v55, v21
	v_cmp_le_u64_e32 vcc_lo, s[68:69], v[44:45]
	s_wait_loadcnt 0x3
	v_cmp_o_f64_e64 s7, v[14:15], v[14:15]
	s_wait_loadcnt 0x2
	v_cmp_o_f64_e64 s8, v[12:13], v[12:13]
	;; [unrolled: 2-line block ×4, first 2 shown]
	v_dual_ashrrev_i32 v2, 31, v15 :: v_dual_ashrrev_i32 v20, 31, v13
	v_dual_ashrrev_i32 v51, 31, v11 :: v_dual_ashrrev_i32 v52, 31, v9
	s_delay_alu instid0(VALU_DEP_2) | instskip(SKIP_1) | instid1(VALU_DEP_3)
	v_or_b32_e32 v54, 0x80000000, v2
	v_xor_b32_e32 v2, v2, v14
	v_or_b32_e32 v58, 0x80000000, v51
	s_delay_alu instid0(VALU_DEP_4)
	v_or_b32_e32 v59, 0x80000000, v52
	v_or_b32_e32 v56, 0x80000000, v20
	v_xor_b32_e32 v54, v54, v15
	v_xor_b32_e32 v20, v20, v12
	;; [unrolled: 1-line block ×6, first 2 shown]
	v_dual_cndmask_b32 v8, -1, v2, s7 :: v_dual_bitop2_b32 v52, v52, v8 bitop3:0x14
	s_delay_alu instid0(VALU_DEP_2) | instskip(NEXT) | instid1(VALU_DEP_4)
	v_cndmask_b32_e64 v11, -1, v14, s8
	v_cndmask_b32_e64 v15, -1, v10, s10
	v_dual_cndmask_b32 v9, -1, v54, s7 :: v_dual_cndmask_b32 v10, -1, v20, s8
	v_dual_cndmask_b32 v13, -1, v12, s9 :: v_dual_cndmask_b32 v12, -1, v51, s9
	v_and_b32_e32 v58, v8, v36
	s_delay_alu instid0(VALU_DEP_3)
	v_dual_cndmask_b32 v14, -1, v52, s10 :: v_dual_bitop2_b32 v59, v9, v37 bitop3:0x40
	v_lshrrev_b64 v[8:9], s86, v[8:9]
	v_and_b32_e32 v61, v11, v37
	v_and_b32_e32 v60, v10, v36
	v_lshrrev_b64 v[10:11], s86, v[10:11]
	v_and_b32_e32 v63, v13, v37
	v_and_b32_e32 v62, v12, v36
	v_lshrrev_b64 v[12:13], s86, v[12:13]
	v_and_b32_e32 v65, v15, v37
	v_and_b32_e32 v64, v14, v36
	v_lshrrev_b64 v[14:15], s86, v[14:15]
	v_and_b32_e32 v20, 3, v8
	v_and_b32_e32 v52, 3, v10
	v_cmp_eq_u64_e64 s7, v[58:59], v[32:33]
	v_and_b32_e32 v54, 3, v12
	v_cmp_eq_u64_e64 s8, v[60:61], v[32:33]
	v_cmp_eq_u64_e64 s11, 0, v[20:21]
	v_and_b32_e32 v56, 3, v14
	v_cmp_eq_u64_e64 s12, 0, v[52:53]
	v_cmp_eq_u64_e64 s9, v[62:63], v[32:33]
	;; [unrolled: 1-line block ×5, first 2 shown]
	s_and_b32 s11, s7, s11
	v_cmp_eq_u64_e64 s15, 1, v[20:21]
	v_cndmask_b32_e64 v2, 0, 1, s11
	s_and_b32 s11, s8, s12
	v_cmp_eq_u64_e64 s16, 1, v[52:53]
	v_cndmask_b32_e64 v8, 0, 1, s11
	;; [unrolled: 3-line block ×4, first 2 shown]
	s_and_b32 s11, s7, s15
	v_cmp_eq_u64_e64 s19, 2, v[20:21]
	v_cmp_eq_u64_e64 s23, 3, v[20:21]
	v_cndmask_b32_e64 v11, 0, 1, s11
	s_and_b32 s11, s8, s16
	v_cmp_eq_u64_e64 s24, 3, v[52:53]
	v_cndmask_b32_e64 v12, 0, 1, s11
	s_and_b32 s11, s9, s17
	v_cmp_eq_u64_e64 s20, 2, v[52:53]
	v_cmp_eq_u64_e64 s25, 3, v[54:55]
	v_cndmask_b32_e64 v13, 0, 1, s11
	s_and_b32 s11, s10, s18
	v_cmp_eq_u64_e64 s21, 2, v[54:55]
	v_cmp_eq_u64_e64 s26, 3, v[56:57]
	v_cndmask_b32_e64 v14, 0, 1, s11
	s_and_b32 s11, s7, s19
	s_and_b32 s7, s7, s23
	v_cmp_eq_u64_e64 s22, 2, v[56:57]
	v_cndmask_b32_e64 v53, 0, 1, s7
	s_and_b32 s7, s8, s24
	v_cndmask_b32_e64 v15, 0, 1, s11
	s_and_b32 s11, s8, s20
	;; [unrolled: 2-line block ×6, first 2 shown]
	v_cndmask_b32_e64 v56, 0, 1, s7
	v_cmp_ne_u32_e64 s7, 0, v2
	v_cmp_ne_u32_e64 s8, 0, v8
	v_cndmask_b32_e64 v52, 0, 1, s11
	v_cmp_ne_u32_e64 s9, 0, v9
	v_cmp_ne_u32_e64 s11, 0, v11
	;; [unrolled: 1-line block ×7, first 2 shown]
	s_bcnt1_i32_b32 s7, s7
	s_bcnt1_i32_b32 s8, s8
	v_cmp_ne_u32_e64 s14, 0, v14
	v_cmp_ne_u32_e64 s17, 0, v51
	;; [unrolled: 1-line block ×4, first 2 shown]
	s_bcnt1_i32_b32 s9, s9
	s_bcnt1_i32_b32 s11, s11
	;; [unrolled: 1-line block ×3, first 2 shown]
	s_add_co_i32 s7, s8, s7
	v_cmp_ne_u32_e64 s18, 0, v52
	v_cmp_ne_u32_e64 s21, 0, v55
	s_bcnt1_i32_b32 s10, s10
	s_bcnt1_i32_b32 s13, s13
	;; [unrolled: 1-line block ×4, first 2 shown]
	s_add_co_i32 s8, s12, s11
	s_add_co_i32 s7, s7, s9
	v_cmp_ne_u32_e64 s22, 0, v56
	s_bcnt1_i32_b32 s14, s14
	s_bcnt1_i32_b32 s17, s17
	;; [unrolled: 1-line block ×4, first 2 shown]
	s_add_co_i32 s11, s16, s15
	s_add_co_i32 s8, s8, s13
	;; [unrolled: 1-line block ×3, first 2 shown]
	s_bcnt1_i32_b32 s18, s18
	s_bcnt1_i32_b32 s21, s21
	s_add_co_i32 s12, s20, s19
	s_add_co_i32 s9, s11, s17
	s_add_nc_u64 s[76:77], s[76:77], s[26:27]
	s_add_co_i32 s26, s8, s14
	s_bcnt1_i32_b32 s22, s22
	s_add_co_i32 s11, s12, s21
	s_add_nc_u64 s[74:75], s[74:75], s[26:27]
	s_add_co_i32 s26, s9, s18
	v_mov_b64_e32 v[8:9], s[76:77]
	s_add_nc_u64 s[72:73], s[72:73], s[26:27]
	s_add_co_i32 s26, s11, s22
	v_mov_b64_e32 v[10:11], s[74:75]
	s_add_nc_u64 s[70:71], s[70:71], s[26:27]
	v_mov_b64_e32 v[12:13], s[72:73]
	v_mov_b64_e32 v[14:15], s[70:71]
	s_or_b32 s101, vcc_lo, s101
	s_delay_alu instid0(SALU_CYCLE_1)
	s_and_not1_b32 exec_lo, exec_lo, s101
	s_cbranch_execnz .LBB180_48
; %bb.49:                               ;   in Loop: Header=BB180_6 Depth=1
	s_or_b32 exec_lo, exec_lo, s101
.LBB180_50:                             ;   in Loop: Header=BB180_6 Depth=1
	s_delay_alu instid0(SALU_CYCLE_1) | instskip(SKIP_2) | instid1(VALU_DEP_1)
	s_or_b32 exec_lo, exec_lo, s100
	v_add_nc_u64_e32 v[40:41], s[68:69], v[0:1]
	s_mov_b32 s10, exec_lo
	v_cmpx_gt_u64_e64 s[28:29], v[40:41]
	s_cbranch_execz .LBB180_56
; %bb.51:                               ;   in Loop: Header=BB180_6 Depth=1
	v_mul_u64_e32 v[42:43], s[38:39], v[40:41]
	s_mov_b32 s11, 0
	s_delay_alu instid0(VALU_DEP_1)
	v_lshl_add_u64 v[42:43], v[42:43], 3, s[40:41]
	global_load_b64 v[44:45], v[42:43], off
	s_branch .LBB180_53
.LBB180_52:                             ;   in Loop: Header=BB180_53 Depth=2
	s_wait_xcnt 0x0
	s_or_b32 exec_lo, exec_lo, s8
	s_wait_loadcnt 0x0
	v_cmp_o_f64_e64 s7, v[44:45], v[44:45]
	v_ashrrev_i32_e32 v2, 31, v45
	s_and_b32 s9, exec_lo, vcc_lo
	s_delay_alu instid0(SALU_CYCLE_1) | instskip(NEXT) | instid1(VALU_DEP_1)
	s_or_b32 s11, s9, s11
	v_or_b32_e32 v20, 0x80000000, v2
	s_delay_alu instid0(VALU_DEP_1) | instskip(SKIP_1) | instid1(VALU_DEP_1)
	v_xor_b32_e32 v20, v20, v45
	v_xor_b32_e32 v2, v2, v44
	v_dual_cndmask_b32 v45, -1, v20, s7 :: v_dual_cndmask_b32 v44, -1, v2, s7
	s_delay_alu instid0(VALU_DEP_1) | instskip(SKIP_2) | instid1(VALU_DEP_1)
	v_lshrrev_b64 v[52:53], s86, v[44:45]
	v_and_b32_e32 v45, v45, v37
	v_and_b32_e32 v44, v44, v36
	v_cmp_eq_u64_e64 s7, v[44:45], v[32:33]
	s_delay_alu instid0(VALU_DEP_4) | instskip(SKIP_1) | instid1(VALU_DEP_2)
	v_and_b32_e32 v20, 3, v52
	v_mov_b64_e32 v[44:45], v[42:43]
	v_cmp_eq_u64_e64 s8, 0, v[20:21]
	v_cmp_eq_u64_e32 vcc_lo, 1, v[20:21]
	v_cmp_eq_u64_e64 s9, 2, v[20:21]
	s_and_b32 s8, s7, s8
	s_and_b32 s12, s7, vcc_lo
	v_cndmask_b32_e64 v2, 0, 1, s8
	v_cmp_eq_u64_e64 s8, 3, v[20:21]
	v_cndmask_b32_e64 v20, 0, 1, s12
	s_and_b32 s9, s7, s9
	v_cmp_ne_u32_e32 vcc_lo, 0, v2
	v_cndmask_b32_e64 v2, 0, 1, s9
	s_delay_alu instid0(VALU_DEP_3) | instskip(SKIP_1) | instid1(SALU_CYCLE_1)
	v_cmp_ne_u32_e64 s9, 0, v20
	s_and_b32 s7, s7, s8
	v_cndmask_b32_e64 v20, 0, 1, s7
	s_bcnt1_i32_b32 s26, vcc_lo
	v_cmp_ne_u32_e32 vcc_lo, 0, v2
	v_add_nc_u64_e32 v[8:9], s[26:27], v[8:9]
	s_bcnt1_i32_b32 s26, s9
	v_cmp_ne_u32_e64 s7, 0, v20
	v_add_nc_u64_e32 v[10:11], s[26:27], v[10:11]
	s_bcnt1_i32_b32 s26, vcc_lo
	s_delay_alu instid0(SALU_CYCLE_1) | instskip(SKIP_1) | instid1(SALU_CYCLE_1)
	v_add_nc_u64_e32 v[12:13], s[26:27], v[12:13]
	s_bcnt1_i32_b32 s26, s7
	v_add_nc_u64_e32 v[14:15], s[26:27], v[14:15]
	s_and_not1_b32 exec_lo, exec_lo, s11
	s_cbranch_execz .LBB180_55
.LBB180_53:                             ;   Parent Loop BB180_6 Depth=1
                                        ; =>  This Inner Loop Header: Depth=2
	v_add_nc_u64_e32 v[40:41], v[40:41], v[4:5]
	s_wait_xcnt 0x0
	v_mov_b64_e32 v[42:43], 0
	s_mov_b32 s8, exec_lo
	s_delay_alu instid0(VALU_DEP_2)
	v_cmp_le_u64_e32 vcc_lo, s[28:29], v[40:41]
	v_cmpx_gt_u64_e64 s[28:29], v[40:41]
	s_cbranch_execz .LBB180_52
; %bb.54:                               ;   in Loop: Header=BB180_53 Depth=2
	v_mul_u64_e32 v[42:43], s[38:39], v[40:41]
	s_delay_alu instid0(VALU_DEP_1)
	v_lshl_add_u64 v[42:43], v[42:43], 3, s[40:41]
	global_load_b64 v[42:43], v[42:43], off
	s_branch .LBB180_52
.LBB180_55:                             ;   in Loop: Header=BB180_6 Depth=1
	s_or_b32 exec_lo, exec_lo, s11
.LBB180_56:                             ;   in Loop: Header=BB180_6 Depth=1
	s_delay_alu instid0(SALU_CYCLE_1)
	s_or_b32 exec_lo, exec_lo, s10
	s_branch .LBB180_35
.LBB180_57:                             ;   in Loop: Header=BB180_6 Depth=1
	global_load_u16 v2, v21, s[60:61]
	v_mov_b32_e32 v5, v21
	s_mov_b32 s69, s27
	v_mov_b64_e32 v[10:11], 0
	v_mov_b64_e32 v[12:13], 0
	;; [unrolled: 1-line block ×3, first 2 shown]
	s_wait_loadcnt 0x0
	v_readfirstlane_b32 s7, v2
	s_and_b32 s100, 0xffff, s7
	s_delay_alu instid0(SALU_CYCLE_1) | instskip(NEXT) | instid1(SALU_CYCLE_1)
	s_lshl_b32 s66, s100, 2
	s_cvt_f32_u32 s7, s66
	s_sub_co_i32 s8, 0, s66
	s_delay_alu instid0(SALU_CYCLE_2) | instskip(SKIP_1) | instid1(TRANS32_DEP_1)
	v_rcp_iflag_f32_e32 v4, s7
	v_nop
	v_readfirstlane_b32 s7, v4
	v_and_b32_e32 v4, 0xffff, v2
	s_mul_f32 s7, s7, 0x4f7ffffe
	s_delay_alu instid0(SALU_CYCLE_3) | instskip(NEXT) | instid1(SALU_CYCLE_3)
	s_cvt_u32_f32 s7, s7
	s_mul_i32 s8, s8, s7
	s_delay_alu instid0(SALU_CYCLE_1) | instskip(NEXT) | instid1(SALU_CYCLE_1)
	s_mul_hi_u32 s8, s7, s8
	s_add_co_i32 s7, s7, s8
	s_delay_alu instid0(SALU_CYCLE_1) | instskip(NEXT) | instid1(SALU_CYCLE_1)
	s_mul_hi_u32 s7, s64, s7
	s_mul_i32 s8, s7, s66
	s_add_co_i32 s9, s7, 1
	s_sub_co_i32 s8, s64, s8
	s_delay_alu instid0(SALU_CYCLE_1)
	s_sub_co_i32 s10, s8, s66
	s_cmp_ge_u32 s8, s66
	s_cselect_b32 s7, s9, s7
	s_cselect_b32 s8, s10, s8
	s_add_co_i32 s9, s7, 1
	s_cmp_ge_u32 s8, s66
	s_cselect_b32 s68, s9, s7
	s_delay_alu instid0(SALU_CYCLE_1) | instskip(SKIP_1) | instid1(VALU_DEP_1)
	v_mul_u64_e32 v[8:9], s[68:69], v[4:5]
	s_mov_b32 s69, exec_lo
	v_lshlrev_b64_e32 v[40:41], 2, v[8:9]
	v_mov_b64_e32 v[8:9], 0
	s_delay_alu instid0(VALU_DEP_2)
	v_cmpx_gt_u64_e64 v[40:41], v[22:23]
	s_cbranch_execz .LBB180_61
; %bb.58:                               ;   in Loop: Header=BB180_6 Depth=1
	v_mov_b64_e32 v[42:43], v[22:23]
	v_mov_b32_e32 v2, v46
	s_mov_b32 s67, s27
	s_lshl_b32 s101, s100, 5
	s_mov_b64 s[70:71], 0
	s_mov_b32 s102, 0
	s_mov_b64 s[72:73], 0
	s_mov_b64 s[74:75], 0
	;; [unrolled: 1-line block ×3, first 2 shown]
.LBB180_59:                             ;   Parent Loop BB180_6 Depth=1
                                        ; =>  This Inner Loop Header: Depth=2
	ds_load_b128 v[12:15], v2
	ds_load_b128 v[8:11], v2 offset:16
	v_dual_mov_b32 v45, v21 :: v_dual_mov_b32 v53, v21
	v_dual_mov_b32 v55, v21 :: v_dual_add_nc_u32 v2, s101, v2
	v_add_nc_u64_e32 v[42:43], s[66:67], v[42:43]
	s_delay_alu instid0(VALU_DEP_1)
	v_cmp_ge_u64_e32 vcc_lo, v[42:43], v[40:41]
	s_wait_dscnt 0x1
	v_cmp_o_f64_e64 s7, v[12:13], v[12:13]
	s_wait_dscnt 0x0
	v_cmp_o_f64_e64 s10, v[10:11], v[10:11]
	v_cmp_o_f64_e64 s8, v[14:15], v[14:15]
	;; [unrolled: 1-line block ×3, first 2 shown]
	v_dual_ashrrev_i32 v20, 31, v13 :: v_dual_ashrrev_i32 v44, 31, v15
	v_dual_ashrrev_i32 v51, 31, v9 :: v_dual_ashrrev_i32 v52, 31, v11
	s_delay_alu instid0(VALU_DEP_2) | instskip(NEXT) | instid1(VALU_DEP_3)
	v_or_b32_e32 v54, 0x80000000, v20
	v_or_b32_e32 v56, 0x80000000, v44
	s_delay_alu instid0(VALU_DEP_3) | instskip(NEXT) | instid1(VALU_DEP_4)
	v_or_b32_e32 v57, 0x80000000, v51
	v_or_b32_e32 v58, 0x80000000, v52
	s_delay_alu instid0(VALU_DEP_4) | instskip(SKIP_1) | instid1(VALU_DEP_4)
	v_xor_b32_e32 v54, v54, v13
	v_xor_b32_e32 v20, v20, v12
	;; [unrolled: 1-line block ×8, first 2 shown]
	s_delay_alu instid0(VALU_DEP_4) | instskip(SKIP_3) | instid1(VALU_DEP_4)
	v_dual_cndmask_b32 v9, -1, v54, s7 :: v_dual_cndmask_b32 v15, -1, v8, s10
	v_cndmask_b32_e64 v8, -1, v20, s7
	v_cndmask_b32_e64 v11, -1, v12, s8
	v_dual_cndmask_b32 v10, -1, v44, s8 :: v_dual_cndmask_b32 v13, -1, v13, s9
	v_dual_cndmask_b32 v12, -1, v51, s9 :: v_dual_bitop2_b32 v57, v9, v37 bitop3:0x40
	s_delay_alu instid0(VALU_DEP_4)
	v_and_b32_e32 v56, v8, v36
	v_lshrrev_b64 v[8:9], s86, v[8:9]
	v_dual_cndmask_b32 v14, -1, v52, s10 :: v_dual_bitop2_b32 v59, v11, v37 bitop3:0x40
	v_and_b32_e32 v58, v10, v36
	v_lshrrev_b64 v[10:11], s86, v[10:11]
	v_and_b32_e32 v61, v13, v37
	v_and_b32_e32 v60, v12, v36
	v_lshrrev_b64 v[12:13], s86, v[12:13]
	v_and_b32_e32 v63, v15, v37
	;; [unrolled: 3-line block ×3, first 2 shown]
	v_and_b32_e32 v44, 3, v10
	v_cmp_eq_u64_e64 s7, v[56:57], v[32:33]
	v_and_b32_e32 v52, 3, v12
	v_cmp_eq_u64_e64 s8, v[58:59], v[32:33]
	v_cmp_eq_u64_e64 s11, 0, v[20:21]
	v_and_b32_e32 v54, 3, v14
	v_cmp_eq_u64_e64 s12, 0, v[44:45]
	v_cmp_eq_u64_e64 s9, v[60:61], v[32:33]
	;; [unrolled: 1-line block ×5, first 2 shown]
	s_and_b32 s11, s7, s11
	v_cmp_eq_u64_e64 s15, 1, v[20:21]
	v_cndmask_b32_e64 v8, 0, 1, s11
	s_and_b32 s11, s8, s12
	v_cmp_eq_u64_e64 s16, 1, v[44:45]
	v_cndmask_b32_e64 v9, 0, 1, s11
	;; [unrolled: 3-line block ×4, first 2 shown]
	s_and_b32 s11, s7, s15
	v_cmp_eq_u64_e64 s19, 2, v[20:21]
	v_cmp_eq_u64_e64 s23, 3, v[20:21]
	v_cndmask_b32_e64 v12, 0, 1, s11
	s_and_b32 s11, s8, s16
	v_cmp_eq_u64_e64 s24, 3, v[44:45]
	v_cndmask_b32_e64 v13, 0, 1, s11
	s_and_b32 s11, s9, s17
	v_cmp_eq_u64_e64 s20, 2, v[44:45]
	v_cmp_eq_u64_e64 s25, 3, v[52:53]
	v_cndmask_b32_e64 v14, 0, 1, s11
	s_and_b32 s11, s10, s18
	v_cmp_eq_u64_e64 s21, 2, v[52:53]
	v_cmp_eq_u64_e64 s26, 3, v[54:55]
	v_cndmask_b32_e64 v15, 0, 1, s11
	s_and_b32 s11, s7, s19
	s_and_b32 s7, s7, s23
	v_cmp_eq_u64_e64 s22, 2, v[54:55]
	v_cndmask_b32_e64 v52, 0, 1, s7
	s_and_b32 s7, s8, s24
	v_cndmask_b32_e64 v20, 0, 1, s11
	s_and_b32 s11, s8, s20
	;; [unrolled: 2-line block ×6, first 2 shown]
	v_cndmask_b32_e64 v55, 0, 1, s7
	v_cmp_ne_u32_e64 s7, 0, v8
	v_cmp_ne_u32_e64 s8, 0, v9
	v_cndmask_b32_e64 v51, 0, 1, s11
	v_cmp_ne_u32_e64 s9, 0, v10
	v_cmp_ne_u32_e64 s11, 0, v12
	v_cmp_ne_u32_e64 s12, 0, v13
	v_cmp_ne_u32_e64 s10, 0, v11
	v_cmp_ne_u32_e64 s13, 0, v14
	v_cmp_ne_u32_e64 s15, 0, v20
	v_cmp_ne_u32_e64 s16, 0, v44
	s_bcnt1_i32_b32 s7, s7
	s_bcnt1_i32_b32 s8, s8
	v_cmp_ne_u32_e64 s14, 0, v15
	v_cmp_ne_u32_e64 s17, 0, v45
	;; [unrolled: 1-line block ×4, first 2 shown]
	s_bcnt1_i32_b32 s9, s9
	s_bcnt1_i32_b32 s11, s11
	;; [unrolled: 1-line block ×3, first 2 shown]
	s_add_co_i32 s7, s8, s7
	v_cmp_ne_u32_e64 s18, 0, v51
	v_cmp_ne_u32_e64 s21, 0, v54
	s_bcnt1_i32_b32 s10, s10
	s_bcnt1_i32_b32 s13, s13
	;; [unrolled: 1-line block ×4, first 2 shown]
	s_add_co_i32 s8, s12, s11
	s_add_co_i32 s7, s7, s9
	v_cmp_ne_u32_e64 s22, 0, v55
	s_bcnt1_i32_b32 s14, s14
	s_bcnt1_i32_b32 s17, s17
	;; [unrolled: 1-line block ×4, first 2 shown]
	s_add_co_i32 s11, s16, s15
	s_add_co_i32 s8, s8, s13
	;; [unrolled: 1-line block ×3, first 2 shown]
	s_bcnt1_i32_b32 s18, s18
	s_bcnt1_i32_b32 s21, s21
	s_add_co_i32 s12, s20, s19
	s_add_co_i32 s9, s11, s17
	s_add_nc_u64 s[76:77], s[76:77], s[26:27]
	s_add_co_i32 s26, s8, s14
	s_bcnt1_i32_b32 s22, s22
	s_add_co_i32 s11, s12, s21
	s_add_nc_u64 s[74:75], s[74:75], s[26:27]
	s_add_co_i32 s26, s9, s18
	v_mov_b64_e32 v[8:9], s[76:77]
	s_add_nc_u64 s[72:73], s[72:73], s[26:27]
	s_add_co_i32 s26, s11, s22
	v_mov_b64_e32 v[10:11], s[74:75]
	s_add_nc_u64 s[70:71], s[70:71], s[26:27]
	v_mov_b64_e32 v[12:13], s[72:73]
	v_mov_b64_e32 v[14:15], s[70:71]
	s_or_b32 s102, vcc_lo, s102
	s_delay_alu instid0(SALU_CYCLE_1)
	s_and_not1_b32 exec_lo, exec_lo, s102
	s_cbranch_execnz .LBB180_59
; %bb.60:                               ;   in Loop: Header=BB180_6 Depth=1
	s_or_b32 exec_lo, exec_lo, s102
.LBB180_61:                             ;   in Loop: Header=BB180_6 Depth=1
	s_delay_alu instid0(SALU_CYCLE_1) | instskip(SKIP_3) | instid1(VALU_DEP_1)
	s_or_b32 exec_lo, exec_lo, s69
	v_add_nc_u64_e32 v[40:41], v[40:41], v[0:1]
	s_and_b64 s[12:13], s[64:65], 0x7fffffff
	s_mov_b32 s14, exec_lo
	v_cmpx_gt_u64_e64 s[12:13], v[40:41]
	s_cbranch_execz .LBB180_65
; %bb.62:                               ;   in Loop: Header=BB180_6 Depth=1
	s_mul_i32 s7, s68, s100
	s_lshl_b32 s16, s100, 3
	v_lshl_add_u32 v2, s7, 5, v47
	s_mov_b32 s15, 0
.LBB180_63:                             ;   Parent Loop BB180_6 Depth=1
                                        ; =>  This Inner Loop Header: Depth=2
	ds_load_b64 v[42:43], v2
	v_add_nc_u64_e32 v[40:41], v[40:41], v[4:5]
	v_add_nc_u32_e32 v2, s16, v2
	s_delay_alu instid0(VALU_DEP_2) | instskip(SKIP_3) | instid1(VALU_DEP_1)
	v_cmp_le_u64_e64 s7, s[12:13], v[40:41]
	s_wait_dscnt 0x0
	v_cmp_o_f64_e32 vcc_lo, v[42:43], v[42:43]
	v_ashrrev_i32_e32 v20, 31, v43
	v_or_b32_e32 v44, 0x80000000, v20
	s_delay_alu instid0(VALU_DEP_1) | instskip(NEXT) | instid1(VALU_DEP_1)
	v_xor_b32_e32 v44, v44, v43
	v_dual_cndmask_b32 v43, -1, v44, vcc_lo :: v_dual_bitop2_b32 v20, v20, v42 bitop3:0x14
	s_delay_alu instid0(VALU_DEP_1) | instskip(NEXT) | instid1(VALU_DEP_1)
	v_dual_cndmask_b32 v42, -1, v20, vcc_lo :: v_dual_bitop2_b32 v45, v43, v37 bitop3:0x40
	v_lshrrev_b64 v[52:53], s86, v[42:43]
	v_and_b32_e32 v44, v42, v36
	s_delay_alu instid0(VALU_DEP_1) | instskip(NEXT) | instid1(VALU_DEP_3)
	v_cmp_eq_u64_e32 vcc_lo, v[44:45], v[32:33]
	v_and_b32_e32 v20, 3, v52
	s_delay_alu instid0(VALU_DEP_1) | instskip(SKIP_4) | instid1(SALU_CYCLE_1)
	v_cmp_eq_u64_e64 s8, 0, v[20:21]
	v_cmp_eq_u64_e64 s9, 1, v[20:21]
	;; [unrolled: 1-line block ×4, first 2 shown]
	s_and_b32 s8, vcc_lo, s8
	v_cndmask_b32_e64 v20, 0, 1, s8
	s_and_b32 s8, vcc_lo, s9
	s_delay_alu instid0(SALU_CYCLE_1) | instskip(SKIP_1) | instid1(SALU_CYCLE_1)
	v_cndmask_b32_e64 v42, 0, 1, s8
	s_and_b32 s8, vcc_lo, s10
	v_cndmask_b32_e64 v43, 0, 1, s8
	s_and_b32 s8, vcc_lo, s11
	v_cmp_ne_u32_e32 vcc_lo, 0, v20
	v_cndmask_b32_e64 v44, 0, 1, s8
	v_cmp_ne_u32_e64 s8, 0, v42
	v_cmp_ne_u32_e64 s9, 0, v43
	s_bcnt1_i32_b32 s26, vcc_lo
	v_cmp_ne_u32_e64 s10, 0, v44
	v_add_nc_u64_e32 v[8:9], s[26:27], v[8:9]
	s_bcnt1_i32_b32 s26, s8
	s_delay_alu instid0(SALU_CYCLE_1) | instskip(SKIP_1) | instid1(SALU_CYCLE_1)
	v_add_nc_u64_e32 v[10:11], s[26:27], v[10:11]
	s_bcnt1_i32_b32 s26, s9
	v_add_nc_u64_e32 v[12:13], s[26:27], v[12:13]
	s_bcnt1_i32_b32 s26, s10
	s_or_b32 s15, s7, s15
	v_add_nc_u64_e32 v[14:15], s[26:27], v[14:15]
	s_and_not1_b32 exec_lo, exec_lo, s15
	s_cbranch_execnz .LBB180_63
; %bb.64:                               ;   in Loop: Header=BB180_6 Depth=1
	s_or_b32 exec_lo, exec_lo, s15
.LBB180_65:                             ;   in Loop: Header=BB180_6 Depth=1
	s_delay_alu instid0(SALU_CYCLE_1)
	s_or_b32 exec_lo, exec_lo, s14
	s_lshl_b32 s7, s90, 7
	s_and_saveexec_b32 s8, s2
	s_cbranch_execnz .LBB180_36
	s_branch .LBB180_37
.LBB180_66:                             ;   in Loop: Header=BB180_6 Depth=1
                                        ; implicit-def: $sgpr8_sgpr9
	s_branch .LBB180_45
.LBB180_67:                             ;   in Loop: Header=BB180_6 Depth=1
	s_mov_b32 s9, 0
	s_and_not1_b32 vcc_lo, exec_lo, s84
	s_cbranch_vccnz .LBB180_70
.LBB180_68:                             ;   in Loop: Header=BB180_6 Depth=1
	s_lshl_b32 s10, s90, 10
	s_lshl_b32 s9, s9, 5
	s_delay_alu instid0(SALU_CYCLE_1)
	v_add3_u32 v2, s10, s9, v50
	s_mov_b32 s9, s81
.LBB180_69:                             ;   Parent Loop BB180_6 Depth=1
                                        ; =>  This Inner Loop Header: Depth=2
	ds_load_b64 v[8:9], v2
	v_add_nc_u32_e32 v2, 32, v2
	s_add_co_i32 s9, s9, -1
	s_delay_alu instid0(SALU_CYCLE_1)
	s_cmp_lg_u32 s9, 0
	s_wait_dscnt 0x0
	v_add_nc_u64_e32 v[4:5], v[8:9], v[4:5]
	s_cbranch_scc1 .LBB180_69
.LBB180_70:                             ;   in Loop: Header=BB180_6 Depth=1
	v_add_lshl_u32 v2, s7, v17, 3
	ds_store_b64 v2, v[4:5] offset:3072
.LBB180_71:                             ;   in Loop: Header=BB180_6 Depth=1
	s_or_b32 exec_lo, exec_lo, s8
	s_lshl_b32 s7, s7, 3
	s_wait_dscnt 0x0
	v_mov_b32_e32 v2, s7
	s_barrier_signal -1
	s_barrier_wait -1
	v_cmp_eq_u64_e64 s7, 1, v[38:39]
	ds_load_b128 v[8:11], v2 offset:3072
	ds_load_b128 v[12:15], v2 offset:3088
	s_lshl_b64 s[12:13], 3, s86
	s_mov_b32 s69, -1
	s_not_b64 s[14:15], s[12:13]
	s_mov_b32 s64, 0
	s_and_not1_b32 vcc_lo, exec_lo, s79
	s_mov_b32 s66, 0
	s_mov_b32 s65, 0
                                        ; implicit-def: $sgpr67
                                        ; implicit-def: $sgpr68
                                        ; implicit-def: $vgpr40_vgpr41
                                        ; implicit-def: $vgpr20
	s_wait_dscnt 0x1
	v_readfirstlane_b32 s11, v9
	v_readfirstlane_b32 s10, v8
	;; [unrolled: 1-line block ×4, first 2 shown]
	s_wait_dscnt 0x0
	v_readfirstlane_b32 s19, v13
	v_readfirstlane_b32 s18, v12
	v_readfirstlane_b32 s21, v15
	v_readfirstlane_b32 s20, v14
                                        ; implicit-def: $vgpr14_vgpr15
                                        ; implicit-def: $vgpr12_vgpr13
                                        ; implicit-def: $vgpr10_vgpr11
	s_cbranch_vccnz .LBB180_274
; %bb.72:                               ;   in Loop: Header=BB180_6 Depth=1
	v_mov_b64_e32 v[14:15], v[32:33]
	v_mov_b64_e32 v[12:13], v[36:37]
	;; [unrolled: 1-line block ×3, first 2 shown]
	s_cmp_eq_u64 s[10:11], 1
                                        ; implicit-def: $sgpr68
                                        ; implicit-def: $sgpr67
	s_cselect_b32 s8, -1, 0
	s_delay_alu instid0(SALU_CYCLE_1)
	s_and_b32 s71, s8, s7
	s_mov_b32 s8, -1
	s_and_saveexec_b32 s65, s71
	s_cbranch_execz .LBB180_109
; %bb.73:                               ;   in Loop: Header=BB180_6 Depth=1
	ds_load_b64 v[4:5], v21 offset:5120
	s_wait_dscnt 0x0
	s_barrier_signal -1
	s_barrier_wait -1
	v_readfirstlane_b32 s8, v4
	v_readfirstlane_b32 s9, v5
	s_and_saveexec_b32 s22, s6
; %bb.74:                               ;   in Loop: Header=BB180_6 Depth=1
	ds_store_b64 v48, v[34:35]
; %bb.75:                               ;   in Loop: Header=BB180_6 Depth=1
	s_or_b32 exec_lo, exec_lo, s22
	v_and_b32_e32 v15, s15, v33
	v_and_b32_e32 v14, s14, v32
	v_or_b32_e32 v13, s13, v37
	v_or_b32_e32 v12, s12, v36
	s_mov_b32 s67, -1
	s_mov_b32 s68, 0
	s_cmp_eq_u64 s[8:9], 0
	s_mov_b32 s24, 0
	s_mov_b32 s25, -1
	s_wait_dscnt 0x0
	s_barrier_signal -1
	s_barrier_wait -1
                                        ; implicit-def: $vgpr10_vgpr11
	s_cbranch_scc1 .LBB180_93
; %bb.76:                               ;   in Loop: Header=BB180_6 Depth=1
	s_add_nc_u64 s[22:23], s[8:9], s[52:53]
	s_delay_alu instid0(SALU_CYCLE_1) | instskip(NEXT) | instid1(SALU_CYCLE_1)
	s_and_b64 s[24:25], s[22:23], 0xffffffff00000000
	s_cmp_lg_u64 s[24:25], 0
	s_cbranch_scc0 .LBB180_136
; %bb.77:                               ;   in Loop: Header=BB180_6 Depth=1
	s_cvt_f32_u32 s24, s34
	s_sub_nc_u64 s[44:45], 0, s[34:35]
	s_delay_alu instid0(SALU_CYCLE_2) | instskip(NEXT) | instid1(SALU_CYCLE_3)
	s_fmamk_f32 s24, s88, 0x0, s24
	v_s_rcp_f32 s24, s24
	s_delay_alu instid0(TRANS32_DEP_1) | instskip(NEXT) | instid1(SALU_CYCLE_3)
	s_mul_f32 s24, s24, 0x5f7ffffc
	s_mul_f32 s25, s24, 0x2f800000
	s_delay_alu instid0(SALU_CYCLE_3) | instskip(NEXT) | instid1(SALU_CYCLE_3)
	s_trunc_f32 s25, s25
	s_fmamk_f32 s24, s25, 0xcf800000, s24
	s_cvt_u32_f32 s25, s25
	s_delay_alu instid0(SALU_CYCLE_2) | instskip(NEXT) | instid1(SALU_CYCLE_3)
	s_cvt_u32_f32 s24, s24
	s_mul_u64 s[46:47], s[44:45], s[24:25]
	s_delay_alu instid0(SALU_CYCLE_1)
	s_mul_hi_u32 s73, s24, s47
	s_mul_i32 s72, s24, s47
	s_mul_hi_u32 s26, s24, s46
	s_mul_i32 s49, s25, s46
	s_add_nc_u64 s[72:73], s[26:27], s[72:73]
	s_mul_hi_u32 s48, s25, s46
	s_mul_hi_u32 s66, s25, s47
	s_add_co_u32 s26, s72, s49
	s_add_co_ci_u32 s26, s73, s48
	s_mul_i32 s46, s25, s47
	s_add_co_ci_u32 s47, s66, 0
	s_delay_alu instid0(SALU_CYCLE_1) | instskip(NEXT) | instid1(SALU_CYCLE_1)
	s_add_nc_u64 s[46:47], s[26:27], s[46:47]
	s_add_co_u32 s24, s24, s46
	s_cselect_b32 s26, -1, 0
	s_delay_alu instid0(SALU_CYCLE_1) | instskip(SKIP_1) | instid1(SALU_CYCLE_1)
	s_cmp_lg_u32 s26, 0
	s_add_co_ci_u32 s25, s25, s47
	s_mul_u64 s[44:45], s[44:45], s[24:25]
	s_delay_alu instid0(SALU_CYCLE_1)
	s_mul_hi_u32 s47, s24, s45
	s_mul_i32 s46, s24, s45
	s_mul_hi_u32 s26, s24, s44
	s_mul_i32 s49, s25, s44
	s_add_nc_u64 s[46:47], s[26:27], s[46:47]
	s_mul_hi_u32 s48, s25, s44
	s_mul_hi_u32 s66, s25, s45
	s_add_co_u32 s26, s46, s49
	s_add_co_ci_u32 s26, s47, s48
	s_mul_i32 s44, s25, s45
	s_add_co_ci_u32 s45, s66, 0
	s_delay_alu instid0(SALU_CYCLE_1) | instskip(NEXT) | instid1(SALU_CYCLE_1)
	s_add_nc_u64 s[44:45], s[26:27], s[44:45]
	s_add_co_u32 s24, s24, s44
	s_cselect_b32 s44, -1, 0
	s_mul_hi_u32 s26, s22, s24
	s_cmp_lg_u32 s44, 0
	s_mul_hi_u32 s46, s23, s24
	s_add_co_ci_u32 s44, s25, s45
	s_mul_i32 s45, s23, s24
	s_mul_hi_u32 s25, s22, s44
	s_mul_i32 s24, s22, s44
	s_mul_hi_u32 s47, s23, s44
	s_add_nc_u64 s[24:25], s[26:27], s[24:25]
	s_mul_i32 s44, s23, s44
	s_add_co_u32 s24, s24, s45
	s_add_co_ci_u32 s26, s25, s46
	s_add_co_ci_u32 s45, s47, 0
	s_delay_alu instid0(SALU_CYCLE_1) | instskip(NEXT) | instid1(SALU_CYCLE_1)
	s_add_nc_u64 s[24:25], s[26:27], s[44:45]
	s_and_b64 s[44:45], s[24:25], 0xffffffff00000000
	s_delay_alu instid0(SALU_CYCLE_1) | instskip(NEXT) | instid1(SALU_CYCLE_1)
	s_or_b32 s44, s44, s24
	s_mul_u64 s[24:25], s[34:35], s[44:45]
	s_delay_alu instid0(SALU_CYCLE_1) | instskip(SKIP_1) | instid1(SALU_CYCLE_1)
	s_sub_co_u32 s24, s22, s24
	s_cselect_b32 s26, -1, 0
	s_cmp_lg_u32 s26, 0
	s_sub_co_ci_u32 s25, s23, s25
	s_sub_co_u32 s26, s24, s34
	s_cselect_b32 s44, -1, 0
	s_delay_alu instid0(SALU_CYCLE_1) | instskip(SKIP_3) | instid1(SALU_CYCLE_1)
	s_cmp_lg_u32 s44, 0
	s_sub_co_ci_u32 s44, s25, 0
	s_sub_co_u32 s45, s26, s34
	s_cselect_b32 s46, -1, 0
	s_cmp_lg_u32 s46, 0
	s_sub_co_ci_u32 s46, s44, 0
	s_cmp_ge_u32 s26, s34
	s_cselect_b32 s47, -1, 0
	s_cmp_eq_u32 s44, 0
	s_cselect_b32 s47, s47, -1
	s_delay_alu instid0(SALU_CYCLE_1)
	s_cmp_lg_u32 s47, 0
	s_cselect_b32 s44, s46, s44
	s_cselect_b32 s26, s45, s26
	s_cmp_ge_u32 s24, s34
	s_cselect_b32 s45, -1, 0
	s_cmp_eq_u32 s25, 0
	s_cselect_b32 s45, s45, -1
	s_delay_alu instid0(SALU_CYCLE_1)
	s_cmp_lg_u32 s45, 0
	s_cselect_b32 s25, s44, s25
	s_cselect_b32 s24, s26, s24
	s_cbranch_execnz .LBB180_79
.LBB180_78:                             ;   in Loop: Header=BB180_6 Depth=1
	v_cvt_f32_u32_e32 v2, s34
	s_sub_co_i32 s25, 0, s34
	s_delay_alu instid0(VALU_DEP_1) | instskip(SKIP_1) | instid1(TRANS32_DEP_1)
	v_rcp_iflag_f32_e32 v2, v2
	v_nop
	v_mul_f32_e32 v2, 0x4f7ffffe, v2
	s_delay_alu instid0(VALU_DEP_1) | instskip(NEXT) | instid1(VALU_DEP_1)
	v_cvt_u32_f32_e32 v2, v2
	v_readfirstlane_b32 s24, v2
	s_mul_i32 s25, s25, s24
	s_delay_alu instid0(SALU_CYCLE_1) | instskip(NEXT) | instid1(SALU_CYCLE_1)
	s_mul_hi_u32 s25, s24, s25
	s_add_co_i32 s24, s24, s25
	s_delay_alu instid0(SALU_CYCLE_1) | instskip(NEXT) | instid1(SALU_CYCLE_1)
	s_mul_hi_u32 s24, s22, s24
	s_mul_i32 s24, s24, s34
	s_delay_alu instid0(SALU_CYCLE_1) | instskip(NEXT) | instid1(SALU_CYCLE_1)
	s_sub_co_i32 s24, s22, s24
	s_sub_co_i32 s25, s24, s34
	s_cmp_ge_u32 s24, s34
	s_cselect_b32 s24, s25, s24
	s_delay_alu instid0(SALU_CYCLE_1) | instskip(SKIP_2) | instid1(SALU_CYCLE_1)
	s_sub_co_i32 s25, s24, s34
	s_cmp_ge_u32 s24, s34
	s_cselect_b32 s26, s25, s24
	s_mov_b64 s[24:25], s[26:27]
.LBB180_79:                             ;   in Loop: Header=BB180_6 Depth=1
	s_delay_alu instid0(SALU_CYCLE_1)
	s_sub_nc_u64 s[22:23], s[22:23], s[24:25]
	s_mov_b32 s25, 0
	s_mov_b32 s24, 0
	s_mov_b32 s26, exec_lo
                                        ; implicit-def: $vgpr10_vgpr11
	v_cmpx_gt_u64_e64 s[22:23], v[0:1]
	s_cbranch_execz .LBB180_92
; %bb.80:                               ;   in Loop: Header=BB180_6 Depth=1
	v_mov_b64_e32 v[40:41], v[0:1]
	v_mov_b32_e32 v20, v47
                                        ; implicit-def: $sgpr66
	s_branch .LBB180_84
.LBB180_81:                             ;   in Loop: Header=BB180_84 Depth=2
	s_or_b32 exec_lo, exec_lo, s69
	s_wait_dscnt 0x0
	s_barrier_signal -1
	s_barrier_wait -1
	ds_load_b128 v[8:11], v21 offset:3072
	s_wait_dscnt 0x0
	s_barrier_signal -1
	s_barrier_wait -1
	v_cmp_neq_f64_e32 vcc_lo, 0, v[8:9]
	s_cbranch_vccnz .LBB180_87
; %bb.82:                               ;   in Loop: Header=BB180_84 Depth=2
	v_add_nc_u64_e32 v[40:41], s[34:35], v[40:41]
	v_add_nc_u32_e32 v20, s85, v20
	s_mov_b32 s69, 0
	s_delay_alu instid0(VALU_DEP_2)
	v_cmp_le_u64_e32 vcc_lo, s[22:23], v[40:41]
	s_or_not1_b32 s70, vcc_lo, exec_lo
.LBB180_83:                             ;   in Loop: Header=BB180_84 Depth=2
	s_delay_alu instid0(SALU_CYCLE_1) | instskip(NEXT) | instid1(SALU_CYCLE_1)
	s_and_b32 s44, exec_lo, s70
	s_or_b32 s24, s44, s24
	s_and_not1_b32 s44, s66, exec_lo
	s_and_b32 s45, s69, exec_lo
	s_delay_alu instid0(SALU_CYCLE_1)
	s_or_b32 s66, s44, s45
	s_and_not1_b32 exec_lo, exec_lo, s24
	s_cbranch_execz .LBB180_91
.LBB180_84:                             ;   Parent Loop BB180_6 Depth=1
                                        ; =>  This Inner Loop Header: Depth=2
	s_mov_b32 s69, exec_lo
	s_delay_alu instid0(VALU_DEP_2)
	v_cmpx_gt_u64_e64 s[8:9], v[40:41]
	s_cbranch_execz .LBB180_81
; %bb.85:                               ;   in Loop: Header=BB180_84 Depth=2
	ds_load_b64 v[4:5], v20
	s_wait_dscnt 0x0
	v_cmp_o_f64_e32 vcc_lo, v[4:5], v[4:5]
	v_ashrrev_i32_e32 v2, 31, v5
	s_delay_alu instid0(VALU_DEP_1) | instskip(NEXT) | instid1(VALU_DEP_1)
	v_or_b32_e32 v8, 0x80000000, v2
	v_xor_b32_e32 v8, v8, v5
	v_xor_b32_e32 v2, v2, v4
	s_delay_alu instid0(VALU_DEP_1) | instskip(NEXT) | instid1(VALU_DEP_1)
	v_dual_cndmask_b32 v8, -1, v8, vcc_lo :: v_dual_cndmask_b32 v2, -1, v2, vcc_lo
	v_and_b32_e32 v9, v8, v13
	s_delay_alu instid0(VALU_DEP_2) | instskip(NEXT) | instid1(VALU_DEP_1)
	v_and_b32_e32 v8, v2, v12
	v_cmp_eq_u64_e32 vcc_lo, v[8:9], v[14:15]
	s_and_b32 exec_lo, exec_lo, vcc_lo
	s_cbranch_execz .LBB180_81
; %bb.86:                               ;   in Loop: Header=BB180_84 Depth=2
	v_mov_b32_e32 v2, v21
	ds_store_b128 v21, v[2:5] offset:3072
	s_branch .LBB180_81
.LBB180_87:                             ;   in Loop: Header=BB180_84 Depth=2
	s_mov_b32 s70, -1
	s_mov_b32 s69, -1
                                        ; implicit-def: $vgpr40_vgpr41
                                        ; implicit-def: $vgpr20
	s_branch .LBB180_83
.LBB180_88:                             ;   in Loop: Header=BB180_6 Depth=1
	s_or_b32 exec_lo, exec_lo, s10
	s_wait_dscnt 0x0
	s_barrier_signal -1
	s_barrier_wait -1
	s_and_saveexec_b32 s7, s5
	s_cbranch_execz .LBB180_90
; %bb.89:                               ;   in Loop: Header=BB180_6 Depth=1
	ds_load_b32 v4, v21 offset:5144
	s_wait_dscnt 0x0
	v_ashrrev_i32_e32 v5, 31, v4
	ds_store_b64 v21, v[4:5] offset:5120
.LBB180_90:                             ;   in Loop: Header=BB180_6 Depth=1
	s_or_b32 exec_lo, exec_lo, s7
	s_wait_dscnt 0x0
	s_barrier_signal -1
	s_mov_b32 s7, -1
	s_barrier_wait -1
	s_and_b32 vcc_lo, exec_lo, s9
	s_cbranch_vccnz .LBB180_22
	s_branch .LBB180_31
.LBB180_91:                             ;   in Loop: Header=BB180_6 Depth=1
	s_or_b32 exec_lo, exec_lo, s24
	s_delay_alu instid0(SALU_CYCLE_1)
	s_and_b32 s24, s66, exec_lo
.LBB180_92:                             ;   in Loop: Header=BB180_6 Depth=1
	s_or_b32 exec_lo, exec_lo, s26
.LBB180_93:                             ;   in Loop: Header=BB180_6 Depth=1
	s_delay_alu instid0(SALU_CYCLE_1)
	s_and_b32 vcc_lo, exec_lo, s25
	s_cbranch_vccz .LBB180_108
; %bb.94:                               ;   in Loop: Header=BB180_6 Depth=1
	s_and_b64 s[8:9], s[54:55], 0xffffffff00000000
	s_delay_alu instid0(SALU_CYCLE_1)
	s_cmp_lg_u64 s[8:9], 0
	s_cbranch_scc0 .LBB180_137
; %bb.95:                               ;   in Loop: Header=BB180_6 Depth=1
	s_cvt_f32_u32 s8, s34
	s_sub_nc_u64 s[22:23], 0, s[34:35]
	s_delay_alu instid0(SALU_CYCLE_2) | instskip(NEXT) | instid1(SALU_CYCLE_3)
	s_fmamk_f32 s8, s88, 0x0, s8
	v_s_rcp_f32 s8, s8
	s_delay_alu instid0(TRANS32_DEP_1) | instskip(NEXT) | instid1(SALU_CYCLE_3)
	s_mul_f32 s8, s8, 0x5f7ffffc
	s_mul_f32 s9, s8, 0x2f800000
	s_delay_alu instid0(SALU_CYCLE_3) | instskip(NEXT) | instid1(SALU_CYCLE_3)
	s_trunc_f32 s9, s9
	s_fmamk_f32 s8, s9, 0xcf800000, s8
	s_cvt_u32_f32 s9, s9
	s_delay_alu instid0(SALU_CYCLE_2) | instskip(NEXT) | instid1(SALU_CYCLE_3)
	s_cvt_u32_f32 s8, s8
	s_mul_u64 s[44:45], s[22:23], s[8:9]
	s_delay_alu instid0(SALU_CYCLE_1)
	s_mul_hi_u32 s47, s8, s45
	s_mul_i32 s46, s8, s45
	s_mul_hi_u32 s26, s8, s44
	s_mul_i32 s48, s9, s44
	s_add_nc_u64 s[46:47], s[26:27], s[46:47]
	s_mul_hi_u32 s25, s9, s44
	s_mul_hi_u32 s49, s9, s45
	s_add_co_u32 s26, s46, s48
	s_add_co_ci_u32 s26, s47, s25
	s_mul_i32 s44, s9, s45
	s_add_co_ci_u32 s45, s49, 0
	s_delay_alu instid0(SALU_CYCLE_1) | instskip(NEXT) | instid1(SALU_CYCLE_1)
	s_add_nc_u64 s[44:45], s[26:27], s[44:45]
	s_add_co_u32 s8, s8, s44
	s_cselect_b32 s25, -1, 0
	s_delay_alu instid0(SALU_CYCLE_1) | instskip(SKIP_1) | instid1(SALU_CYCLE_1)
	s_cmp_lg_u32 s25, 0
	s_add_co_ci_u32 s9, s9, s45
	s_mul_u64 s[22:23], s[22:23], s[8:9]
	s_delay_alu instid0(SALU_CYCLE_1)
	s_mul_hi_u32 s45, s8, s23
	s_mul_i32 s44, s8, s23
	s_mul_hi_u32 s26, s8, s22
	s_mul_i32 s46, s9, s22
	s_add_nc_u64 s[44:45], s[26:27], s[44:45]
	s_mul_hi_u32 s25, s9, s22
	s_mul_hi_u32 s47, s9, s23
	s_mul_i32 s22, s9, s23
	s_add_co_u32 s23, s44, s46
	s_add_co_ci_u32 s26, s45, s25
	s_add_co_ci_u32 s23, s47, 0
	s_delay_alu instid0(SALU_CYCLE_1) | instskip(NEXT) | instid1(SALU_CYCLE_1)
	s_add_nc_u64 s[22:23], s[26:27], s[22:23]
	s_add_co_u32 s8, s8, s22
	s_cselect_b32 s22, -1, 0
	s_mul_hi_u32 s26, s54, s8
	s_cmp_lg_u32 s22, 0
	s_mul_hi_u32 s25, s55, s8
	s_add_co_ci_u32 s22, s9, s23
	s_mul_i32 s23, s55, s8
	s_mul_hi_u32 s9, s54, s22
	s_mul_i32 s8, s54, s22
	s_mul_hi_u32 s44, s55, s22
	s_add_nc_u64 s[8:9], s[26:27], s[8:9]
	s_mul_i32 s22, s55, s22
	s_add_co_u32 s8, s8, s23
	s_add_co_ci_u32 s26, s9, s25
	s_add_co_ci_u32 s23, s44, 0
	s_delay_alu instid0(SALU_CYCLE_1) | instskip(NEXT) | instid1(SALU_CYCLE_1)
	s_add_nc_u64 s[8:9], s[26:27], s[22:23]
	s_and_b64 s[22:23], s[8:9], 0xffffffff00000000
	s_delay_alu instid0(SALU_CYCLE_1) | instskip(NEXT) | instid1(SALU_CYCLE_1)
	s_or_b32 s22, s22, s8
	s_mul_u64 s[8:9], s[34:35], s[22:23]
	s_delay_alu instid0(SALU_CYCLE_1) | instskip(SKIP_1) | instid1(SALU_CYCLE_1)
	s_sub_co_u32 s8, s54, s8
	s_cselect_b32 s22, -1, 0
	s_cmp_lg_u32 s22, 0
	s_sub_co_ci_u32 s9, s55, s9
	s_sub_co_u32 s22, s8, s34
	s_cselect_b32 s23, -1, 0
	s_delay_alu instid0(SALU_CYCLE_1) | instskip(SKIP_3) | instid1(SALU_CYCLE_1)
	s_cmp_lg_u32 s23, 0
	s_sub_co_ci_u32 s23, s9, 0
	s_sub_co_u32 s25, s22, s34
	s_cselect_b32 s26, -1, 0
	s_cmp_lg_u32 s26, 0
	s_sub_co_ci_u32 s26, s23, 0
	s_cmp_ge_u32 s22, s34
	s_cselect_b32 s44, -1, 0
	s_cmp_eq_u32 s23, 0
	s_cselect_b32 s44, s44, -1
	s_delay_alu instid0(SALU_CYCLE_1)
	s_cmp_lg_u32 s44, 0
	s_cselect_b32 s23, s26, s23
	s_cselect_b32 s22, s25, s22
	s_cmp_ge_u32 s8, s34
	s_cselect_b32 s25, -1, 0
	s_cmp_eq_u32 s9, 0
	s_cselect_b32 s25, s25, -1
	s_delay_alu instid0(SALU_CYCLE_1)
	s_cmp_lg_u32 s25, 0
	s_cselect_b32 s9, s23, s9
	s_cselect_b32 s8, s22, s8
	s_cbranch_execnz .LBB180_97
.LBB180_96:                             ;   in Loop: Header=BB180_6 Depth=1
	v_cvt_f32_u32_e32 v2, s34
	s_sub_co_i32 s9, 0, s34
	s_delay_alu instid0(VALU_DEP_1) | instskip(SKIP_1) | instid1(TRANS32_DEP_1)
	v_rcp_iflag_f32_e32 v2, v2
	v_nop
	v_mul_f32_e32 v2, 0x4f7ffffe, v2
	s_delay_alu instid0(VALU_DEP_1) | instskip(NEXT) | instid1(VALU_DEP_1)
	v_cvt_u32_f32_e32 v2, v2
	v_readfirstlane_b32 s8, v2
	s_mul_i32 s9, s9, s8
	s_delay_alu instid0(SALU_CYCLE_1) | instskip(NEXT) | instid1(SALU_CYCLE_1)
	s_mul_hi_u32 s9, s8, s9
	s_add_co_i32 s8, s8, s9
	s_delay_alu instid0(SALU_CYCLE_1) | instskip(NEXT) | instid1(SALU_CYCLE_1)
	s_mul_hi_u32 s8, s54, s8
	s_mul_i32 s8, s8, s34
	s_delay_alu instid0(SALU_CYCLE_1) | instskip(NEXT) | instid1(SALU_CYCLE_1)
	s_sub_co_i32 s8, s54, s8
	s_sub_co_i32 s9, s8, s34
	s_cmp_ge_u32 s8, s34
	s_cselect_b32 s8, s9, s8
	s_delay_alu instid0(SALU_CYCLE_1) | instskip(SKIP_2) | instid1(SALU_CYCLE_1)
	s_sub_co_i32 s9, s8, s34
	s_cmp_ge_u32 s8, s34
	s_cselect_b32 s26, s9, s8
	s_mov_b64 s[8:9], s[26:27]
.LBB180_97:                             ;   in Loop: Header=BB180_6 Depth=1
	s_delay_alu instid0(SALU_CYCLE_1)
	s_sub_nc_u64 s[8:9], s[54:55], s[8:9]
	s_mov_b32 s22, exec_lo
                                        ; implicit-def: $vgpr10_vgpr11
	v_nop
	v_cmpx_gt_u64_e64 s[8:9], v[0:1]
	s_cbranch_execz .LBB180_107
; %bb.98:                               ;   in Loop: Header=BB180_6 Depth=1
	v_mov_b64_e32 v[40:41], v[18:19]
	v_mov_b64_e32 v[42:43], v[0:1]
	s_mov_b32 s25, 0
                                        ; implicit-def: $sgpr23
	s_branch .LBB180_102
.LBB180_99:                             ;   in Loop: Header=BB180_102 Depth=2
	s_or_b32 exec_lo, exec_lo, s26
	s_wait_dscnt 0x0
	s_barrier_signal -1
	s_barrier_wait -1
	ds_load_b128 v[8:11], v21 offset:3072
	s_wait_dscnt 0x0
	s_barrier_signal -1
	s_barrier_wait -1
	v_cmp_neq_f64_e32 vcc_lo, 0, v[8:9]
	s_cbranch_vccnz .LBB180_105
; %bb.100:                              ;   in Loop: Header=BB180_102 Depth=2
	v_add_nc_u64_e32 v[42:43], s[34:35], v[42:43]
	v_add_nc_u64_e32 v[40:41], s[36:37], v[40:41]
	s_mov_b32 s26, 0
	s_delay_alu instid0(VALU_DEP_2)
	v_cmp_le_u64_e32 vcc_lo, s[8:9], v[42:43]
	s_or_not1_b32 s66, vcc_lo, exec_lo
.LBB180_101:                            ;   in Loop: Header=BB180_102 Depth=2
	s_delay_alu instid0(SALU_CYCLE_1) | instskip(NEXT) | instid1(SALU_CYCLE_1)
	s_and_b32 s44, exec_lo, s66
	s_or_b32 s25, s44, s25
	s_and_not1_b32 s23, s23, exec_lo
	s_and_b32 s26, s26, exec_lo
	s_delay_alu instid0(SALU_CYCLE_1)
	s_or_b32 s23, s23, s26
	s_and_not1_b32 exec_lo, exec_lo, s25
	s_cbranch_execz .LBB180_106
.LBB180_102:                            ;   Parent Loop BB180_6 Depth=1
                                        ; =>  This Inner Loop Header: Depth=2
	s_mov_b32 s26, exec_lo
	s_delay_alu instid0(VALU_DEP_1)
	v_cmpx_gt_u64_e64 s[28:29], v[42:43]
	s_cbranch_execz .LBB180_99
; %bb.103:                              ;   in Loop: Header=BB180_102 Depth=2
	global_load_b64 v[4:5], v[40:41], off
	s_wait_loadcnt 0x0
	v_cmp_o_f64_e32 vcc_lo, v[4:5], v[4:5]
	v_ashrrev_i32_e32 v2, 31, v5
	s_delay_alu instid0(VALU_DEP_1) | instskip(NEXT) | instid1(VALU_DEP_1)
	v_or_b32_e32 v8, 0x80000000, v2
	v_xor_b32_e32 v8, v8, v5
	v_xor_b32_e32 v2, v2, v4
	s_delay_alu instid0(VALU_DEP_1) | instskip(NEXT) | instid1(VALU_DEP_1)
	v_dual_cndmask_b32 v8, -1, v8, vcc_lo :: v_dual_cndmask_b32 v2, -1, v2, vcc_lo
	v_and_b32_e32 v9, v8, v13
	s_delay_alu instid0(VALU_DEP_2) | instskip(NEXT) | instid1(VALU_DEP_1)
	v_and_b32_e32 v8, v2, v12
	v_cmp_eq_u64_e32 vcc_lo, v[8:9], v[14:15]
	s_and_b32 exec_lo, exec_lo, vcc_lo
	s_cbranch_execz .LBB180_99
; %bb.104:                              ;   in Loop: Header=BB180_102 Depth=2
	v_mov_b32_e32 v2, v21
	ds_store_b128 v21, v[2:5] offset:3072
	s_branch .LBB180_99
.LBB180_105:                            ;   in Loop: Header=BB180_102 Depth=2
	s_mov_b32 s66, -1
	s_mov_b32 s26, -1
                                        ; implicit-def: $vgpr42_vgpr43
                                        ; implicit-def: $vgpr40_vgpr41
	s_branch .LBB180_101
.LBB180_106:                            ;   in Loop: Header=BB180_6 Depth=1
	s_or_b32 exec_lo, exec_lo, s25
	s_delay_alu instid0(SALU_CYCLE_1) | instskip(SKIP_1) | instid1(SALU_CYCLE_1)
	s_and_not1_b32 s8, s24, exec_lo
	s_and_b32 s9, s23, exec_lo
	s_or_b32 s24, s8, s9
.LBB180_107:                            ;   in Loop: Header=BB180_6 Depth=1
	s_or_b32 exec_lo, exec_lo, s22
	s_mov_b32 s67, 0
	s_mov_b32 s68, -1
.LBB180_108:                            ;   in Loop: Header=BB180_6 Depth=1
	s_or_not1_b32 s8, s24, exec_lo
.LBB180_109:                            ;   in Loop: Header=BB180_6 Depth=1
	s_or_b32 exec_lo, exec_lo, s65
	s_mov_b32 s69, 0
	s_mov_b32 s66, 0
	;; [unrolled: 1-line block ×3, first 2 shown]
                                        ; implicit-def: $vgpr40_vgpr41
                                        ; implicit-def: $vgpr20
	s_and_saveexec_b32 s70, s8
	s_cbranch_execz .LBB180_273
; %bb.110:                              ;   in Loop: Header=BB180_6 Depth=1
	v_mov_b64_e32 v[40:41], 1
	v_mov_b32_e32 v20, 1
	s_xor_b32 s22, s71, -1
	s_mov_b32 s9, 0
	s_and_saveexec_b32 s8, s22
	s_cbranch_execz .LBB180_119
; %bb.111:                              ;   in Loop: Header=BB180_6 Depth=1
	s_mov_b32 s9, exec_lo
	v_cmpx_ge_u64_e64 s[10:11], v[38:39]
	s_xor_b32 s9, exec_lo, s9
	s_cbranch_execz .LBB180_116
; %bb.112:                              ;   in Loop: Header=BB180_6 Depth=1
	ds_load_b64 v[4:5], v21 offset:5120
	v_and_b32_e32 v15, s15, v15
	v_and_b32_e32 v14, s14, v14
	v_or_b32_e32 v13, s13, v13
	v_or_b32_e32 v12, s12, v12
	s_wait_dscnt 0x0
	v_cmp_ne_u64_e32 vcc_lo, 0, v[4:5]
	s_cbranch_vccnz .LBB180_116
; %bb.113:                              ;   in Loop: Header=BB180_6 Depth=1
	s_and_saveexec_b32 s22, s5
; %bb.114:                              ;   in Loop: Header=BB180_6 Depth=1
	v_mov_b64_e32 v[4:5], s[10:11]
	ds_store_b64 v21, v[4:5] offset:5128
; %bb.115:                              ;   in Loop: Header=BB180_6 Depth=1
	s_or_b32 exec_lo, exec_lo, s22
	s_wait_dscnt 0x0
	s_barrier_signal -1
	s_barrier_wait -1
.LBB180_116:                            ;   in Loop: Header=BB180_6 Depth=1
	s_or_saveexec_b32 s9, s9
	v_mov_b64_e32 v[40:41], v[38:39]
	v_mov_b32_e32 v20, 8
	s_mov_b32 s22, 0
	s_xor_b32 exec_lo, exec_lo, s9
; %bb.117:                              ;   in Loop: Header=BB180_6 Depth=1
	v_sub_nc_u64_e64 v[40:41], v[38:39], s[10:11]
	v_mov_b32_e32 v20, 0
	s_mov_b32 s22, exec_lo
; %bb.118:                              ;   in Loop: Header=BB180_6 Depth=1
	s_or_b32 exec_lo, exec_lo, s9
	s_delay_alu instid0(SALU_CYCLE_1)
	s_and_b32 s9, s22, exec_lo
.LBB180_119:                            ;   in Loop: Header=BB180_6 Depth=1
	s_or_b32 exec_lo, exec_lo, s8
	s_mov_b32 s8, -1
                                        ; implicit-def: $sgpr66
                                        ; implicit-def: $sgpr71
	s_and_saveexec_b32 s22, s9
	s_delay_alu instid0(SALU_CYCLE_1)
	s_xor_b32 s65, exec_lo, s22
	s_cbranch_execz .LBB180_270
; %bb.120:                              ;   in Loop: Header=BB180_6 Depth=1
	v_cmp_eq_u64_e32 vcc_lo, 1, v[40:41]
	s_cmp_eq_u64 s[16:17], 1
                                        ; implicit-def: $sgpr71
                                        ; implicit-def: $sgpr66
	s_cselect_b32 s8, -1, 0
	s_delay_alu instid0(SALU_CYCLE_1)
	s_and_b32 s73, s8, vcc_lo
	s_mov_b32 s8, -1
	s_and_saveexec_b32 s72, s73
	s_cbranch_execz .LBB180_156
; %bb.121:                              ;   in Loop: Header=BB180_6 Depth=1
	ds_load_b64 v[4:5], v21 offset:5120
	s_wait_dscnt 0x0
	s_barrier_signal -1
	s_barrier_wait -1
	v_readfirstlane_b32 s8, v4
	v_readfirstlane_b32 s9, v5
	s_and_saveexec_b32 s22, s6
; %bb.122:                              ;   in Loop: Header=BB180_6 Depth=1
	ds_store_b64 v48, v[34:35]
; %bb.123:                              ;   in Loop: Header=BB180_6 Depth=1
	s_or_b32 exec_lo, exec_lo, s22
	v_and_b32_e32 v2, s15, v15
	v_and_b32_e32 v4, s14, v14
	s_lshl_b64 s[22:23], 1, s86
	v_or_b32_e32 v13, s13, v13
	v_or_b32_e32 v12, s12, v12
	;; [unrolled: 1-line block ×4, first 2 shown]
	s_mov_b32 s66, -1
	s_mov_b32 s71, 0
	s_cmp_eq_u64 s[8:9], 0
	s_mov_b32 s24, 0
	s_mov_b32 s25, -1
	s_wait_dscnt 0x0
	s_barrier_signal -1
	s_barrier_wait -1
                                        ; implicit-def: $vgpr10_vgpr11
	s_cbranch_scc1 .LBB180_140
; %bb.124:                              ;   in Loop: Header=BB180_6 Depth=1
	s_add_nc_u64 s[22:23], s[8:9], s[52:53]
	s_delay_alu instid0(SALU_CYCLE_1) | instskip(NEXT) | instid1(SALU_CYCLE_1)
	s_and_b64 s[24:25], s[22:23], 0xffffffff00000000
	s_cmp_lg_u64 s[24:25], 0
	s_cbranch_scc0 .LBB180_183
; %bb.125:                              ;   in Loop: Header=BB180_6 Depth=1
	s_cvt_f32_u32 s24, s34
	s_sub_nc_u64 s[74:75], 0, s[34:35]
	s_delay_alu instid0(SALU_CYCLE_2) | instskip(NEXT) | instid1(SALU_CYCLE_3)
	s_fmamk_f32 s24, s88, 0x0, s24
	v_s_rcp_f32 s24, s24
	s_delay_alu instid0(TRANS32_DEP_1) | instskip(NEXT) | instid1(SALU_CYCLE_3)
	s_mul_f32 s24, s24, 0x5f7ffffc
	s_mul_f32 s25, s24, 0x2f800000
	s_delay_alu instid0(SALU_CYCLE_3) | instskip(NEXT) | instid1(SALU_CYCLE_3)
	s_trunc_f32 s25, s25
	s_fmamk_f32 s24, s25, 0xcf800000, s24
	s_cvt_u32_f32 s25, s25
	s_delay_alu instid0(SALU_CYCLE_2) | instskip(NEXT) | instid1(SALU_CYCLE_3)
	s_cvt_u32_f32 s24, s24
	s_mul_u64 s[76:77], s[74:75], s[24:25]
	s_delay_alu instid0(SALU_CYCLE_1)
	s_mul_hi_u32 s101, s24, s77
	s_mul_i32 s100, s24, s77
	s_mul_hi_u32 s26, s24, s76
	s_mul_i32 s45, s25, s76
	s_add_nc_u64 s[100:101], s[26:27], s[100:101]
	s_mul_hi_u32 s44, s25, s76
	s_mul_hi_u32 s46, s25, s77
	s_add_co_u32 s26, s100, s45
	s_add_co_ci_u32 s26, s101, s44
	s_mul_i32 s76, s25, s77
	s_add_co_ci_u32 s77, s46, 0
	s_delay_alu instid0(SALU_CYCLE_1) | instskip(NEXT) | instid1(SALU_CYCLE_1)
	s_add_nc_u64 s[76:77], s[26:27], s[76:77]
	s_add_co_u32 s24, s24, s76
	s_cselect_b32 s26, -1, 0
	s_delay_alu instid0(SALU_CYCLE_1) | instskip(SKIP_1) | instid1(SALU_CYCLE_1)
	s_cmp_lg_u32 s26, 0
	s_add_co_ci_u32 s25, s25, s77
	s_mul_u64 s[74:75], s[74:75], s[24:25]
	s_delay_alu instid0(SALU_CYCLE_1)
	s_mul_hi_u32 s77, s24, s75
	s_mul_i32 s76, s24, s75
	s_mul_hi_u32 s26, s24, s74
	s_mul_i32 s45, s25, s74
	s_add_nc_u64 s[76:77], s[26:27], s[76:77]
	s_mul_hi_u32 s44, s25, s74
	s_mul_hi_u32 s46, s25, s75
	s_add_co_u32 s26, s76, s45
	s_add_co_ci_u32 s26, s77, s44
	s_mul_i32 s74, s25, s75
	s_add_co_ci_u32 s75, s46, 0
	s_delay_alu instid0(SALU_CYCLE_1) | instskip(NEXT) | instid1(SALU_CYCLE_1)
	s_add_nc_u64 s[74:75], s[26:27], s[74:75]
	s_add_co_u32 s24, s24, s74
	s_cselect_b32 s44, -1, 0
	s_mul_hi_u32 s26, s22, s24
	s_cmp_lg_u32 s44, 0
	s_mul_hi_u32 s44, s23, s24
	s_add_co_ci_u32 s45, s25, s75
	s_mul_i32 s46, s23, s24
	s_mul_hi_u32 s25, s22, s45
	s_mul_i32 s24, s22, s45
	s_mul_hi_u32 s47, s23, s45
	s_add_nc_u64 s[24:25], s[26:27], s[24:25]
	s_mul_i32 s74, s23, s45
	s_add_co_u32 s24, s24, s46
	s_add_co_ci_u32 s26, s25, s44
	s_add_co_ci_u32 s75, s47, 0
	s_delay_alu instid0(SALU_CYCLE_1) | instskip(NEXT) | instid1(SALU_CYCLE_1)
	s_add_nc_u64 s[24:25], s[26:27], s[74:75]
	s_and_b64 s[74:75], s[24:25], 0xffffffff00000000
	s_delay_alu instid0(SALU_CYCLE_1) | instskip(NEXT) | instid1(SALU_CYCLE_1)
	s_or_b32 s74, s74, s24
	s_mul_u64 s[24:25], s[34:35], s[74:75]
	s_delay_alu instid0(SALU_CYCLE_1) | instskip(SKIP_1) | instid1(SALU_CYCLE_1)
	s_sub_co_u32 s24, s22, s24
	s_cselect_b32 s26, -1, 0
	s_cmp_lg_u32 s26, 0
	s_sub_co_ci_u32 s25, s23, s25
	s_sub_co_u32 s26, s24, s34
	s_cselect_b32 s44, -1, 0
	s_delay_alu instid0(SALU_CYCLE_1) | instskip(SKIP_3) | instid1(SALU_CYCLE_1)
	s_cmp_lg_u32 s44, 0
	s_sub_co_ci_u32 s44, s25, 0
	s_sub_co_u32 s45, s26, s34
	s_cselect_b32 s46, -1, 0
	s_cmp_lg_u32 s46, 0
	s_sub_co_ci_u32 s46, s44, 0
	s_cmp_ge_u32 s26, s34
	s_cselect_b32 s47, -1, 0
	s_cmp_eq_u32 s44, 0
	s_cselect_b32 s47, s47, -1
	s_delay_alu instid0(SALU_CYCLE_1)
	s_cmp_lg_u32 s47, 0
	s_cselect_b32 s44, s46, s44
	s_cselect_b32 s26, s45, s26
	s_cmp_ge_u32 s24, s34
	s_cselect_b32 s45, -1, 0
	s_cmp_eq_u32 s25, 0
	s_cselect_b32 s45, s45, -1
	s_delay_alu instid0(SALU_CYCLE_1)
	s_cmp_lg_u32 s45, 0
	s_cselect_b32 s25, s44, s25
	s_cselect_b32 s24, s26, s24
	s_cbranch_execnz .LBB180_127
.LBB180_126:                            ;   in Loop: Header=BB180_6 Depth=1
	v_cvt_f32_u32_e32 v2, s34
	s_sub_co_i32 s25, 0, s34
	s_delay_alu instid0(VALU_DEP_1) | instskip(SKIP_1) | instid1(TRANS32_DEP_1)
	v_rcp_iflag_f32_e32 v2, v2
	v_nop
	v_mul_f32_e32 v2, 0x4f7ffffe, v2
	s_delay_alu instid0(VALU_DEP_1) | instskip(NEXT) | instid1(VALU_DEP_1)
	v_cvt_u32_f32_e32 v2, v2
	v_readfirstlane_b32 s24, v2
	s_mul_i32 s25, s25, s24
	s_delay_alu instid0(SALU_CYCLE_1) | instskip(NEXT) | instid1(SALU_CYCLE_1)
	s_mul_hi_u32 s25, s24, s25
	s_add_co_i32 s24, s24, s25
	s_delay_alu instid0(SALU_CYCLE_1) | instskip(NEXT) | instid1(SALU_CYCLE_1)
	s_mul_hi_u32 s24, s22, s24
	s_mul_i32 s24, s24, s34
	s_delay_alu instid0(SALU_CYCLE_1) | instskip(NEXT) | instid1(SALU_CYCLE_1)
	s_sub_co_i32 s24, s22, s24
	s_sub_co_i32 s25, s24, s34
	s_cmp_ge_u32 s24, s34
	s_cselect_b32 s24, s25, s24
	s_delay_alu instid0(SALU_CYCLE_1) | instskip(SKIP_2) | instid1(SALU_CYCLE_1)
	s_sub_co_i32 s25, s24, s34
	s_cmp_ge_u32 s24, s34
	s_cselect_b32 s26, s25, s24
	s_mov_b64 s[24:25], s[26:27]
.LBB180_127:                            ;   in Loop: Header=BB180_6 Depth=1
	s_delay_alu instid0(SALU_CYCLE_1)
	s_sub_nc_u64 s[22:23], s[22:23], s[24:25]
	s_mov_b32 s25, 0
	s_mov_b32 s24, 0
	s_mov_b32 s26, exec_lo
                                        ; implicit-def: $vgpr10_vgpr11
	v_cmpx_gt_u64_e64 s[22:23], v[0:1]
	s_cbranch_execz .LBB180_139
; %bb.128:                              ;   in Loop: Header=BB180_6 Depth=1
	v_mov_b64_e32 v[42:43], v[0:1]
	v_mov_b32_e32 v44, v47
                                        ; implicit-def: $sgpr74
	s_branch .LBB180_132
.LBB180_129:                            ;   in Loop: Header=BB180_132 Depth=2
	s_or_b32 exec_lo, exec_lo, s75
	s_wait_dscnt 0x0
	s_barrier_signal -1
	s_barrier_wait -1
	ds_load_b128 v[8:11], v21 offset:3072
	s_wait_dscnt 0x0
	s_barrier_signal -1
	s_barrier_wait -1
	v_cmp_neq_f64_e32 vcc_lo, 0, v[8:9]
	s_cbranch_vccnz .LBB180_135
; %bb.130:                              ;   in Loop: Header=BB180_132 Depth=2
	v_add_nc_u64_e32 v[42:43], s[34:35], v[42:43]
	v_add_nc_u32_e32 v44, s85, v44
	s_mov_b32 s75, 0
	s_delay_alu instid0(VALU_DEP_2)
	v_cmp_le_u64_e32 vcc_lo, s[22:23], v[42:43]
	s_or_not1_b32 s76, vcc_lo, exec_lo
.LBB180_131:                            ;   in Loop: Header=BB180_132 Depth=2
	s_delay_alu instid0(SALU_CYCLE_1) | instskip(NEXT) | instid1(SALU_CYCLE_1)
	s_and_b32 s44, exec_lo, s76
	s_or_b32 s24, s44, s24
	s_and_not1_b32 s44, s74, exec_lo
	s_and_b32 s45, s75, exec_lo
	s_delay_alu instid0(SALU_CYCLE_1)
	s_or_b32 s74, s44, s45
	s_and_not1_b32 exec_lo, exec_lo, s24
	s_cbranch_execz .LBB180_138
.LBB180_132:                            ;   Parent Loop BB180_6 Depth=1
                                        ; =>  This Inner Loop Header: Depth=2
	s_mov_b32 s75, exec_lo
	s_delay_alu instid0(VALU_DEP_2)
	v_cmpx_gt_u64_e64 s[8:9], v[42:43]
	s_cbranch_execz .LBB180_129
; %bb.133:                              ;   in Loop: Header=BB180_132 Depth=2
	ds_load_b64 v[4:5], v44
	s_wait_dscnt 0x0
	v_cmp_o_f64_e32 vcc_lo, v[4:5], v[4:5]
	v_ashrrev_i32_e32 v2, 31, v5
	s_delay_alu instid0(VALU_DEP_1) | instskip(NEXT) | instid1(VALU_DEP_1)
	v_or_b32_e32 v8, 0x80000000, v2
	v_xor_b32_e32 v8, v8, v5
	v_xor_b32_e32 v2, v2, v4
	s_delay_alu instid0(VALU_DEP_1) | instskip(NEXT) | instid1(VALU_DEP_1)
	v_dual_cndmask_b32 v8, -1, v8, vcc_lo :: v_dual_cndmask_b32 v2, -1, v2, vcc_lo
	v_and_b32_e32 v9, v8, v13
	s_delay_alu instid0(VALU_DEP_2) | instskip(NEXT) | instid1(VALU_DEP_1)
	v_and_b32_e32 v8, v2, v12
	v_cmp_eq_u64_e32 vcc_lo, v[8:9], v[14:15]
	s_and_b32 exec_lo, exec_lo, vcc_lo
	s_cbranch_execz .LBB180_129
; %bb.134:                              ;   in Loop: Header=BB180_132 Depth=2
	v_mov_b32_e32 v2, v21
	ds_store_b128 v21, v[2:5] offset:3072
	s_branch .LBB180_129
.LBB180_135:                            ;   in Loop: Header=BB180_132 Depth=2
	s_mov_b32 s76, -1
	s_mov_b32 s75, -1
                                        ; implicit-def: $vgpr42_vgpr43
                                        ; implicit-def: $vgpr44
	s_branch .LBB180_131
.LBB180_136:                            ;   in Loop: Header=BB180_6 Depth=1
                                        ; implicit-def: $sgpr24_sgpr25
	s_branch .LBB180_78
.LBB180_137:                            ;   in Loop: Header=BB180_6 Depth=1
                                        ; implicit-def: $sgpr8_sgpr9
	s_branch .LBB180_96
.LBB180_138:                            ;   in Loop: Header=BB180_6 Depth=1
	s_or_b32 exec_lo, exec_lo, s24
	s_delay_alu instid0(SALU_CYCLE_1)
	s_and_b32 s24, s74, exec_lo
.LBB180_139:                            ;   in Loop: Header=BB180_6 Depth=1
	s_or_b32 exec_lo, exec_lo, s26
.LBB180_140:                            ;   in Loop: Header=BB180_6 Depth=1
	s_delay_alu instid0(SALU_CYCLE_1)
	s_and_b32 vcc_lo, exec_lo, s25
	s_cbranch_vccz .LBB180_155
; %bb.141:                              ;   in Loop: Header=BB180_6 Depth=1
	s_and_b64 s[8:9], s[54:55], 0xffffffff00000000
	s_delay_alu instid0(SALU_CYCLE_1)
	s_cmp_lg_u64 s[8:9], 0
	s_cbranch_scc0 .LBB180_184
; %bb.142:                              ;   in Loop: Header=BB180_6 Depth=1
	s_cvt_f32_u32 s8, s34
	s_sub_nc_u64 s[22:23], 0, s[34:35]
	s_delay_alu instid0(SALU_CYCLE_2) | instskip(NEXT) | instid1(SALU_CYCLE_3)
	s_fmamk_f32 s8, s88, 0x0, s8
	v_s_rcp_f32 s8, s8
	s_delay_alu instid0(TRANS32_DEP_1) | instskip(NEXT) | instid1(SALU_CYCLE_3)
	s_mul_f32 s8, s8, 0x5f7ffffc
	s_mul_f32 s9, s8, 0x2f800000
	s_delay_alu instid0(SALU_CYCLE_3) | instskip(NEXT) | instid1(SALU_CYCLE_3)
	s_trunc_f32 s9, s9
	s_fmamk_f32 s8, s9, 0xcf800000, s8
	s_cvt_u32_f32 s9, s9
	s_delay_alu instid0(SALU_CYCLE_2) | instskip(NEXT) | instid1(SALU_CYCLE_3)
	s_cvt_u32_f32 s8, s8
	s_mul_u64 s[74:75], s[22:23], s[8:9]
	s_delay_alu instid0(SALU_CYCLE_1)
	s_mul_hi_u32 s77, s8, s75
	s_mul_i32 s76, s8, s75
	s_mul_hi_u32 s26, s8, s74
	s_mul_i32 s44, s9, s74
	s_add_nc_u64 s[76:77], s[26:27], s[76:77]
	s_mul_hi_u32 s25, s9, s74
	s_mul_hi_u32 s45, s9, s75
	s_add_co_u32 s26, s76, s44
	s_add_co_ci_u32 s26, s77, s25
	s_mul_i32 s74, s9, s75
	s_add_co_ci_u32 s75, s45, 0
	s_delay_alu instid0(SALU_CYCLE_1) | instskip(NEXT) | instid1(SALU_CYCLE_1)
	s_add_nc_u64 s[74:75], s[26:27], s[74:75]
	s_add_co_u32 s8, s8, s74
	s_cselect_b32 s25, -1, 0
	s_delay_alu instid0(SALU_CYCLE_1) | instskip(SKIP_1) | instid1(SALU_CYCLE_1)
	s_cmp_lg_u32 s25, 0
	s_add_co_ci_u32 s9, s9, s75
	s_mul_u64 s[22:23], s[22:23], s[8:9]
	s_delay_alu instid0(SALU_CYCLE_1)
	s_mul_hi_u32 s75, s8, s23
	s_mul_i32 s74, s8, s23
	s_mul_hi_u32 s26, s8, s22
	s_mul_i32 s44, s9, s22
	s_add_nc_u64 s[74:75], s[26:27], s[74:75]
	s_mul_hi_u32 s25, s9, s22
	s_mul_hi_u32 s45, s9, s23
	s_mul_i32 s22, s9, s23
	s_add_co_u32 s23, s74, s44
	s_add_co_ci_u32 s26, s75, s25
	s_add_co_ci_u32 s23, s45, 0
	s_delay_alu instid0(SALU_CYCLE_1) | instskip(NEXT) | instid1(SALU_CYCLE_1)
	s_add_nc_u64 s[22:23], s[26:27], s[22:23]
	s_add_co_u32 s8, s8, s22
	s_cselect_b32 s22, -1, 0
	s_mul_hi_u32 s26, s54, s8
	s_cmp_lg_u32 s22, 0
	s_mul_hi_u32 s25, s55, s8
	s_add_co_ci_u32 s22, s9, s23
	s_mul_i32 s23, s55, s8
	s_mul_hi_u32 s9, s54, s22
	s_mul_i32 s8, s54, s22
	s_mul_hi_u32 s44, s55, s22
	s_add_nc_u64 s[8:9], s[26:27], s[8:9]
	s_mul_i32 s22, s55, s22
	s_add_co_u32 s8, s8, s23
	s_add_co_ci_u32 s26, s9, s25
	s_add_co_ci_u32 s23, s44, 0
	s_delay_alu instid0(SALU_CYCLE_1) | instskip(NEXT) | instid1(SALU_CYCLE_1)
	s_add_nc_u64 s[8:9], s[26:27], s[22:23]
	s_and_b64 s[22:23], s[8:9], 0xffffffff00000000
	s_delay_alu instid0(SALU_CYCLE_1) | instskip(NEXT) | instid1(SALU_CYCLE_1)
	s_or_b32 s22, s22, s8
	s_mul_u64 s[8:9], s[34:35], s[22:23]
	s_delay_alu instid0(SALU_CYCLE_1) | instskip(SKIP_1) | instid1(SALU_CYCLE_1)
	s_sub_co_u32 s8, s54, s8
	s_cselect_b32 s22, -1, 0
	s_cmp_lg_u32 s22, 0
	s_sub_co_ci_u32 s9, s55, s9
	s_sub_co_u32 s22, s8, s34
	s_cselect_b32 s23, -1, 0
	s_delay_alu instid0(SALU_CYCLE_1) | instskip(SKIP_3) | instid1(SALU_CYCLE_1)
	s_cmp_lg_u32 s23, 0
	s_sub_co_ci_u32 s23, s9, 0
	s_sub_co_u32 s25, s22, s34
	s_cselect_b32 s26, -1, 0
	s_cmp_lg_u32 s26, 0
	s_sub_co_ci_u32 s26, s23, 0
	s_cmp_ge_u32 s22, s34
	s_cselect_b32 s44, -1, 0
	s_cmp_eq_u32 s23, 0
	s_cselect_b32 s44, s44, -1
	s_delay_alu instid0(SALU_CYCLE_1)
	s_cmp_lg_u32 s44, 0
	s_cselect_b32 s23, s26, s23
	s_cselect_b32 s22, s25, s22
	s_cmp_ge_u32 s8, s34
	s_cselect_b32 s25, -1, 0
	s_cmp_eq_u32 s9, 0
	s_cselect_b32 s25, s25, -1
	s_delay_alu instid0(SALU_CYCLE_1)
	s_cmp_lg_u32 s25, 0
	s_cselect_b32 s9, s23, s9
	s_cselect_b32 s8, s22, s8
	s_cbranch_execnz .LBB180_144
.LBB180_143:                            ;   in Loop: Header=BB180_6 Depth=1
	v_cvt_f32_u32_e32 v2, s34
	s_sub_co_i32 s9, 0, s34
	s_delay_alu instid0(VALU_DEP_1) | instskip(SKIP_1) | instid1(TRANS32_DEP_1)
	v_rcp_iflag_f32_e32 v2, v2
	v_nop
	v_mul_f32_e32 v2, 0x4f7ffffe, v2
	s_delay_alu instid0(VALU_DEP_1) | instskip(NEXT) | instid1(VALU_DEP_1)
	v_cvt_u32_f32_e32 v2, v2
	v_readfirstlane_b32 s8, v2
	s_mul_i32 s9, s9, s8
	s_delay_alu instid0(SALU_CYCLE_1) | instskip(NEXT) | instid1(SALU_CYCLE_1)
	s_mul_hi_u32 s9, s8, s9
	s_add_co_i32 s8, s8, s9
	s_delay_alu instid0(SALU_CYCLE_1) | instskip(NEXT) | instid1(SALU_CYCLE_1)
	s_mul_hi_u32 s8, s54, s8
	s_mul_i32 s8, s8, s34
	s_delay_alu instid0(SALU_CYCLE_1) | instskip(NEXT) | instid1(SALU_CYCLE_1)
	s_sub_co_i32 s8, s54, s8
	s_sub_co_i32 s9, s8, s34
	s_cmp_ge_u32 s8, s34
	s_cselect_b32 s8, s9, s8
	s_delay_alu instid0(SALU_CYCLE_1) | instskip(SKIP_2) | instid1(SALU_CYCLE_1)
	s_sub_co_i32 s9, s8, s34
	s_cmp_ge_u32 s8, s34
	s_cselect_b32 s26, s9, s8
	s_mov_b64 s[8:9], s[26:27]
.LBB180_144:                            ;   in Loop: Header=BB180_6 Depth=1
	s_delay_alu instid0(SALU_CYCLE_1)
	s_sub_nc_u64 s[8:9], s[54:55], s[8:9]
	s_mov_b32 s22, exec_lo
                                        ; implicit-def: $vgpr10_vgpr11
	v_nop
	v_cmpx_gt_u64_e64 s[8:9], v[0:1]
	s_cbranch_execz .LBB180_154
; %bb.145:                              ;   in Loop: Header=BB180_6 Depth=1
	v_mov_b64_e32 v[42:43], v[18:19]
	v_mov_b64_e32 v[44:45], v[0:1]
	s_mov_b32 s23, 0
                                        ; implicit-def: $sgpr25
	s_branch .LBB180_149
.LBB180_146:                            ;   in Loop: Header=BB180_149 Depth=2
	s_or_b32 exec_lo, exec_lo, s26
	s_wait_dscnt 0x0
	s_barrier_signal -1
	s_barrier_wait -1
	ds_load_b128 v[8:11], v21 offset:3072
	s_wait_dscnt 0x0
	s_barrier_signal -1
	s_barrier_wait -1
	v_cmp_eq_f64_e32 vcc_lo, 0, v[8:9]
	s_cbranch_vccz .LBB180_152
; %bb.147:                              ;   in Loop: Header=BB180_149 Depth=2
	v_add_nc_u64_e32 v[44:45], s[34:35], v[44:45]
	v_add_nc_u64_e32 v[42:43], s[36:37], v[42:43]
	s_mov_b32 s26, 0
	s_delay_alu instid0(VALU_DEP_2)
	v_cmp_le_u64_e32 vcc_lo, s[8:9], v[44:45]
	s_or_not1_b32 s66, vcc_lo, exec_lo
.LBB180_148:                            ;   in Loop: Header=BB180_149 Depth=2
	s_delay_alu instid0(SALU_CYCLE_1) | instskip(NEXT) | instid1(SALU_CYCLE_1)
	s_and_b32 s44, exec_lo, s66
	s_or_b32 s23, s44, s23
	s_and_not1_b32 s25, s25, exec_lo
	s_and_b32 s26, s26, exec_lo
	s_delay_alu instid0(SALU_CYCLE_1)
	s_or_b32 s25, s25, s26
	s_and_not1_b32 exec_lo, exec_lo, s23
	s_cbranch_execz .LBB180_153
.LBB180_149:                            ;   Parent Loop BB180_6 Depth=1
                                        ; =>  This Inner Loop Header: Depth=2
	s_mov_b32 s26, exec_lo
	s_delay_alu instid0(VALU_DEP_1)
	v_cmpx_gt_u64_e64 s[28:29], v[44:45]
	s_cbranch_execz .LBB180_146
; %bb.150:                              ;   in Loop: Header=BB180_149 Depth=2
	global_load_b64 v[4:5], v[42:43], off
	s_wait_loadcnt 0x0
	v_cmp_o_f64_e32 vcc_lo, v[4:5], v[4:5]
	v_ashrrev_i32_e32 v2, 31, v5
	s_delay_alu instid0(VALU_DEP_1) | instskip(NEXT) | instid1(VALU_DEP_1)
	v_or_b32_e32 v8, 0x80000000, v2
	v_xor_b32_e32 v8, v8, v5
	v_xor_b32_e32 v2, v2, v4
	s_delay_alu instid0(VALU_DEP_1) | instskip(NEXT) | instid1(VALU_DEP_1)
	v_dual_cndmask_b32 v8, -1, v8, vcc_lo :: v_dual_cndmask_b32 v2, -1, v2, vcc_lo
	v_and_b32_e32 v9, v8, v13
	s_delay_alu instid0(VALU_DEP_2) | instskip(NEXT) | instid1(VALU_DEP_1)
	v_and_b32_e32 v8, v2, v12
	v_cmp_eq_u64_e32 vcc_lo, v[8:9], v[14:15]
	s_and_b32 exec_lo, exec_lo, vcc_lo
	s_cbranch_execz .LBB180_146
; %bb.151:                              ;   in Loop: Header=BB180_149 Depth=2
	v_mov_b32_e32 v2, v21
	ds_store_b128 v21, v[2:5] offset:3072
	s_branch .LBB180_146
.LBB180_152:                            ;   in Loop: Header=BB180_149 Depth=2
	s_mov_b32 s66, -1
	s_mov_b32 s26, -1
                                        ; implicit-def: $vgpr44_vgpr45
                                        ; implicit-def: $vgpr42_vgpr43
	s_branch .LBB180_148
.LBB180_153:                            ;   in Loop: Header=BB180_6 Depth=1
	s_or_b32 exec_lo, exec_lo, s23
	s_delay_alu instid0(SALU_CYCLE_1) | instskip(SKIP_1) | instid1(SALU_CYCLE_1)
	s_and_not1_b32 s8, s24, exec_lo
	s_and_b32 s9, s25, exec_lo
	s_or_b32 s24, s8, s9
.LBB180_154:                            ;   in Loop: Header=BB180_6 Depth=1
	s_or_b32 exec_lo, exec_lo, s22
	s_mov_b32 s66, 0
	s_mov_b32 s71, -1
.LBB180_155:                            ;   in Loop: Header=BB180_6 Depth=1
	s_or_not1_b32 s8, s24, exec_lo
.LBB180_156:                            ;   in Loop: Header=BB180_6 Depth=1
	s_or_b32 exec_lo, exec_lo, s72
	s_mov_b32 s9, 0
	s_and_saveexec_b32 s72, s8
	s_cbranch_execz .LBB180_269
; %bb.157:                              ;   in Loop: Header=BB180_6 Depth=1
	v_mov_b64_e32 v[42:43], 1
	v_mov_b32_e32 v20, 1
	s_xor_b32 s22, s73, -1
	s_delay_alu instid0(SALU_CYCLE_1)
	s_and_saveexec_b32 s8, s22
	s_cbranch_execz .LBB180_166
; %bb.158:                              ;   in Loop: Header=BB180_6 Depth=1
	s_mov_b32 s9, exec_lo
	v_cmpx_ge_u64_e64 s[16:17], v[40:41]
	s_xor_b32 s9, exec_lo, s9
	s_cbranch_execz .LBB180_163
; %bb.159:                              ;   in Loop: Header=BB180_6 Depth=1
	ds_load_b64 v[4:5], v21 offset:5120
	v_and_b32_e32 v2, s15, v15
	v_and_b32_e32 v8, s14, v14
	s_lshl_b64 s[22:23], 1, s86
	v_or_b32_e32 v13, s13, v13
	v_or_b32_e32 v12, s12, v12
	;; [unrolled: 1-line block ×4, first 2 shown]
	s_wait_dscnt 0x0
	v_cmp_ne_u64_e32 vcc_lo, 0, v[4:5]
	s_cbranch_vccnz .LBB180_163
; %bb.160:                              ;   in Loop: Header=BB180_6 Depth=1
	s_and_saveexec_b32 s22, s5
; %bb.161:                              ;   in Loop: Header=BB180_6 Depth=1
	v_mov_b64_e32 v[4:5], s[16:17]
	ds_store_b64 v21, v[4:5] offset:5128
; %bb.162:                              ;   in Loop: Header=BB180_6 Depth=1
	s_or_b32 exec_lo, exec_lo, s22
	s_wait_dscnt 0x0
	s_barrier_signal -1
	s_barrier_wait -1
.LBB180_163:                            ;   in Loop: Header=BB180_6 Depth=1
	s_or_saveexec_b32 s9, s9
	v_mov_b32_e32 v20, 8
	s_mov_b32 s22, 0
	s_xor_b32 exec_lo, exec_lo, s9
; %bb.164:                              ;   in Loop: Header=BB180_6 Depth=1
	v_sub_nc_u64_e64 v[40:41], v[40:41], s[16:17]
	v_mov_b32_e32 v20, 0
	s_mov_b32 s22, exec_lo
; %bb.165:                              ;   in Loop: Header=BB180_6 Depth=1
	s_or_b32 exec_lo, exec_lo, s9
	s_delay_alu instid0(VALU_DEP_2)
	v_mov_b64_e32 v[42:43], v[40:41]
	s_and_b32 s9, s22, exec_lo
.LBB180_166:                            ;   in Loop: Header=BB180_6 Depth=1
	s_or_b32 exec_lo, exec_lo, s8
	s_mov_b32 s8, -1
                                        ; implicit-def: $sgpr74
                                        ; implicit-def: $sgpr75
	s_and_saveexec_b32 s73, s9
	s_cbranch_execz .LBB180_268
; %bb.167:                              ;   in Loop: Header=BB180_6 Depth=1
	s_delay_alu instid0(VALU_DEP_1) | instskip(SKIP_2) | instid1(SALU_CYCLE_1)
	v_cmp_eq_u64_e32 vcc_lo, 1, v[42:43]
	s_cmp_eq_u64 s[18:19], 1
                                        ; implicit-def: $sgpr75
                                        ; implicit-def: $sgpr74
	s_cselect_b32 s8, -1, 0
	s_and_b32 s77, s8, vcc_lo
	s_mov_b32 s8, -1
	s_and_saveexec_b32 s76, s77
	s_cbranch_execz .LBB180_203
; %bb.168:                              ;   in Loop: Header=BB180_6 Depth=1
	ds_load_b64 v[4:5], v21 offset:5120
	s_wait_dscnt 0x0
	s_barrier_signal -1
	s_barrier_wait -1
	v_readfirstlane_b32 s8, v4
	v_readfirstlane_b32 s9, v5
	s_and_saveexec_b32 s22, s6
; %bb.169:                              ;   in Loop: Header=BB180_6 Depth=1
	ds_store_b64 v48, v[34:35]
; %bb.170:                              ;   in Loop: Header=BB180_6 Depth=1
	s_or_b32 exec_lo, exec_lo, s22
	v_and_b32_e32 v2, s15, v15
	v_and_b32_e32 v4, s14, v14
	s_lshl_b64 s[22:23], 2, s86
	v_or_b32_e32 v13, s13, v13
	v_or_b32_e32 v12, s12, v12
	;; [unrolled: 1-line block ×4, first 2 shown]
	s_mov_b32 s74, -1
	s_mov_b32 s75, 0
	s_cmp_eq_u64 s[8:9], 0
	s_mov_b32 s24, 0
	s_mov_b32 s25, -1
	s_wait_dscnt 0x0
	s_barrier_signal -1
	s_barrier_wait -1
                                        ; implicit-def: $vgpr10_vgpr11
	s_cbranch_scc1 .LBB180_187
; %bb.171:                              ;   in Loop: Header=BB180_6 Depth=1
	s_add_nc_u64 s[22:23], s[8:9], s[52:53]
	s_delay_alu instid0(SALU_CYCLE_1) | instskip(NEXT) | instid1(SALU_CYCLE_1)
	s_and_b64 s[24:25], s[22:23], 0xffffffff00000000
	s_cmp_lg_u64 s[24:25], 0
	s_cbranch_scc0 .LBB180_220
; %bb.172:                              ;   in Loop: Header=BB180_6 Depth=1
	s_cvt_f32_u32 s24, s34
	s_sub_nc_u64 s[100:101], 0, s[34:35]
	s_delay_alu instid0(SALU_CYCLE_2) | instskip(NEXT) | instid1(SALU_CYCLE_3)
	s_fmamk_f32 s24, s88, 0x0, s24
	v_s_rcp_f32 s24, s24
	s_delay_alu instid0(TRANS32_DEP_1) | instskip(NEXT) | instid1(SALU_CYCLE_3)
	s_mul_f32 s24, s24, 0x5f7ffffc
	s_mul_f32 s25, s24, 0x2f800000
	s_delay_alu instid0(SALU_CYCLE_3) | instskip(NEXT) | instid1(SALU_CYCLE_3)
	s_trunc_f32 s25, s25
	s_fmamk_f32 s24, s25, 0xcf800000, s24
	s_cvt_u32_f32 s25, s25
	s_delay_alu instid0(SALU_CYCLE_2) | instskip(NEXT) | instid1(SALU_CYCLE_3)
	s_cvt_u32_f32 s24, s24
	s_mul_u64 s[102:103], s[100:101], s[24:25]
	s_delay_alu instid0(SALU_CYCLE_1)
	s_mul_hi_u32 vcc_hi, s24, s103
	s_mul_i32 vcc_lo, s24, s103
	s_mul_hi_u32 s26, s24, s102
	s_mul_i32 s45, s25, s102
	s_add_nc_u64 vcc, s[26:27], vcc
	s_mul_hi_u32 s44, s25, s102
	s_mul_hi_u32 s46, s25, s103
	s_add_co_u32 s26, vcc_lo, s45
	s_add_co_ci_u32 s26, vcc_hi, s44
	s_mul_i32 s102, s25, s103
	s_add_co_ci_u32 s103, s46, 0
	s_delay_alu instid0(SALU_CYCLE_1) | instskip(NEXT) | instid1(SALU_CYCLE_1)
	s_add_nc_u64 s[102:103], s[26:27], s[102:103]
	s_add_co_u32 s24, s24, s102
	s_cselect_b32 s26, -1, 0
	s_delay_alu instid0(SALU_CYCLE_1) | instskip(SKIP_1) | instid1(SALU_CYCLE_1)
	s_cmp_lg_u32 s26, 0
	s_add_co_ci_u32 s25, s25, s103
	s_mul_u64 s[100:101], s[100:101], s[24:25]
	s_delay_alu instid0(SALU_CYCLE_1)
	s_mul_hi_u32 s103, s24, s101
	s_mul_i32 s102, s24, s101
	s_mul_hi_u32 s26, s24, s100
	s_mul_i32 s45, s25, s100
	s_add_nc_u64 s[102:103], s[26:27], s[102:103]
	s_mul_hi_u32 s44, s25, s100
	s_mul_hi_u32 s46, s25, s101
	s_add_co_u32 s26, s102, s45
	s_add_co_ci_u32 s26, s103, s44
	s_mul_i32 s100, s25, s101
	s_add_co_ci_u32 s101, s46, 0
	s_delay_alu instid0(SALU_CYCLE_1) | instskip(NEXT) | instid1(SALU_CYCLE_1)
	s_add_nc_u64 s[100:101], s[26:27], s[100:101]
	s_add_co_u32 s24, s24, s100
	s_cselect_b32 s44, -1, 0
	s_mul_hi_u32 s26, s22, s24
	s_cmp_lg_u32 s44, 0
	s_mul_hi_u32 s44, s23, s24
	s_add_co_ci_u32 s45, s25, s101
	s_mul_i32 s46, s23, s24
	s_mul_hi_u32 s25, s22, s45
	s_mul_i32 s24, s22, s45
	s_mul_hi_u32 s47, s23, s45
	s_add_nc_u64 s[24:25], s[26:27], s[24:25]
	s_mul_i32 s100, s23, s45
	s_add_co_u32 s24, s24, s46
	s_add_co_ci_u32 s26, s25, s44
	s_add_co_ci_u32 s101, s47, 0
	s_delay_alu instid0(SALU_CYCLE_1) | instskip(NEXT) | instid1(SALU_CYCLE_1)
	s_add_nc_u64 s[24:25], s[26:27], s[100:101]
	s_and_b64 s[100:101], s[24:25], 0xffffffff00000000
	s_delay_alu instid0(SALU_CYCLE_1) | instskip(NEXT) | instid1(SALU_CYCLE_1)
	s_or_b32 s100, s100, s24
	s_mul_u64 s[24:25], s[34:35], s[100:101]
	s_delay_alu instid0(SALU_CYCLE_1) | instskip(SKIP_1) | instid1(SALU_CYCLE_1)
	s_sub_co_u32 s24, s22, s24
	s_cselect_b32 s26, -1, 0
	s_cmp_lg_u32 s26, 0
	s_sub_co_ci_u32 s25, s23, s25
	s_sub_co_u32 s26, s24, s34
	s_cselect_b32 s44, -1, 0
	s_delay_alu instid0(SALU_CYCLE_1) | instskip(SKIP_3) | instid1(SALU_CYCLE_1)
	s_cmp_lg_u32 s44, 0
	s_sub_co_ci_u32 s44, s25, 0
	s_sub_co_u32 s45, s26, s34
	s_cselect_b32 s46, -1, 0
	s_cmp_lg_u32 s46, 0
	s_sub_co_ci_u32 s46, s44, 0
	s_cmp_ge_u32 s26, s34
	s_cselect_b32 s47, -1, 0
	s_cmp_eq_u32 s44, 0
	s_cselect_b32 s47, s47, -1
	s_delay_alu instid0(SALU_CYCLE_1)
	s_cmp_lg_u32 s47, 0
	s_cselect_b32 s44, s46, s44
	s_cselect_b32 s26, s45, s26
	s_cmp_ge_u32 s24, s34
	s_cselect_b32 s45, -1, 0
	s_cmp_eq_u32 s25, 0
	s_cselect_b32 s45, s45, -1
	s_delay_alu instid0(SALU_CYCLE_1)
	s_cmp_lg_u32 s45, 0
	s_cselect_b32 s25, s44, s25
	s_cselect_b32 s24, s26, s24
	s_cbranch_execnz .LBB180_174
.LBB180_173:                            ;   in Loop: Header=BB180_6 Depth=1
	v_cvt_f32_u32_e32 v2, s34
	s_sub_co_i32 s25, 0, s34
	s_delay_alu instid0(VALU_DEP_1) | instskip(SKIP_1) | instid1(TRANS32_DEP_1)
	v_rcp_iflag_f32_e32 v2, v2
	v_nop
	v_mul_f32_e32 v2, 0x4f7ffffe, v2
	s_delay_alu instid0(VALU_DEP_1) | instskip(NEXT) | instid1(VALU_DEP_1)
	v_cvt_u32_f32_e32 v2, v2
	v_readfirstlane_b32 s24, v2
	s_mul_i32 s25, s25, s24
	s_delay_alu instid0(SALU_CYCLE_1) | instskip(NEXT) | instid1(SALU_CYCLE_1)
	s_mul_hi_u32 s25, s24, s25
	s_add_co_i32 s24, s24, s25
	s_delay_alu instid0(SALU_CYCLE_1) | instskip(NEXT) | instid1(SALU_CYCLE_1)
	s_mul_hi_u32 s24, s22, s24
	s_mul_i32 s24, s24, s34
	s_delay_alu instid0(SALU_CYCLE_1) | instskip(NEXT) | instid1(SALU_CYCLE_1)
	s_sub_co_i32 s24, s22, s24
	s_sub_co_i32 s25, s24, s34
	s_cmp_ge_u32 s24, s34
	s_cselect_b32 s24, s25, s24
	s_delay_alu instid0(SALU_CYCLE_1) | instskip(SKIP_2) | instid1(SALU_CYCLE_1)
	s_sub_co_i32 s25, s24, s34
	s_cmp_ge_u32 s24, s34
	s_cselect_b32 s26, s25, s24
	s_mov_b64 s[24:25], s[26:27]
.LBB180_174:                            ;   in Loop: Header=BB180_6 Depth=1
	s_delay_alu instid0(SALU_CYCLE_1)
	s_sub_nc_u64 s[22:23], s[22:23], s[24:25]
	s_mov_b32 s25, 0
	s_mov_b32 s24, 0
	s_mov_b32 s26, exec_lo
                                        ; implicit-def: $vgpr10_vgpr11
	v_cmpx_gt_u64_e64 s[22:23], v[0:1]
	s_cbranch_execz .LBB180_186
; %bb.175:                              ;   in Loop: Header=BB180_6 Depth=1
	v_mov_b64_e32 v[40:41], v[0:1]
	v_mov_b32_e32 v44, v47
                                        ; implicit-def: $sgpr100
	s_branch .LBB180_179
.LBB180_176:                            ;   in Loop: Header=BB180_179 Depth=2
	s_or_b32 exec_lo, exec_lo, s101
	s_wait_dscnt 0x0
	s_barrier_signal -1
	s_barrier_wait -1
	ds_load_b128 v[8:11], v21 offset:3072
	s_wait_dscnt 0x0
	s_barrier_signal -1
	s_barrier_wait -1
	v_cmp_neq_f64_e32 vcc_lo, 0, v[8:9]
	s_cbranch_vccnz .LBB180_182
; %bb.177:                              ;   in Loop: Header=BB180_179 Depth=2
	v_add_nc_u64_e32 v[40:41], s[34:35], v[40:41]
	v_add_nc_u32_e32 v44, s85, v44
	s_mov_b32 s101, 0
	s_delay_alu instid0(VALU_DEP_2)
	v_cmp_le_u64_e32 vcc_lo, s[22:23], v[40:41]
	s_or_not1_b32 s102, vcc_lo, exec_lo
.LBB180_178:                            ;   in Loop: Header=BB180_179 Depth=2
	s_delay_alu instid0(SALU_CYCLE_1) | instskip(NEXT) | instid1(SALU_CYCLE_1)
	s_and_b32 s44, exec_lo, s102
	s_or_b32 s24, s44, s24
	s_and_not1_b32 s44, s100, exec_lo
	s_and_b32 s45, s101, exec_lo
	s_delay_alu instid0(SALU_CYCLE_1)
	s_or_b32 s100, s44, s45
	s_and_not1_b32 exec_lo, exec_lo, s24
	s_cbranch_execz .LBB180_185
.LBB180_179:                            ;   Parent Loop BB180_6 Depth=1
                                        ; =>  This Inner Loop Header: Depth=2
	s_mov_b32 s101, exec_lo
	s_delay_alu instid0(VALU_DEP_2)
	v_cmpx_gt_u64_e64 s[8:9], v[40:41]
	s_cbranch_execz .LBB180_176
; %bb.180:                              ;   in Loop: Header=BB180_179 Depth=2
	ds_load_b64 v[4:5], v44
	s_wait_dscnt 0x0
	v_cmp_o_f64_e32 vcc_lo, v[4:5], v[4:5]
	v_ashrrev_i32_e32 v2, 31, v5
	s_delay_alu instid0(VALU_DEP_1) | instskip(NEXT) | instid1(VALU_DEP_1)
	v_or_b32_e32 v8, 0x80000000, v2
	v_xor_b32_e32 v8, v8, v5
	v_xor_b32_e32 v2, v2, v4
	s_delay_alu instid0(VALU_DEP_1) | instskip(NEXT) | instid1(VALU_DEP_1)
	v_dual_cndmask_b32 v8, -1, v8, vcc_lo :: v_dual_cndmask_b32 v2, -1, v2, vcc_lo
	v_and_b32_e32 v9, v8, v13
	s_delay_alu instid0(VALU_DEP_2) | instskip(NEXT) | instid1(VALU_DEP_1)
	v_and_b32_e32 v8, v2, v12
	v_cmp_eq_u64_e32 vcc_lo, v[8:9], v[14:15]
	s_and_b32 exec_lo, exec_lo, vcc_lo
	s_cbranch_execz .LBB180_176
; %bb.181:                              ;   in Loop: Header=BB180_179 Depth=2
	v_mov_b32_e32 v2, v21
	ds_store_b128 v21, v[2:5] offset:3072
	s_branch .LBB180_176
.LBB180_182:                            ;   in Loop: Header=BB180_179 Depth=2
	s_mov_b32 s102, -1
	s_mov_b32 s101, -1
                                        ; implicit-def: $vgpr40_vgpr41
                                        ; implicit-def: $vgpr44
	s_branch .LBB180_178
.LBB180_183:                            ;   in Loop: Header=BB180_6 Depth=1
                                        ; implicit-def: $sgpr24_sgpr25
	s_branch .LBB180_126
.LBB180_184:                            ;   in Loop: Header=BB180_6 Depth=1
                                        ; implicit-def: $sgpr8_sgpr9
	s_branch .LBB180_143
.LBB180_185:                            ;   in Loop: Header=BB180_6 Depth=1
	s_or_b32 exec_lo, exec_lo, s24
	s_delay_alu instid0(SALU_CYCLE_1)
	s_and_b32 s24, s100, exec_lo
.LBB180_186:                            ;   in Loop: Header=BB180_6 Depth=1
	s_or_b32 exec_lo, exec_lo, s26
.LBB180_187:                            ;   in Loop: Header=BB180_6 Depth=1
	s_delay_alu instid0(SALU_CYCLE_1)
	s_and_b32 vcc_lo, exec_lo, s25
	s_cbranch_vccz .LBB180_202
; %bb.188:                              ;   in Loop: Header=BB180_6 Depth=1
	s_and_b64 s[8:9], s[54:55], 0xffffffff00000000
	s_delay_alu instid0(SALU_CYCLE_1)
	s_cmp_lg_u64 s[8:9], 0
	s_cbranch_scc0 .LBB180_221
; %bb.189:                              ;   in Loop: Header=BB180_6 Depth=1
	s_cvt_f32_u32 s8, s34
	s_sub_nc_u64 s[22:23], 0, s[34:35]
	s_delay_alu instid0(SALU_CYCLE_2) | instskip(NEXT) | instid1(SALU_CYCLE_3)
	s_fmamk_f32 s8, s88, 0x0, s8
	v_s_rcp_f32 s8, s8
	s_delay_alu instid0(TRANS32_DEP_1) | instskip(NEXT) | instid1(SALU_CYCLE_3)
	s_mul_f32 s8, s8, 0x5f7ffffc
	s_mul_f32 s9, s8, 0x2f800000
	s_delay_alu instid0(SALU_CYCLE_3) | instskip(NEXT) | instid1(SALU_CYCLE_3)
	s_trunc_f32 s9, s9
	s_fmamk_f32 s8, s9, 0xcf800000, s8
	s_cvt_u32_f32 s9, s9
	s_delay_alu instid0(SALU_CYCLE_2) | instskip(NEXT) | instid1(SALU_CYCLE_3)
	s_cvt_u32_f32 s8, s8
	s_mul_u64 s[74:75], s[22:23], s[8:9]
	s_delay_alu instid0(SALU_CYCLE_1)
	s_mul_hi_u32 s101, s8, s75
	s_mul_i32 s100, s8, s75
	s_mul_hi_u32 s26, s8, s74
	s_mul_i32 s44, s9, s74
	s_add_nc_u64 s[100:101], s[26:27], s[100:101]
	s_mul_hi_u32 s25, s9, s74
	s_mul_hi_u32 s45, s9, s75
	s_add_co_u32 s26, s100, s44
	s_add_co_ci_u32 s26, s101, s25
	s_mul_i32 s74, s9, s75
	s_add_co_ci_u32 s75, s45, 0
	s_delay_alu instid0(SALU_CYCLE_1) | instskip(NEXT) | instid1(SALU_CYCLE_1)
	s_add_nc_u64 s[74:75], s[26:27], s[74:75]
	s_add_co_u32 s8, s8, s74
	s_cselect_b32 s25, -1, 0
	s_delay_alu instid0(SALU_CYCLE_1) | instskip(SKIP_1) | instid1(SALU_CYCLE_1)
	s_cmp_lg_u32 s25, 0
	s_add_co_ci_u32 s9, s9, s75
	s_mul_u64 s[22:23], s[22:23], s[8:9]
	s_delay_alu instid0(SALU_CYCLE_1)
	s_mul_hi_u32 s75, s8, s23
	s_mul_i32 s74, s8, s23
	s_mul_hi_u32 s26, s8, s22
	s_mul_i32 s44, s9, s22
	s_add_nc_u64 s[74:75], s[26:27], s[74:75]
	s_mul_hi_u32 s25, s9, s22
	s_mul_hi_u32 s45, s9, s23
	s_mul_i32 s22, s9, s23
	s_add_co_u32 s23, s74, s44
	s_add_co_ci_u32 s26, s75, s25
	s_add_co_ci_u32 s23, s45, 0
	s_delay_alu instid0(SALU_CYCLE_1) | instskip(NEXT) | instid1(SALU_CYCLE_1)
	s_add_nc_u64 s[22:23], s[26:27], s[22:23]
	s_add_co_u32 s8, s8, s22
	s_cselect_b32 s22, -1, 0
	s_mul_hi_u32 s26, s54, s8
	s_cmp_lg_u32 s22, 0
	s_mul_hi_u32 s25, s55, s8
	s_add_co_ci_u32 s22, s9, s23
	s_mul_i32 s23, s55, s8
	s_mul_hi_u32 s9, s54, s22
	s_mul_i32 s8, s54, s22
	s_mul_hi_u32 s44, s55, s22
	s_add_nc_u64 s[8:9], s[26:27], s[8:9]
	s_mul_i32 s22, s55, s22
	s_add_co_u32 s8, s8, s23
	s_add_co_ci_u32 s26, s9, s25
	s_add_co_ci_u32 s23, s44, 0
	s_delay_alu instid0(SALU_CYCLE_1) | instskip(NEXT) | instid1(SALU_CYCLE_1)
	s_add_nc_u64 s[8:9], s[26:27], s[22:23]
	s_and_b64 s[22:23], s[8:9], 0xffffffff00000000
	s_delay_alu instid0(SALU_CYCLE_1) | instskip(NEXT) | instid1(SALU_CYCLE_1)
	s_or_b32 s22, s22, s8
	s_mul_u64 s[8:9], s[34:35], s[22:23]
	s_delay_alu instid0(SALU_CYCLE_1) | instskip(SKIP_1) | instid1(SALU_CYCLE_1)
	s_sub_co_u32 s8, s54, s8
	s_cselect_b32 s22, -1, 0
	s_cmp_lg_u32 s22, 0
	s_sub_co_ci_u32 s9, s55, s9
	s_sub_co_u32 s22, s8, s34
	s_cselect_b32 s23, -1, 0
	s_delay_alu instid0(SALU_CYCLE_1) | instskip(SKIP_3) | instid1(SALU_CYCLE_1)
	s_cmp_lg_u32 s23, 0
	s_sub_co_ci_u32 s23, s9, 0
	s_sub_co_u32 s25, s22, s34
	s_cselect_b32 s26, -1, 0
	s_cmp_lg_u32 s26, 0
	s_sub_co_ci_u32 s26, s23, 0
	s_cmp_ge_u32 s22, s34
	s_cselect_b32 s44, -1, 0
	s_cmp_eq_u32 s23, 0
	s_cselect_b32 s44, s44, -1
	s_delay_alu instid0(SALU_CYCLE_1)
	s_cmp_lg_u32 s44, 0
	s_cselect_b32 s23, s26, s23
	s_cselect_b32 s22, s25, s22
	s_cmp_ge_u32 s8, s34
	s_cselect_b32 s25, -1, 0
	s_cmp_eq_u32 s9, 0
	s_cselect_b32 s25, s25, -1
	s_delay_alu instid0(SALU_CYCLE_1)
	s_cmp_lg_u32 s25, 0
	s_cselect_b32 s9, s23, s9
	s_cselect_b32 s8, s22, s8
	s_cbranch_execnz .LBB180_191
.LBB180_190:                            ;   in Loop: Header=BB180_6 Depth=1
	v_cvt_f32_u32_e32 v2, s34
	s_sub_co_i32 s9, 0, s34
	s_delay_alu instid0(VALU_DEP_1) | instskip(SKIP_1) | instid1(TRANS32_DEP_1)
	v_rcp_iflag_f32_e32 v2, v2
	v_nop
	v_mul_f32_e32 v2, 0x4f7ffffe, v2
	s_delay_alu instid0(VALU_DEP_1) | instskip(NEXT) | instid1(VALU_DEP_1)
	v_cvt_u32_f32_e32 v2, v2
	v_readfirstlane_b32 s8, v2
	s_mul_i32 s9, s9, s8
	s_delay_alu instid0(SALU_CYCLE_1) | instskip(NEXT) | instid1(SALU_CYCLE_1)
	s_mul_hi_u32 s9, s8, s9
	s_add_co_i32 s8, s8, s9
	s_delay_alu instid0(SALU_CYCLE_1) | instskip(NEXT) | instid1(SALU_CYCLE_1)
	s_mul_hi_u32 s8, s54, s8
	s_mul_i32 s8, s8, s34
	s_delay_alu instid0(SALU_CYCLE_1) | instskip(NEXT) | instid1(SALU_CYCLE_1)
	s_sub_co_i32 s8, s54, s8
	s_sub_co_i32 s9, s8, s34
	s_cmp_ge_u32 s8, s34
	s_cselect_b32 s8, s9, s8
	s_delay_alu instid0(SALU_CYCLE_1) | instskip(SKIP_2) | instid1(SALU_CYCLE_1)
	s_sub_co_i32 s9, s8, s34
	s_cmp_ge_u32 s8, s34
	s_cselect_b32 s26, s9, s8
	s_mov_b64 s[8:9], s[26:27]
.LBB180_191:                            ;   in Loop: Header=BB180_6 Depth=1
	s_delay_alu instid0(SALU_CYCLE_1)
	s_sub_nc_u64 s[8:9], s[54:55], s[8:9]
	s_mov_b32 s22, exec_lo
                                        ; implicit-def: $vgpr10_vgpr11
	v_nop
	v_cmpx_gt_u64_e64 s[8:9], v[0:1]
	s_cbranch_execz .LBB180_201
; %bb.192:                              ;   in Loop: Header=BB180_6 Depth=1
	v_mov_b64_e32 v[40:41], v[18:19]
	v_mov_b64_e32 v[44:45], v[0:1]
	s_mov_b32 s23, 0
                                        ; implicit-def: $sgpr25
	s_branch .LBB180_196
.LBB180_193:                            ;   in Loop: Header=BB180_196 Depth=2
	s_or_b32 exec_lo, exec_lo, s26
	s_wait_dscnt 0x0
	s_barrier_signal -1
	s_barrier_wait -1
	ds_load_b128 v[8:11], v21 offset:3072
	s_wait_dscnt 0x0
	s_barrier_signal -1
	s_barrier_wait -1
	v_cmp_eq_f64_e32 vcc_lo, 0, v[8:9]
	s_cbranch_vccz .LBB180_199
; %bb.194:                              ;   in Loop: Header=BB180_196 Depth=2
	v_add_nc_u64_e32 v[44:45], s[34:35], v[44:45]
	v_add_nc_u64_e32 v[40:41], s[36:37], v[40:41]
	s_mov_b32 s26, 0
	s_delay_alu instid0(VALU_DEP_2)
	v_cmp_le_u64_e32 vcc_lo, s[8:9], v[44:45]
	s_or_not1_b32 s74, vcc_lo, exec_lo
.LBB180_195:                            ;   in Loop: Header=BB180_196 Depth=2
	s_delay_alu instid0(SALU_CYCLE_1) | instskip(NEXT) | instid1(SALU_CYCLE_1)
	s_and_b32 s44, exec_lo, s74
	s_or_b32 s23, s44, s23
	s_and_not1_b32 s25, s25, exec_lo
	s_and_b32 s26, s26, exec_lo
	s_delay_alu instid0(SALU_CYCLE_1)
	s_or_b32 s25, s25, s26
	s_and_not1_b32 exec_lo, exec_lo, s23
	s_cbranch_execz .LBB180_200
.LBB180_196:                            ;   Parent Loop BB180_6 Depth=1
                                        ; =>  This Inner Loop Header: Depth=2
	s_mov_b32 s26, exec_lo
	s_delay_alu instid0(VALU_DEP_1)
	v_cmpx_gt_u64_e64 s[28:29], v[44:45]
	s_cbranch_execz .LBB180_193
; %bb.197:                              ;   in Loop: Header=BB180_196 Depth=2
	global_load_b64 v[4:5], v[40:41], off
	s_wait_loadcnt 0x0
	v_cmp_o_f64_e32 vcc_lo, v[4:5], v[4:5]
	v_ashrrev_i32_e32 v2, 31, v5
	s_delay_alu instid0(VALU_DEP_1) | instskip(NEXT) | instid1(VALU_DEP_1)
	v_or_b32_e32 v8, 0x80000000, v2
	v_xor_b32_e32 v8, v8, v5
	v_xor_b32_e32 v2, v2, v4
	s_delay_alu instid0(VALU_DEP_1) | instskip(NEXT) | instid1(VALU_DEP_1)
	v_dual_cndmask_b32 v8, -1, v8, vcc_lo :: v_dual_cndmask_b32 v2, -1, v2, vcc_lo
	v_and_b32_e32 v9, v8, v13
	s_delay_alu instid0(VALU_DEP_2) | instskip(NEXT) | instid1(VALU_DEP_1)
	v_and_b32_e32 v8, v2, v12
	v_cmp_eq_u64_e32 vcc_lo, v[8:9], v[14:15]
	s_and_b32 exec_lo, exec_lo, vcc_lo
	s_cbranch_execz .LBB180_193
; %bb.198:                              ;   in Loop: Header=BB180_196 Depth=2
	v_mov_b32_e32 v2, v21
	ds_store_b128 v21, v[2:5] offset:3072
	s_branch .LBB180_193
.LBB180_199:                            ;   in Loop: Header=BB180_196 Depth=2
	s_mov_b32 s74, -1
	s_mov_b32 s26, -1
                                        ; implicit-def: $vgpr44_vgpr45
                                        ; implicit-def: $vgpr40_vgpr41
	s_branch .LBB180_195
.LBB180_200:                            ;   in Loop: Header=BB180_6 Depth=1
	s_or_b32 exec_lo, exec_lo, s23
	s_delay_alu instid0(SALU_CYCLE_1) | instskip(SKIP_1) | instid1(SALU_CYCLE_1)
	s_and_not1_b32 s8, s24, exec_lo
	s_and_b32 s9, s25, exec_lo
	s_or_b32 s24, s8, s9
.LBB180_201:                            ;   in Loop: Header=BB180_6 Depth=1
	s_or_b32 exec_lo, exec_lo, s22
	s_mov_b32 s74, 0
	s_mov_b32 s75, -1
.LBB180_202:                            ;   in Loop: Header=BB180_6 Depth=1
	s_or_not1_b32 s8, s24, exec_lo
.LBB180_203:                            ;   in Loop: Header=BB180_6 Depth=1
	s_or_b32 exec_lo, exec_lo, s76
	s_mov_b32 s9, 0
	s_and_saveexec_b32 s76, s8
	s_cbranch_execz .LBB180_267
; %bb.204:                              ;   in Loop: Header=BB180_6 Depth=1
	v_mov_b64_e32 v[40:41], 1
	v_mov_b32_e32 v20, 1
	s_xor_b32 s22, s77, -1
	s_delay_alu instid0(SALU_CYCLE_1)
	s_and_saveexec_b32 s8, s22
	s_cbranch_execz .LBB180_213
; %bb.205:                              ;   in Loop: Header=BB180_6 Depth=1
	s_mov_b32 s9, exec_lo
	v_cmpx_ge_u64_e64 s[18:19], v[42:43]
	s_xor_b32 s9, exec_lo, s9
	s_cbranch_execz .LBB180_210
; %bb.206:                              ;   in Loop: Header=BB180_6 Depth=1
	ds_load_b64 v[4:5], v21 offset:5120
	v_and_b32_e32 v2, s15, v15
	v_and_b32_e32 v8, s14, v14
	s_lshl_b64 s[22:23], 2, s86
	v_or_b32_e32 v13, s13, v13
	v_or_b32_e32 v12, s12, v12
	;; [unrolled: 1-line block ×4, first 2 shown]
	s_wait_dscnt 0x0
	v_cmp_ne_u64_e32 vcc_lo, 0, v[4:5]
	s_cbranch_vccnz .LBB180_210
; %bb.207:                              ;   in Loop: Header=BB180_6 Depth=1
	s_and_saveexec_b32 s22, s5
; %bb.208:                              ;   in Loop: Header=BB180_6 Depth=1
	v_mov_b64_e32 v[4:5], s[18:19]
	ds_store_b64 v21, v[4:5] offset:5128
; %bb.209:                              ;   in Loop: Header=BB180_6 Depth=1
	s_or_b32 exec_lo, exec_lo, s22
	s_wait_dscnt 0x0
	s_barrier_signal -1
	s_barrier_wait -1
.LBB180_210:                            ;   in Loop: Header=BB180_6 Depth=1
	s_or_saveexec_b32 s9, s9
	v_mov_b32_e32 v20, 8
	s_mov_b32 s22, 0
	s_xor_b32 exec_lo, exec_lo, s9
; %bb.211:                              ;   in Loop: Header=BB180_6 Depth=1
	v_sub_nc_u64_e64 v[42:43], v[42:43], s[18:19]
	v_mov_b32_e32 v20, 0
	s_mov_b32 s22, exec_lo
; %bb.212:                              ;   in Loop: Header=BB180_6 Depth=1
	s_or_b32 exec_lo, exec_lo, s9
	s_delay_alu instid0(VALU_DEP_2)
	v_mov_b64_e32 v[40:41], v[42:43]
	s_and_b32 s9, s22, exec_lo
.LBB180_213:                            ;   in Loop: Header=BB180_6 Depth=1
	s_or_b32 exec_lo, exec_lo, s8
	s_mov_b32 s8, -1
                                        ; implicit-def: $sgpr103
                                        ; implicit-def: $sgpr102
	s_and_saveexec_b32 s77, s9
	s_cbranch_execz .LBB180_266
; %bb.214:                              ;   in Loop: Header=BB180_6 Depth=1
	s_delay_alu instid0(VALU_DEP_1) | instskip(SKIP_3) | instid1(SALU_CYCLE_1)
	v_cmp_eq_u64_e32 vcc_lo, 1, v[40:41]
	s_cmp_eq_u64 s[20:21], 1
	s_mov_b32 s9, -1
	s_cselect_b32 s8, -1, 0
                                        ; implicit-def: $sgpr103
                                        ; implicit-def: $sgpr102
	s_and_b32 s100, s8, vcc_lo
	s_delay_alu instid0(SALU_CYCLE_1)
	s_and_saveexec_b32 s101, s100
	s_cbranch_execz .LBB180_254
; %bb.215:                              ;   in Loop: Header=BB180_6 Depth=1
	ds_load_b64 v[4:5], v21 offset:5120
	s_wait_dscnt 0x0
	s_barrier_signal -1
	s_barrier_wait -1
	v_readfirstlane_b32 s8, v4
	v_readfirstlane_b32 s9, v5
	s_and_saveexec_b32 s22, s6
; %bb.216:                              ;   in Loop: Header=BB180_6 Depth=1
	ds_store_b64 v48, v[34:35]
; %bb.217:                              ;   in Loop: Header=BB180_6 Depth=1
	s_or_b32 exec_lo, exec_lo, s22
	v_or_b32_e32 v15, s13, v15
	v_or_b32_e32 v14, s12, v14
	;; [unrolled: 1-line block ×4, first 2 shown]
	s_mov_b32 s102, -1
	s_mov_b32 s103, 0
	s_cmp_eq_u64 s[8:9], 0
	s_mov_b32 s24, 0
	s_mov_b32 s25, -1
	s_wait_dscnt 0x0
	s_barrier_signal -1
	s_barrier_wait -1
                                        ; implicit-def: $vgpr10_vgpr11
	s_cbranch_scc1 .LBB180_236
; %bb.218:                              ;   in Loop: Header=BB180_6 Depth=1
	s_add_nc_u64 s[22:23], s[8:9], s[52:53]
	s_delay_alu instid0(SALU_CYCLE_1) | instskip(NEXT) | instid1(SALU_CYCLE_1)
	s_and_b64 s[24:25], s[22:23], 0xffffffff00000000
	s_cmp_lg_u64 s[24:25], 0
	s_cbranch_scc0 .LBB180_222
; %bb.219:                              ;   in Loop: Header=BB180_6 Depth=1
	s_cvt_f32_u32 s24, s34
	s_sub_nc_u64 vcc, 0, s[34:35]
	s_delay_alu instid0(SALU_CYCLE_2) | instskip(NEXT) | instid1(SALU_CYCLE_3)
	s_fmamk_f32 s24, s88, 0x0, s24
	v_s_rcp_f32 s24, s24
	s_delay_alu instid0(TRANS32_DEP_1) | instskip(NEXT) | instid1(SALU_CYCLE_3)
	s_mul_f32 s24, s24, 0x5f7ffffc
	s_mul_f32 s25, s24, 0x2f800000
	s_delay_alu instid0(SALU_CYCLE_3) | instskip(NEXT) | instid1(SALU_CYCLE_3)
	s_trunc_f32 s25, s25
	s_fmamk_f32 s24, s25, 0xcf800000, s24
	s_cvt_u32_f32 s25, s25
	s_delay_alu instid0(SALU_CYCLE_2) | instskip(NEXT) | instid1(SALU_CYCLE_3)
	s_cvt_u32_f32 s24, s24
	s_mul_u64 s[44:45], vcc, s[24:25]
	s_delay_alu instid0(SALU_CYCLE_1)
	s_mul_hi_u32 s47, s24, s45
	s_mul_i32 s46, s24, s45
	s_mul_hi_u32 s26, s24, s44
	s_mul_i32 s48, s25, s44
	s_add_nc_u64 s[46:47], s[26:27], s[46:47]
	s_mul_hi_u32 s104, s25, s44
	s_mul_hi_u32 s49, s25, s45
	s_add_co_u32 s26, s46, s48
	s_add_co_ci_u32 s26, s47, s104
	s_mul_i32 s44, s25, s45
	s_add_co_ci_u32 s45, s49, 0
	s_delay_alu instid0(SALU_CYCLE_1) | instskip(NEXT) | instid1(SALU_CYCLE_1)
	s_add_nc_u64 s[44:45], s[26:27], s[44:45]
	s_add_co_u32 s24, s24, s44
	s_cselect_b32 s26, -1, 0
	s_delay_alu instid0(SALU_CYCLE_1) | instskip(SKIP_1) | instid1(SALU_CYCLE_1)
	s_cmp_lg_u32 s26, 0
	s_add_co_ci_u32 s25, s25, s45
	s_mul_u64 s[44:45], vcc, s[24:25]
	s_delay_alu instid0(SALU_CYCLE_1)
	s_mul_hi_u32 s47, s24, s45
	s_mul_i32 s46, s24, s45
	s_mul_hi_u32 s26, s24, s44
	s_mul_i32 s49, s25, s44
	s_add_nc_u64 s[46:47], s[26:27], s[46:47]
	s_mul_hi_u32 s48, s25, s44
	s_mul_hi_u32 s104, s25, s45
	s_add_co_u32 s26, s46, s49
	s_add_co_ci_u32 s26, s47, s48
	s_mul_i32 s44, s25, s45
	s_add_co_ci_u32 s45, s104, 0
	s_delay_alu instid0(SALU_CYCLE_1) | instskip(NEXT) | instid1(SALU_CYCLE_1)
	s_add_nc_u64 s[44:45], s[26:27], s[44:45]
	s_add_co_u32 s24, s24, s44
	s_cselect_b32 s44, -1, 0
	s_mul_hi_u32 s26, s22, s24
	s_cmp_lg_u32 s44, 0
	s_mul_hi_u32 s46, s23, s24
	s_add_co_ci_u32 s44, s25, s45
	s_mul_i32 s45, s23, s24
	s_mul_hi_u32 s25, s22, s44
	s_mul_i32 s24, s22, s44
	s_mul_hi_u32 s47, s23, s44
	s_add_nc_u64 s[24:25], s[26:27], s[24:25]
	s_mul_i32 s44, s23, s44
	s_add_co_u32 s24, s24, s45
	s_add_co_ci_u32 s26, s25, s46
	s_add_co_ci_u32 s45, s47, 0
	s_delay_alu instid0(SALU_CYCLE_1) | instskip(NEXT) | instid1(SALU_CYCLE_1)
	s_add_nc_u64 s[24:25], s[26:27], s[44:45]
	s_and_b64 s[44:45], s[24:25], 0xffffffff00000000
	s_delay_alu instid0(SALU_CYCLE_1) | instskip(NEXT) | instid1(SALU_CYCLE_1)
	s_or_b32 s44, s44, s24
	s_mul_u64 s[24:25], s[34:35], s[44:45]
	s_delay_alu instid0(SALU_CYCLE_1) | instskip(SKIP_1) | instid1(SALU_CYCLE_1)
	s_sub_co_u32 s24, s22, s24
	s_cselect_b32 s26, -1, 0
	s_cmp_lg_u32 s26, 0
	s_sub_co_ci_u32 s25, s23, s25
	s_sub_co_u32 s26, s24, s34
	s_cselect_b32 s44, -1, 0
	s_delay_alu instid0(SALU_CYCLE_1) | instskip(SKIP_3) | instid1(SALU_CYCLE_1)
	s_cmp_lg_u32 s44, 0
	s_sub_co_ci_u32 s44, s25, 0
	s_sub_co_u32 s45, s26, s34
	s_cselect_b32 s46, -1, 0
	s_cmp_lg_u32 s46, 0
	s_sub_co_ci_u32 s46, s44, 0
	s_cmp_ge_u32 s26, s34
	s_cselect_b32 s47, -1, 0
	s_cmp_eq_u32 s44, 0
	s_cselect_b32 s47, s47, -1
	s_delay_alu instid0(SALU_CYCLE_1)
	s_cmp_lg_u32 s47, 0
	s_cselect_b32 s44, s46, s44
	s_cselect_b32 s26, s45, s26
	s_cmp_ge_u32 s24, s34
	s_cselect_b32 s45, -1, 0
	s_cmp_eq_u32 s25, 0
	s_cselect_b32 s45, s45, -1
	s_delay_alu instid0(SALU_CYCLE_1)
	s_cmp_lg_u32 s45, 0
	s_cselect_b32 s25, s44, s25
	s_cselect_b32 s24, s26, s24
	s_mov_b32 s26, 0
	s_branch .LBB180_223
.LBB180_220:                            ;   in Loop: Header=BB180_6 Depth=1
                                        ; implicit-def: $sgpr24_sgpr25
	s_branch .LBB180_173
.LBB180_221:                            ;   in Loop: Header=BB180_6 Depth=1
                                        ; implicit-def: $sgpr8_sgpr9
	s_branch .LBB180_190
.LBB180_222:                            ;   in Loop: Header=BB180_6 Depth=1
	s_mov_b32 s26, -1
                                        ; implicit-def: $sgpr24_sgpr25
.LBB180_223:                            ;   in Loop: Header=BB180_6 Depth=1
	s_delay_alu instid0(SALU_CYCLE_1)
	s_and_not1_b32 vcc_lo, exec_lo, s26
	s_cbranch_vccnz .LBB180_225
; %bb.224:                              ;   in Loop: Header=BB180_6 Depth=1
	v_cvt_f32_u32_e32 v2, s34
	s_sub_co_i32 s25, 0, s34
	s_delay_alu instid0(VALU_DEP_1) | instskip(SKIP_1) | instid1(TRANS32_DEP_1)
	v_rcp_iflag_f32_e32 v2, v2
	v_nop
	v_mul_f32_e32 v2, 0x4f7ffffe, v2
	s_delay_alu instid0(VALU_DEP_1) | instskip(NEXT) | instid1(VALU_DEP_1)
	v_cvt_u32_f32_e32 v2, v2
	v_readfirstlane_b32 s24, v2
	s_mul_i32 s25, s25, s24
	s_delay_alu instid0(SALU_CYCLE_1) | instskip(NEXT) | instid1(SALU_CYCLE_1)
	s_mul_hi_u32 s25, s24, s25
	s_add_co_i32 s24, s24, s25
	s_delay_alu instid0(SALU_CYCLE_1) | instskip(NEXT) | instid1(SALU_CYCLE_1)
	s_mul_hi_u32 s24, s22, s24
	s_mul_i32 s24, s24, s34
	s_delay_alu instid0(SALU_CYCLE_1) | instskip(NEXT) | instid1(SALU_CYCLE_1)
	s_sub_co_i32 s24, s22, s24
	s_sub_co_i32 s25, s24, s34
	s_cmp_ge_u32 s24, s34
	s_cselect_b32 s24, s25, s24
	s_delay_alu instid0(SALU_CYCLE_1) | instskip(SKIP_2) | instid1(SALU_CYCLE_1)
	s_sub_co_i32 s25, s24, s34
	s_cmp_ge_u32 s24, s34
	s_cselect_b32 s26, s25, s24
	s_mov_b64 s[24:25], s[26:27]
.LBB180_225:                            ;   in Loop: Header=BB180_6 Depth=1
	s_delay_alu instid0(SALU_CYCLE_1)
	s_sub_nc_u64 s[22:23], s[22:23], s[24:25]
	s_mov_b32 s25, 0
	s_mov_b32 s24, 0
	s_mov_b32 s26, exec_lo
                                        ; implicit-def: $vgpr10_vgpr11
	v_cmpx_gt_u64_e64 s[22:23], v[0:1]
	s_cbranch_execz .LBB180_235
; %bb.226:                              ;   in Loop: Header=BB180_6 Depth=1
	v_mov_b64_e32 v[42:43], v[0:1]
	v_mov_b32_e32 v44, v47
                                        ; implicit-def: $sgpr104
	s_branch .LBB180_230
.LBB180_227:                            ;   in Loop: Header=BB180_230 Depth=2
	s_or_b32 exec_lo, exec_lo, vcc_hi
	s_wait_dscnt 0x0
	s_barrier_signal -1
	s_barrier_wait -1
	ds_load_b128 v[8:11], v21 offset:3072
	s_wait_dscnt 0x0
	s_barrier_signal -1
	s_barrier_wait -1
	v_cmp_neq_f64_e32 vcc_lo, 0, v[8:9]
	s_cbranch_vccnz .LBB180_233
; %bb.228:                              ;   in Loop: Header=BB180_230 Depth=2
	v_add_nc_u64_e32 v[42:43], s[34:35], v[42:43]
	v_add_nc_u32_e32 v44, s85, v44
	s_mov_b32 vcc_hi, 0
	s_delay_alu instid0(VALU_DEP_2)
	v_cmp_le_u64_e32 vcc_lo, s[22:23], v[42:43]
	s_or_not1_b32 vcc_lo, vcc_lo, exec_lo
.LBB180_229:                            ;   in Loop: Header=BB180_230 Depth=2
	s_delay_alu instid0(SALU_CYCLE_1) | instskip(NEXT) | instid1(SALU_CYCLE_1)
	s_and_b32 s44, exec_lo, vcc_lo
	s_or_b32 s24, s44, s24
	s_and_not1_b32 s44, s104, exec_lo
	s_and_b32 s45, vcc_hi, exec_lo
	s_delay_alu instid0(SALU_CYCLE_1)
	s_or_b32 s104, s44, s45
	s_and_not1_b32 exec_lo, exec_lo, s24
	s_cbranch_execz .LBB180_234
.LBB180_230:                            ;   Parent Loop BB180_6 Depth=1
                                        ; =>  This Inner Loop Header: Depth=2
	s_mov_b32 vcc_hi, exec_lo
	s_delay_alu instid0(VALU_DEP_2)
	v_cmpx_gt_u64_e64 s[8:9], v[42:43]
	s_cbranch_execz .LBB180_227
; %bb.231:                              ;   in Loop: Header=BB180_230 Depth=2
	ds_load_b64 v[4:5], v44
	s_wait_dscnt 0x0
	v_cmp_o_f64_e32 vcc_lo, v[4:5], v[4:5]
	v_ashrrev_i32_e32 v2, 31, v5
	s_delay_alu instid0(VALU_DEP_1) | instskip(NEXT) | instid1(VALU_DEP_1)
	v_or_b32_e32 v8, 0x80000000, v2
	v_xor_b32_e32 v8, v8, v5
	v_xor_b32_e32 v2, v2, v4
	s_delay_alu instid0(VALU_DEP_1) | instskip(NEXT) | instid1(VALU_DEP_1)
	v_dual_cndmask_b32 v8, -1, v8, vcc_lo :: v_dual_cndmask_b32 v2, -1, v2, vcc_lo
	v_and_b32_e32 v9, v8, v13
	s_delay_alu instid0(VALU_DEP_2) | instskip(NEXT) | instid1(VALU_DEP_1)
	v_and_b32_e32 v8, v2, v12
	v_cmp_eq_u64_e32 vcc_lo, v[8:9], v[14:15]
	s_and_b32 exec_lo, exec_lo, vcc_lo
	s_cbranch_execz .LBB180_227
; %bb.232:                              ;   in Loop: Header=BB180_230 Depth=2
	v_mov_b32_e32 v2, v21
	ds_store_b128 v21, v[2:5] offset:3072
	s_branch .LBB180_227
.LBB180_233:                            ;   in Loop: Header=BB180_230 Depth=2
	s_mov_b32 vcc_lo, -1
	s_mov_b32 vcc_hi, -1
                                        ; implicit-def: $vgpr42_vgpr43
                                        ; implicit-def: $vgpr44
	s_branch .LBB180_229
.LBB180_234:                            ;   in Loop: Header=BB180_6 Depth=1
	s_or_b32 exec_lo, exec_lo, s24
	s_delay_alu instid0(SALU_CYCLE_1)
	s_and_b32 s24, s104, exec_lo
.LBB180_235:                            ;   in Loop: Header=BB180_6 Depth=1
	s_or_b32 exec_lo, exec_lo, s26
.LBB180_236:                            ;   in Loop: Header=BB180_6 Depth=1
	s_delay_alu instid0(SALU_CYCLE_1)
	s_and_b32 vcc_lo, exec_lo, s25
	s_cbranch_vccz .LBB180_253
; %bb.237:                              ;   in Loop: Header=BB180_6 Depth=1
	s_and_b64 s[8:9], s[54:55], 0xffffffff00000000
	s_delay_alu instid0(SALU_CYCLE_1)
	s_cmp_lg_u64 s[8:9], 0
	s_cbranch_scc0 .LBB180_239
; %bb.238:                              ;   in Loop: Header=BB180_6 Depth=1
	s_cvt_f32_u32 s8, s34
	s_sub_nc_u64 s[22:23], 0, s[34:35]
	s_delay_alu instid0(SALU_CYCLE_2) | instskip(NEXT) | instid1(SALU_CYCLE_3)
	s_fmamk_f32 s8, s88, 0x0, s8
	v_s_rcp_f32 s8, s8
	s_delay_alu instid0(TRANS32_DEP_1) | instskip(NEXT) | instid1(SALU_CYCLE_3)
	s_mul_f32 s8, s8, 0x5f7ffffc
	s_mul_f32 s9, s8, 0x2f800000
	s_delay_alu instid0(SALU_CYCLE_3) | instskip(NEXT) | instid1(SALU_CYCLE_3)
	s_trunc_f32 s9, s9
	s_fmamk_f32 s8, s9, 0xcf800000, s8
	s_cvt_u32_f32 s9, s9
	s_delay_alu instid0(SALU_CYCLE_2) | instskip(NEXT) | instid1(SALU_CYCLE_3)
	s_cvt_u32_f32 s8, s8
	s_mul_u64 s[44:45], s[22:23], s[8:9]
	s_delay_alu instid0(SALU_CYCLE_1)
	s_mul_hi_u32 s47, s8, s45
	s_mul_i32 s46, s8, s45
	s_mul_hi_u32 s26, s8, s44
	s_mul_i32 s48, s9, s44
	s_add_nc_u64 s[46:47], s[26:27], s[46:47]
	s_mul_hi_u32 s25, s9, s44
	s_mul_hi_u32 s49, s9, s45
	s_add_co_u32 s26, s46, s48
	s_add_co_ci_u32 s26, s47, s25
	s_mul_i32 s44, s9, s45
	s_add_co_ci_u32 s45, s49, 0
	s_delay_alu instid0(SALU_CYCLE_1) | instskip(NEXT) | instid1(SALU_CYCLE_1)
	s_add_nc_u64 s[44:45], s[26:27], s[44:45]
	s_add_co_u32 s8, s8, s44
	s_cselect_b32 s25, -1, 0
	s_delay_alu instid0(SALU_CYCLE_1) | instskip(SKIP_1) | instid1(SALU_CYCLE_1)
	s_cmp_lg_u32 s25, 0
	s_add_co_ci_u32 s9, s9, s45
	s_mul_u64 s[22:23], s[22:23], s[8:9]
	s_delay_alu instid0(SALU_CYCLE_1)
	s_mul_hi_u32 s45, s8, s23
	s_mul_i32 s44, s8, s23
	s_mul_hi_u32 s26, s8, s22
	s_mul_i32 s46, s9, s22
	s_add_nc_u64 s[44:45], s[26:27], s[44:45]
	s_mul_hi_u32 s25, s9, s22
	s_mul_hi_u32 s47, s9, s23
	s_mul_i32 s22, s9, s23
	s_add_co_u32 s23, s44, s46
	s_add_co_ci_u32 s26, s45, s25
	s_add_co_ci_u32 s23, s47, 0
	s_delay_alu instid0(SALU_CYCLE_1) | instskip(NEXT) | instid1(SALU_CYCLE_1)
	s_add_nc_u64 s[22:23], s[26:27], s[22:23]
	s_add_co_u32 s8, s8, s22
	s_cselect_b32 s22, -1, 0
	s_mul_hi_u32 s26, s54, s8
	s_cmp_lg_u32 s22, 0
	s_mul_hi_u32 s25, s55, s8
	s_add_co_ci_u32 s22, s9, s23
	s_mul_i32 s23, s55, s8
	s_mul_hi_u32 s9, s54, s22
	s_mul_i32 s8, s54, s22
	s_mul_hi_u32 s44, s55, s22
	s_add_nc_u64 s[8:9], s[26:27], s[8:9]
	s_mul_i32 s22, s55, s22
	s_add_co_u32 s8, s8, s23
	s_add_co_ci_u32 s26, s9, s25
	s_add_co_ci_u32 s23, s44, 0
	s_delay_alu instid0(SALU_CYCLE_1) | instskip(NEXT) | instid1(SALU_CYCLE_1)
	s_add_nc_u64 s[8:9], s[26:27], s[22:23]
	s_and_b64 s[22:23], s[8:9], 0xffffffff00000000
	s_delay_alu instid0(SALU_CYCLE_1) | instskip(NEXT) | instid1(SALU_CYCLE_1)
	s_or_b32 s22, s22, s8
	s_mul_u64 s[8:9], s[34:35], s[22:23]
	s_delay_alu instid0(SALU_CYCLE_1) | instskip(SKIP_1) | instid1(SALU_CYCLE_1)
	s_sub_co_u32 s8, s54, s8
	s_cselect_b32 s22, -1, 0
	s_cmp_lg_u32 s22, 0
	s_sub_co_ci_u32 s9, s55, s9
	s_sub_co_u32 s22, s8, s34
	s_cselect_b32 s23, -1, 0
	s_delay_alu instid0(SALU_CYCLE_1) | instskip(SKIP_3) | instid1(SALU_CYCLE_1)
	s_cmp_lg_u32 s23, 0
	s_sub_co_ci_u32 s23, s9, 0
	s_sub_co_u32 s25, s22, s34
	s_cselect_b32 s26, -1, 0
	s_cmp_lg_u32 s26, 0
	s_sub_co_ci_u32 s26, s23, 0
	s_cmp_ge_u32 s22, s34
	s_cselect_b32 s44, -1, 0
	s_cmp_eq_u32 s23, 0
	s_cselect_b32 s44, s44, -1
	s_delay_alu instid0(SALU_CYCLE_1)
	s_cmp_lg_u32 s44, 0
	s_cselect_b32 s23, s26, s23
	s_cselect_b32 s22, s25, s22
	s_cmp_ge_u32 s8, s34
	s_cselect_b32 s25, -1, 0
	s_cmp_eq_u32 s9, 0
	s_cselect_b32 s25, s25, -1
	s_delay_alu instid0(SALU_CYCLE_1)
	s_cmp_lg_u32 s25, 0
	s_cselect_b32 s9, s23, s9
	s_cselect_b32 s8, s22, s8
	s_mov_b32 s22, 0
	s_branch .LBB180_240
.LBB180_239:                            ;   in Loop: Header=BB180_6 Depth=1
	s_mov_b32 s22, -1
                                        ; implicit-def: $sgpr8_sgpr9
.LBB180_240:                            ;   in Loop: Header=BB180_6 Depth=1
	s_delay_alu instid0(SALU_CYCLE_1)
	s_and_not1_b32 vcc_lo, exec_lo, s22
	s_cbranch_vccnz .LBB180_242
; %bb.241:                              ;   in Loop: Header=BB180_6 Depth=1
	v_cvt_f32_u32_e32 v2, s34
	s_sub_co_i32 s9, 0, s34
	s_delay_alu instid0(VALU_DEP_1) | instskip(SKIP_1) | instid1(TRANS32_DEP_1)
	v_rcp_iflag_f32_e32 v2, v2
	v_nop
	v_mul_f32_e32 v2, 0x4f7ffffe, v2
	s_delay_alu instid0(VALU_DEP_1) | instskip(NEXT) | instid1(VALU_DEP_1)
	v_cvt_u32_f32_e32 v2, v2
	v_readfirstlane_b32 s8, v2
	s_mul_i32 s9, s9, s8
	s_delay_alu instid0(SALU_CYCLE_1) | instskip(NEXT) | instid1(SALU_CYCLE_1)
	s_mul_hi_u32 s9, s8, s9
	s_add_co_i32 s8, s8, s9
	s_delay_alu instid0(SALU_CYCLE_1) | instskip(NEXT) | instid1(SALU_CYCLE_1)
	s_mul_hi_u32 s8, s54, s8
	s_mul_i32 s8, s8, s34
	s_delay_alu instid0(SALU_CYCLE_1) | instskip(NEXT) | instid1(SALU_CYCLE_1)
	s_sub_co_i32 s8, s54, s8
	s_sub_co_i32 s9, s8, s34
	s_cmp_ge_u32 s8, s34
	s_cselect_b32 s8, s9, s8
	s_delay_alu instid0(SALU_CYCLE_1) | instskip(SKIP_2) | instid1(SALU_CYCLE_1)
	s_sub_co_i32 s9, s8, s34
	s_cmp_ge_u32 s8, s34
	s_cselect_b32 s26, s9, s8
	s_mov_b64 s[8:9], s[26:27]
.LBB180_242:                            ;   in Loop: Header=BB180_6 Depth=1
	s_delay_alu instid0(SALU_CYCLE_1)
	s_sub_nc_u64 s[8:9], s[54:55], s[8:9]
	s_mov_b32 s22, exec_lo
                                        ; implicit-def: $vgpr10_vgpr11
	v_nop
	v_cmpx_gt_u64_e64 s[8:9], v[0:1]
	s_cbranch_execz .LBB180_252
; %bb.243:                              ;   in Loop: Header=BB180_6 Depth=1
	v_mov_b64_e32 v[42:43], v[18:19]
	v_mov_b64_e32 v[44:45], v[0:1]
	s_mov_b32 s23, 0
                                        ; implicit-def: $sgpr25
	s_branch .LBB180_247
.LBB180_244:                            ;   in Loop: Header=BB180_247 Depth=2
	s_or_b32 exec_lo, exec_lo, s26
	s_wait_dscnt 0x0
	s_barrier_signal -1
	s_barrier_wait -1
	ds_load_b128 v[8:11], v21 offset:3072
	s_wait_dscnt 0x0
	s_barrier_signal -1
	s_barrier_wait -1
	v_cmp_eq_f64_e32 vcc_lo, 0, v[8:9]
	s_cbranch_vccz .LBB180_250
; %bb.245:                              ;   in Loop: Header=BB180_247 Depth=2
	v_add_nc_u64_e32 v[44:45], s[34:35], v[44:45]
	v_add_nc_u64_e32 v[42:43], s[36:37], v[42:43]
	s_mov_b32 s26, 0
	s_delay_alu instid0(VALU_DEP_2)
	v_cmp_le_u64_e32 vcc_lo, s[8:9], v[44:45]
	s_or_not1_b32 s102, vcc_lo, exec_lo
.LBB180_246:                            ;   in Loop: Header=BB180_247 Depth=2
	s_delay_alu instid0(SALU_CYCLE_1) | instskip(NEXT) | instid1(SALU_CYCLE_1)
	s_and_b32 s44, exec_lo, s102
	s_or_b32 s23, s44, s23
	s_and_not1_b32 s25, s25, exec_lo
	s_and_b32 s26, s26, exec_lo
	s_delay_alu instid0(SALU_CYCLE_1)
	s_or_b32 s25, s25, s26
	s_and_not1_b32 exec_lo, exec_lo, s23
	s_cbranch_execz .LBB180_251
.LBB180_247:                            ;   Parent Loop BB180_6 Depth=1
                                        ; =>  This Inner Loop Header: Depth=2
	s_mov_b32 s26, exec_lo
	s_delay_alu instid0(VALU_DEP_1)
	v_cmpx_gt_u64_e64 s[28:29], v[44:45]
	s_cbranch_execz .LBB180_244
; %bb.248:                              ;   in Loop: Header=BB180_247 Depth=2
	global_load_b64 v[4:5], v[42:43], off
	s_wait_loadcnt 0x0
	v_cmp_o_f64_e32 vcc_lo, v[4:5], v[4:5]
	v_ashrrev_i32_e32 v2, 31, v5
	s_delay_alu instid0(VALU_DEP_1) | instskip(NEXT) | instid1(VALU_DEP_1)
	v_or_b32_e32 v8, 0x80000000, v2
	v_xor_b32_e32 v8, v8, v5
	v_xor_b32_e32 v2, v2, v4
	s_delay_alu instid0(VALU_DEP_1) | instskip(NEXT) | instid1(VALU_DEP_1)
	v_dual_cndmask_b32 v8, -1, v8, vcc_lo :: v_dual_cndmask_b32 v2, -1, v2, vcc_lo
	v_and_b32_e32 v9, v8, v13
	s_delay_alu instid0(VALU_DEP_2) | instskip(NEXT) | instid1(VALU_DEP_1)
	v_and_b32_e32 v8, v2, v12
	v_cmp_eq_u64_e32 vcc_lo, v[8:9], v[14:15]
	s_and_b32 exec_lo, exec_lo, vcc_lo
	s_cbranch_execz .LBB180_244
; %bb.249:                              ;   in Loop: Header=BB180_247 Depth=2
	v_mov_b32_e32 v2, v21
	ds_store_b128 v21, v[2:5] offset:3072
	s_branch .LBB180_244
.LBB180_250:                            ;   in Loop: Header=BB180_247 Depth=2
	s_mov_b32 s102, -1
	s_mov_b32 s26, -1
                                        ; implicit-def: $vgpr44_vgpr45
                                        ; implicit-def: $vgpr42_vgpr43
	s_branch .LBB180_246
.LBB180_251:                            ;   in Loop: Header=BB180_6 Depth=1
	s_or_b32 exec_lo, exec_lo, s23
	s_delay_alu instid0(SALU_CYCLE_1) | instskip(SKIP_1) | instid1(SALU_CYCLE_1)
	s_and_not1_b32 s8, s24, exec_lo
	s_and_b32 s9, s25, exec_lo
	s_or_b32 s24, s8, s9
.LBB180_252:                            ;   in Loop: Header=BB180_6 Depth=1
	s_or_b32 exec_lo, exec_lo, s22
	s_mov_b32 s102, 0
	s_mov_b32 s103, -1
.LBB180_253:                            ;   in Loop: Header=BB180_6 Depth=1
	s_or_not1_b32 s9, s24, exec_lo
.LBB180_254:                            ;   in Loop: Header=BB180_6 Depth=1
	s_or_b32 exec_lo, exec_lo, s101
	s_mov_b32 s22, 0
	s_and_saveexec_b32 s8, s9
	s_cbranch_execz .LBB180_265
; %bb.255:                              ;   in Loop: Header=BB180_6 Depth=1
	v_mov_b64_e32 v[4:5], 1
	v_mov_b32_e32 v20, 1
	s_xor_b32 s22, s100, -1
	s_delay_alu instid0(SALU_CYCLE_1)
	s_and_saveexec_b32 s9, s22
	s_cbranch_execz .LBB180_264
; %bb.256:                              ;   in Loop: Header=BB180_6 Depth=1
	s_mov_b32 s22, exec_lo
	v_cmpx_ge_u64_e64 s[20:21], v[40:41]
	s_xor_b32 s22, exec_lo, s22
	s_cbranch_execz .LBB180_261
; %bb.257:                              ;   in Loop: Header=BB180_6 Depth=1
	ds_load_b64 v[4:5], v21 offset:5120
	v_or_b32_e32 v15, s13, v15
	v_or_b32_e32 v14, s12, v14
	;; [unrolled: 1-line block ×4, first 2 shown]
	s_wait_dscnt 0x0
	v_cmp_ne_u64_e32 vcc_lo, 0, v[4:5]
	s_cbranch_vccnz .LBB180_261
; %bb.258:                              ;   in Loop: Header=BB180_6 Depth=1
	s_and_saveexec_b32 s23, s5
; %bb.259:                              ;   in Loop: Header=BB180_6 Depth=1
	v_mov_b64_e32 v[4:5], s[20:21]
	ds_store_b64 v21, v[4:5] offset:5128
; %bb.260:                              ;   in Loop: Header=BB180_6 Depth=1
	s_or_b32 exec_lo, exec_lo, s23
	s_wait_dscnt 0x0
	s_barrier_signal -1
	s_barrier_wait -1
.LBB180_261:                            ;   in Loop: Header=BB180_6 Depth=1
	s_and_not1_saveexec_b32 s22, s22
; %bb.262:                              ;   in Loop: Header=BB180_6 Depth=1
	v_sub_nc_u64_e64 v[40:41], v[40:41], s[20:21]
; %bb.263:                              ;   in Loop: Header=BB180_6 Depth=1
	s_or_b32 exec_lo, exec_lo, s22
	s_delay_alu instid0(VALU_DEP_1)
	v_mov_b64_e32 v[4:5], v[40:41]
	v_mov_b32_e32 v20, 8
.LBB180_264:                            ;   in Loop: Header=BB180_6 Depth=1
	s_or_b32 exec_lo, exec_lo, s9
	s_delay_alu instid0(VALU_DEP_2)
	v_mov_b64_e32 v[40:41], v[4:5]
	s_mov_b32 s22, exec_lo
.LBB180_265:                            ;   in Loop: Header=BB180_6 Depth=1
	s_or_b32 exec_lo, exec_lo, s8
	s_delay_alu instid0(SALU_CYCLE_1)
	s_or_not1_b32 s8, s22, exec_lo
.LBB180_266:                            ;   in Loop: Header=BB180_6 Depth=1
	s_or_b32 exec_lo, exec_lo, s77
	s_delay_alu instid0(VALU_DEP_1)
	v_mov_b64_e32 v[42:43], v[40:41]
	s_and_not1_b32 s9, s75, exec_lo
	s_and_b32 s22, s103, exec_lo
	s_and_not1_b32 s23, s74, exec_lo
	s_and_b32 s24, s102, exec_lo
	s_or_b32 s75, s9, s22
	s_or_b32 s74, s23, s24
	s_and_b32 s9, s8, exec_lo
.LBB180_267:                            ;   in Loop: Header=BB180_6 Depth=1
	s_or_b32 exec_lo, exec_lo, s76
	s_delay_alu instid0(SALU_CYCLE_1)
	s_or_not1_b32 s8, s9, exec_lo
.LBB180_268:                            ;   in Loop: Header=BB180_6 Depth=1
	s_or_b32 exec_lo, exec_lo, s73
	v_mov_b64_e32 v[40:41], v[42:43]
	s_and_not1_b32 s9, s71, exec_lo
	s_and_b32 s22, s75, exec_lo
	s_and_not1_b32 s23, s66, exec_lo
	s_and_b32 s24, s74, exec_lo
	s_or_b32 s71, s9, s22
	s_or_b32 s66, s23, s24
	s_and_b32 s9, s8, exec_lo
.LBB180_269:                            ;   in Loop: Header=BB180_6 Depth=1
	s_or_b32 exec_lo, exec_lo, s72
	s_delay_alu instid0(SALU_CYCLE_1)
	s_or_not1_b32 s8, s9, exec_lo
.LBB180_270:                            ;   in Loop: Header=BB180_6 Depth=1
	s_or_b32 exec_lo, exec_lo, s65
	s_mov_b32 s9, 0
	s_mov_b32 s22, 0
	s_and_saveexec_b32 s23, s8
	s_delay_alu instid0(SALU_CYCLE_1)
	s_xor_b32 s23, exec_lo, s23
; %bb.271:                              ;   in Loop: Header=BB180_6 Depth=1
	v_cmp_ne_u32_e32 vcc_lo, 8, v20
	v_cmp_eq_u32_e64 s8, 8, v20
	s_and_b32 s22, vcc_lo, exec_lo
	s_and_b32 s9, s8, exec_lo
; %bb.272:                              ;   in Loop: Header=BB180_6 Depth=1
	s_or_b32 exec_lo, exec_lo, s23
	s_delay_alu instid0(SALU_CYCLE_1)
	s_and_not1_b32 s8, s68, exec_lo
	s_and_b32 s23, s71, exec_lo
	s_and_not1_b32 s24, s67, exec_lo
	s_and_b32 s25, s66, exec_lo
	s_or_b32 s68, s8, s23
	s_or_b32 s67, s24, s25
	s_and_b32 s65, s22, exec_lo
	s_and_b32 s66, s9, exec_lo
.LBB180_273:                            ;   in Loop: Header=BB180_6 Depth=1
	s_or_b32 exec_lo, exec_lo, s70
.LBB180_274:                            ;   in Loop: Header=BB180_6 Depth=1
	s_delay_alu instid0(SALU_CYCLE_1)
	s_and_b32 vcc_lo, exec_lo, s69
	s_cbranch_vccz .LBB180_291
; %bb.275:                              ;   in Loop: Header=BB180_6 Depth=1
	s_cmp_eq_u64 s[20:21], 1
                                        ; implicit-def: $sgpr69
                                        ; implicit-def: $sgpr64
	s_cselect_b32 s8, -1, 0
	s_delay_alu instid0(SALU_CYCLE_1)
	s_and_b32 s7, s8, s7
	s_mov_b32 s8, -1
	s_and_saveexec_b32 s67, s7
	s_cbranch_execz .LBB180_310
; %bb.276:                              ;   in Loop: Header=BB180_6 Depth=1
	ds_load_b64 v[4:5], v21 offset:5120
	s_wait_dscnt 0x0
	s_barrier_signal -1
	s_barrier_wait -1
	v_readfirstlane_b32 s8, v4
	v_readfirstlane_b32 s9, v5
	s_and_saveexec_b32 s22, s6
; %bb.277:                              ;   in Loop: Header=BB180_6 Depth=1
	ds_store_b64 v48, v[34:35]
; %bb.278:                              ;   in Loop: Header=BB180_6 Depth=1
	s_or_b32 exec_lo, exec_lo, s22
	v_or_b32_e32 v33, s13, v33
	v_or_b32_e32 v32, s12, v32
	;; [unrolled: 1-line block ×4, first 2 shown]
	s_mov_b32 s64, -1
	s_mov_b32 s69, 0
	s_cmp_eq_u64 s[8:9], 0
	s_mov_b32 s24, 0
	s_mov_b32 s25, -1
	s_wait_dscnt 0x0
	s_barrier_signal -1
	s_barrier_wait -1
                                        ; implicit-def: $vgpr6_vgpr7
	s_cbranch_scc1 .LBB180_294
; %bb.279:                              ;   in Loop: Header=BB180_6 Depth=1
	s_add_nc_u64 s[22:23], s[8:9], s[52:53]
	s_delay_alu instid0(SALU_CYCLE_1) | instskip(NEXT) | instid1(SALU_CYCLE_1)
	s_and_b64 s[24:25], s[22:23], 0xffffffff00000000
	s_cmp_lg_u64 s[24:25], 0
	s_cbranch_scc0 .LBB180_337
; %bb.280:                              ;   in Loop: Header=BB180_6 Depth=1
	s_cvt_f32_u32 s24, s34
	s_sub_nc_u64 s[70:71], 0, s[34:35]
	s_delay_alu instid0(SALU_CYCLE_2) | instskip(NEXT) | instid1(SALU_CYCLE_3)
	s_fmamk_f32 s24, s88, 0x0, s24
	v_s_rcp_f32 s24, s24
	s_delay_alu instid0(TRANS32_DEP_1) | instskip(NEXT) | instid1(SALU_CYCLE_3)
	s_mul_f32 s24, s24, 0x5f7ffffc
	s_mul_f32 s25, s24, 0x2f800000
	s_delay_alu instid0(SALU_CYCLE_3) | instskip(NEXT) | instid1(SALU_CYCLE_3)
	s_trunc_f32 s25, s25
	s_fmamk_f32 s24, s25, 0xcf800000, s24
	s_cvt_u32_f32 s25, s25
	s_delay_alu instid0(SALU_CYCLE_2) | instskip(NEXT) | instid1(SALU_CYCLE_3)
	s_cvt_u32_f32 s24, s24
	s_mul_u64 s[72:73], s[70:71], s[24:25]
	s_delay_alu instid0(SALU_CYCLE_1)
	s_mul_hi_u32 s75, s24, s73
	s_mul_i32 s74, s24, s73
	s_mul_hi_u32 s26, s24, s72
	s_mul_i32 s45, s25, s72
	s_add_nc_u64 s[74:75], s[26:27], s[74:75]
	s_mul_hi_u32 s44, s25, s72
	s_mul_hi_u32 s46, s25, s73
	s_add_co_u32 s26, s74, s45
	s_add_co_ci_u32 s26, s75, s44
	s_mul_i32 s72, s25, s73
	s_add_co_ci_u32 s73, s46, 0
	s_delay_alu instid0(SALU_CYCLE_1) | instskip(NEXT) | instid1(SALU_CYCLE_1)
	s_add_nc_u64 s[72:73], s[26:27], s[72:73]
	s_add_co_u32 s24, s24, s72
	s_cselect_b32 s26, -1, 0
	s_delay_alu instid0(SALU_CYCLE_1) | instskip(SKIP_1) | instid1(SALU_CYCLE_1)
	s_cmp_lg_u32 s26, 0
	s_add_co_ci_u32 s25, s25, s73
	s_mul_u64 s[70:71], s[70:71], s[24:25]
	s_delay_alu instid0(SALU_CYCLE_1)
	s_mul_hi_u32 s73, s24, s71
	s_mul_i32 s72, s24, s71
	s_mul_hi_u32 s26, s24, s70
	s_mul_i32 s45, s25, s70
	s_add_nc_u64 s[72:73], s[26:27], s[72:73]
	s_mul_hi_u32 s44, s25, s70
	s_mul_hi_u32 s46, s25, s71
	s_add_co_u32 s26, s72, s45
	s_add_co_ci_u32 s26, s73, s44
	s_mul_i32 s70, s25, s71
	s_add_co_ci_u32 s71, s46, 0
	s_delay_alu instid0(SALU_CYCLE_1) | instskip(NEXT) | instid1(SALU_CYCLE_1)
	s_add_nc_u64 s[70:71], s[26:27], s[70:71]
	s_add_co_u32 s24, s24, s70
	s_cselect_b32 s44, -1, 0
	s_mul_hi_u32 s26, s22, s24
	s_cmp_lg_u32 s44, 0
	s_mul_hi_u32 s44, s23, s24
	s_add_co_ci_u32 s45, s25, s71
	s_mul_i32 s46, s23, s24
	s_mul_hi_u32 s25, s22, s45
	s_mul_i32 s24, s22, s45
	s_mul_hi_u32 s47, s23, s45
	s_add_nc_u64 s[24:25], s[26:27], s[24:25]
	s_mul_i32 s70, s23, s45
	s_add_co_u32 s24, s24, s46
	s_add_co_ci_u32 s26, s25, s44
	s_add_co_ci_u32 s71, s47, 0
	s_delay_alu instid0(SALU_CYCLE_1) | instskip(NEXT) | instid1(SALU_CYCLE_1)
	s_add_nc_u64 s[24:25], s[26:27], s[70:71]
	s_and_b64 s[70:71], s[24:25], 0xffffffff00000000
	s_delay_alu instid0(SALU_CYCLE_1) | instskip(NEXT) | instid1(SALU_CYCLE_1)
	s_or_b32 s70, s70, s24
	s_mul_u64 s[24:25], s[34:35], s[70:71]
	s_delay_alu instid0(SALU_CYCLE_1) | instskip(SKIP_1) | instid1(SALU_CYCLE_1)
	s_sub_co_u32 s24, s22, s24
	s_cselect_b32 s26, -1, 0
	s_cmp_lg_u32 s26, 0
	s_sub_co_ci_u32 s25, s23, s25
	s_sub_co_u32 s26, s24, s34
	s_cselect_b32 s44, -1, 0
	s_delay_alu instid0(SALU_CYCLE_1) | instskip(SKIP_3) | instid1(SALU_CYCLE_1)
	s_cmp_lg_u32 s44, 0
	s_sub_co_ci_u32 s44, s25, 0
	s_sub_co_u32 s45, s26, s34
	s_cselect_b32 s46, -1, 0
	s_cmp_lg_u32 s46, 0
	s_sub_co_ci_u32 s46, s44, 0
	s_cmp_ge_u32 s26, s34
	s_cselect_b32 s47, -1, 0
	s_cmp_eq_u32 s44, 0
	s_cselect_b32 s47, s47, -1
	s_delay_alu instid0(SALU_CYCLE_1)
	s_cmp_lg_u32 s47, 0
	s_cselect_b32 s44, s46, s44
	s_cselect_b32 s26, s45, s26
	s_cmp_ge_u32 s24, s34
	s_cselect_b32 s45, -1, 0
	s_cmp_eq_u32 s25, 0
	s_cselect_b32 s45, s45, -1
	s_delay_alu instid0(SALU_CYCLE_1)
	s_cmp_lg_u32 s45, 0
	s_cselect_b32 s25, s44, s25
	s_cselect_b32 s24, s26, s24
	s_cbranch_execnz .LBB180_282
.LBB180_281:                            ;   in Loop: Header=BB180_6 Depth=1
	v_cvt_f32_u32_e32 v2, s34
	s_sub_co_i32 s25, 0, s34
	s_delay_alu instid0(VALU_DEP_1) | instskip(SKIP_1) | instid1(TRANS32_DEP_1)
	v_rcp_iflag_f32_e32 v2, v2
	v_nop
	v_mul_f32_e32 v2, 0x4f7ffffe, v2
	s_delay_alu instid0(VALU_DEP_1) | instskip(NEXT) | instid1(VALU_DEP_1)
	v_cvt_u32_f32_e32 v2, v2
	v_readfirstlane_b32 s24, v2
	s_mul_i32 s25, s25, s24
	s_delay_alu instid0(SALU_CYCLE_1) | instskip(NEXT) | instid1(SALU_CYCLE_1)
	s_mul_hi_u32 s25, s24, s25
	s_add_co_i32 s24, s24, s25
	s_delay_alu instid0(SALU_CYCLE_1) | instskip(NEXT) | instid1(SALU_CYCLE_1)
	s_mul_hi_u32 s24, s22, s24
	s_mul_i32 s24, s24, s34
	s_delay_alu instid0(SALU_CYCLE_1) | instskip(NEXT) | instid1(SALU_CYCLE_1)
	s_sub_co_i32 s24, s22, s24
	s_sub_co_i32 s25, s24, s34
	s_cmp_ge_u32 s24, s34
	s_cselect_b32 s24, s25, s24
	s_delay_alu instid0(SALU_CYCLE_1) | instskip(SKIP_2) | instid1(SALU_CYCLE_1)
	s_sub_co_i32 s25, s24, s34
	s_cmp_ge_u32 s24, s34
	s_cselect_b32 s26, s25, s24
	s_mov_b64 s[24:25], s[26:27]
.LBB180_282:                            ;   in Loop: Header=BB180_6 Depth=1
	s_delay_alu instid0(SALU_CYCLE_1)
	s_sub_nc_u64 s[22:23], s[22:23], s[24:25]
	s_mov_b32 s25, 0
	s_mov_b32 s24, 0
	s_mov_b32 s26, exec_lo
                                        ; implicit-def: $vgpr6_vgpr7
	v_cmpx_gt_u64_e64 s[22:23], v[0:1]
	s_cbranch_execz .LBB180_293
; %bb.283:                              ;   in Loop: Header=BB180_6 Depth=1
	v_mov_b64_e32 v[8:9], v[0:1]
	v_mov_b32_e32 v10, v47
                                        ; implicit-def: $sgpr68
	s_branch .LBB180_287
.LBB180_284:                            ;   in Loop: Header=BB180_287 Depth=2
	s_or_b32 exec_lo, exec_lo, s70
	s_wait_dscnt 0x0
	s_barrier_signal -1
	s_barrier_wait -1
	ds_load_b128 v[4:7], v21 offset:3072
	s_wait_dscnt 0x0
	s_barrier_signal -1
	s_barrier_wait -1
	v_cmp_neq_f64_e32 vcc_lo, 0, v[4:5]
	s_cbranch_vccnz .LBB180_290
; %bb.285:                              ;   in Loop: Header=BB180_287 Depth=2
	v_add_nc_u64_e32 v[8:9], s[34:35], v[8:9]
	v_add_nc_u32_e32 v10, s85, v10
	s_mov_b32 s70, 0
	s_delay_alu instid0(VALU_DEP_2)
	v_cmp_le_u64_e32 vcc_lo, s[22:23], v[8:9]
	s_or_not1_b32 s71, vcc_lo, exec_lo
.LBB180_286:                            ;   in Loop: Header=BB180_287 Depth=2
	s_delay_alu instid0(SALU_CYCLE_1) | instskip(NEXT) | instid1(SALU_CYCLE_1)
	s_and_b32 s44, exec_lo, s71
	s_or_b32 s24, s44, s24
	s_and_not1_b32 s44, s68, exec_lo
	s_and_b32 s45, s70, exec_lo
	s_delay_alu instid0(SALU_CYCLE_1)
	s_or_b32 s68, s44, s45
	s_and_not1_b32 exec_lo, exec_lo, s24
	s_cbranch_execz .LBB180_292
.LBB180_287:                            ;   Parent Loop BB180_6 Depth=1
                                        ; =>  This Inner Loop Header: Depth=2
	s_mov_b32 s70, exec_lo
	s_delay_alu instid0(VALU_DEP_2)
	v_cmpx_gt_u64_e64 s[8:9], v[8:9]
	s_cbranch_execz .LBB180_284
; %bb.288:                              ;   in Loop: Header=BB180_287 Depth=2
	ds_load_b64 v[4:5], v10
	s_wait_dscnt 0x0
	v_cmp_o_f64_e32 vcc_lo, v[4:5], v[4:5]
	v_ashrrev_i32_e32 v2, 31, v5
	s_delay_alu instid0(VALU_DEP_1) | instskip(NEXT) | instid1(VALU_DEP_1)
	v_or_b32_e32 v6, 0x80000000, v2
	v_xor_b32_e32 v6, v6, v5
	s_delay_alu instid0(VALU_DEP_1) | instskip(NEXT) | instid1(VALU_DEP_1)
	v_dual_cndmask_b32 v6, -1, v6, vcc_lo :: v_dual_bitop2_b32 v2, v2, v4 bitop3:0x14
	v_dual_cndmask_b32 v2, -1, v2, vcc_lo :: v_dual_bitop2_b32 v7, v6, v37 bitop3:0x40
	s_delay_alu instid0(VALU_DEP_1) | instskip(NEXT) | instid1(VALU_DEP_1)
	v_and_b32_e32 v6, v2, v36
	v_cmp_eq_u64_e32 vcc_lo, v[6:7], v[32:33]
	s_and_b32 exec_lo, exec_lo, vcc_lo
	s_cbranch_execz .LBB180_284
; %bb.289:                              ;   in Loop: Header=BB180_287 Depth=2
	v_mov_b32_e32 v2, v21
	ds_store_b128 v21, v[2:5] offset:3072
	s_branch .LBB180_284
.LBB180_290:                            ;   in Loop: Header=BB180_287 Depth=2
	s_mov_b32 s71, -1
	s_mov_b32 s70, -1
                                        ; implicit-def: $vgpr8_vgpr9
                                        ; implicit-def: $vgpr10
	s_branch .LBB180_286
.LBB180_291:                            ;   in Loop: Header=BB180_6 Depth=1
	v_mov_b64_e32 v[32:33], v[14:15]
	v_mov_b64_e32 v[36:37], v[12:13]
	;; [unrolled: 1-line block ×3, first 2 shown]
	s_mov_b32 s69, 0
	s_and_saveexec_b32 s7, s66
	s_cbranch_execnz .LBB180_475
	s_branch .LBB180_476
.LBB180_292:                            ;   in Loop: Header=BB180_6 Depth=1
	s_or_b32 exec_lo, exec_lo, s24
	s_delay_alu instid0(SALU_CYCLE_1)
	s_and_b32 s24, s68, exec_lo
.LBB180_293:                            ;   in Loop: Header=BB180_6 Depth=1
	s_or_b32 exec_lo, exec_lo, s26
.LBB180_294:                            ;   in Loop: Header=BB180_6 Depth=1
	s_delay_alu instid0(SALU_CYCLE_1)
	s_and_b32 vcc_lo, exec_lo, s25
	s_cbranch_vccz .LBB180_309
; %bb.295:                              ;   in Loop: Header=BB180_6 Depth=1
	s_and_b64 s[8:9], s[54:55], 0xffffffff00000000
	s_delay_alu instid0(SALU_CYCLE_1)
	s_cmp_lg_u64 s[8:9], 0
	s_cbranch_scc0 .LBB180_338
; %bb.296:                              ;   in Loop: Header=BB180_6 Depth=1
	s_cvt_f32_u32 s8, s34
	s_sub_nc_u64 s[22:23], 0, s[34:35]
	s_delay_alu instid0(SALU_CYCLE_2) | instskip(NEXT) | instid1(SALU_CYCLE_3)
	s_fmamk_f32 s8, s88, 0x0, s8
	v_s_rcp_f32 s8, s8
	s_delay_alu instid0(TRANS32_DEP_1) | instskip(NEXT) | instid1(SALU_CYCLE_3)
	s_mul_f32 s8, s8, 0x5f7ffffc
	s_mul_f32 s9, s8, 0x2f800000
	s_delay_alu instid0(SALU_CYCLE_3) | instskip(NEXT) | instid1(SALU_CYCLE_3)
	s_trunc_f32 s9, s9
	s_fmamk_f32 s8, s9, 0xcf800000, s8
	s_cvt_u32_f32 s9, s9
	s_delay_alu instid0(SALU_CYCLE_2) | instskip(NEXT) | instid1(SALU_CYCLE_3)
	s_cvt_u32_f32 s8, s8
	s_mul_u64 s[68:69], s[22:23], s[8:9]
	s_delay_alu instid0(SALU_CYCLE_1)
	s_mul_hi_u32 s71, s8, s69
	s_mul_i32 s70, s8, s69
	s_mul_hi_u32 s26, s8, s68
	s_mul_i32 s44, s9, s68
	s_add_nc_u64 s[70:71], s[26:27], s[70:71]
	s_mul_hi_u32 s25, s9, s68
	s_mul_hi_u32 s45, s9, s69
	s_add_co_u32 s26, s70, s44
	s_add_co_ci_u32 s26, s71, s25
	s_mul_i32 s68, s9, s69
	s_add_co_ci_u32 s69, s45, 0
	s_delay_alu instid0(SALU_CYCLE_1) | instskip(NEXT) | instid1(SALU_CYCLE_1)
	s_add_nc_u64 s[68:69], s[26:27], s[68:69]
	s_add_co_u32 s8, s8, s68
	s_cselect_b32 s25, -1, 0
	s_delay_alu instid0(SALU_CYCLE_1) | instskip(SKIP_1) | instid1(SALU_CYCLE_1)
	s_cmp_lg_u32 s25, 0
	s_add_co_ci_u32 s9, s9, s69
	s_mul_u64 s[22:23], s[22:23], s[8:9]
	s_delay_alu instid0(SALU_CYCLE_1)
	s_mul_hi_u32 s69, s8, s23
	s_mul_i32 s68, s8, s23
	s_mul_hi_u32 s26, s8, s22
	s_mul_i32 s44, s9, s22
	s_add_nc_u64 s[68:69], s[26:27], s[68:69]
	s_mul_hi_u32 s25, s9, s22
	s_mul_hi_u32 s45, s9, s23
	s_mul_i32 s22, s9, s23
	s_add_co_u32 s23, s68, s44
	s_add_co_ci_u32 s26, s69, s25
	s_add_co_ci_u32 s23, s45, 0
	s_delay_alu instid0(SALU_CYCLE_1) | instskip(NEXT) | instid1(SALU_CYCLE_1)
	s_add_nc_u64 s[22:23], s[26:27], s[22:23]
	s_add_co_u32 s8, s8, s22
	s_cselect_b32 s22, -1, 0
	s_mul_hi_u32 s26, s54, s8
	s_cmp_lg_u32 s22, 0
	s_mul_hi_u32 s25, s55, s8
	s_add_co_ci_u32 s22, s9, s23
	s_mul_i32 s23, s55, s8
	s_mul_hi_u32 s9, s54, s22
	s_mul_i32 s8, s54, s22
	s_mul_hi_u32 s44, s55, s22
	s_add_nc_u64 s[8:9], s[26:27], s[8:9]
	s_mul_i32 s22, s55, s22
	s_add_co_u32 s8, s8, s23
	s_add_co_ci_u32 s26, s9, s25
	s_add_co_ci_u32 s23, s44, 0
	s_delay_alu instid0(SALU_CYCLE_1) | instskip(NEXT) | instid1(SALU_CYCLE_1)
	s_add_nc_u64 s[8:9], s[26:27], s[22:23]
	s_and_b64 s[22:23], s[8:9], 0xffffffff00000000
	s_delay_alu instid0(SALU_CYCLE_1) | instskip(NEXT) | instid1(SALU_CYCLE_1)
	s_or_b32 s22, s22, s8
	s_mul_u64 s[8:9], s[34:35], s[22:23]
	s_delay_alu instid0(SALU_CYCLE_1) | instskip(SKIP_1) | instid1(SALU_CYCLE_1)
	s_sub_co_u32 s8, s54, s8
	s_cselect_b32 s22, -1, 0
	s_cmp_lg_u32 s22, 0
	s_sub_co_ci_u32 s9, s55, s9
	s_sub_co_u32 s22, s8, s34
	s_cselect_b32 s23, -1, 0
	s_delay_alu instid0(SALU_CYCLE_1) | instskip(SKIP_3) | instid1(SALU_CYCLE_1)
	s_cmp_lg_u32 s23, 0
	s_sub_co_ci_u32 s23, s9, 0
	s_sub_co_u32 s25, s22, s34
	s_cselect_b32 s26, -1, 0
	s_cmp_lg_u32 s26, 0
	s_sub_co_ci_u32 s26, s23, 0
	s_cmp_ge_u32 s22, s34
	s_cselect_b32 s44, -1, 0
	s_cmp_eq_u32 s23, 0
	s_cselect_b32 s44, s44, -1
	s_delay_alu instid0(SALU_CYCLE_1)
	s_cmp_lg_u32 s44, 0
	s_cselect_b32 s23, s26, s23
	s_cselect_b32 s22, s25, s22
	s_cmp_ge_u32 s8, s34
	s_cselect_b32 s25, -1, 0
	s_cmp_eq_u32 s9, 0
	s_cselect_b32 s25, s25, -1
	s_delay_alu instid0(SALU_CYCLE_1)
	s_cmp_lg_u32 s25, 0
	s_cselect_b32 s9, s23, s9
	s_cselect_b32 s8, s22, s8
	s_cbranch_execnz .LBB180_298
.LBB180_297:                            ;   in Loop: Header=BB180_6 Depth=1
	v_cvt_f32_u32_e32 v2, s34
	s_sub_co_i32 s9, 0, s34
	s_delay_alu instid0(VALU_DEP_1) | instskip(SKIP_1) | instid1(TRANS32_DEP_1)
	v_rcp_iflag_f32_e32 v2, v2
	v_nop
	v_mul_f32_e32 v2, 0x4f7ffffe, v2
	s_delay_alu instid0(VALU_DEP_1) | instskip(NEXT) | instid1(VALU_DEP_1)
	v_cvt_u32_f32_e32 v2, v2
	v_readfirstlane_b32 s8, v2
	s_mul_i32 s9, s9, s8
	s_delay_alu instid0(SALU_CYCLE_1) | instskip(NEXT) | instid1(SALU_CYCLE_1)
	s_mul_hi_u32 s9, s8, s9
	s_add_co_i32 s8, s8, s9
	s_delay_alu instid0(SALU_CYCLE_1) | instskip(NEXT) | instid1(SALU_CYCLE_1)
	s_mul_hi_u32 s8, s54, s8
	s_mul_i32 s8, s8, s34
	s_delay_alu instid0(SALU_CYCLE_1) | instskip(NEXT) | instid1(SALU_CYCLE_1)
	s_sub_co_i32 s8, s54, s8
	s_sub_co_i32 s9, s8, s34
	s_cmp_ge_u32 s8, s34
	s_cselect_b32 s8, s9, s8
	s_delay_alu instid0(SALU_CYCLE_1) | instskip(SKIP_2) | instid1(SALU_CYCLE_1)
	s_sub_co_i32 s9, s8, s34
	s_cmp_ge_u32 s8, s34
	s_cselect_b32 s26, s9, s8
	s_mov_b64 s[8:9], s[26:27]
.LBB180_298:                            ;   in Loop: Header=BB180_6 Depth=1
	s_delay_alu instid0(SALU_CYCLE_1)
	s_sub_nc_u64 s[8:9], s[54:55], s[8:9]
	s_mov_b32 s22, exec_lo
                                        ; implicit-def: $vgpr6_vgpr7
	v_nop
	v_cmpx_gt_u64_e64 s[8:9], v[0:1]
	s_cbranch_execz .LBB180_308
; %bb.299:                              ;   in Loop: Header=BB180_6 Depth=1
	v_mov_b64_e32 v[8:9], v[18:19]
	v_mov_b64_e32 v[10:11], v[0:1]
	s_mov_b32 s25, 0
                                        ; implicit-def: $sgpr23
	s_branch .LBB180_303
.LBB180_300:                            ;   in Loop: Header=BB180_303 Depth=2
	s_or_b32 exec_lo, exec_lo, s26
	s_wait_dscnt 0x0
	s_barrier_signal -1
	s_barrier_wait -1
	ds_load_b128 v[4:7], v21 offset:3072
	s_wait_dscnt 0x0
	s_barrier_signal -1
	s_barrier_wait -1
	v_cmp_neq_f64_e32 vcc_lo, 0, v[4:5]
	s_cbranch_vccnz .LBB180_306
; %bb.301:                              ;   in Loop: Header=BB180_303 Depth=2
	v_add_nc_u64_e32 v[10:11], s[34:35], v[10:11]
	v_add_nc_u64_e32 v[8:9], s[36:37], v[8:9]
	s_mov_b32 s26, 0
	s_delay_alu instid0(VALU_DEP_2)
	v_cmp_le_u64_e32 vcc_lo, s[8:9], v[10:11]
	s_or_not1_b32 s64, vcc_lo, exec_lo
.LBB180_302:                            ;   in Loop: Header=BB180_303 Depth=2
	s_delay_alu instid0(SALU_CYCLE_1) | instskip(NEXT) | instid1(SALU_CYCLE_1)
	s_and_b32 s44, exec_lo, s64
	s_or_b32 s25, s44, s25
	s_and_not1_b32 s23, s23, exec_lo
	s_and_b32 s26, s26, exec_lo
	s_delay_alu instid0(SALU_CYCLE_1)
	s_or_b32 s23, s23, s26
	s_and_not1_b32 exec_lo, exec_lo, s25
	s_cbranch_execz .LBB180_307
.LBB180_303:                            ;   Parent Loop BB180_6 Depth=1
                                        ; =>  This Inner Loop Header: Depth=2
	s_mov_b32 s26, exec_lo
	s_delay_alu instid0(VALU_DEP_1)
	v_cmpx_gt_u64_e64 s[28:29], v[10:11]
	s_cbranch_execz .LBB180_300
; %bb.304:                              ;   in Loop: Header=BB180_303 Depth=2
	global_load_b64 v[4:5], v[8:9], off
	s_wait_loadcnt 0x0
	v_cmp_o_f64_e32 vcc_lo, v[4:5], v[4:5]
	v_ashrrev_i32_e32 v2, 31, v5
	s_delay_alu instid0(VALU_DEP_1) | instskip(NEXT) | instid1(VALU_DEP_1)
	v_or_b32_e32 v6, 0x80000000, v2
	v_xor_b32_e32 v6, v6, v5
	s_delay_alu instid0(VALU_DEP_1) | instskip(NEXT) | instid1(VALU_DEP_1)
	v_dual_cndmask_b32 v6, -1, v6, vcc_lo :: v_dual_bitop2_b32 v2, v2, v4 bitop3:0x14
	v_dual_cndmask_b32 v2, -1, v2, vcc_lo :: v_dual_bitop2_b32 v7, v6, v37 bitop3:0x40
	s_delay_alu instid0(VALU_DEP_1) | instskip(NEXT) | instid1(VALU_DEP_1)
	v_and_b32_e32 v6, v2, v36
	v_cmp_eq_u64_e32 vcc_lo, v[6:7], v[32:33]
	s_and_b32 exec_lo, exec_lo, vcc_lo
	s_cbranch_execz .LBB180_300
; %bb.305:                              ;   in Loop: Header=BB180_303 Depth=2
	v_mov_b32_e32 v2, v21
	ds_store_b128 v21, v[2:5] offset:3072
	s_branch .LBB180_300
.LBB180_306:                            ;   in Loop: Header=BB180_303 Depth=2
	s_mov_b32 s64, -1
	s_mov_b32 s26, -1
                                        ; implicit-def: $vgpr10_vgpr11
                                        ; implicit-def: $vgpr8_vgpr9
	s_branch .LBB180_302
.LBB180_307:                            ;   in Loop: Header=BB180_6 Depth=1
	s_or_b32 exec_lo, exec_lo, s25
	s_delay_alu instid0(SALU_CYCLE_1) | instskip(SKIP_1) | instid1(SALU_CYCLE_1)
	s_and_not1_b32 s8, s24, exec_lo
	s_and_b32 s9, s23, exec_lo
	s_or_b32 s24, s8, s9
.LBB180_308:                            ;   in Loop: Header=BB180_6 Depth=1
	s_or_b32 exec_lo, exec_lo, s22
	s_mov_b32 s64, 0
	s_mov_b32 s69, -1
.LBB180_309:                            ;   in Loop: Header=BB180_6 Depth=1
	s_or_not1_b32 s8, s24, exec_lo
.LBB180_310:                            ;   in Loop: Header=BB180_6 Depth=1
	s_or_b32 exec_lo, exec_lo, s67
                                        ; implicit-def: $vgpr40_vgpr41
                                        ; implicit-def: $vgpr20
	s_and_saveexec_b32 s24, s8
	s_cbranch_execz .LBB180_474
; %bb.311:                              ;   in Loop: Header=BB180_6 Depth=1
	v_mov_b64_e32 v[40:41], 1
	v_mov_b32_e32 v20, 1
	s_xor_b32 s8, s7, -1
	s_mov_b32 s9, 0
	s_and_saveexec_b32 s7, s8
	s_cbranch_execz .LBB180_320
; %bb.312:                              ;   in Loop: Header=BB180_6 Depth=1
	s_mov_b32 s8, exec_lo
	v_cmpx_ge_u64_e64 s[20:21], v[38:39]
	s_xor_b32 s8, exec_lo, s8
	s_cbranch_execz .LBB180_317
; %bb.313:                              ;   in Loop: Header=BB180_6 Depth=1
	ds_load_b64 v[4:5], v21 offset:5120
	v_or_b32_e32 v33, s13, v33
	v_or_b32_e32 v32, s12, v32
	;; [unrolled: 1-line block ×4, first 2 shown]
	s_wait_dscnt 0x0
	v_cmp_ne_u64_e32 vcc_lo, 0, v[4:5]
	s_cbranch_vccnz .LBB180_317
; %bb.314:                              ;   in Loop: Header=BB180_6 Depth=1
	s_and_saveexec_b32 s9, s5
; %bb.315:                              ;   in Loop: Header=BB180_6 Depth=1
	v_mov_b64_e32 v[4:5], s[20:21]
	ds_store_b64 v21, v[4:5] offset:5128
; %bb.316:                              ;   in Loop: Header=BB180_6 Depth=1
	s_or_b32 exec_lo, exec_lo, s9
	s_wait_dscnt 0x0
	s_barrier_signal -1
	s_barrier_wait -1
.LBB180_317:                            ;   in Loop: Header=BB180_6 Depth=1
	s_or_saveexec_b32 s8, s8
	v_mov_b32_e32 v20, 5
	s_mov_b32 s9, 0
	s_xor_b32 exec_lo, exec_lo, s8
; %bb.318:                              ;   in Loop: Header=BB180_6 Depth=1
	v_sub_nc_u64_e64 v[38:39], v[38:39], s[20:21]
	v_mov_b32_e32 v20, 0
	s_mov_b32 s9, exec_lo
; %bb.319:                              ;   in Loop: Header=BB180_6 Depth=1
	s_or_b32 exec_lo, exec_lo, s8
	s_delay_alu instid0(VALU_DEP_2)
	v_mov_b64_e32 v[40:41], v[38:39]
	s_and_b32 s9, s9, exec_lo
.LBB180_320:                            ;   in Loop: Header=BB180_6 Depth=1
	s_or_b32 exec_lo, exec_lo, s7
	s_mov_b32 s8, -1
                                        ; implicit-def: $sgpr25
                                        ; implicit-def: $sgpr67
	s_and_saveexec_b32 s7, s9
	s_delay_alu instid0(SALU_CYCLE_1)
	s_xor_b32 s7, exec_lo, s7
	s_cbranch_execz .LBB180_471
; %bb.321:                              ;   in Loop: Header=BB180_6 Depth=1
	v_cmp_eq_u64_e32 vcc_lo, 1, v[40:41]
	s_cmp_eq_u64 s[18:19], 1
                                        ; implicit-def: $sgpr67
                                        ; implicit-def: $sgpr25
	s_cselect_b32 s8, -1, 0
	s_delay_alu instid0(SALU_CYCLE_1)
	s_and_b32 s68, s8, vcc_lo
	s_mov_b32 s8, -1
	s_and_saveexec_b32 s70, s68
	s_cbranch_execz .LBB180_357
; %bb.322:                              ;   in Loop: Header=BB180_6 Depth=1
	ds_load_b64 v[4:5], v21 offset:5120
	s_wait_dscnt 0x0
	s_barrier_signal -1
	s_barrier_wait -1
	v_readfirstlane_b32 s8, v4
	v_readfirstlane_b32 s9, v5
	s_and_saveexec_b32 s20, s6
; %bb.323:                              ;   in Loop: Header=BB180_6 Depth=1
	ds_store_b64 v48, v[34:35]
; %bb.324:                              ;   in Loop: Header=BB180_6 Depth=1
	s_or_b32 exec_lo, exec_lo, s20
	v_and_b32_e32 v2, s15, v33
	v_and_b32_e32 v4, s14, v32
	s_lshl_b64 s[20:21], 2, s86
	v_or_b32_e32 v37, s13, v37
	v_or_b32_e32 v36, s12, v36
	;; [unrolled: 1-line block ×4, first 2 shown]
	s_mov_b32 s25, -1
	s_mov_b32 s67, 0
	s_cmp_eq_u64 s[8:9], 0
	s_mov_b32 s22, 0
	s_mov_b32 s23, -1
	s_wait_dscnt 0x0
	s_barrier_signal -1
	s_barrier_wait -1
                                        ; implicit-def: $vgpr6_vgpr7
	s_cbranch_scc1 .LBB180_341
; %bb.325:                              ;   in Loop: Header=BB180_6 Depth=1
	s_add_nc_u64 s[20:21], s[8:9], s[52:53]
	s_delay_alu instid0(SALU_CYCLE_1) | instskip(NEXT) | instid1(SALU_CYCLE_1)
	s_and_b64 s[22:23], s[20:21], 0xffffffff00000000
	s_cmp_lg_u64 s[22:23], 0
	s_cbranch_scc0 .LBB180_384
; %bb.326:                              ;   in Loop: Header=BB180_6 Depth=1
	s_cvt_f32_u32 s22, s34
	s_sub_nc_u64 s[72:73], 0, s[34:35]
	s_delay_alu instid0(SALU_CYCLE_2) | instskip(NEXT) | instid1(SALU_CYCLE_3)
	s_fmamk_f32 s22, s88, 0x0, s22
	v_s_rcp_f32 s22, s22
	s_delay_alu instid0(TRANS32_DEP_1) | instskip(NEXT) | instid1(SALU_CYCLE_3)
	s_mul_f32 s22, s22, 0x5f7ffffc
	s_mul_f32 s23, s22, 0x2f800000
	s_delay_alu instid0(SALU_CYCLE_3) | instskip(NEXT) | instid1(SALU_CYCLE_3)
	s_trunc_f32 s23, s23
	s_fmamk_f32 s22, s23, 0xcf800000, s22
	s_cvt_u32_f32 s23, s23
	s_delay_alu instid0(SALU_CYCLE_2) | instskip(NEXT) | instid1(SALU_CYCLE_3)
	s_cvt_u32_f32 s22, s22
	s_mul_u64 s[74:75], s[72:73], s[22:23]
	s_delay_alu instid0(SALU_CYCLE_1)
	s_mul_hi_u32 s77, s22, s75
	s_mul_i32 s76, s22, s75
	s_mul_hi_u32 s26, s22, s74
	s_mul_i32 s45, s23, s74
	s_add_nc_u64 s[76:77], s[26:27], s[76:77]
	s_mul_hi_u32 s44, s23, s74
	s_mul_hi_u32 s46, s23, s75
	s_add_co_u32 s26, s76, s45
	s_add_co_ci_u32 s26, s77, s44
	s_mul_i32 s74, s23, s75
	s_add_co_ci_u32 s75, s46, 0
	s_delay_alu instid0(SALU_CYCLE_1) | instskip(NEXT) | instid1(SALU_CYCLE_1)
	s_add_nc_u64 s[74:75], s[26:27], s[74:75]
	s_add_co_u32 s22, s22, s74
	s_cselect_b32 s26, -1, 0
	s_delay_alu instid0(SALU_CYCLE_1) | instskip(SKIP_1) | instid1(SALU_CYCLE_1)
	s_cmp_lg_u32 s26, 0
	s_add_co_ci_u32 s23, s23, s75
	s_mul_u64 s[72:73], s[72:73], s[22:23]
	s_delay_alu instid0(SALU_CYCLE_1)
	s_mul_hi_u32 s75, s22, s73
	s_mul_i32 s74, s22, s73
	s_mul_hi_u32 s26, s22, s72
	s_mul_i32 s45, s23, s72
	s_add_nc_u64 s[74:75], s[26:27], s[74:75]
	s_mul_hi_u32 s44, s23, s72
	s_mul_hi_u32 s46, s23, s73
	s_add_co_u32 s26, s74, s45
	s_add_co_ci_u32 s26, s75, s44
	s_mul_i32 s72, s23, s73
	s_add_co_ci_u32 s73, s46, 0
	s_delay_alu instid0(SALU_CYCLE_1) | instskip(NEXT) | instid1(SALU_CYCLE_1)
	s_add_nc_u64 s[72:73], s[26:27], s[72:73]
	s_add_co_u32 s22, s22, s72
	s_cselect_b32 s44, -1, 0
	s_mul_hi_u32 s26, s20, s22
	s_cmp_lg_u32 s44, 0
	s_mul_hi_u32 s44, s21, s22
	s_add_co_ci_u32 s45, s23, s73
	s_mul_i32 s46, s21, s22
	s_mul_hi_u32 s23, s20, s45
	s_mul_i32 s22, s20, s45
	s_mul_hi_u32 s47, s21, s45
	s_add_nc_u64 s[22:23], s[26:27], s[22:23]
	s_mul_i32 s72, s21, s45
	s_add_co_u32 s22, s22, s46
	s_add_co_ci_u32 s26, s23, s44
	s_add_co_ci_u32 s73, s47, 0
	s_delay_alu instid0(SALU_CYCLE_1) | instskip(NEXT) | instid1(SALU_CYCLE_1)
	s_add_nc_u64 s[22:23], s[26:27], s[72:73]
	s_and_b64 s[72:73], s[22:23], 0xffffffff00000000
	s_delay_alu instid0(SALU_CYCLE_1) | instskip(NEXT) | instid1(SALU_CYCLE_1)
	s_or_b32 s72, s72, s22
	s_mul_u64 s[22:23], s[34:35], s[72:73]
	s_delay_alu instid0(SALU_CYCLE_1) | instskip(SKIP_1) | instid1(SALU_CYCLE_1)
	s_sub_co_u32 s22, s20, s22
	s_cselect_b32 s26, -1, 0
	s_cmp_lg_u32 s26, 0
	s_sub_co_ci_u32 s23, s21, s23
	s_sub_co_u32 s26, s22, s34
	s_cselect_b32 s44, -1, 0
	s_delay_alu instid0(SALU_CYCLE_1) | instskip(SKIP_3) | instid1(SALU_CYCLE_1)
	s_cmp_lg_u32 s44, 0
	s_sub_co_ci_u32 s44, s23, 0
	s_sub_co_u32 s45, s26, s34
	s_cselect_b32 s46, -1, 0
	s_cmp_lg_u32 s46, 0
	s_sub_co_ci_u32 s46, s44, 0
	s_cmp_ge_u32 s26, s34
	s_cselect_b32 s47, -1, 0
	s_cmp_eq_u32 s44, 0
	s_cselect_b32 s47, s47, -1
	s_delay_alu instid0(SALU_CYCLE_1)
	s_cmp_lg_u32 s47, 0
	s_cselect_b32 s44, s46, s44
	s_cselect_b32 s26, s45, s26
	s_cmp_ge_u32 s22, s34
	s_cselect_b32 s45, -1, 0
	s_cmp_eq_u32 s23, 0
	s_cselect_b32 s45, s45, -1
	s_delay_alu instid0(SALU_CYCLE_1)
	s_cmp_lg_u32 s45, 0
	s_cselect_b32 s23, s44, s23
	s_cselect_b32 s22, s26, s22
	s_cbranch_execnz .LBB180_328
.LBB180_327:                            ;   in Loop: Header=BB180_6 Depth=1
	v_cvt_f32_u32_e32 v2, s34
	s_sub_co_i32 s23, 0, s34
	s_delay_alu instid0(VALU_DEP_1) | instskip(SKIP_1) | instid1(TRANS32_DEP_1)
	v_rcp_iflag_f32_e32 v2, v2
	v_nop
	v_mul_f32_e32 v2, 0x4f7ffffe, v2
	s_delay_alu instid0(VALU_DEP_1) | instskip(NEXT) | instid1(VALU_DEP_1)
	v_cvt_u32_f32_e32 v2, v2
	v_readfirstlane_b32 s22, v2
	s_mul_i32 s23, s23, s22
	s_delay_alu instid0(SALU_CYCLE_1) | instskip(NEXT) | instid1(SALU_CYCLE_1)
	s_mul_hi_u32 s23, s22, s23
	s_add_co_i32 s22, s22, s23
	s_delay_alu instid0(SALU_CYCLE_1) | instskip(NEXT) | instid1(SALU_CYCLE_1)
	s_mul_hi_u32 s22, s20, s22
	s_mul_i32 s22, s22, s34
	s_delay_alu instid0(SALU_CYCLE_1) | instskip(NEXT) | instid1(SALU_CYCLE_1)
	s_sub_co_i32 s22, s20, s22
	s_sub_co_i32 s23, s22, s34
	s_cmp_ge_u32 s22, s34
	s_cselect_b32 s22, s23, s22
	s_delay_alu instid0(SALU_CYCLE_1) | instskip(SKIP_2) | instid1(SALU_CYCLE_1)
	s_sub_co_i32 s23, s22, s34
	s_cmp_ge_u32 s22, s34
	s_cselect_b32 s26, s23, s22
	s_mov_b64 s[22:23], s[26:27]
.LBB180_328:                            ;   in Loop: Header=BB180_6 Depth=1
	s_delay_alu instid0(SALU_CYCLE_1)
	s_sub_nc_u64 s[20:21], s[20:21], s[22:23]
	s_mov_b32 s23, 0
	s_mov_b32 s22, 0
	s_mov_b32 s26, exec_lo
                                        ; implicit-def: $vgpr6_vgpr7
	v_cmpx_gt_u64_e64 s[20:21], v[0:1]
	s_cbranch_execz .LBB180_340
; %bb.329:                              ;   in Loop: Header=BB180_6 Depth=1
	v_mov_b64_e32 v[8:9], v[0:1]
	v_mov_b32_e32 v10, v47
                                        ; implicit-def: $sgpr71
	s_branch .LBB180_333
.LBB180_330:                            ;   in Loop: Header=BB180_333 Depth=2
	s_or_b32 exec_lo, exec_lo, s72
	s_wait_dscnt 0x0
	s_barrier_signal -1
	s_barrier_wait -1
	ds_load_b128 v[4:7], v21 offset:3072
	s_wait_dscnt 0x0
	s_barrier_signal -1
	s_barrier_wait -1
	v_cmp_neq_f64_e32 vcc_lo, 0, v[4:5]
	s_cbranch_vccnz .LBB180_336
; %bb.331:                              ;   in Loop: Header=BB180_333 Depth=2
	v_add_nc_u64_e32 v[8:9], s[34:35], v[8:9]
	v_add_nc_u32_e32 v10, s85, v10
	s_mov_b32 s72, 0
	s_delay_alu instid0(VALU_DEP_2)
	v_cmp_le_u64_e32 vcc_lo, s[20:21], v[8:9]
	s_or_not1_b32 s73, vcc_lo, exec_lo
.LBB180_332:                            ;   in Loop: Header=BB180_333 Depth=2
	s_delay_alu instid0(SALU_CYCLE_1) | instskip(NEXT) | instid1(SALU_CYCLE_1)
	s_and_b32 s44, exec_lo, s73
	s_or_b32 s22, s44, s22
	s_and_not1_b32 s44, s71, exec_lo
	s_and_b32 s45, s72, exec_lo
	s_delay_alu instid0(SALU_CYCLE_1)
	s_or_b32 s71, s44, s45
	s_and_not1_b32 exec_lo, exec_lo, s22
	s_cbranch_execz .LBB180_339
.LBB180_333:                            ;   Parent Loop BB180_6 Depth=1
                                        ; =>  This Inner Loop Header: Depth=2
	s_mov_b32 s72, exec_lo
	s_delay_alu instid0(VALU_DEP_2)
	v_cmpx_gt_u64_e64 s[8:9], v[8:9]
	s_cbranch_execz .LBB180_330
; %bb.334:                              ;   in Loop: Header=BB180_333 Depth=2
	ds_load_b64 v[4:5], v10
	s_wait_dscnt 0x0
	v_cmp_o_f64_e32 vcc_lo, v[4:5], v[4:5]
	v_ashrrev_i32_e32 v2, 31, v5
	s_delay_alu instid0(VALU_DEP_1) | instskip(NEXT) | instid1(VALU_DEP_1)
	v_or_b32_e32 v6, 0x80000000, v2
	v_xor_b32_e32 v6, v6, v5
	s_delay_alu instid0(VALU_DEP_1) | instskip(NEXT) | instid1(VALU_DEP_1)
	v_dual_cndmask_b32 v6, -1, v6, vcc_lo :: v_dual_bitop2_b32 v2, v2, v4 bitop3:0x14
	v_dual_cndmask_b32 v2, -1, v2, vcc_lo :: v_dual_bitop2_b32 v7, v6, v37 bitop3:0x40
	s_delay_alu instid0(VALU_DEP_1) | instskip(NEXT) | instid1(VALU_DEP_1)
	v_and_b32_e32 v6, v2, v36
	v_cmp_eq_u64_e32 vcc_lo, v[6:7], v[32:33]
	s_and_b32 exec_lo, exec_lo, vcc_lo
	s_cbranch_execz .LBB180_330
; %bb.335:                              ;   in Loop: Header=BB180_333 Depth=2
	v_mov_b32_e32 v2, v21
	ds_store_b128 v21, v[2:5] offset:3072
	s_branch .LBB180_330
.LBB180_336:                            ;   in Loop: Header=BB180_333 Depth=2
	s_mov_b32 s73, -1
	s_mov_b32 s72, -1
                                        ; implicit-def: $vgpr8_vgpr9
                                        ; implicit-def: $vgpr10
	s_branch .LBB180_332
.LBB180_337:                            ;   in Loop: Header=BB180_6 Depth=1
                                        ; implicit-def: $sgpr24_sgpr25
	s_branch .LBB180_281
.LBB180_338:                            ;   in Loop: Header=BB180_6 Depth=1
                                        ; implicit-def: $sgpr8_sgpr9
	s_branch .LBB180_297
.LBB180_339:                            ;   in Loop: Header=BB180_6 Depth=1
	s_or_b32 exec_lo, exec_lo, s22
	s_delay_alu instid0(SALU_CYCLE_1)
	s_and_b32 s22, s71, exec_lo
.LBB180_340:                            ;   in Loop: Header=BB180_6 Depth=1
	s_or_b32 exec_lo, exec_lo, s26
.LBB180_341:                            ;   in Loop: Header=BB180_6 Depth=1
	s_delay_alu instid0(SALU_CYCLE_1)
	s_and_b32 vcc_lo, exec_lo, s23
	s_cbranch_vccz .LBB180_356
; %bb.342:                              ;   in Loop: Header=BB180_6 Depth=1
	s_and_b64 s[8:9], s[54:55], 0xffffffff00000000
	s_delay_alu instid0(SALU_CYCLE_1)
	s_cmp_lg_u64 s[8:9], 0
	s_cbranch_scc0 .LBB180_385
; %bb.343:                              ;   in Loop: Header=BB180_6 Depth=1
	s_cvt_f32_u32 s8, s34
	s_sub_nc_u64 s[20:21], 0, s[34:35]
	s_delay_alu instid0(SALU_CYCLE_2) | instskip(NEXT) | instid1(SALU_CYCLE_3)
	s_fmamk_f32 s8, s88, 0x0, s8
	v_s_rcp_f32 s8, s8
	s_delay_alu instid0(TRANS32_DEP_1) | instskip(NEXT) | instid1(SALU_CYCLE_3)
	s_mul_f32 s8, s8, 0x5f7ffffc
	s_mul_f32 s9, s8, 0x2f800000
	s_delay_alu instid0(SALU_CYCLE_3) | instskip(NEXT) | instid1(SALU_CYCLE_3)
	s_trunc_f32 s9, s9
	s_fmamk_f32 s8, s9, 0xcf800000, s8
	s_cvt_u32_f32 s9, s9
	s_delay_alu instid0(SALU_CYCLE_2) | instskip(NEXT) | instid1(SALU_CYCLE_3)
	s_cvt_u32_f32 s8, s8
	s_mul_u64 s[72:73], s[20:21], s[8:9]
	s_delay_alu instid0(SALU_CYCLE_1)
	s_mul_hi_u32 s75, s8, s73
	s_mul_i32 s74, s8, s73
	s_mul_hi_u32 s26, s8, s72
	s_mul_i32 s25, s9, s72
	s_add_nc_u64 s[74:75], s[26:27], s[74:75]
	s_mul_hi_u32 s23, s9, s72
	s_mul_hi_u32 s44, s9, s73
	s_add_co_u32 s25, s74, s25
	s_add_co_ci_u32 s26, s75, s23
	s_mul_i32 s72, s9, s73
	s_add_co_ci_u32 s73, s44, 0
	s_delay_alu instid0(SALU_CYCLE_1) | instskip(NEXT) | instid1(SALU_CYCLE_1)
	s_add_nc_u64 s[72:73], s[26:27], s[72:73]
	s_add_co_u32 s8, s8, s72
	s_cselect_b32 s23, -1, 0
	s_delay_alu instid0(SALU_CYCLE_1) | instskip(SKIP_1) | instid1(SALU_CYCLE_1)
	s_cmp_lg_u32 s23, 0
	s_add_co_ci_u32 s9, s9, s73
	s_mul_u64 s[20:21], s[20:21], s[8:9]
	s_delay_alu instid0(SALU_CYCLE_1)
	s_mul_hi_u32 s73, s8, s21
	s_mul_i32 s72, s8, s21
	s_mul_hi_u32 s26, s8, s20
	s_mul_i32 s25, s9, s20
	s_add_nc_u64 s[72:73], s[26:27], s[72:73]
	s_mul_hi_u32 s23, s9, s20
	s_mul_hi_u32 s44, s9, s21
	s_mul_i32 s20, s9, s21
	s_add_co_u32 s21, s72, s25
	s_add_co_ci_u32 s26, s73, s23
	s_add_co_ci_u32 s21, s44, 0
	s_delay_alu instid0(SALU_CYCLE_1) | instskip(NEXT) | instid1(SALU_CYCLE_1)
	s_add_nc_u64 s[20:21], s[26:27], s[20:21]
	s_add_co_u32 s8, s8, s20
	s_cselect_b32 s20, -1, 0
	s_mul_hi_u32 s26, s54, s8
	s_cmp_lg_u32 s20, 0
	s_mul_hi_u32 s23, s55, s8
	s_add_co_ci_u32 s20, s9, s21
	s_mul_i32 s21, s55, s8
	s_mul_hi_u32 s9, s54, s20
	s_mul_i32 s8, s54, s20
	s_mul_hi_u32 s25, s55, s20
	s_add_nc_u64 s[8:9], s[26:27], s[8:9]
	s_mul_i32 s20, s55, s20
	s_add_co_u32 s8, s8, s21
	s_add_co_ci_u32 s26, s9, s23
	s_add_co_ci_u32 s21, s25, 0
	s_delay_alu instid0(SALU_CYCLE_1) | instskip(NEXT) | instid1(SALU_CYCLE_1)
	s_add_nc_u64 s[8:9], s[26:27], s[20:21]
	s_and_b64 s[20:21], s[8:9], 0xffffffff00000000
	s_delay_alu instid0(SALU_CYCLE_1) | instskip(NEXT) | instid1(SALU_CYCLE_1)
	s_or_b32 s20, s20, s8
	s_mul_u64 s[8:9], s[34:35], s[20:21]
	s_delay_alu instid0(SALU_CYCLE_1) | instskip(SKIP_1) | instid1(SALU_CYCLE_1)
	s_sub_co_u32 s8, s54, s8
	s_cselect_b32 s20, -1, 0
	s_cmp_lg_u32 s20, 0
	s_sub_co_ci_u32 s9, s55, s9
	s_sub_co_u32 s20, s8, s34
	s_cselect_b32 s21, -1, 0
	s_delay_alu instid0(SALU_CYCLE_1) | instskip(SKIP_3) | instid1(SALU_CYCLE_1)
	s_cmp_lg_u32 s21, 0
	s_sub_co_ci_u32 s21, s9, 0
	s_sub_co_u32 s23, s20, s34
	s_cselect_b32 s25, -1, 0
	s_cmp_lg_u32 s25, 0
	s_sub_co_ci_u32 s25, s21, 0
	s_cmp_ge_u32 s20, s34
	s_cselect_b32 s26, -1, 0
	s_cmp_eq_u32 s21, 0
	s_cselect_b32 s26, s26, -1
	s_delay_alu instid0(SALU_CYCLE_1)
	s_cmp_lg_u32 s26, 0
	s_cselect_b32 s21, s25, s21
	s_cselect_b32 s20, s23, s20
	s_cmp_ge_u32 s8, s34
	s_cselect_b32 s23, -1, 0
	s_cmp_eq_u32 s9, 0
	s_cselect_b32 s23, s23, -1
	s_delay_alu instid0(SALU_CYCLE_1)
	s_cmp_lg_u32 s23, 0
	s_cselect_b32 s9, s21, s9
	s_cselect_b32 s8, s20, s8
	s_cbranch_execnz .LBB180_345
.LBB180_344:                            ;   in Loop: Header=BB180_6 Depth=1
	v_cvt_f32_u32_e32 v2, s34
	s_sub_co_i32 s9, 0, s34
	s_delay_alu instid0(VALU_DEP_1) | instskip(SKIP_1) | instid1(TRANS32_DEP_1)
	v_rcp_iflag_f32_e32 v2, v2
	v_nop
	v_mul_f32_e32 v2, 0x4f7ffffe, v2
	s_delay_alu instid0(VALU_DEP_1) | instskip(NEXT) | instid1(VALU_DEP_1)
	v_cvt_u32_f32_e32 v2, v2
	v_readfirstlane_b32 s8, v2
	s_mul_i32 s9, s9, s8
	s_delay_alu instid0(SALU_CYCLE_1) | instskip(NEXT) | instid1(SALU_CYCLE_1)
	s_mul_hi_u32 s9, s8, s9
	s_add_co_i32 s8, s8, s9
	s_delay_alu instid0(SALU_CYCLE_1) | instskip(NEXT) | instid1(SALU_CYCLE_1)
	s_mul_hi_u32 s8, s54, s8
	s_mul_i32 s8, s8, s34
	s_delay_alu instid0(SALU_CYCLE_1) | instskip(NEXT) | instid1(SALU_CYCLE_1)
	s_sub_co_i32 s8, s54, s8
	s_sub_co_i32 s9, s8, s34
	s_cmp_ge_u32 s8, s34
	s_cselect_b32 s8, s9, s8
	s_delay_alu instid0(SALU_CYCLE_1) | instskip(SKIP_2) | instid1(SALU_CYCLE_1)
	s_sub_co_i32 s9, s8, s34
	s_cmp_ge_u32 s8, s34
	s_cselect_b32 s26, s9, s8
	s_mov_b64 s[8:9], s[26:27]
.LBB180_345:                            ;   in Loop: Header=BB180_6 Depth=1
	s_delay_alu instid0(SALU_CYCLE_1)
	s_sub_nc_u64 s[8:9], s[54:55], s[8:9]
	s_mov_b32 s20, exec_lo
                                        ; implicit-def: $vgpr6_vgpr7
	v_nop
	v_cmpx_gt_u64_e64 s[8:9], v[0:1]
	s_cbranch_execz .LBB180_355
; %bb.346:                              ;   in Loop: Header=BB180_6 Depth=1
	v_mov_b64_e32 v[8:9], v[18:19]
	v_mov_b64_e32 v[10:11], v[0:1]
	s_mov_b32 s21, 0
                                        ; implicit-def: $sgpr23
	s_branch .LBB180_350
.LBB180_347:                            ;   in Loop: Header=BB180_350 Depth=2
	s_or_b32 exec_lo, exec_lo, s25
	s_wait_dscnt 0x0
	s_barrier_signal -1
	s_barrier_wait -1
	ds_load_b128 v[4:7], v21 offset:3072
	s_wait_dscnt 0x0
	s_barrier_signal -1
	s_barrier_wait -1
	v_cmp_eq_f64_e32 vcc_lo, 0, v[4:5]
	s_cbranch_vccz .LBB180_353
; %bb.348:                              ;   in Loop: Header=BB180_350 Depth=2
	v_add_nc_u64_e32 v[10:11], s[34:35], v[10:11]
	v_add_nc_u64_e32 v[8:9], s[36:37], v[8:9]
	s_mov_b32 s25, 0
	s_delay_alu instid0(VALU_DEP_2)
	v_cmp_le_u64_e32 vcc_lo, s[8:9], v[10:11]
	s_or_not1_b32 s26, vcc_lo, exec_lo
.LBB180_349:                            ;   in Loop: Header=BB180_350 Depth=2
	s_delay_alu instid0(SALU_CYCLE_1) | instskip(NEXT) | instid1(SALU_CYCLE_1)
	s_and_b32 s26, exec_lo, s26
	s_or_b32 s21, s26, s21
	s_and_not1_b32 s23, s23, exec_lo
	s_and_b32 s25, s25, exec_lo
	s_delay_alu instid0(SALU_CYCLE_1)
	s_or_b32 s23, s23, s25
	s_and_not1_b32 exec_lo, exec_lo, s21
	s_cbranch_execz .LBB180_354
.LBB180_350:                            ;   Parent Loop BB180_6 Depth=1
                                        ; =>  This Inner Loop Header: Depth=2
	s_mov_b32 s25, exec_lo
	s_delay_alu instid0(VALU_DEP_1)
	v_cmpx_gt_u64_e64 s[28:29], v[10:11]
	s_cbranch_execz .LBB180_347
; %bb.351:                              ;   in Loop: Header=BB180_350 Depth=2
	global_load_b64 v[4:5], v[8:9], off
	s_wait_loadcnt 0x0
	v_cmp_o_f64_e32 vcc_lo, v[4:5], v[4:5]
	v_ashrrev_i32_e32 v2, 31, v5
	s_delay_alu instid0(VALU_DEP_1) | instskip(NEXT) | instid1(VALU_DEP_1)
	v_or_b32_e32 v6, 0x80000000, v2
	v_xor_b32_e32 v6, v6, v5
	s_delay_alu instid0(VALU_DEP_1) | instskip(NEXT) | instid1(VALU_DEP_1)
	v_dual_cndmask_b32 v6, -1, v6, vcc_lo :: v_dual_bitop2_b32 v2, v2, v4 bitop3:0x14
	v_dual_cndmask_b32 v2, -1, v2, vcc_lo :: v_dual_bitop2_b32 v7, v6, v37 bitop3:0x40
	s_delay_alu instid0(VALU_DEP_1) | instskip(NEXT) | instid1(VALU_DEP_1)
	v_and_b32_e32 v6, v2, v36
	v_cmp_eq_u64_e32 vcc_lo, v[6:7], v[32:33]
	s_and_b32 exec_lo, exec_lo, vcc_lo
	s_cbranch_execz .LBB180_347
; %bb.352:                              ;   in Loop: Header=BB180_350 Depth=2
	v_mov_b32_e32 v2, v21
	ds_store_b128 v21, v[2:5] offset:3072
	s_branch .LBB180_347
.LBB180_353:                            ;   in Loop: Header=BB180_350 Depth=2
	s_mov_b32 s26, -1
	s_mov_b32 s25, -1
                                        ; implicit-def: $vgpr10_vgpr11
                                        ; implicit-def: $vgpr8_vgpr9
	s_branch .LBB180_349
.LBB180_354:                            ;   in Loop: Header=BB180_6 Depth=1
	s_or_b32 exec_lo, exec_lo, s21
	s_delay_alu instid0(SALU_CYCLE_1) | instskip(SKIP_1) | instid1(SALU_CYCLE_1)
	s_and_not1_b32 s8, s22, exec_lo
	s_and_b32 s9, s23, exec_lo
	s_or_b32 s22, s8, s9
.LBB180_355:                            ;   in Loop: Header=BB180_6 Depth=1
	s_or_b32 exec_lo, exec_lo, s20
	s_mov_b32 s25, 0
	s_mov_b32 s67, -1
.LBB180_356:                            ;   in Loop: Header=BB180_6 Depth=1
	s_or_not1_b32 s8, s22, exec_lo
.LBB180_357:                            ;   in Loop: Header=BB180_6 Depth=1
	s_or_b32 exec_lo, exec_lo, s70
	s_mov_b32 s9, 0
	s_and_saveexec_b32 s22, s8
	s_cbranch_execz .LBB180_470
; %bb.358:                              ;   in Loop: Header=BB180_6 Depth=1
	v_mov_b64_e32 v[8:9], 1
	v_mov_b32_e32 v20, 1
	s_xor_b32 s20, s68, -1
	s_delay_alu instid0(SALU_CYCLE_1)
	s_and_saveexec_b32 s8, s20
	s_cbranch_execz .LBB180_367
; %bb.359:                              ;   in Loop: Header=BB180_6 Depth=1
	s_mov_b32 s9, exec_lo
	v_cmpx_ge_u64_e64 s[18:19], v[40:41]
	s_xor_b32 s9, exec_lo, s9
	s_cbranch_execz .LBB180_364
; %bb.360:                              ;   in Loop: Header=BB180_6 Depth=1
	ds_load_b64 v[4:5], v21 offset:5120
	v_and_b32_e32 v2, s15, v33
	v_and_b32_e32 v8, s14, v32
	s_lshl_b64 s[20:21], 2, s86
	v_or_b32_e32 v37, s13, v37
	v_or_b32_e32 v36, s12, v36
	;; [unrolled: 1-line block ×4, first 2 shown]
	s_wait_dscnt 0x0
	v_cmp_ne_u64_e32 vcc_lo, 0, v[4:5]
	s_cbranch_vccnz .LBB180_364
; %bb.361:                              ;   in Loop: Header=BB180_6 Depth=1
	s_and_saveexec_b32 s20, s5
; %bb.362:                              ;   in Loop: Header=BB180_6 Depth=1
	v_mov_b64_e32 v[4:5], s[18:19]
	ds_store_b64 v21, v[4:5] offset:5128
; %bb.363:                              ;   in Loop: Header=BB180_6 Depth=1
	s_or_b32 exec_lo, exec_lo, s20
	s_wait_dscnt 0x0
	s_barrier_signal -1
	s_barrier_wait -1
.LBB180_364:                            ;   in Loop: Header=BB180_6 Depth=1
	s_or_saveexec_b32 s9, s9
	v_mov_b32_e32 v20, 5
	s_mov_b32 s20, 0
	s_xor_b32 exec_lo, exec_lo, s9
; %bb.365:                              ;   in Loop: Header=BB180_6 Depth=1
	v_sub_nc_u64_e64 v[40:41], v[40:41], s[18:19]
	v_mov_b32_e32 v20, 0
	s_mov_b32 s20, exec_lo
; %bb.366:                              ;   in Loop: Header=BB180_6 Depth=1
	s_or_b32 exec_lo, exec_lo, s9
	s_delay_alu instid0(VALU_DEP_2)
	v_mov_b64_e32 v[8:9], v[40:41]
	s_and_b32 s9, s20, exec_lo
.LBB180_367:                            ;   in Loop: Header=BB180_6 Depth=1
	s_or_b32 exec_lo, exec_lo, s8
	s_mov_b32 s8, -1
                                        ; implicit-def: $sgpr68
                                        ; implicit-def: $sgpr70
	s_and_saveexec_b32 s23, s9
	s_cbranch_execz .LBB180_469
; %bb.368:                              ;   in Loop: Header=BB180_6 Depth=1
	s_delay_alu instid0(VALU_DEP_1) | instskip(SKIP_2) | instid1(SALU_CYCLE_1)
	v_cmp_eq_u64_e32 vcc_lo, 1, v[8:9]
	s_cmp_eq_u64 s[16:17], 1
                                        ; implicit-def: $sgpr70
                                        ; implicit-def: $sgpr68
	s_cselect_b32 s8, -1, 0
	s_and_b32 s71, s8, vcc_lo
	s_mov_b32 s8, -1
	s_and_saveexec_b32 s72, s71
	s_cbranch_execz .LBB180_404
; %bb.369:                              ;   in Loop: Header=BB180_6 Depth=1
	ds_load_b64 v[4:5], v21 offset:5120
	s_wait_dscnt 0x0
	s_barrier_signal -1
	s_barrier_wait -1
	v_readfirstlane_b32 s8, v4
	v_readfirstlane_b32 s9, v5
	s_and_saveexec_b32 s18, s6
; %bb.370:                              ;   in Loop: Header=BB180_6 Depth=1
	ds_store_b64 v48, v[34:35]
; %bb.371:                              ;   in Loop: Header=BB180_6 Depth=1
	s_or_b32 exec_lo, exec_lo, s18
	v_and_b32_e32 v2, s15, v33
	v_and_b32_e32 v4, s14, v32
	s_lshl_b64 s[18:19], 1, s86
	v_or_b32_e32 v37, s13, v37
	v_or_b32_e32 v36, s12, v36
	;; [unrolled: 1-line block ×4, first 2 shown]
	s_mov_b32 s68, -1
	s_mov_b32 s70, 0
	s_cmp_eq_u64 s[8:9], 0
	s_mov_b32 s20, 0
	s_mov_b32 s21, -1
	s_wait_dscnt 0x0
	s_barrier_signal -1
	s_barrier_wait -1
                                        ; implicit-def: $vgpr6_vgpr7
	s_cbranch_scc1 .LBB180_388
; %bb.372:                              ;   in Loop: Header=BB180_6 Depth=1
	s_add_nc_u64 s[18:19], s[8:9], s[52:53]
	s_delay_alu instid0(SALU_CYCLE_1) | instskip(NEXT) | instid1(SALU_CYCLE_1)
	s_and_b64 s[20:21], s[18:19], 0xffffffff00000000
	s_cmp_lg_u64 s[20:21], 0
	s_cbranch_scc0 .LBB180_421
; %bb.373:                              ;   in Loop: Header=BB180_6 Depth=1
	s_cvt_f32_u32 s20, s34
	s_sub_nc_u64 s[74:75], 0, s[34:35]
	s_delay_alu instid0(SALU_CYCLE_2) | instskip(NEXT) | instid1(SALU_CYCLE_3)
	s_fmamk_f32 s20, s88, 0x0, s20
	v_s_rcp_f32 s20, s20
	s_delay_alu instid0(TRANS32_DEP_1) | instskip(NEXT) | instid1(SALU_CYCLE_3)
	s_mul_f32 s20, s20, 0x5f7ffffc
	s_mul_f32 s21, s20, 0x2f800000
	s_delay_alu instid0(SALU_CYCLE_3) | instskip(NEXT) | instid1(SALU_CYCLE_3)
	s_trunc_f32 s21, s21
	s_fmamk_f32 s20, s21, 0xcf800000, s20
	s_cvt_u32_f32 s21, s21
	s_delay_alu instid0(SALU_CYCLE_2) | instskip(NEXT) | instid1(SALU_CYCLE_3)
	s_cvt_u32_f32 s20, s20
	s_mul_u64 s[76:77], s[74:75], s[20:21]
	s_delay_alu instid0(SALU_CYCLE_1)
	s_mul_hi_u32 s101, s20, s77
	s_mul_i32 s100, s20, s77
	s_mul_hi_u32 s26, s20, s76
	s_mul_i32 s45, s21, s76
	s_add_nc_u64 s[100:101], s[26:27], s[100:101]
	s_mul_hi_u32 s44, s21, s76
	s_mul_hi_u32 s46, s21, s77
	s_add_co_u32 s26, s100, s45
	s_add_co_ci_u32 s26, s101, s44
	s_mul_i32 s76, s21, s77
	s_add_co_ci_u32 s77, s46, 0
	s_delay_alu instid0(SALU_CYCLE_1) | instskip(NEXT) | instid1(SALU_CYCLE_1)
	s_add_nc_u64 s[76:77], s[26:27], s[76:77]
	s_add_co_u32 s20, s20, s76
	s_cselect_b32 s26, -1, 0
	s_delay_alu instid0(SALU_CYCLE_1) | instskip(SKIP_1) | instid1(SALU_CYCLE_1)
	s_cmp_lg_u32 s26, 0
	s_add_co_ci_u32 s21, s21, s77
	s_mul_u64 s[74:75], s[74:75], s[20:21]
	s_delay_alu instid0(SALU_CYCLE_1)
	s_mul_hi_u32 s77, s20, s75
	s_mul_i32 s76, s20, s75
	s_mul_hi_u32 s26, s20, s74
	s_mul_i32 s45, s21, s74
	s_add_nc_u64 s[76:77], s[26:27], s[76:77]
	s_mul_hi_u32 s44, s21, s74
	s_mul_hi_u32 s46, s21, s75
	s_add_co_u32 s26, s76, s45
	s_add_co_ci_u32 s26, s77, s44
	s_mul_i32 s74, s21, s75
	s_add_co_ci_u32 s75, s46, 0
	s_delay_alu instid0(SALU_CYCLE_1) | instskip(NEXT) | instid1(SALU_CYCLE_1)
	s_add_nc_u64 s[74:75], s[26:27], s[74:75]
	s_add_co_u32 s20, s20, s74
	s_cselect_b32 s44, -1, 0
	s_mul_hi_u32 s26, s18, s20
	s_cmp_lg_u32 s44, 0
	s_mul_hi_u32 s44, s19, s20
	s_add_co_ci_u32 s45, s21, s75
	s_mul_i32 s46, s19, s20
	s_mul_hi_u32 s21, s18, s45
	s_mul_i32 s20, s18, s45
	s_mul_hi_u32 s47, s19, s45
	s_add_nc_u64 s[20:21], s[26:27], s[20:21]
	s_mul_i32 s74, s19, s45
	s_add_co_u32 s20, s20, s46
	s_add_co_ci_u32 s26, s21, s44
	s_add_co_ci_u32 s75, s47, 0
	s_delay_alu instid0(SALU_CYCLE_1) | instskip(NEXT) | instid1(SALU_CYCLE_1)
	s_add_nc_u64 s[20:21], s[26:27], s[74:75]
	s_and_b64 s[74:75], s[20:21], 0xffffffff00000000
	s_delay_alu instid0(SALU_CYCLE_1) | instskip(NEXT) | instid1(SALU_CYCLE_1)
	s_or_b32 s74, s74, s20
	s_mul_u64 s[20:21], s[34:35], s[74:75]
	s_delay_alu instid0(SALU_CYCLE_1) | instskip(SKIP_1) | instid1(SALU_CYCLE_1)
	s_sub_co_u32 s20, s18, s20
	s_cselect_b32 s26, -1, 0
	s_cmp_lg_u32 s26, 0
	s_sub_co_ci_u32 s21, s19, s21
	s_sub_co_u32 s26, s20, s34
	s_cselect_b32 s44, -1, 0
	s_delay_alu instid0(SALU_CYCLE_1) | instskip(SKIP_3) | instid1(SALU_CYCLE_1)
	s_cmp_lg_u32 s44, 0
	s_sub_co_ci_u32 s44, s21, 0
	s_sub_co_u32 s45, s26, s34
	s_cselect_b32 s46, -1, 0
	s_cmp_lg_u32 s46, 0
	s_sub_co_ci_u32 s46, s44, 0
	s_cmp_ge_u32 s26, s34
	s_cselect_b32 s47, -1, 0
	s_cmp_eq_u32 s44, 0
	s_cselect_b32 s47, s47, -1
	s_delay_alu instid0(SALU_CYCLE_1)
	s_cmp_lg_u32 s47, 0
	s_cselect_b32 s44, s46, s44
	s_cselect_b32 s26, s45, s26
	s_cmp_ge_u32 s20, s34
	s_cselect_b32 s45, -1, 0
	s_cmp_eq_u32 s21, 0
	s_cselect_b32 s45, s45, -1
	s_delay_alu instid0(SALU_CYCLE_1)
	s_cmp_lg_u32 s45, 0
	s_cselect_b32 s21, s44, s21
	s_cselect_b32 s20, s26, s20
	s_cbranch_execnz .LBB180_375
.LBB180_374:                            ;   in Loop: Header=BB180_6 Depth=1
	v_cvt_f32_u32_e32 v2, s34
	s_sub_co_i32 s21, 0, s34
	s_delay_alu instid0(VALU_DEP_1) | instskip(SKIP_1) | instid1(TRANS32_DEP_1)
	v_rcp_iflag_f32_e32 v2, v2
	v_nop
	v_mul_f32_e32 v2, 0x4f7ffffe, v2
	s_delay_alu instid0(VALU_DEP_1) | instskip(NEXT) | instid1(VALU_DEP_1)
	v_cvt_u32_f32_e32 v2, v2
	v_readfirstlane_b32 s20, v2
	s_mul_i32 s21, s21, s20
	s_delay_alu instid0(SALU_CYCLE_1) | instskip(NEXT) | instid1(SALU_CYCLE_1)
	s_mul_hi_u32 s21, s20, s21
	s_add_co_i32 s20, s20, s21
	s_delay_alu instid0(SALU_CYCLE_1) | instskip(NEXT) | instid1(SALU_CYCLE_1)
	s_mul_hi_u32 s20, s18, s20
	s_mul_i32 s20, s20, s34
	s_delay_alu instid0(SALU_CYCLE_1) | instskip(NEXT) | instid1(SALU_CYCLE_1)
	s_sub_co_i32 s20, s18, s20
	s_sub_co_i32 s21, s20, s34
	s_cmp_ge_u32 s20, s34
	s_cselect_b32 s20, s21, s20
	s_delay_alu instid0(SALU_CYCLE_1) | instskip(SKIP_2) | instid1(SALU_CYCLE_1)
	s_sub_co_i32 s21, s20, s34
	s_cmp_ge_u32 s20, s34
	s_cselect_b32 s26, s21, s20
	s_mov_b64 s[20:21], s[26:27]
.LBB180_375:                            ;   in Loop: Header=BB180_6 Depth=1
	s_delay_alu instid0(SALU_CYCLE_1)
	s_sub_nc_u64 s[18:19], s[18:19], s[20:21]
	s_mov_b32 s21, 0
	s_mov_b32 s20, 0
	s_mov_b32 s26, exec_lo
                                        ; implicit-def: $vgpr6_vgpr7
	v_cmpx_gt_u64_e64 s[18:19], v[0:1]
	s_cbranch_execz .LBB180_387
; %bb.376:                              ;   in Loop: Header=BB180_6 Depth=1
	v_mov_b64_e32 v[10:11], v[0:1]
	v_mov_b32_e32 v12, v47
                                        ; implicit-def: $sgpr73
	s_branch .LBB180_380
.LBB180_377:                            ;   in Loop: Header=BB180_380 Depth=2
	s_or_b32 exec_lo, exec_lo, s74
	s_wait_dscnt 0x0
	s_barrier_signal -1
	s_barrier_wait -1
	ds_load_b128 v[4:7], v21 offset:3072
	s_wait_dscnt 0x0
	s_barrier_signal -1
	s_barrier_wait -1
	v_cmp_neq_f64_e32 vcc_lo, 0, v[4:5]
	s_cbranch_vccnz .LBB180_383
; %bb.378:                              ;   in Loop: Header=BB180_380 Depth=2
	v_add_nc_u64_e32 v[10:11], s[34:35], v[10:11]
	v_add_nc_u32_e32 v12, s85, v12
	s_mov_b32 s74, 0
	s_delay_alu instid0(VALU_DEP_2)
	v_cmp_le_u64_e32 vcc_lo, s[18:19], v[10:11]
	s_or_not1_b32 s75, vcc_lo, exec_lo
.LBB180_379:                            ;   in Loop: Header=BB180_380 Depth=2
	s_delay_alu instid0(SALU_CYCLE_1) | instskip(NEXT) | instid1(SALU_CYCLE_1)
	s_and_b32 s44, exec_lo, s75
	s_or_b32 s20, s44, s20
	s_and_not1_b32 s44, s73, exec_lo
	s_and_b32 s45, s74, exec_lo
	s_delay_alu instid0(SALU_CYCLE_1)
	s_or_b32 s73, s44, s45
	s_and_not1_b32 exec_lo, exec_lo, s20
	s_cbranch_execz .LBB180_386
.LBB180_380:                            ;   Parent Loop BB180_6 Depth=1
                                        ; =>  This Inner Loop Header: Depth=2
	s_mov_b32 s74, exec_lo
	s_delay_alu instid0(VALU_DEP_2)
	v_cmpx_gt_u64_e64 s[8:9], v[10:11]
	s_cbranch_execz .LBB180_377
; %bb.381:                              ;   in Loop: Header=BB180_380 Depth=2
	ds_load_b64 v[4:5], v12
	s_wait_dscnt 0x0
	v_cmp_o_f64_e32 vcc_lo, v[4:5], v[4:5]
	v_ashrrev_i32_e32 v2, 31, v5
	s_delay_alu instid0(VALU_DEP_1) | instskip(NEXT) | instid1(VALU_DEP_1)
	v_or_b32_e32 v6, 0x80000000, v2
	v_xor_b32_e32 v6, v6, v5
	s_delay_alu instid0(VALU_DEP_1) | instskip(NEXT) | instid1(VALU_DEP_1)
	v_dual_cndmask_b32 v6, -1, v6, vcc_lo :: v_dual_bitop2_b32 v2, v2, v4 bitop3:0x14
	v_dual_cndmask_b32 v2, -1, v2, vcc_lo :: v_dual_bitop2_b32 v7, v6, v37 bitop3:0x40
	s_delay_alu instid0(VALU_DEP_1) | instskip(NEXT) | instid1(VALU_DEP_1)
	v_and_b32_e32 v6, v2, v36
	v_cmp_eq_u64_e32 vcc_lo, v[6:7], v[32:33]
	s_and_b32 exec_lo, exec_lo, vcc_lo
	s_cbranch_execz .LBB180_377
; %bb.382:                              ;   in Loop: Header=BB180_380 Depth=2
	v_mov_b32_e32 v2, v21
	ds_store_b128 v21, v[2:5] offset:3072
	s_branch .LBB180_377
.LBB180_383:                            ;   in Loop: Header=BB180_380 Depth=2
	s_mov_b32 s75, -1
	s_mov_b32 s74, -1
                                        ; implicit-def: $vgpr10_vgpr11
                                        ; implicit-def: $vgpr12
	s_branch .LBB180_379
.LBB180_384:                            ;   in Loop: Header=BB180_6 Depth=1
                                        ; implicit-def: $sgpr22_sgpr23
	s_branch .LBB180_327
.LBB180_385:                            ;   in Loop: Header=BB180_6 Depth=1
                                        ; implicit-def: $sgpr8_sgpr9
	s_branch .LBB180_344
.LBB180_386:                            ;   in Loop: Header=BB180_6 Depth=1
	s_or_b32 exec_lo, exec_lo, s20
	s_delay_alu instid0(SALU_CYCLE_1)
	s_and_b32 s20, s73, exec_lo
.LBB180_387:                            ;   in Loop: Header=BB180_6 Depth=1
	s_or_b32 exec_lo, exec_lo, s26
.LBB180_388:                            ;   in Loop: Header=BB180_6 Depth=1
	s_delay_alu instid0(SALU_CYCLE_1)
	s_and_b32 vcc_lo, exec_lo, s21
	s_cbranch_vccz .LBB180_403
; %bb.389:                              ;   in Loop: Header=BB180_6 Depth=1
	s_and_b64 s[8:9], s[54:55], 0xffffffff00000000
	s_delay_alu instid0(SALU_CYCLE_1)
	s_cmp_lg_u64 s[8:9], 0
	s_cbranch_scc0 .LBB180_422
; %bb.390:                              ;   in Loop: Header=BB180_6 Depth=1
	s_cvt_f32_u32 s8, s34
	s_sub_nc_u64 s[18:19], 0, s[34:35]
	s_delay_alu instid0(SALU_CYCLE_2) | instskip(NEXT) | instid1(SALU_CYCLE_3)
	s_fmamk_f32 s8, s88, 0x0, s8
	v_s_rcp_f32 s8, s8
	s_delay_alu instid0(TRANS32_DEP_1) | instskip(NEXT) | instid1(SALU_CYCLE_3)
	s_mul_f32 s8, s8, 0x5f7ffffc
	s_mul_f32 s9, s8, 0x2f800000
	s_delay_alu instid0(SALU_CYCLE_3) | instskip(NEXT) | instid1(SALU_CYCLE_3)
	s_trunc_f32 s9, s9
	s_fmamk_f32 s8, s9, 0xcf800000, s8
	s_cvt_u32_f32 s9, s9
	s_delay_alu instid0(SALU_CYCLE_2) | instskip(NEXT) | instid1(SALU_CYCLE_3)
	s_cvt_u32_f32 s8, s8
	s_mul_u64 s[74:75], s[18:19], s[8:9]
	s_delay_alu instid0(SALU_CYCLE_1)
	s_mul_hi_u32 s77, s8, s75
	s_mul_i32 s76, s8, s75
	s_mul_hi_u32 s26, s8, s74
	s_mul_i32 s44, s9, s74
	s_add_nc_u64 s[76:77], s[26:27], s[76:77]
	s_mul_hi_u32 s21, s9, s74
	s_mul_hi_u32 s45, s9, s75
	s_add_co_u32 s26, s76, s44
	s_add_co_ci_u32 s26, s77, s21
	s_mul_i32 s74, s9, s75
	s_add_co_ci_u32 s75, s45, 0
	s_delay_alu instid0(SALU_CYCLE_1) | instskip(NEXT) | instid1(SALU_CYCLE_1)
	s_add_nc_u64 s[74:75], s[26:27], s[74:75]
	s_add_co_u32 s8, s8, s74
	s_cselect_b32 s21, -1, 0
	s_delay_alu instid0(SALU_CYCLE_1) | instskip(SKIP_1) | instid1(SALU_CYCLE_1)
	s_cmp_lg_u32 s21, 0
	s_add_co_ci_u32 s9, s9, s75
	s_mul_u64 s[18:19], s[18:19], s[8:9]
	s_delay_alu instid0(SALU_CYCLE_1)
	s_mul_hi_u32 s75, s8, s19
	s_mul_i32 s74, s8, s19
	s_mul_hi_u32 s26, s8, s18
	s_mul_i32 s44, s9, s18
	s_add_nc_u64 s[74:75], s[26:27], s[74:75]
	s_mul_hi_u32 s21, s9, s18
	s_mul_hi_u32 s45, s9, s19
	s_mul_i32 s18, s9, s19
	s_add_co_u32 s19, s74, s44
	s_add_co_ci_u32 s26, s75, s21
	s_add_co_ci_u32 s19, s45, 0
	s_delay_alu instid0(SALU_CYCLE_1) | instskip(NEXT) | instid1(SALU_CYCLE_1)
	s_add_nc_u64 s[18:19], s[26:27], s[18:19]
	s_add_co_u32 s8, s8, s18
	s_cselect_b32 s18, -1, 0
	s_mul_hi_u32 s26, s54, s8
	s_cmp_lg_u32 s18, 0
	s_mul_hi_u32 s21, s55, s8
	s_add_co_ci_u32 s18, s9, s19
	s_mul_i32 s19, s55, s8
	s_mul_hi_u32 s9, s54, s18
	s_mul_i32 s8, s54, s18
	s_mul_hi_u32 s44, s55, s18
	s_add_nc_u64 s[8:9], s[26:27], s[8:9]
	s_mul_i32 s18, s55, s18
	s_add_co_u32 s8, s8, s19
	s_add_co_ci_u32 s26, s9, s21
	s_add_co_ci_u32 s19, s44, 0
	s_delay_alu instid0(SALU_CYCLE_1) | instskip(NEXT) | instid1(SALU_CYCLE_1)
	s_add_nc_u64 s[8:9], s[26:27], s[18:19]
	s_and_b64 s[18:19], s[8:9], 0xffffffff00000000
	s_delay_alu instid0(SALU_CYCLE_1) | instskip(NEXT) | instid1(SALU_CYCLE_1)
	s_or_b32 s18, s18, s8
	s_mul_u64 s[8:9], s[34:35], s[18:19]
	s_delay_alu instid0(SALU_CYCLE_1) | instskip(SKIP_1) | instid1(SALU_CYCLE_1)
	s_sub_co_u32 s8, s54, s8
	s_cselect_b32 s18, -1, 0
	s_cmp_lg_u32 s18, 0
	s_sub_co_ci_u32 s9, s55, s9
	s_sub_co_u32 s18, s8, s34
	s_cselect_b32 s19, -1, 0
	s_delay_alu instid0(SALU_CYCLE_1) | instskip(SKIP_3) | instid1(SALU_CYCLE_1)
	s_cmp_lg_u32 s19, 0
	s_sub_co_ci_u32 s19, s9, 0
	s_sub_co_u32 s21, s18, s34
	s_cselect_b32 s26, -1, 0
	s_cmp_lg_u32 s26, 0
	s_sub_co_ci_u32 s26, s19, 0
	s_cmp_ge_u32 s18, s34
	s_cselect_b32 s44, -1, 0
	s_cmp_eq_u32 s19, 0
	s_cselect_b32 s44, s44, -1
	s_delay_alu instid0(SALU_CYCLE_1)
	s_cmp_lg_u32 s44, 0
	s_cselect_b32 s19, s26, s19
	s_cselect_b32 s18, s21, s18
	s_cmp_ge_u32 s8, s34
	s_cselect_b32 s21, -1, 0
	s_cmp_eq_u32 s9, 0
	s_cselect_b32 s21, s21, -1
	s_delay_alu instid0(SALU_CYCLE_1)
	s_cmp_lg_u32 s21, 0
	s_cselect_b32 s9, s19, s9
	s_cselect_b32 s8, s18, s8
	s_cbranch_execnz .LBB180_392
.LBB180_391:                            ;   in Loop: Header=BB180_6 Depth=1
	v_cvt_f32_u32_e32 v2, s34
	s_sub_co_i32 s9, 0, s34
	s_delay_alu instid0(VALU_DEP_1) | instskip(SKIP_1) | instid1(TRANS32_DEP_1)
	v_rcp_iflag_f32_e32 v2, v2
	v_nop
	v_mul_f32_e32 v2, 0x4f7ffffe, v2
	s_delay_alu instid0(VALU_DEP_1) | instskip(NEXT) | instid1(VALU_DEP_1)
	v_cvt_u32_f32_e32 v2, v2
	v_readfirstlane_b32 s8, v2
	s_mul_i32 s9, s9, s8
	s_delay_alu instid0(SALU_CYCLE_1) | instskip(NEXT) | instid1(SALU_CYCLE_1)
	s_mul_hi_u32 s9, s8, s9
	s_add_co_i32 s8, s8, s9
	s_delay_alu instid0(SALU_CYCLE_1) | instskip(NEXT) | instid1(SALU_CYCLE_1)
	s_mul_hi_u32 s8, s54, s8
	s_mul_i32 s8, s8, s34
	s_delay_alu instid0(SALU_CYCLE_1) | instskip(NEXT) | instid1(SALU_CYCLE_1)
	s_sub_co_i32 s8, s54, s8
	s_sub_co_i32 s9, s8, s34
	s_cmp_ge_u32 s8, s34
	s_cselect_b32 s8, s9, s8
	s_delay_alu instid0(SALU_CYCLE_1) | instskip(SKIP_2) | instid1(SALU_CYCLE_1)
	s_sub_co_i32 s9, s8, s34
	s_cmp_ge_u32 s8, s34
	s_cselect_b32 s26, s9, s8
	s_mov_b64 s[8:9], s[26:27]
.LBB180_392:                            ;   in Loop: Header=BB180_6 Depth=1
	s_delay_alu instid0(SALU_CYCLE_1)
	s_sub_nc_u64 s[8:9], s[54:55], s[8:9]
	s_mov_b32 s18, exec_lo
                                        ; implicit-def: $vgpr6_vgpr7
	v_nop
	v_cmpx_gt_u64_e64 s[8:9], v[0:1]
	s_cbranch_execz .LBB180_402
; %bb.393:                              ;   in Loop: Header=BB180_6 Depth=1
	v_mov_b64_e32 v[10:11], v[18:19]
	v_mov_b64_e32 v[12:13], v[0:1]
	s_mov_b32 s19, 0
                                        ; implicit-def: $sgpr21
	s_branch .LBB180_397
.LBB180_394:                            ;   in Loop: Header=BB180_397 Depth=2
	s_or_b32 exec_lo, exec_lo, s26
	s_wait_dscnt 0x0
	s_barrier_signal -1
	s_barrier_wait -1
	ds_load_b128 v[4:7], v21 offset:3072
	s_wait_dscnt 0x0
	s_barrier_signal -1
	s_barrier_wait -1
	v_cmp_eq_f64_e32 vcc_lo, 0, v[4:5]
	s_cbranch_vccz .LBB180_400
; %bb.395:                              ;   in Loop: Header=BB180_397 Depth=2
	v_add_nc_u64_e32 v[12:13], s[34:35], v[12:13]
	v_add_nc_u64_e32 v[10:11], s[36:37], v[10:11]
	s_mov_b32 s26, 0
	s_delay_alu instid0(VALU_DEP_2)
	v_cmp_le_u64_e32 vcc_lo, s[8:9], v[12:13]
	s_or_not1_b32 s68, vcc_lo, exec_lo
.LBB180_396:                            ;   in Loop: Header=BB180_397 Depth=2
	s_delay_alu instid0(SALU_CYCLE_1) | instskip(NEXT) | instid1(SALU_CYCLE_1)
	s_and_b32 s44, exec_lo, s68
	s_or_b32 s19, s44, s19
	s_and_not1_b32 s21, s21, exec_lo
	s_and_b32 s26, s26, exec_lo
	s_delay_alu instid0(SALU_CYCLE_1)
	s_or_b32 s21, s21, s26
	s_and_not1_b32 exec_lo, exec_lo, s19
	s_cbranch_execz .LBB180_401
.LBB180_397:                            ;   Parent Loop BB180_6 Depth=1
                                        ; =>  This Inner Loop Header: Depth=2
	s_mov_b32 s26, exec_lo
	s_delay_alu instid0(VALU_DEP_1)
	v_cmpx_gt_u64_e64 s[28:29], v[12:13]
	s_cbranch_execz .LBB180_394
; %bb.398:                              ;   in Loop: Header=BB180_397 Depth=2
	global_load_b64 v[4:5], v[10:11], off
	s_wait_loadcnt 0x0
	v_cmp_o_f64_e32 vcc_lo, v[4:5], v[4:5]
	v_ashrrev_i32_e32 v2, 31, v5
	s_delay_alu instid0(VALU_DEP_1) | instskip(NEXT) | instid1(VALU_DEP_1)
	v_or_b32_e32 v6, 0x80000000, v2
	v_xor_b32_e32 v6, v6, v5
	s_delay_alu instid0(VALU_DEP_1) | instskip(NEXT) | instid1(VALU_DEP_1)
	v_dual_cndmask_b32 v6, -1, v6, vcc_lo :: v_dual_bitop2_b32 v2, v2, v4 bitop3:0x14
	v_dual_cndmask_b32 v2, -1, v2, vcc_lo :: v_dual_bitop2_b32 v7, v6, v37 bitop3:0x40
	s_delay_alu instid0(VALU_DEP_1) | instskip(NEXT) | instid1(VALU_DEP_1)
	v_and_b32_e32 v6, v2, v36
	v_cmp_eq_u64_e32 vcc_lo, v[6:7], v[32:33]
	s_and_b32 exec_lo, exec_lo, vcc_lo
	s_cbranch_execz .LBB180_394
; %bb.399:                              ;   in Loop: Header=BB180_397 Depth=2
	v_mov_b32_e32 v2, v21
	ds_store_b128 v21, v[2:5] offset:3072
	s_branch .LBB180_394
.LBB180_400:                            ;   in Loop: Header=BB180_397 Depth=2
	s_mov_b32 s68, -1
	s_mov_b32 s26, -1
                                        ; implicit-def: $vgpr12_vgpr13
                                        ; implicit-def: $vgpr10_vgpr11
	s_branch .LBB180_396
.LBB180_401:                            ;   in Loop: Header=BB180_6 Depth=1
	s_or_b32 exec_lo, exec_lo, s19
	s_delay_alu instid0(SALU_CYCLE_1) | instskip(SKIP_1) | instid1(SALU_CYCLE_1)
	s_and_not1_b32 s8, s20, exec_lo
	s_and_b32 s9, s21, exec_lo
	s_or_b32 s20, s8, s9
.LBB180_402:                            ;   in Loop: Header=BB180_6 Depth=1
	s_or_b32 exec_lo, exec_lo, s18
	s_mov_b32 s68, 0
	s_mov_b32 s70, -1
.LBB180_403:                            ;   in Loop: Header=BB180_6 Depth=1
	s_or_not1_b32 s8, s20, exec_lo
.LBB180_404:                            ;   in Loop: Header=BB180_6 Depth=1
	s_or_b32 exec_lo, exec_lo, s72
	s_mov_b32 s9, 0
	s_and_saveexec_b32 s20, s8
	s_cbranch_execz .LBB180_468
; %bb.405:                              ;   in Loop: Header=BB180_6 Depth=1
	v_mov_b64_e32 v[10:11], 1
	v_mov_b32_e32 v20, 1
	s_xor_b32 s18, s71, -1
	s_delay_alu instid0(SALU_CYCLE_1)
	s_and_saveexec_b32 s8, s18
	s_cbranch_execz .LBB180_414
; %bb.406:                              ;   in Loop: Header=BB180_6 Depth=1
	s_mov_b32 s9, exec_lo
	v_cmpx_ge_u64_e64 s[16:17], v[8:9]
	s_xor_b32 s9, exec_lo, s9
	s_cbranch_execz .LBB180_411
; %bb.407:                              ;   in Loop: Header=BB180_6 Depth=1
	ds_load_b64 v[4:5], v21 offset:5120
	v_and_b32_e32 v2, s15, v33
	v_and_b32_e32 v10, s14, v32
	s_lshl_b64 s[18:19], 1, s86
	v_or_b32_e32 v37, s13, v37
	v_or_b32_e32 v36, s12, v36
	;; [unrolled: 1-line block ×4, first 2 shown]
	s_wait_dscnt 0x0
	v_cmp_ne_u64_e32 vcc_lo, 0, v[4:5]
	s_cbranch_vccnz .LBB180_411
; %bb.408:                              ;   in Loop: Header=BB180_6 Depth=1
	s_and_saveexec_b32 s18, s5
; %bb.409:                              ;   in Loop: Header=BB180_6 Depth=1
	v_mov_b64_e32 v[4:5], s[16:17]
	ds_store_b64 v21, v[4:5] offset:5128
; %bb.410:                              ;   in Loop: Header=BB180_6 Depth=1
	s_or_b32 exec_lo, exec_lo, s18
	s_wait_dscnt 0x0
	s_barrier_signal -1
	s_barrier_wait -1
.LBB180_411:                            ;   in Loop: Header=BB180_6 Depth=1
	s_or_saveexec_b32 s9, s9
	v_mov_b32_e32 v20, 5
	s_mov_b32 s18, 0
	s_xor_b32 exec_lo, exec_lo, s9
; %bb.412:                              ;   in Loop: Header=BB180_6 Depth=1
	v_sub_nc_u64_e64 v[8:9], v[8:9], s[16:17]
	v_mov_b32_e32 v20, 0
	s_mov_b32 s18, exec_lo
; %bb.413:                              ;   in Loop: Header=BB180_6 Depth=1
	s_or_b32 exec_lo, exec_lo, s9
	s_delay_alu instid0(VALU_DEP_2)
	v_mov_b64_e32 v[10:11], v[8:9]
	s_and_b32 s9, s18, exec_lo
.LBB180_414:                            ;   in Loop: Header=BB180_6 Depth=1
	s_or_b32 exec_lo, exec_lo, s8
	s_mov_b32 s8, -1
                                        ; implicit-def: $sgpr74
                                        ; implicit-def: $sgpr73
	s_and_saveexec_b32 s21, s9
	s_cbranch_execz .LBB180_467
; %bb.415:                              ;   in Loop: Header=BB180_6 Depth=1
	s_delay_alu instid0(VALU_DEP_1) | instskip(SKIP_3) | instid1(SALU_CYCLE_1)
	v_cmp_eq_u64_e32 vcc_lo, 1, v[10:11]
	s_cmp_eq_u64 s[10:11], 1
	s_mov_b32 s9, -1
	s_cselect_b32 s8, -1, 0
                                        ; implicit-def: $sgpr74
                                        ; implicit-def: $sgpr73
	s_and_b32 s71, s8, vcc_lo
	s_delay_alu instid0(SALU_CYCLE_1)
	s_and_saveexec_b32 s72, s71
	s_cbranch_execz .LBB180_455
; %bb.416:                              ;   in Loop: Header=BB180_6 Depth=1
	ds_load_b64 v[4:5], v21 offset:5120
	s_wait_dscnt 0x0
	s_barrier_signal -1
	s_barrier_wait -1
	v_readfirstlane_b32 s8, v4
	v_readfirstlane_b32 s9, v5
	s_and_saveexec_b32 s16, s6
; %bb.417:                              ;   in Loop: Header=BB180_6 Depth=1
	ds_store_b64 v48, v[34:35]
; %bb.418:                              ;   in Loop: Header=BB180_6 Depth=1
	s_or_b32 exec_lo, exec_lo, s16
	v_and_b32_e32 v33, s15, v33
	v_and_b32_e32 v32, s14, v32
	v_or_b32_e32 v37, s13, v37
	v_or_b32_e32 v36, s12, v36
	s_mov_b32 s73, -1
	s_mov_b32 s74, 0
	s_cmp_eq_u64 s[8:9], 0
	s_mov_b32 s18, 0
	s_mov_b32 s19, -1
	s_wait_dscnt 0x0
	s_barrier_signal -1
	s_barrier_wait -1
                                        ; implicit-def: $vgpr6_vgpr7
	s_cbranch_scc1 .LBB180_437
; %bb.419:                              ;   in Loop: Header=BB180_6 Depth=1
	s_add_nc_u64 s[16:17], s[8:9], s[52:53]
	s_delay_alu instid0(SALU_CYCLE_1) | instskip(NEXT) | instid1(SALU_CYCLE_1)
	s_and_b64 s[18:19], s[16:17], 0xffffffff00000000
	s_cmp_lg_u64 s[18:19], 0
	s_cbranch_scc0 .LBB180_423
; %bb.420:                              ;   in Loop: Header=BB180_6 Depth=1
	s_cvt_f32_u32 s18, s34
	s_sub_nc_u64 s[76:77], 0, s[34:35]
	s_delay_alu instid0(SALU_CYCLE_2) | instskip(NEXT) | instid1(SALU_CYCLE_3)
	s_fmamk_f32 s18, s88, 0x0, s18
	v_s_rcp_f32 s18, s18
	s_delay_alu instid0(TRANS32_DEP_1) | instskip(NEXT) | instid1(SALU_CYCLE_3)
	s_mul_f32 s18, s18, 0x5f7ffffc
	s_mul_f32 s19, s18, 0x2f800000
	s_delay_alu instid0(SALU_CYCLE_3) | instskip(NEXT) | instid1(SALU_CYCLE_3)
	s_trunc_f32 s19, s19
	s_fmamk_f32 s18, s19, 0xcf800000, s18
	s_cvt_u32_f32 s19, s19
	s_delay_alu instid0(SALU_CYCLE_2) | instskip(NEXT) | instid1(SALU_CYCLE_3)
	s_cvt_u32_f32 s18, s18
	s_mul_u64 s[100:101], s[76:77], s[18:19]
	s_delay_alu instid0(SALU_CYCLE_1)
	s_mul_hi_u32 s103, s18, s101
	s_mul_i32 s102, s18, s101
	s_mul_hi_u32 s26, s18, s100
	s_mul_i32 s45, s19, s100
	s_add_nc_u64 s[102:103], s[26:27], s[102:103]
	s_mul_hi_u32 s44, s19, s100
	s_mul_hi_u32 s46, s19, s101
	s_add_co_u32 s26, s102, s45
	s_add_co_ci_u32 s26, s103, s44
	s_mul_i32 s100, s19, s101
	s_add_co_ci_u32 s101, s46, 0
	s_delay_alu instid0(SALU_CYCLE_1) | instskip(NEXT) | instid1(SALU_CYCLE_1)
	s_add_nc_u64 s[100:101], s[26:27], s[100:101]
	s_add_co_u32 s18, s18, s100
	s_cselect_b32 s26, -1, 0
	s_delay_alu instid0(SALU_CYCLE_1) | instskip(SKIP_1) | instid1(SALU_CYCLE_1)
	s_cmp_lg_u32 s26, 0
	s_add_co_ci_u32 s19, s19, s101
	s_mul_u64 s[76:77], s[76:77], s[18:19]
	s_delay_alu instid0(SALU_CYCLE_1)
	s_mul_hi_u32 s101, s18, s77
	s_mul_i32 s100, s18, s77
	s_mul_hi_u32 s26, s18, s76
	s_mul_i32 s45, s19, s76
	s_add_nc_u64 s[100:101], s[26:27], s[100:101]
	s_mul_hi_u32 s44, s19, s76
	s_mul_hi_u32 s46, s19, s77
	s_add_co_u32 s26, s100, s45
	s_add_co_ci_u32 s26, s101, s44
	s_mul_i32 s76, s19, s77
	s_add_co_ci_u32 s77, s46, 0
	s_delay_alu instid0(SALU_CYCLE_1) | instskip(NEXT) | instid1(SALU_CYCLE_1)
	s_add_nc_u64 s[76:77], s[26:27], s[76:77]
	s_add_co_u32 s18, s18, s76
	s_cselect_b32 s44, -1, 0
	s_mul_hi_u32 s26, s16, s18
	s_cmp_lg_u32 s44, 0
	s_mul_hi_u32 s44, s17, s18
	s_add_co_ci_u32 s45, s19, s77
	s_mul_i32 s46, s17, s18
	s_mul_hi_u32 s19, s16, s45
	s_mul_i32 s18, s16, s45
	s_mul_hi_u32 s47, s17, s45
	s_add_nc_u64 s[18:19], s[26:27], s[18:19]
	s_mul_i32 s76, s17, s45
	s_add_co_u32 s18, s18, s46
	s_add_co_ci_u32 s26, s19, s44
	s_add_co_ci_u32 s77, s47, 0
	s_delay_alu instid0(SALU_CYCLE_1) | instskip(NEXT) | instid1(SALU_CYCLE_1)
	s_add_nc_u64 s[18:19], s[26:27], s[76:77]
	s_and_b64 s[76:77], s[18:19], 0xffffffff00000000
	s_delay_alu instid0(SALU_CYCLE_1) | instskip(NEXT) | instid1(SALU_CYCLE_1)
	s_or_b32 s76, s76, s18
	s_mul_u64 s[18:19], s[34:35], s[76:77]
	s_delay_alu instid0(SALU_CYCLE_1) | instskip(SKIP_1) | instid1(SALU_CYCLE_1)
	s_sub_co_u32 s18, s16, s18
	s_cselect_b32 s26, -1, 0
	s_cmp_lg_u32 s26, 0
	s_sub_co_ci_u32 s19, s17, s19
	s_sub_co_u32 s26, s18, s34
	s_cselect_b32 s44, -1, 0
	s_delay_alu instid0(SALU_CYCLE_1) | instskip(SKIP_3) | instid1(SALU_CYCLE_1)
	s_cmp_lg_u32 s44, 0
	s_sub_co_ci_u32 s44, s19, 0
	s_sub_co_u32 s45, s26, s34
	s_cselect_b32 s46, -1, 0
	s_cmp_lg_u32 s46, 0
	s_sub_co_ci_u32 s46, s44, 0
	s_cmp_ge_u32 s26, s34
	s_cselect_b32 s47, -1, 0
	s_cmp_eq_u32 s44, 0
	s_cselect_b32 s47, s47, -1
	s_delay_alu instid0(SALU_CYCLE_1)
	s_cmp_lg_u32 s47, 0
	s_cselect_b32 s44, s46, s44
	s_cselect_b32 s26, s45, s26
	s_cmp_ge_u32 s18, s34
	s_cselect_b32 s45, -1, 0
	s_cmp_eq_u32 s19, 0
	s_cselect_b32 s45, s45, -1
	s_delay_alu instid0(SALU_CYCLE_1)
	s_cmp_lg_u32 s45, 0
	s_cselect_b32 s19, s44, s19
	s_cselect_b32 s18, s26, s18
	s_mov_b32 s26, 0
	s_branch .LBB180_424
.LBB180_421:                            ;   in Loop: Header=BB180_6 Depth=1
                                        ; implicit-def: $sgpr20_sgpr21
	s_branch .LBB180_374
.LBB180_422:                            ;   in Loop: Header=BB180_6 Depth=1
                                        ; implicit-def: $sgpr8_sgpr9
	s_branch .LBB180_391
.LBB180_423:                            ;   in Loop: Header=BB180_6 Depth=1
	s_mov_b32 s26, -1
                                        ; implicit-def: $sgpr18_sgpr19
.LBB180_424:                            ;   in Loop: Header=BB180_6 Depth=1
	s_delay_alu instid0(SALU_CYCLE_1)
	s_and_not1_b32 vcc_lo, exec_lo, s26
	s_cbranch_vccnz .LBB180_426
; %bb.425:                              ;   in Loop: Header=BB180_6 Depth=1
	v_cvt_f32_u32_e32 v2, s34
	s_sub_co_i32 s19, 0, s34
	s_delay_alu instid0(VALU_DEP_1) | instskip(SKIP_1) | instid1(TRANS32_DEP_1)
	v_rcp_iflag_f32_e32 v2, v2
	v_nop
	v_mul_f32_e32 v2, 0x4f7ffffe, v2
	s_delay_alu instid0(VALU_DEP_1) | instskip(NEXT) | instid1(VALU_DEP_1)
	v_cvt_u32_f32_e32 v2, v2
	v_readfirstlane_b32 s18, v2
	s_mul_i32 s19, s19, s18
	s_delay_alu instid0(SALU_CYCLE_1) | instskip(NEXT) | instid1(SALU_CYCLE_1)
	s_mul_hi_u32 s19, s18, s19
	s_add_co_i32 s18, s18, s19
	s_delay_alu instid0(SALU_CYCLE_1) | instskip(NEXT) | instid1(SALU_CYCLE_1)
	s_mul_hi_u32 s18, s16, s18
	s_mul_i32 s18, s18, s34
	s_delay_alu instid0(SALU_CYCLE_1) | instskip(NEXT) | instid1(SALU_CYCLE_1)
	s_sub_co_i32 s18, s16, s18
	s_sub_co_i32 s19, s18, s34
	s_cmp_ge_u32 s18, s34
	s_cselect_b32 s18, s19, s18
	s_delay_alu instid0(SALU_CYCLE_1) | instskip(SKIP_2) | instid1(SALU_CYCLE_1)
	s_sub_co_i32 s19, s18, s34
	s_cmp_ge_u32 s18, s34
	s_cselect_b32 s26, s19, s18
	s_mov_b64 s[18:19], s[26:27]
.LBB180_426:                            ;   in Loop: Header=BB180_6 Depth=1
	s_delay_alu instid0(SALU_CYCLE_1)
	s_sub_nc_u64 s[16:17], s[16:17], s[18:19]
	s_mov_b32 s19, 0
	s_mov_b32 s18, 0
	s_mov_b32 s26, exec_lo
                                        ; implicit-def: $vgpr6_vgpr7
	v_cmpx_gt_u64_e64 s[16:17], v[0:1]
	s_cbranch_execz .LBB180_436
; %bb.427:                              ;   in Loop: Header=BB180_6 Depth=1
	v_mov_b64_e32 v[8:9], v[0:1]
	v_mov_b32_e32 v12, v47
                                        ; implicit-def: $sgpr75
	s_branch .LBB180_431
.LBB180_428:                            ;   in Loop: Header=BB180_431 Depth=2
	s_or_b32 exec_lo, exec_lo, s76
	s_wait_dscnt 0x0
	s_barrier_signal -1
	s_barrier_wait -1
	ds_load_b128 v[4:7], v21 offset:3072
	s_wait_dscnt 0x0
	s_barrier_signal -1
	s_barrier_wait -1
	v_cmp_neq_f64_e32 vcc_lo, 0, v[4:5]
	s_cbranch_vccnz .LBB180_434
; %bb.429:                              ;   in Loop: Header=BB180_431 Depth=2
	v_add_nc_u64_e32 v[8:9], s[34:35], v[8:9]
	v_add_nc_u32_e32 v12, s85, v12
	s_mov_b32 s76, 0
	s_delay_alu instid0(VALU_DEP_2)
	v_cmp_le_u64_e32 vcc_lo, s[16:17], v[8:9]
	s_or_not1_b32 s77, vcc_lo, exec_lo
.LBB180_430:                            ;   in Loop: Header=BB180_431 Depth=2
	s_delay_alu instid0(SALU_CYCLE_1) | instskip(NEXT) | instid1(SALU_CYCLE_1)
	s_and_b32 s44, exec_lo, s77
	s_or_b32 s18, s44, s18
	s_and_not1_b32 s44, s75, exec_lo
	s_and_b32 s45, s76, exec_lo
	s_delay_alu instid0(SALU_CYCLE_1)
	s_or_b32 s75, s44, s45
	s_and_not1_b32 exec_lo, exec_lo, s18
	s_cbranch_execz .LBB180_435
.LBB180_431:                            ;   Parent Loop BB180_6 Depth=1
                                        ; =>  This Inner Loop Header: Depth=2
	s_mov_b32 s76, exec_lo
	s_delay_alu instid0(VALU_DEP_2)
	v_cmpx_gt_u64_e64 s[8:9], v[8:9]
	s_cbranch_execz .LBB180_428
; %bb.432:                              ;   in Loop: Header=BB180_431 Depth=2
	ds_load_b64 v[4:5], v12
	s_wait_dscnt 0x0
	v_cmp_o_f64_e32 vcc_lo, v[4:5], v[4:5]
	v_ashrrev_i32_e32 v2, 31, v5
	s_delay_alu instid0(VALU_DEP_1) | instskip(NEXT) | instid1(VALU_DEP_1)
	v_or_b32_e32 v6, 0x80000000, v2
	v_xor_b32_e32 v6, v6, v5
	s_delay_alu instid0(VALU_DEP_1) | instskip(NEXT) | instid1(VALU_DEP_1)
	v_dual_cndmask_b32 v6, -1, v6, vcc_lo :: v_dual_bitop2_b32 v2, v2, v4 bitop3:0x14
	v_dual_cndmask_b32 v2, -1, v2, vcc_lo :: v_dual_bitop2_b32 v7, v6, v37 bitop3:0x40
	s_delay_alu instid0(VALU_DEP_1) | instskip(NEXT) | instid1(VALU_DEP_1)
	v_and_b32_e32 v6, v2, v36
	v_cmp_eq_u64_e32 vcc_lo, v[6:7], v[32:33]
	s_and_b32 exec_lo, exec_lo, vcc_lo
	s_cbranch_execz .LBB180_428
; %bb.433:                              ;   in Loop: Header=BB180_431 Depth=2
	v_mov_b32_e32 v2, v21
	ds_store_b128 v21, v[2:5] offset:3072
	s_branch .LBB180_428
.LBB180_434:                            ;   in Loop: Header=BB180_431 Depth=2
	s_mov_b32 s77, -1
	s_mov_b32 s76, -1
                                        ; implicit-def: $vgpr8_vgpr9
                                        ; implicit-def: $vgpr12
	s_branch .LBB180_430
.LBB180_435:                            ;   in Loop: Header=BB180_6 Depth=1
	s_or_b32 exec_lo, exec_lo, s18
	s_delay_alu instid0(SALU_CYCLE_1)
	s_and_b32 s18, s75, exec_lo
.LBB180_436:                            ;   in Loop: Header=BB180_6 Depth=1
	s_or_b32 exec_lo, exec_lo, s26
.LBB180_437:                            ;   in Loop: Header=BB180_6 Depth=1
	s_delay_alu instid0(SALU_CYCLE_1)
	s_and_b32 vcc_lo, exec_lo, s19
	s_cbranch_vccz .LBB180_454
; %bb.438:                              ;   in Loop: Header=BB180_6 Depth=1
	s_and_b64 s[8:9], s[54:55], 0xffffffff00000000
	s_delay_alu instid0(SALU_CYCLE_1)
	s_cmp_lg_u64 s[8:9], 0
	s_cbranch_scc0 .LBB180_440
; %bb.439:                              ;   in Loop: Header=BB180_6 Depth=1
	s_cvt_f32_u32 s8, s34
	s_sub_nc_u64 s[16:17], 0, s[34:35]
	s_delay_alu instid0(SALU_CYCLE_2) | instskip(NEXT) | instid1(SALU_CYCLE_3)
	s_fmamk_f32 s8, s88, 0x0, s8
	v_s_rcp_f32 s8, s8
	s_delay_alu instid0(TRANS32_DEP_1) | instskip(NEXT) | instid1(SALU_CYCLE_3)
	s_mul_f32 s8, s8, 0x5f7ffffc
	s_mul_f32 s9, s8, 0x2f800000
	s_delay_alu instid0(SALU_CYCLE_3) | instskip(NEXT) | instid1(SALU_CYCLE_3)
	s_trunc_f32 s9, s9
	s_fmamk_f32 s8, s9, 0xcf800000, s8
	s_cvt_u32_f32 s9, s9
	s_delay_alu instid0(SALU_CYCLE_2) | instskip(NEXT) | instid1(SALU_CYCLE_3)
	s_cvt_u32_f32 s8, s8
	s_mul_u64 s[74:75], s[16:17], s[8:9]
	s_delay_alu instid0(SALU_CYCLE_1)
	s_mul_hi_u32 s77, s8, s75
	s_mul_i32 s76, s8, s75
	s_mul_hi_u32 s26, s8, s74
	s_mul_i32 s44, s9, s74
	s_add_nc_u64 s[76:77], s[26:27], s[76:77]
	s_mul_hi_u32 s19, s9, s74
	s_mul_hi_u32 s45, s9, s75
	s_add_co_u32 s26, s76, s44
	s_add_co_ci_u32 s26, s77, s19
	s_mul_i32 s74, s9, s75
	s_add_co_ci_u32 s75, s45, 0
	s_delay_alu instid0(SALU_CYCLE_1) | instskip(NEXT) | instid1(SALU_CYCLE_1)
	s_add_nc_u64 s[74:75], s[26:27], s[74:75]
	s_add_co_u32 s8, s8, s74
	s_cselect_b32 s19, -1, 0
	s_delay_alu instid0(SALU_CYCLE_1) | instskip(SKIP_1) | instid1(SALU_CYCLE_1)
	s_cmp_lg_u32 s19, 0
	s_add_co_ci_u32 s9, s9, s75
	s_mul_u64 s[16:17], s[16:17], s[8:9]
	s_delay_alu instid0(SALU_CYCLE_1)
	s_mul_hi_u32 s75, s8, s17
	s_mul_i32 s74, s8, s17
	s_mul_hi_u32 s26, s8, s16
	s_mul_i32 s44, s9, s16
	s_add_nc_u64 s[74:75], s[26:27], s[74:75]
	s_mul_hi_u32 s19, s9, s16
	s_mul_hi_u32 s45, s9, s17
	s_mul_i32 s16, s9, s17
	s_add_co_u32 s17, s74, s44
	s_add_co_ci_u32 s26, s75, s19
	s_add_co_ci_u32 s17, s45, 0
	s_delay_alu instid0(SALU_CYCLE_1) | instskip(NEXT) | instid1(SALU_CYCLE_1)
	s_add_nc_u64 s[16:17], s[26:27], s[16:17]
	s_add_co_u32 s8, s8, s16
	s_cselect_b32 s16, -1, 0
	s_mul_hi_u32 s26, s54, s8
	s_cmp_lg_u32 s16, 0
	s_mul_hi_u32 s19, s55, s8
	s_add_co_ci_u32 s16, s9, s17
	s_mul_i32 s17, s55, s8
	s_mul_hi_u32 s9, s54, s16
	s_mul_i32 s8, s54, s16
	s_mul_hi_u32 s44, s55, s16
	s_add_nc_u64 s[8:9], s[26:27], s[8:9]
	s_mul_i32 s16, s55, s16
	s_add_co_u32 s8, s8, s17
	s_add_co_ci_u32 s26, s9, s19
	s_add_co_ci_u32 s17, s44, 0
	s_delay_alu instid0(SALU_CYCLE_1) | instskip(NEXT) | instid1(SALU_CYCLE_1)
	s_add_nc_u64 s[8:9], s[26:27], s[16:17]
	s_and_b64 s[16:17], s[8:9], 0xffffffff00000000
	s_delay_alu instid0(SALU_CYCLE_1) | instskip(NEXT) | instid1(SALU_CYCLE_1)
	s_or_b32 s16, s16, s8
	s_mul_u64 s[8:9], s[34:35], s[16:17]
	s_delay_alu instid0(SALU_CYCLE_1) | instskip(SKIP_1) | instid1(SALU_CYCLE_1)
	s_sub_co_u32 s8, s54, s8
	s_cselect_b32 s16, -1, 0
	s_cmp_lg_u32 s16, 0
	s_sub_co_ci_u32 s9, s55, s9
	s_sub_co_u32 s16, s8, s34
	s_cselect_b32 s17, -1, 0
	s_delay_alu instid0(SALU_CYCLE_1) | instskip(SKIP_3) | instid1(SALU_CYCLE_1)
	s_cmp_lg_u32 s17, 0
	s_sub_co_ci_u32 s17, s9, 0
	s_sub_co_u32 s19, s16, s34
	s_cselect_b32 s26, -1, 0
	s_cmp_lg_u32 s26, 0
	s_sub_co_ci_u32 s26, s17, 0
	s_cmp_ge_u32 s16, s34
	s_cselect_b32 s44, -1, 0
	s_cmp_eq_u32 s17, 0
	s_cselect_b32 s44, s44, -1
	s_delay_alu instid0(SALU_CYCLE_1)
	s_cmp_lg_u32 s44, 0
	s_cselect_b32 s17, s26, s17
	s_cselect_b32 s16, s19, s16
	s_cmp_ge_u32 s8, s34
	s_cselect_b32 s19, -1, 0
	s_cmp_eq_u32 s9, 0
	s_cselect_b32 s19, s19, -1
	s_delay_alu instid0(SALU_CYCLE_1)
	s_cmp_lg_u32 s19, 0
	s_cselect_b32 s9, s17, s9
	s_cselect_b32 s8, s16, s8
	s_mov_b32 s16, 0
	s_branch .LBB180_441
.LBB180_440:                            ;   in Loop: Header=BB180_6 Depth=1
	s_mov_b32 s16, -1
                                        ; implicit-def: $sgpr8_sgpr9
.LBB180_441:                            ;   in Loop: Header=BB180_6 Depth=1
	s_delay_alu instid0(SALU_CYCLE_1)
	s_and_not1_b32 vcc_lo, exec_lo, s16
	s_cbranch_vccnz .LBB180_443
; %bb.442:                              ;   in Loop: Header=BB180_6 Depth=1
	v_cvt_f32_u32_e32 v2, s34
	s_sub_co_i32 s9, 0, s34
	s_delay_alu instid0(VALU_DEP_1) | instskip(SKIP_1) | instid1(TRANS32_DEP_1)
	v_rcp_iflag_f32_e32 v2, v2
	v_nop
	v_mul_f32_e32 v2, 0x4f7ffffe, v2
	s_delay_alu instid0(VALU_DEP_1) | instskip(NEXT) | instid1(VALU_DEP_1)
	v_cvt_u32_f32_e32 v2, v2
	v_readfirstlane_b32 s8, v2
	s_mul_i32 s9, s9, s8
	s_delay_alu instid0(SALU_CYCLE_1) | instskip(NEXT) | instid1(SALU_CYCLE_1)
	s_mul_hi_u32 s9, s8, s9
	s_add_co_i32 s8, s8, s9
	s_delay_alu instid0(SALU_CYCLE_1) | instskip(NEXT) | instid1(SALU_CYCLE_1)
	s_mul_hi_u32 s8, s54, s8
	s_mul_i32 s8, s8, s34
	s_delay_alu instid0(SALU_CYCLE_1) | instskip(NEXT) | instid1(SALU_CYCLE_1)
	s_sub_co_i32 s8, s54, s8
	s_sub_co_i32 s9, s8, s34
	s_cmp_ge_u32 s8, s34
	s_cselect_b32 s8, s9, s8
	s_delay_alu instid0(SALU_CYCLE_1) | instskip(SKIP_2) | instid1(SALU_CYCLE_1)
	s_sub_co_i32 s9, s8, s34
	s_cmp_ge_u32 s8, s34
	s_cselect_b32 s26, s9, s8
	s_mov_b64 s[8:9], s[26:27]
.LBB180_443:                            ;   in Loop: Header=BB180_6 Depth=1
	s_delay_alu instid0(SALU_CYCLE_1)
	s_sub_nc_u64 s[8:9], s[54:55], s[8:9]
	s_mov_b32 s16, exec_lo
                                        ; implicit-def: $vgpr6_vgpr7
	v_nop
	v_cmpx_gt_u64_e64 s[8:9], v[0:1]
	s_cbranch_execz .LBB180_453
; %bb.444:                              ;   in Loop: Header=BB180_6 Depth=1
	v_mov_b64_e32 v[8:9], v[18:19]
	v_mov_b64_e32 v[12:13], v[0:1]
	s_mov_b32 s17, 0
                                        ; implicit-def: $sgpr19
	s_branch .LBB180_448
.LBB180_445:                            ;   in Loop: Header=BB180_448 Depth=2
	s_or_b32 exec_lo, exec_lo, s26
	s_wait_dscnt 0x0
	s_barrier_signal -1
	s_barrier_wait -1
	ds_load_b128 v[4:7], v21 offset:3072
	s_wait_dscnt 0x0
	s_barrier_signal -1
	s_barrier_wait -1
	v_cmp_eq_f64_e32 vcc_lo, 0, v[4:5]
	s_cbranch_vccz .LBB180_451
; %bb.446:                              ;   in Loop: Header=BB180_448 Depth=2
	v_add_nc_u64_e32 v[12:13], s[34:35], v[12:13]
	v_add_nc_u64_e32 v[8:9], s[36:37], v[8:9]
	s_mov_b32 s26, 0
	s_delay_alu instid0(VALU_DEP_2)
	v_cmp_le_u64_e32 vcc_lo, s[8:9], v[12:13]
	s_or_not1_b32 s73, vcc_lo, exec_lo
.LBB180_447:                            ;   in Loop: Header=BB180_448 Depth=2
	s_delay_alu instid0(SALU_CYCLE_1) | instskip(NEXT) | instid1(SALU_CYCLE_1)
	s_and_b32 s44, exec_lo, s73
	s_or_b32 s17, s44, s17
	s_and_not1_b32 s19, s19, exec_lo
	s_and_b32 s26, s26, exec_lo
	s_delay_alu instid0(SALU_CYCLE_1)
	s_or_b32 s19, s19, s26
	s_and_not1_b32 exec_lo, exec_lo, s17
	s_cbranch_execz .LBB180_452
.LBB180_448:                            ;   Parent Loop BB180_6 Depth=1
                                        ; =>  This Inner Loop Header: Depth=2
	s_mov_b32 s26, exec_lo
	s_delay_alu instid0(VALU_DEP_1)
	v_cmpx_gt_u64_e64 s[28:29], v[12:13]
	s_cbranch_execz .LBB180_445
; %bb.449:                              ;   in Loop: Header=BB180_448 Depth=2
	global_load_b64 v[4:5], v[8:9], off
	s_wait_loadcnt 0x0
	v_cmp_o_f64_e32 vcc_lo, v[4:5], v[4:5]
	v_ashrrev_i32_e32 v2, 31, v5
	s_delay_alu instid0(VALU_DEP_1) | instskip(NEXT) | instid1(VALU_DEP_1)
	v_or_b32_e32 v6, 0x80000000, v2
	v_xor_b32_e32 v6, v6, v5
	s_delay_alu instid0(VALU_DEP_1) | instskip(NEXT) | instid1(VALU_DEP_1)
	v_dual_cndmask_b32 v6, -1, v6, vcc_lo :: v_dual_bitop2_b32 v2, v2, v4 bitop3:0x14
	v_dual_cndmask_b32 v2, -1, v2, vcc_lo :: v_dual_bitop2_b32 v7, v6, v37 bitop3:0x40
	s_delay_alu instid0(VALU_DEP_1) | instskip(NEXT) | instid1(VALU_DEP_1)
	v_and_b32_e32 v6, v2, v36
	v_cmp_eq_u64_e32 vcc_lo, v[6:7], v[32:33]
	s_and_b32 exec_lo, exec_lo, vcc_lo
	s_cbranch_execz .LBB180_445
; %bb.450:                              ;   in Loop: Header=BB180_448 Depth=2
	v_mov_b32_e32 v2, v21
	ds_store_b128 v21, v[2:5] offset:3072
	s_branch .LBB180_445
.LBB180_451:                            ;   in Loop: Header=BB180_448 Depth=2
	s_mov_b32 s73, -1
	s_mov_b32 s26, -1
                                        ; implicit-def: $vgpr12_vgpr13
                                        ; implicit-def: $vgpr8_vgpr9
	s_branch .LBB180_447
.LBB180_452:                            ;   in Loop: Header=BB180_6 Depth=1
	s_or_b32 exec_lo, exec_lo, s17
	s_delay_alu instid0(SALU_CYCLE_1) | instskip(SKIP_1) | instid1(SALU_CYCLE_1)
	s_and_not1_b32 s8, s18, exec_lo
	s_and_b32 s9, s19, exec_lo
	s_or_b32 s18, s8, s9
.LBB180_453:                            ;   in Loop: Header=BB180_6 Depth=1
	s_or_b32 exec_lo, exec_lo, s16
	s_mov_b32 s73, 0
	s_mov_b32 s74, -1
.LBB180_454:                            ;   in Loop: Header=BB180_6 Depth=1
	s_or_not1_b32 s9, s18, exec_lo
.LBB180_455:                            ;   in Loop: Header=BB180_6 Depth=1
	s_or_b32 exec_lo, exec_lo, s72
	s_mov_b32 s16, 0
	s_and_saveexec_b32 s8, s9
	s_cbranch_execz .LBB180_466
; %bb.456:                              ;   in Loop: Header=BB180_6 Depth=1
	v_mov_b64_e32 v[4:5], 1
	v_mov_b32_e32 v20, 1
	s_xor_b32 s16, s71, -1
	s_delay_alu instid0(SALU_CYCLE_1)
	s_and_saveexec_b32 s9, s16
	s_cbranch_execz .LBB180_465
; %bb.457:                              ;   in Loop: Header=BB180_6 Depth=1
	s_mov_b32 s16, exec_lo
	v_cmpx_ge_u64_e64 s[10:11], v[10:11]
	s_xor_b32 s16, exec_lo, s16
	s_cbranch_execz .LBB180_462
; %bb.458:                              ;   in Loop: Header=BB180_6 Depth=1
	ds_load_b64 v[4:5], v21 offset:5120
	v_and_b32_e32 v33, s15, v33
	v_and_b32_e32 v32, s14, v32
	v_or_b32_e32 v37, s13, v37
	v_or_b32_e32 v36, s12, v36
	s_wait_dscnt 0x0
	v_cmp_ne_u64_e32 vcc_lo, 0, v[4:5]
	s_cbranch_vccnz .LBB180_462
; %bb.459:                              ;   in Loop: Header=BB180_6 Depth=1
	s_and_saveexec_b32 s12, s5
; %bb.460:                              ;   in Loop: Header=BB180_6 Depth=1
	v_mov_b64_e32 v[4:5], s[10:11]
	ds_store_b64 v21, v[4:5] offset:5128
; %bb.461:                              ;   in Loop: Header=BB180_6 Depth=1
	s_or_b32 exec_lo, exec_lo, s12
	s_wait_dscnt 0x0
	s_barrier_signal -1
	s_barrier_wait -1
.LBB180_462:                            ;   in Loop: Header=BB180_6 Depth=1
	s_and_not1_saveexec_b32 s12, s16
; %bb.463:                              ;   in Loop: Header=BB180_6 Depth=1
	v_sub_nc_u64_e64 v[10:11], v[10:11], s[10:11]
; %bb.464:                              ;   in Loop: Header=BB180_6 Depth=1
	s_or_b32 exec_lo, exec_lo, s12
	s_delay_alu instid0(VALU_DEP_1)
	v_mov_b64_e32 v[4:5], v[10:11]
	v_mov_b32_e32 v20, 5
.LBB180_465:                            ;   in Loop: Header=BB180_6 Depth=1
	s_or_b32 exec_lo, exec_lo, s9
	s_delay_alu instid0(VALU_DEP_2)
	v_mov_b64_e32 v[10:11], v[4:5]
	s_mov_b32 s16, exec_lo
.LBB180_466:                            ;   in Loop: Header=BB180_6 Depth=1
	s_or_b32 exec_lo, exec_lo, s8
	s_delay_alu instid0(SALU_CYCLE_1)
	s_or_not1_b32 s8, s16, exec_lo
.LBB180_467:                            ;   in Loop: Header=BB180_6 Depth=1
	s_or_b32 exec_lo, exec_lo, s21
	s_delay_alu instid0(SALU_CYCLE_1)
	s_and_not1_b32 s9, s70, exec_lo
	s_and_b32 s10, s74, exec_lo
	s_and_not1_b32 s11, s68, exec_lo
	s_and_b32 s12, s73, exec_lo
	v_mov_b64_e32 v[8:9], v[10:11]
	s_or_b32 s70, s9, s10
	s_or_b32 s68, s11, s12
	s_and_b32 s9, s8, exec_lo
.LBB180_468:                            ;   in Loop: Header=BB180_6 Depth=1
	s_or_b32 exec_lo, exec_lo, s20
	s_delay_alu instid0(SALU_CYCLE_1)
	s_or_not1_b32 s8, s9, exec_lo
.LBB180_469:                            ;   in Loop: Header=BB180_6 Depth=1
	s_or_b32 exec_lo, exec_lo, s23
	s_delay_alu instid0(SALU_CYCLE_1)
	s_and_not1_b32 s9, s67, exec_lo
	s_and_b32 s10, s70, exec_lo
	s_and_not1_b32 s11, s25, exec_lo
	s_and_b32 s12, s68, exec_lo
	v_mov_b64_e32 v[40:41], v[8:9]
	s_or_b32 s67, s9, s10
	s_or_b32 s25, s11, s12
	s_and_b32 s9, s8, exec_lo
.LBB180_470:                            ;   in Loop: Header=BB180_6 Depth=1
	s_or_b32 exec_lo, exec_lo, s22
	s_delay_alu instid0(SALU_CYCLE_1)
	s_or_not1_b32 s8, s9, exec_lo
.LBB180_471:                            ;   in Loop: Header=BB180_6 Depth=1
	s_or_b32 exec_lo, exec_lo, s7
	s_mov_b32 s7, s66
	s_mov_b32 s9, s65
	s_and_saveexec_b32 s10, s8
; %bb.472:                              ;   in Loop: Header=BB180_6 Depth=1
	v_cmp_ne_u32_e32 vcc_lo, 5, v20
	v_cmp_eq_u32_e64 s7, 5, v20
	s_and_not1_b32 s8, s65, exec_lo
	s_and_not1_b32 s11, s66, exec_lo
	s_and_b32 s9, vcc_lo, exec_lo
	s_and_b32 s7, s7, exec_lo
	s_or_b32 s9, s8, s9
	s_or_b32 s7, s11, s7
; %bb.473:                              ;   in Loop: Header=BB180_6 Depth=1
	s_or_b32 exec_lo, exec_lo, s10
	s_delay_alu instid0(SALU_CYCLE_1)
	s_and_not1_b32 s8, s69, exec_lo
	s_and_b32 s10, s67, exec_lo
	s_and_not1_b32 s11, s64, exec_lo
	s_and_b32 s12, s25, exec_lo
	s_or_b32 s69, s8, s10
	s_and_not1_b32 s8, s65, exec_lo
	s_and_b32 s9, s9, exec_lo
	s_and_not1_b32 s10, s66, exec_lo
	s_and_b32 s7, s7, exec_lo
	s_or_b32 s64, s11, s12
	s_or_b32 s65, s8, s9
	;; [unrolled: 1-line block ×3, first 2 shown]
.LBB180_474:                            ;   in Loop: Header=BB180_6 Depth=1
	s_or_b32 exec_lo, exec_lo, s24
	s_mov_b32 s67, 0
	s_mov_b32 s68, 0
	s_and_saveexec_b32 s7, s66
.LBB180_475:                            ;   in Loop: Header=BB180_6 Depth=1
	v_mov_b32_e32 v20, 0
	s_or_b32 s65, s65, exec_lo
.LBB180_476:                            ;   in Loop: Header=BB180_6 Depth=1
	s_or_b32 exec_lo, exec_lo, s7
	v_mov_b64_e32 v[38:39], v[40:41]
	s_and_not1_b32 s7, s97, exec_lo
	s_and_b32 s9, s69, exec_lo
	s_and_not1_b32 s10, s95, exec_lo
	s_and_b32 s11, s64, exec_lo
	s_or_b32 s97, s7, s9
	s_or_b32 s95, s10, s11
	s_and_not1_b32 s7, s99, exec_lo
	s_and_b32 s9, s68, exec_lo
	s_and_not1_b32 s10, s98, exec_lo
	s_and_b32 s11, s67, exec_lo
	s_mov_b32 s8, -1
	s_and_not1_b32 s96, s96, exec_lo
	s_or_b32 s99, s7, s9
	s_or_b32 s98, s10, s11
	s_and_saveexec_b32 s7, s65
	s_delay_alu instid0(SALU_CYCLE_1)
	s_xor_b32 s7, exec_lo, s7
	s_cbranch_execz .LBB180_5
; %bb.477:                              ;   in Loop: Header=BB180_6 Depth=1
	s_mov_b32 s9, -1
	s_mov_b32 s10, exec_lo
	v_cmpx_eq_u32_e32 0, v20
	s_cbranch_execz .LBB180_4
; %bb.478:                              ;   in Loop: Header=BB180_6 Depth=1
	s_xor_b32 s90, s90, 1
	s_add_co_i32 s11, s86, -2
	s_cmp_eq_u32 s86, 0
	s_mov_b32 s86, s11
	s_cselect_b32 s8, -1, 0
	s_xor_b32 s9, exec_lo, -1
	s_or_not1_b32 s8, s8, exec_lo
	s_branch .LBB180_4
.LBB180_479:
	s_or_b32 exec_lo, exec_lo, s87
	s_xor_b32 s7, s94, -1
	s_xor_b32 s9, s92, -1
	;; [unrolled: 1-line block ×5, first 2 shown]
	s_mov_b32 s8, 0
	s_and_saveexec_b32 s12, s11
	s_delay_alu instid0(SALU_CYCLE_1)
	s_xor_b32 s16, exec_lo, s12
	s_cbranch_execnz .LBB180_484
; %bb.480:
	s_and_not1_saveexec_b32 s0, s16
	s_cbranch_execnz .LBB180_503
.LBB180_481:
	s_or_b32 exec_lo, exec_lo, s0
	s_and_saveexec_b32 s0, s8
.LBB180_482:
	; divergent unreachable
.LBB180_483:
	s_sendmsg sendmsg(MSG_DEALLOC_VGPRS)
	s_endpgm
.LBB180_484:
	s_and_saveexec_b32 s11, s10
	s_delay_alu instid0(SALU_CYCLE_1)
	s_xor_b32 s17, exec_lo, s11
	s_cbranch_execz .LBB180_501
; %bb.485:
	s_and_saveexec_b32 s10, s9
	s_delay_alu instid0(SALU_CYCLE_1)
	s_xor_b32 s18, exec_lo, s10
	s_cbranch_execz .LBB180_499
; %bb.486:
	;; [unrolled: 5-line block ×3, first 2 shown]
	s_and_saveexec_b32 s7, s6
	s_delay_alu instid0(SALU_CYCLE_1)
	s_xor_b32 s6, exec_lo, s7
; %bb.488:
	v_dual_mov_b32 v3, 0 :: v_dual_lshrrev_b32 v2, 31, v33
	s_delay_alu instid0(VALU_DEP_1) | instskip(NEXT) | instid1(VALU_DEP_1)
	v_add_nc_u64_e32 v[2:3], -1, v[2:3]
	v_or_b32_e32 v3, 0x80000000, v3
	s_delay_alu instid0(VALU_DEP_2) | instskip(NEXT) | instid1(VALU_DEP_2)
	v_xor_b32_e32 v6, v2, v32
	v_xor_b32_e32 v7, v3, v33
; %bb.489:
	s_or_b32 exec_lo, exec_lo, s6
	s_and_saveexec_b32 s6, s5
; %bb.490:
	v_mov_b64_e32 v[2:3], 0
	v_mov_b32_e32 v4, 0
	ds_store_b64 v4, v[2:3] offset:5136
; %bb.491:
	s_or_b32 exec_lo, exec_lo, s6
	v_mov_b64_e32 v[4:5], 0
	s_wait_dscnt 0x0
	s_barrier_signal -1
	s_barrier_wait -1
	s_and_saveexec_b32 s5, s3
	s_cbranch_execz .LBB180_493
; %bb.492:
	global_load_b64 v[4:5], v[18:19], off
.LBB180_493:
	s_wait_xcnt 0x0
	s_or_b32 exec_lo, exec_lo, s5
	v_cmp_o_f64_e64 s5, v[6:7], v[6:7]
	v_readlane_b32 s20, v66, 0
	v_readlane_b32 s21, v66, 1
	v_ashrrev_i32_e32 v2, 31, v7
	s_clause 0x1
	s_load_b64 s[6:7], s[0:1], 0x368
	s_load_b64 s[8:9], s[0:1], 0x510
	s_add_nc_u64 s[10:11], s[28:29], 31
	s_mov_b64 s[12:13], 0xffffffffffffffe0
	s_mul_u64 s[14:15], s[50:51], s[42:43]
	s_mul_u64 s[20:21], s[20:21], s[42:43]
	v_or_b32_e32 v3, 0x80000000, v2
	s_and_b64 s[10:11], s[10:11], s[12:13]
	s_lshl_b64 s[12:13], s[14:15], 3
	s_lshl_b64 s[14:15], s[20:21], 3
	v_readlane_b32 s20, v66, 4
	v_readlane_b32 s21, v66, 5
	v_xor_b32_e32 v3, v3, v7
	v_xor_b32_e32 v2, v2, v6
	v_cmp_gt_u64_e32 vcc_lo, s[10:11], v[0:1]
	s_wait_xcnt 0x0
	s_mov_b32 s0, -1
	s_add_nc_u64 s[12:13], s[20:21], s[12:13]
	v_readlane_b32 s20, v66, 2
	v_readlane_b32 s21, v66, 3
	s_mov_b32 s1, 0
	s_add_nc_u64 s[14:15], s[20:21], s[14:15]
	v_dual_cndmask_b32 v3, -1, v3, s5 :: v_dual_cndmask_b32 v2, -1, v2, s5
	s_mov_b32 s5, 0
	s_and_saveexec_b32 s20, vcc_lo
	s_cbranch_execnz .LBB180_504
; %bb.494:
	s_or_b32 exec_lo, exec_lo, s20
	s_and_saveexec_b32 s4, s0
	s_cbranch_execnz .LBB180_521
.LBB180_495:
	s_or_b32 exec_lo, exec_lo, s4
	s_and_saveexec_b32 s0, s1
	s_delay_alu instid0(SALU_CYCLE_1)
	s_xor_b32 s0, exec_lo, s0
	s_cbranch_execnz .LBB180_546
.LBB180_496:
	s_or_b32 exec_lo, exec_lo, s0
	s_wait_kmcnt 0x0
	s_and_b32 s8, s5, exec_lo
.LBB180_497:
	s_and_not1_saveexec_b32 s0, s19
	s_cbranch_execnz .LBB180_548
.LBB180_498:
	s_or_b32 exec_lo, exec_lo, s0
	s_delay_alu instid0(SALU_CYCLE_1)
	s_and_b32 s8, s8, exec_lo
.LBB180_499:
	s_and_not1_saveexec_b32 s0, s18
	s_cbranch_execnz .LBB180_547
.LBB180_500:
	s_or_b32 exec_lo, exec_lo, s0
	s_delay_alu instid0(SALU_CYCLE_1)
	s_and_b32 s8, s8, exec_lo
.LBB180_501:
	s_and_not1_saveexec_b32 s0, s17
	s_cbranch_execnz .LBB180_542
.LBB180_502:
	s_or_b32 exec_lo, exec_lo, s0
	s_delay_alu instid0(SALU_CYCLE_1)
	s_and_b32 s8, s8, exec_lo
	s_and_not1_saveexec_b32 s0, s16
	s_cbranch_execz .LBB180_481
.LBB180_503:
	s_or_b32 s8, s8, exec_lo
	s_trap 2
	s_or_b32 exec_lo, exec_lo, s0
	s_and_saveexec_b32 s0, s8
	s_cbranch_execnz .LBB180_482
	s_branch .LBB180_483
.LBB180_504:
	v_add_nc_u64_e32 v[6:7], s[34:35], v[0:1]
	v_mov_b64_e32 v[20:21], v[0:1]
	s_mov_b32 s21, 0
                                        ; implicit-def: $sgpr22
                                        ; implicit-def: $vgpr14_vgpr15
	s_delay_alu instid0(VALU_DEP_2) | instskip(SKIP_1) | instid1(VALU_DEP_2)
	v_mul_u64_e32 v[8:9], s[38:39], v[6:7]
	v_mov_b32_e32 v7, 0
	v_lshl_add_u64 v[8:9], v[8:9], 3, s[40:41]
	s_branch .LBB180_506
.LBB180_505:                            ;   in Loop: Header=BB180_506 Depth=1
	s_or_b32 exec_lo, exec_lo, s24
	s_xor_b32 s0, s23, -1
	s_and_b32 s1, exec_lo, s1
	s_wait_loadcnt 0x0
	v_mov_b64_e32 v[4:5], v[12:13]
	v_mov_b64_e32 v[20:21], v[10:11]
	s_or_b32 s21, s1, s21
	s_and_not1_b32 s1, s22, exec_lo
	s_and_b32 s0, s0, exec_lo
	s_delay_alu instid0(SALU_CYCLE_1)
	s_or_b32 s22, s1, s0
	s_and_not1_b32 exec_lo, exec_lo, s21
	s_cbranch_execz .LBB180_520
.LBB180_506:                            ; =>This Inner Loop Header: Depth=1
	s_delay_alu instid0(VALU_DEP_4) | instskip(SKIP_2) | instid1(VALU_DEP_2)
	v_add_nc_u64_e32 v[10:11], s[34:35], v[20:21]
	v_mov_b64_e32 v[12:13], 0
	s_mov_b32 s1, exec_lo
	v_cmpx_gt_u64_e64 s[28:29], v[10:11]
	s_cbranch_execz .LBB180_508
; %bb.507:                              ;   in Loop: Header=BB180_506 Depth=1
	global_load_b64 v[12:13], v[8:9], off
.LBB180_508:                            ;   in Loop: Header=BB180_506 Depth=1
	s_wait_xcnt 0x0
	s_or_b32 exec_lo, exec_lo, s1
	s_mov_b32 s23, 0
	s_mov_b32 s1, exec_lo
	v_cmpx_gt_u64_e64 s[28:29], v[20:21]
	s_cbranch_execz .LBB180_510
; %bb.509:                              ;   in Loop: Header=BB180_506 Depth=1
	s_wait_loadcnt 0x0
	v_cmp_o_f64_e64 s0, v[4:5], v[4:5]
	v_ashrrev_i32_e32 v6, 31, v5
	s_delay_alu instid0(VALU_DEP_1) | instskip(NEXT) | instid1(VALU_DEP_1)
	v_or_b32_e32 v17, 0x80000000, v6
	v_xor_b32_e32 v17, v17, v5
	s_delay_alu instid0(VALU_DEP_1) | instskip(NEXT) | instid1(VALU_DEP_1)
	v_dual_cndmask_b32 v23, -1, v17, s0 :: v_dual_bitop2_b32 v6, v6, v4 bitop3:0x14
	v_cndmask_b32_e64 v22, -1, v6, s0
	s_delay_alu instid0(VALU_DEP_1) | instskip(NEXT) | instid1(VALU_DEP_1)
	v_cmp_gt_u64_e64 s0, v[22:23], v[2:3]
	v_cndmask_b32_e64 v6, 0, 1, s0
	v_cmp_lt_u64_e64 s0, v[22:23], v[2:3]
	s_delay_alu instid0(VALU_DEP_1) | instskip(NEXT) | instid1(VALU_DEP_1)
	v_cndmask_b32_e64 v17, 0, 1, s0
	v_cndmask_b32_e64 v6, v17, v6, s4
	s_delay_alu instid0(VALU_DEP_1) | instskip(NEXT) | instid1(VALU_DEP_1)
	v_and_b32_e32 v6, 1, v6
	v_cmp_eq_u32_e64 s0, 1, v6
	s_and_b32 s23, s0, exec_lo
.LBB180_510:                            ;   in Loop: Header=BB180_506 Depth=1
	s_or_b32 exec_lo, exec_lo, s1
	v_cndmask_b32_e64 v6, 0, 1, s23
	s_delay_alu instid0(VALU_DEP_1) | instskip(SKIP_2) | instid1(SALU_CYCLE_1)
	v_cmp_ne_u32_e64 s0, 0, v6
	s_cmp_lg_u32 s0, 0
	s_cselect_b32 s1, -1, 0
	s_and_b32 s1, s2, s1
	s_delay_alu instid0(SALU_CYCLE_1)
	s_and_saveexec_b32 s24, s1
	s_cbranch_execz .LBB180_514
; %bb.511:                              ;   in Loop: Header=BB180_506 Depth=1
	s_mov_b32 s27, exec_lo
	s_bcnt1_i32_b32 s25, s0
	v_mbcnt_lo_u32_b32 v17, s27, 0
	s_mov_b32 s26, exec_lo
                                        ; implicit-def: $vgpr14_vgpr15
	s_delay_alu instid0(VALU_DEP_1)
	v_cmpx_eq_u32_e32 0, v17
	s_cbranch_execz .LBB180_513
; %bb.512:                              ;   in Loop: Header=BB180_506 Depth=1
	s_bcnt1_i32_b32 s1, s27
	s_delay_alu instid0(SALU_CYCLE_1) | instskip(NEXT) | instid1(SALU_CYCLE_1)
	s_mul_i32 s1, s25, s1
	v_mov_b32_e32 v6, s1
	s_wait_dscnt 0x0
	ds_add_rtn_u64 v[14:15], v7, v[6:7] offset:5136
.LBB180_513:                            ;   in Loop: Header=BB180_506 Depth=1
	s_or_b32 exec_lo, exec_lo, s26
	s_wait_dscnt 0x0
	v_readfirstlane_b32 s27, v15
	v_readfirstlane_b32 s26, v14
	s_delay_alu instid0(VALU_DEP_1)
	v_mad_nc_u64_u32 v[14:15], s25, v17, s[26:27]
.LBB180_514:                            ;   in Loop: Header=BB180_506 Depth=1
	s_or_b32 exec_lo, exec_lo, s24
	s_wait_dscnt 0x1
	ds_bpermute_b32 v14, v7, v14
	s_wait_dscnt 0x1
	ds_bpermute_b32 v15, v7, v15
	s_mov_b32 s1, -1
	s_mov_b32 s25, -1
	s_and_saveexec_b32 s24, s23
	s_cbranch_execz .LBB180_518
; %bb.515:                              ;   in Loop: Header=BB180_506 Depth=1
	v_and_b32_e32 v6, s0, v16
	s_mov_b32 s23, 0
	s_mov_b32 s25, exec_lo
	s_delay_alu instid0(VALU_DEP_1) | instskip(SKIP_1) | instid1(VALU_DEP_1)
	v_bcnt_u32_b32 v6, v6, 0
	s_wait_dscnt 0x0
	v_add_nc_u64_e32 v[22:23], v[14:15], v[6:7]
	s_delay_alu instid0(VALU_DEP_1)
	v_cmpx_gt_u64_e64 s[30:31], v[22:23]
	s_cbranch_execz .LBB180_517
; %bb.516:                              ;   in Loop: Header=BB180_506 Depth=1
	s_wait_kmcnt 0x0
	v_mul_u64_e32 v[24:25], s[6:7], v[22:23]
	v_mul_u64_e32 v[22:23], s[8:9], v[22:23]
	s_mov_b32 s23, exec_lo
	s_delay_alu instid0(VALU_DEP_2) | instskip(NEXT) | instid1(VALU_DEP_2)
	v_lshl_add_u64 v[24:25], v[24:25], 3, s[12:13]
	v_lshl_add_u64 v[22:23], v[22:23], 3, s[14:15]
	s_wait_loadcnt 0x0
	global_store_b64 v[24:25], v[4:5], off
	global_store_b64 v[22:23], v[20:21], off
.LBB180_517:                            ;   in Loop: Header=BB180_506 Depth=1
	s_wait_xcnt 0x0
	s_or_b32 exec_lo, exec_lo, s25
	s_delay_alu instid0(SALU_CYCLE_1)
	s_or_not1_b32 s25, s23, exec_lo
.LBB180_518:                            ;   in Loop: Header=BB180_506 Depth=1
	s_or_b32 exec_lo, exec_lo, s24
	s_mov_b32 s23, -1
	s_and_saveexec_b32 s24, s25
	s_cbranch_execz .LBB180_505
; %bb.519:                              ;   in Loop: Header=BB180_506 Depth=1
	v_cmp_le_u64_e64 s0, s[10:11], v[10:11]
	v_add_nc_u64_e32 v[8:9], s[36:37], v[8:9]
	s_xor_b32 s23, exec_lo, -1
	s_or_not1_b32 s1, s0, exec_lo
	s_branch .LBB180_505
.LBB180_520:
	s_or_b32 exec_lo, exec_lo, s21
	s_delay_alu instid0(SALU_CYCLE_1)
	s_mov_b32 s1, exec_lo
	s_or_not1_b32 s0, s22, exec_lo
	s_or_b32 exec_lo, exec_lo, s20
	s_and_saveexec_b32 s4, s0
	s_cbranch_execz .LBB180_495
.LBB180_521:
	v_mov_b64_e32 v[12:13], 0
	s_wait_storecnt 0x0
	s_wait_loadcnt_dscnt 0x0
	s_barrier_signal -1
	s_barrier_wait -1
	s_and_saveexec_b32 s0, s3
	s_cbranch_execz .LBB180_523
; %bb.522:
	global_load_b64 v[12:13], v[18:19], off
.LBB180_523:
	s_wait_xcnt 0x0
	s_or_b32 exec_lo, exec_lo, s0
	s_mov_b32 s0, 0
	s_and_saveexec_b32 s3, vcc_lo
	s_cbranch_execz .LBB180_545
; %bb.524:
	v_add_nc_u64_e32 v[4:5], s[34:35], v[0:1]
	v_mov_b32_e32 v7, 0
	s_mov_b32 s5, 0
                                        ; implicit-def: $sgpr20
                                        ; implicit-def: $vgpr14_vgpr15
	s_delay_alu instid0(VALU_DEP_2) | instskip(NEXT) | instid1(VALU_DEP_1)
	v_mul_u64_e32 v[4:5], s[38:39], v[4:5]
	v_lshl_add_u64 v[4:5], v[4:5], 3, s[40:41]
	s_branch .LBB180_527
.LBB180_525:                            ;   in Loop: Header=BB180_527 Depth=1
	s_or_b32 exec_lo, exec_lo, s23
	s_delay_alu instid0(SALU_CYCLE_1)
	s_or_not1_b32 s23, s21, exec_lo
	s_or_not1_b32 s22, s22, exec_lo
.LBB180_526:                            ;   in Loop: Header=BB180_527 Depth=1
	s_or_b32 exec_lo, exec_lo, s0
	s_xor_b32 s0, s23, -1
	s_and_b32 s21, exec_lo, s22
	v_mov_b64_e32 v[0:1], v[8:9]
	s_wait_loadcnt 0x0
	v_mov_b64_e32 v[12:13], v[10:11]
	s_or_b32 s5, s21, s5
	s_and_not1_b32 s20, s20, exec_lo
	s_and_b32 s0, s0, exec_lo
	s_delay_alu instid0(SALU_CYCLE_1)
	s_or_b32 s20, s20, s0
	s_and_not1_b32 exec_lo, exec_lo, s5
	s_cbranch_execz .LBB180_543
.LBB180_527:                            ; =>This Inner Loop Header: Depth=1
	v_add_nc_u64_e32 v[8:9], s[34:35], v[0:1]
	v_mov_b64_e32 v[10:11], 0
	s_mov_b32 s0, exec_lo
	s_delay_alu instid0(VALU_DEP_2)
	v_cmpx_gt_u64_e64 s[28:29], v[8:9]
	s_cbranch_execz .LBB180_529
; %bb.528:                              ;   in Loop: Header=BB180_527 Depth=1
	global_load_b64 v[10:11], v[4:5], off
.LBB180_529:                            ;   in Loop: Header=BB180_527 Depth=1
	s_wait_xcnt 0x0
	s_or_b32 exec_lo, exec_lo, s0
	s_mov_b32 s21, 0
	s_mov_b32 s0, exec_lo
	v_cmpx_gt_u64_e64 s[28:29], v[0:1]
	s_cbranch_execz .LBB180_531
; %bb.530:                              ;   in Loop: Header=BB180_527 Depth=1
	s_wait_loadcnt 0x0
	v_cmp_o_f64_e32 vcc_lo, v[12:13], v[12:13]
	v_ashrrev_i32_e32 v6, 31, v13
	s_delay_alu instid0(VALU_DEP_1) | instskip(NEXT) | instid1(VALU_DEP_1)
	v_or_b32_e32 v17, 0x80000000, v6
	v_xor_b32_e32 v17, v17, v13
	s_delay_alu instid0(VALU_DEP_1) | instskip(NEXT) | instid1(VALU_DEP_1)
	v_dual_cndmask_b32 v19, -1, v17, vcc_lo :: v_dual_bitop2_b32 v6, v6, v12 bitop3:0x14
	v_cndmask_b32_e32 v18, -1, v6, vcc_lo
	s_delay_alu instid0(VALU_DEP_1)
	v_cmp_eq_u64_e32 vcc_lo, v[18:19], v[2:3]
	s_and_b32 s21, vcc_lo, exec_lo
.LBB180_531:                            ;   in Loop: Header=BB180_527 Depth=1
	s_or_b32 exec_lo, exec_lo, s0
	v_cndmask_b32_e64 v6, 0, 1, s21
	s_delay_alu instid0(VALU_DEP_1) | instskip(SKIP_2) | instid1(SALU_CYCLE_1)
	v_cmp_ne_u32_e32 vcc_lo, 0, v6
	s_cmp_lg_u32 vcc_lo, 0
	s_cselect_b32 s0, -1, 0
	s_and_b32 s0, s2, s0
	s_delay_alu instid0(SALU_CYCLE_1)
	s_and_saveexec_b32 s22, s0
	s_cbranch_execz .LBB180_535
; %bb.532:                              ;   in Loop: Header=BB180_527 Depth=1
	s_mov_b32 s25, exec_lo
	s_bcnt1_i32_b32 s23, vcc_lo
	v_mbcnt_lo_u32_b32 v17, s25, 0
	s_mov_b32 s24, exec_lo
                                        ; implicit-def: $vgpr14_vgpr15
	s_delay_alu instid0(VALU_DEP_1)
	v_cmpx_eq_u32_e32 0, v17
; %bb.533:                              ;   in Loop: Header=BB180_527 Depth=1
	s_bcnt1_i32_b32 s0, s25
	s_delay_alu instid0(SALU_CYCLE_1) | instskip(NEXT) | instid1(SALU_CYCLE_1)
	s_mul_i32 s0, s23, s0
	v_mov_b32_e32 v6, s0
	ds_add_rtn_u64 v[14:15], v7, v[6:7] offset:5136
; %bb.534:                              ;   in Loop: Header=BB180_527 Depth=1
	s_or_b32 exec_lo, exec_lo, s24
	s_wait_dscnt 0x0
	v_readfirstlane_b32 s25, v15
	v_readfirstlane_b32 s24, v14
	s_delay_alu instid0(VALU_DEP_1)
	v_mad_nc_u64_u32 v[14:15], s23, v17, s[24:25]
.LBB180_535:                            ;   in Loop: Header=BB180_527 Depth=1
	s_or_b32 exec_lo, exec_lo, s22
	ds_bpermute_b32 v14, v7, v14
	ds_bpermute_b32 v15, v7, v15
	s_cmp_eq_u32 vcc_lo, 0
	s_mov_b32 s22, -1
	s_cselect_b32 s23, -1, 0
	s_wait_dscnt 0x0
	v_cmp_gt_u64_e64 s0, s[30:31], v[14:15]
	s_or_b32 s24, s23, s0
	s_mov_b32 s23, -1
	s_and_saveexec_b32 s0, s24
	s_cbranch_execz .LBB180_526
; %bb.536:                              ;   in Loop: Header=BB180_527 Depth=1
	v_and_b32_e32 v6, vcc_lo, v16
	v_sub_nc_u64_e32 v[18:19], s[30:31], v[14:15]
	s_mov_b32 s24, -1
	s_delay_alu instid0(VALU_DEP_2) | instskip(NEXT) | instid1(VALU_DEP_1)
	v_bcnt_u32_b32 v6, v6, 0
	v_bcnt_u32_b32 v6, 0, v6
	s_delay_alu instid0(VALU_DEP_1)
	v_cmp_gt_u64_e32 vcc_lo, v[18:19], v[6:7]
	s_and_b32 s25, s21, vcc_lo
	s_mov_b32 s21, -1
	s_and_saveexec_b32 s23, s25
	s_cbranch_execz .LBB180_540
; %bb.537:                              ;   in Loop: Header=BB180_527 Depth=1
	v_add_nc_u64_e32 v[18:19], v[14:15], v[6:7]
	s_mov_b32 s24, 0
	s_mov_b32 s21, exec_lo
	s_delay_alu instid0(VALU_DEP_1)
	v_cmpx_gt_u64_e64 s[30:31], v[18:19]
	s_cbranch_execz .LBB180_539
; %bb.538:                              ;   in Loop: Header=BB180_527 Depth=1
	s_wait_kmcnt 0x0
	v_mul_u64_e32 v[20:21], s[6:7], v[18:19]
	v_mul_u64_e32 v[18:19], s[8:9], v[18:19]
	s_mov_b32 s24, exec_lo
	s_delay_alu instid0(VALU_DEP_2) | instskip(NEXT) | instid1(VALU_DEP_2)
	v_lshl_add_u64 v[20:21], v[20:21], 3, s[12:13]
	v_lshl_add_u64 v[18:19], v[18:19], 3, s[14:15]
	s_wait_loadcnt 0x0
	global_store_b64 v[20:21], v[12:13], off
	global_store_b64 v[18:19], v[0:1], off
.LBB180_539:                            ;   in Loop: Header=BB180_527 Depth=1
	s_wait_xcnt 0x0
	s_or_b32 exec_lo, exec_lo, s21
	s_delay_alu instid0(SALU_CYCLE_1)
	s_xor_b32 s21, exec_lo, -1
	s_or_not1_b32 s24, s24, exec_lo
.LBB180_540:                            ;   in Loop: Header=BB180_527 Depth=1
	s_or_b32 exec_lo, exec_lo, s23
	s_and_saveexec_b32 s23, s24
	s_cbranch_execz .LBB180_525
; %bb.541:                              ;   in Loop: Header=BB180_527 Depth=1
	v_cmp_le_u64_e32 vcc_lo, s[10:11], v[8:9]
	v_add_nc_u64_e32 v[4:5], s[36:37], v[4:5]
	s_or_b32 s21, s21, exec_lo
	s_or_not1_b32 s22, vcc_lo, exec_lo
	s_branch .LBB180_525
.LBB180_542:
	s_or_b32 s8, s8, exec_lo
	s_trap 2
	s_branch .LBB180_502
.LBB180_543:
	s_or_b32 exec_lo, exec_lo, s5
	s_mov_b32 s0, 0
	s_and_saveexec_b32 s2, s20
	s_delay_alu instid0(SALU_CYCLE_1)
	s_xor_b32 s2, exec_lo, s2
	s_cbranch_execnz .LBB180_549
.LBB180_544:
	s_or_b32 exec_lo, exec_lo, s2
	s_delay_alu instid0(SALU_CYCLE_1)
	s_and_b32 s0, s0, exec_lo
.LBB180_545:
	s_or_b32 exec_lo, exec_lo, s3
	s_delay_alu instid0(SALU_CYCLE_1) | instskip(SKIP_3) | instid1(SALU_CYCLE_1)
	s_and_b32 s5, s0, exec_lo
	s_and_not1_b32 s1, s1, exec_lo
	s_or_b32 exec_lo, exec_lo, s4
	s_and_saveexec_b32 s0, s1
	s_xor_b32 s0, exec_lo, s0
	s_cbranch_execz .LBB180_496
.LBB180_546:
	s_or_b32 s5, s5, exec_lo
	s_trap 2
	s_branch .LBB180_496
.LBB180_547:
	s_or_b32 s8, s8, exec_lo
	s_trap 2
	s_branch .LBB180_500
.LBB180_548:
	s_or_b32 s8, s8, exec_lo
	s_trap 2
	s_branch .LBB180_498
.LBB180_549:
	s_mov_b32 s0, exec_lo
	s_trap 2
	s_branch .LBB180_544
	.section	.rodata,"a",@progbits
	.p2align	6, 0x0
	.amdhsa_kernel _ZN2at6native6sbtopk10gatherTopKIdmLi1ELb0EEEvNS_4cuda6detail10TensorInfoIKT_T0_EES8_S8_bS8_S8_NS5_IS6_S8_EES8_NS5_IlS8_EES8_PS6_
		.amdhsa_group_segment_fixed_size 5152
		.amdhsa_private_segment_fixed_size 0
		.amdhsa_kernarg_size 1568
		.amdhsa_user_sgpr_count 2
		.amdhsa_user_sgpr_dispatch_ptr 0
		.amdhsa_user_sgpr_queue_ptr 0
		.amdhsa_user_sgpr_kernarg_segment_ptr 1
		.amdhsa_user_sgpr_dispatch_id 0
		.amdhsa_user_sgpr_kernarg_preload_length 0
		.amdhsa_user_sgpr_kernarg_preload_offset 0
		.amdhsa_user_sgpr_private_segment_size 0
		.amdhsa_wavefront_size32 1
		.amdhsa_uses_dynamic_stack 0
		.amdhsa_enable_private_segment 0
		.amdhsa_system_sgpr_workgroup_id_x 1
		.amdhsa_system_sgpr_workgroup_id_y 1
		.amdhsa_system_sgpr_workgroup_id_z 1
		.amdhsa_system_sgpr_workgroup_info 0
		.amdhsa_system_vgpr_workitem_id 0
		.amdhsa_next_free_vgpr 67
		.amdhsa_next_free_sgpr 105
		.amdhsa_named_barrier_count 0
		.amdhsa_reserve_vcc 1
		.amdhsa_float_round_mode_32 0
		.amdhsa_float_round_mode_16_64 0
		.amdhsa_float_denorm_mode_32 3
		.amdhsa_float_denorm_mode_16_64 3
		.amdhsa_fp16_overflow 0
		.amdhsa_memory_ordered 1
		.amdhsa_forward_progress 1
		.amdhsa_inst_pref_size 199
		.amdhsa_round_robin_scheduling 0
		.amdhsa_exception_fp_ieee_invalid_op 0
		.amdhsa_exception_fp_denorm_src 0
		.amdhsa_exception_fp_ieee_div_zero 0
		.amdhsa_exception_fp_ieee_overflow 0
		.amdhsa_exception_fp_ieee_underflow 0
		.amdhsa_exception_fp_ieee_inexact 0
		.amdhsa_exception_int_div_zero 0
	.end_amdhsa_kernel
	.section	.text._ZN2at6native6sbtopk10gatherTopKIdmLi1ELb0EEEvNS_4cuda6detail10TensorInfoIKT_T0_EES8_S8_bS8_S8_NS5_IS6_S8_EES8_NS5_IlS8_EES8_PS6_,"axG",@progbits,_ZN2at6native6sbtopk10gatherTopKIdmLi1ELb0EEEvNS_4cuda6detail10TensorInfoIKT_T0_EES8_S8_bS8_S8_NS5_IS6_S8_EES8_NS5_IlS8_EES8_PS6_,comdat
.Lfunc_end180:
	.size	_ZN2at6native6sbtopk10gatherTopKIdmLi1ELb0EEEvNS_4cuda6detail10TensorInfoIKT_T0_EES8_S8_bS8_S8_NS5_IS6_S8_EES8_NS5_IlS8_EES8_PS6_, .Lfunc_end180-_ZN2at6native6sbtopk10gatherTopKIdmLi1ELb0EEEvNS_4cuda6detail10TensorInfoIKT_T0_EES8_S8_bS8_S8_NS5_IS6_S8_EES8_NS5_IlS8_EES8_PS6_
                                        ; -- End function
	.set _ZN2at6native6sbtopk10gatherTopKIdmLi1ELb0EEEvNS_4cuda6detail10TensorInfoIKT_T0_EES8_S8_bS8_S8_NS5_IS6_S8_EES8_NS5_IlS8_EES8_PS6_.num_vgpr, 67
	.set _ZN2at6native6sbtopk10gatherTopKIdmLi1ELb0EEEvNS_4cuda6detail10TensorInfoIKT_T0_EES8_S8_bS8_S8_NS5_IS6_S8_EES8_NS5_IlS8_EES8_PS6_.num_agpr, 0
	.set _ZN2at6native6sbtopk10gatherTopKIdmLi1ELb0EEEvNS_4cuda6detail10TensorInfoIKT_T0_EES8_S8_bS8_S8_NS5_IS6_S8_EES8_NS5_IlS8_EES8_PS6_.numbered_sgpr, 105
	.set _ZN2at6native6sbtopk10gatherTopKIdmLi1ELb0EEEvNS_4cuda6detail10TensorInfoIKT_T0_EES8_S8_bS8_S8_NS5_IS6_S8_EES8_NS5_IlS8_EES8_PS6_.num_named_barrier, 0
	.set _ZN2at6native6sbtopk10gatherTopKIdmLi1ELb0EEEvNS_4cuda6detail10TensorInfoIKT_T0_EES8_S8_bS8_S8_NS5_IS6_S8_EES8_NS5_IlS8_EES8_PS6_.private_seg_size, 0
	.set _ZN2at6native6sbtopk10gatherTopKIdmLi1ELb0EEEvNS_4cuda6detail10TensorInfoIKT_T0_EES8_S8_bS8_S8_NS5_IS6_S8_EES8_NS5_IlS8_EES8_PS6_.uses_vcc, 1
	.set _ZN2at6native6sbtopk10gatherTopKIdmLi1ELb0EEEvNS_4cuda6detail10TensorInfoIKT_T0_EES8_S8_bS8_S8_NS5_IS6_S8_EES8_NS5_IlS8_EES8_PS6_.uses_flat_scratch, 0
	.set _ZN2at6native6sbtopk10gatherTopKIdmLi1ELb0EEEvNS_4cuda6detail10TensorInfoIKT_T0_EES8_S8_bS8_S8_NS5_IS6_S8_EES8_NS5_IlS8_EES8_PS6_.has_dyn_sized_stack, 0
	.set _ZN2at6native6sbtopk10gatherTopKIdmLi1ELb0EEEvNS_4cuda6detail10TensorInfoIKT_T0_EES8_S8_bS8_S8_NS5_IS6_S8_EES8_NS5_IlS8_EES8_PS6_.has_recursion, 0
	.set _ZN2at6native6sbtopk10gatherTopKIdmLi1ELb0EEEvNS_4cuda6detail10TensorInfoIKT_T0_EES8_S8_bS8_S8_NS5_IS6_S8_EES8_NS5_IlS8_EES8_PS6_.has_indirect_call, 0
	.section	.AMDGPU.csdata,"",@progbits
; Kernel info:
; codeLenInByte = 25400
; TotalNumSgprs: 107
; NumVgprs: 67
; ScratchSize: 0
; MemoryBound: 0
; FloatMode: 240
; IeeeMode: 1
; LDSByteSize: 5152 bytes/workgroup (compile time only)
; SGPRBlocks: 0
; VGPRBlocks: 4
; NumSGPRsForWavesPerEU: 107
; NumVGPRsForWavesPerEU: 67
; NamedBarCnt: 0
; Occupancy: 12
; WaveLimiterHint : 1
; COMPUTE_PGM_RSRC2:SCRATCH_EN: 0
; COMPUTE_PGM_RSRC2:USER_SGPR: 2
; COMPUTE_PGM_RSRC2:TRAP_HANDLER: 0
; COMPUTE_PGM_RSRC2:TGID_X_EN: 1
; COMPUTE_PGM_RSRC2:TGID_Y_EN: 1
; COMPUTE_PGM_RSRC2:TGID_Z_EN: 1
; COMPUTE_PGM_RSRC2:TIDIG_COMP_CNT: 0
	.section	.text._ZN2at6native6mbtopk23computeBlockDigitCountsIdmmLi2EEEvNS_4cuda6detail10TensorInfoIKT_T0_EEjPjjS8_iijT1_PSB_Ps,"axG",@progbits,_ZN2at6native6mbtopk23computeBlockDigitCountsIdmmLi2EEEvNS_4cuda6detail10TensorInfoIKT_T0_EEjPjjS8_iijT1_PSB_Ps,comdat
	.protected	_ZN2at6native6mbtopk23computeBlockDigitCountsIdmmLi2EEEvNS_4cuda6detail10TensorInfoIKT_T0_EEjPjjS8_iijT1_PSB_Ps ; -- Begin function _ZN2at6native6mbtopk23computeBlockDigitCountsIdmmLi2EEEvNS_4cuda6detail10TensorInfoIKT_T0_EEjPjjS8_iijT1_PSB_Ps
	.globl	_ZN2at6native6mbtopk23computeBlockDigitCountsIdmmLi2EEEvNS_4cuda6detail10TensorInfoIKT_T0_EEjPjjS8_iijT1_PSB_Ps
	.p2align	8
	.type	_ZN2at6native6mbtopk23computeBlockDigitCountsIdmmLi2EEEvNS_4cuda6detail10TensorInfoIKT_T0_EEjPjjS8_iijT1_PSB_Ps,@function
_ZN2at6native6mbtopk23computeBlockDigitCountsIdmmLi2EEEvNS_4cuda6detail10TensorInfoIKT_T0_EEjPjjS8_iijT1_PSB_Ps: ; @_ZN2at6native6mbtopk23computeBlockDigitCountsIdmmLi2EEEvNS_4cuda6detail10TensorInfoIKT_T0_EEjPjjS8_iijT1_PSB_Ps
; %bb.0:
	s_load_b96 s[8:10], s[0:1], 0x1c0
	s_bfe_u32 s2, ttmp6, 0x40010
	s_and_b32 s4, ttmp7, 0xffff
	s_add_co_i32 s5, s2, 1
	s_bfe_u32 s6, ttmp6, 0x40004
	s_mul_i32 s5, s4, s5
	s_load_b64 s[2:3], s[0:1], 0x1e8
	s_add_co_i32 s6, s6, s5
	s_bfe_u32 s7, ttmp6, 0x4000c
	s_bfe_u32 s12, ttmp6, 0x40014
	s_add_co_i32 s7, s7, 1
	s_and_b32 s11, ttmp6, 15
	s_mul_i32 s7, ttmp9, s7
	s_add_co_i32 s12, s12, 1
	s_add_co_i32 s11, s11, s7
	s_getreg_b32 s13, hwreg(HW_REG_IB_STS2, 6, 4)
	s_mov_b32 s15, 0
	s_wait_kmcnt 0x0
	s_cvt_f32_u32 s5, s10
	s_delay_alu instid0(SALU_CYCLE_3) | instskip(SKIP_1) | instid1(SALU_CYCLE_1)
	v_rcp_iflag_f32_e32 v1, s5
	s_lshr_b32 s5, ttmp7, 16
	s_mul_i32 s7, s5, s12
	s_bfe_u32 s12, ttmp6, 0x40008
	s_delay_alu instid0(SALU_CYCLE_1) | instskip(SKIP_1) | instid1(TRANS32_DEP_1)
	s_add_co_i32 s12, s12, s7
	v_nop
	v_readfirstlane_b32 s14, v1
	s_cmp_eq_u32 s13, 0
	s_cselect_b32 s5, s5, s12
	s_load_b32 s12, s[0:1], 0x1b0
	s_mul_f32 s7, s14, 0x4f7ffffe
	s_mul_i32 s3, s3, s5
	s_cselect_b32 s5, ttmp9, s11
	s_cselect_b32 s4, s4, s6
	s_cvt_u32_f32 s7, s7
	s_sub_co_i32 s6, 0, s10
	s_add_co_i32 s3, s3, s4
	s_delay_alu instid0(SALU_CYCLE_1) | instskip(SKIP_3) | instid1(SALU_CYCLE_1)
	s_mul_i32 s22, s3, s2
	s_mul_i32 s6, s6, s7
	s_add_co_i32 s22, s22, s5
	s_mul_hi_u32 s2, s7, s6
	s_add_co_i32 s7, s7, s2
	s_delay_alu instid0(SALU_CYCLE_1) | instskip(NEXT) | instid1(SALU_CYCLE_1)
	s_mul_hi_u32 s2, s22, s7
	s_mul_i32 s3, s2, s10
	s_add_co_i32 s4, s2, 1
	s_sub_co_i32 s3, s22, s3
	s_delay_alu instid0(SALU_CYCLE_1)
	s_sub_co_i32 s5, s3, s10
	s_cmp_ge_u32 s3, s10
	s_cselect_b32 s2, s4, s2
	s_cselect_b32 s3, s5, s3
	s_add_co_i32 s4, s2, 1
	s_cmp_ge_u32 s3, s10
	s_cselect_b32 s14, s4, s2
	s_wait_kmcnt 0x0
	s_cmp_ge_u32 s14, s12
	s_cbranch_scc1 .LBB181_23
; %bb.1:
	s_clause 0x2
	s_load_b64 s[16:17], s[0:1], 0x10
	s_load_b128 s[4:7], s[0:1], 0x1d0
	s_load_b64 s[2:3], s[0:1], 0x1e0
	s_mov_b64 s[18:19], 0
	s_wait_kmcnt 0x0
	v_cmp_lt_u64_e64 s11, s[14:15], s[16:17]
	s_and_b32 vcc_lo, exec_lo, s11
	s_cbranch_vccnz .LBB181_3
; %bb.2:
	v_cvt_f32_u32_e32 v1, s16
	s_sub_co_i32 s12, 0, s16
	s_mov_b32 s19, 0
	s_delay_alu instid0(VALU_DEP_1) | instskip(SKIP_1) | instid1(TRANS32_DEP_1)
	v_rcp_iflag_f32_e32 v1, v1
	v_nop
	v_mul_f32_e32 v1, 0x4f7ffffe, v1
	s_delay_alu instid0(VALU_DEP_1) | instskip(NEXT) | instid1(VALU_DEP_1)
	v_cvt_u32_f32_e32 v1, v1
	v_readfirstlane_b32 s11, v1
	s_mul_i32 s12, s12, s11
	s_delay_alu instid0(SALU_CYCLE_1) | instskip(NEXT) | instid1(SALU_CYCLE_1)
	s_mul_hi_u32 s12, s11, s12
	s_add_co_i32 s11, s11, s12
	s_delay_alu instid0(SALU_CYCLE_1) | instskip(NEXT) | instid1(SALU_CYCLE_1)
	s_mul_hi_u32 s11, s14, s11
	s_mul_i32 s12, s11, s16
	s_add_co_i32 s13, s11, 1
	s_sub_co_i32 s12, s14, s12
	s_delay_alu instid0(SALU_CYCLE_1)
	s_sub_co_i32 s18, s12, s16
	s_cmp_ge_u32 s12, s16
	s_cselect_b32 s11, s13, s11
	s_cselect_b32 s12, s18, s12
	s_add_co_i32 s13, s11, 1
	s_cmp_ge_u32 s12, s16
	s_cselect_b32 s18, s13, s11
.LBB181_3:
	v_cmp_gt_u32_e32 vcc_lo, 0x100, v0
	v_lshlrev_b32_e32 v1, 2, v0
	s_and_saveexec_b32 s11, vcc_lo
; %bb.4:
	v_mov_b32_e32 v2, 0
	ds_store_b32 v1, v2
; %bb.5:
	s_or_b32 exec_lo, exec_lo, s11
	s_load_b32 s23, s[0:1], 0x1a0
	s_mul_i32 s11, s14, s10
	s_mov_b32 s21, 0
	s_sub_co_i32 s11, s22, s11
	s_wait_dscnt 0x0
	s_mul_i32 s12, s9, s11
	s_add_co_i32 s11, s11, 1
	s_lshl_b32 s24, s12, 8
	s_barrier_signal -1
	s_barrier_wait -1
	s_wait_kmcnt 0x0
	s_sub_co_i32 s20, s23, s24
	s_delay_alu instid0(SALU_CYCLE_1) | instskip(NEXT) | instid1(SALU_CYCLE_1)
	s_add_nc_u64 s[12:13], s[20:21], 0xff
	s_lshr_b64 s[12:13], s[12:13], 8
	s_cmp_lt_u32 s11, s10
	s_cselect_b32 s9, s9, s12
	s_delay_alu instid0(SALU_CYCLE_1)
	s_cmp_lt_i32 s9, 1
	s_cbranch_scc1 .LBB181_21
; %bb.6:
	s_clause 0x1
	s_load_b128 s[28:31], s[0:1], 0xd0
	s_load_b64 s[26:27], s[0:1], 0x0
	s_load_b64 s[10:11], s[6:7], s14 offset:0x0 scale_offset
	s_load_b64 s[12:13], s[0:1], 0x1b8
	s_wait_xcnt 0x0
	s_mul_u64 s[0:1], s[18:19], s[16:17]
	v_add_nc_u32_e32 v6, s24, v0
	s_sub_nc_u64 s[0:1], s[14:15], s[0:1]
	s_wait_kmcnt 0x0
	s_mul_u64 s[6:7], s[18:19], s[28:29]
	s_mul_u64 s[0:1], s[0:1], s[30:31]
	s_lshl_b64 s[6:7], s[6:7], 3
	s_lshl_b64 s[14:15], s[0:1], 3
	s_add_nc_u64 s[6:7], s[26:27], s[6:7]
	s_and_b32 s1, s8, 0xff
	s_cmp_eq_u32 s9, 1
	s_add_nc_u64 s[6:7], s[6:7], s[14:15]
	s_cbranch_scc1 .LBB181_16
; %bb.7:
	v_dual_mov_b32 v3, 0 :: v_dual_mov_b32 v7, 1
	v_mov_b32_e32 v2, v6
	s_and_b32 s8, s9, 0x7ffffffe
	s_mov_b32 s14, 0
	s_branch .LBB181_9
.LBB181_8:                              ;   in Loop: Header=BB181_9 Depth=1
	s_or_b32 exec_lo, exec_lo, s15
	v_add_nc_u32_e32 v2, 0x200, v2
	s_add_co_i32 s14, s14, 2
	s_delay_alu instid0(SALU_CYCLE_1)
	s_cmp_eq_u32 s8, s14
	s_cbranch_scc1 .LBB181_15
.LBB181_9:                              ; =>This Inner Loop Header: Depth=1
	s_mov_b32 s15, exec_lo
	v_cmpx_gt_u32_e64 s23, v2
	s_cbranch_execz .LBB181_12
; %bb.10:                               ;   in Loop: Header=BB181_9 Depth=1
	v_mul_u64_e32 v[4:5], s[12:13], v[2:3]
	s_delay_alu instid0(VALU_DEP_1) | instskip(SKIP_4) | instid1(VALU_DEP_1)
	v_lshl_add_u64 v[4:5], v[4:5], 3, s[6:7]
	global_load_b64 v[4:5], v[4:5], off
	s_wait_loadcnt 0x0
	v_cmp_o_f64_e64 s0, v[4:5], v[4:5]
	v_ashrrev_i32_e32 v8, 31, v5
	v_or_b32_e32 v9, 0x80000000, v8
	s_delay_alu instid0(VALU_DEP_1) | instskip(SKIP_1) | instid1(VALU_DEP_1)
	v_xor_b32_e32 v9, v9, v5
	s_wait_xcnt 0x0
	v_dual_cndmask_b32 v5, -1, v9, s0 :: v_dual_bitop2_b32 v4, v8, v4 bitop3:0x14
	s_delay_alu instid0(VALU_DEP_1) | instskip(NEXT) | instid1(VALU_DEP_1)
	v_dual_cndmask_b32 v4, -1, v4, s0 :: v_dual_bitop2_b32 v8, s11, v5 bitop3:0x14
	v_xor_b32_e32 v10, s10, v4
	s_delay_alu instid0(VALU_DEP_2) | instskip(NEXT) | instid1(VALU_DEP_2)
	v_and_b32_e32 v9, s5, v8
	v_and_b32_e32 v8, s4, v10
	s_delay_alu instid0(VALU_DEP_1)
	v_cmp_eq_u64_e64 s0, 0, v[8:9]
	s_and_b32 exec_lo, exec_lo, s0
	s_cbranch_execz .LBB181_12
; %bb.11:                               ;   in Loop: Header=BB181_9 Depth=1
	v_lshrrev_b64 v[4:5], s1, v[4:5]
	s_delay_alu instid0(VALU_DEP_1) | instskip(NEXT) | instid1(VALU_DEP_1)
	v_and_b32_e32 v4, 0xff, v4
	v_lshlrev_b32_e32 v4, 2, v4
	ds_add_u32 v4, v7
.LBB181_12:                             ;   in Loop: Header=BB181_9 Depth=1
	s_or_b32 exec_lo, exec_lo, s15
	v_add_nc_u32_e32 v4, 0x100, v2
	s_mov_b32 s15, exec_lo
	s_delay_alu instid0(VALU_DEP_1)
	v_cmpx_gt_u32_e64 s23, v4
	s_cbranch_execz .LBB181_8
; %bb.13:                               ;   in Loop: Header=BB181_9 Depth=1
	v_mov_b32_e32 v5, v3
	s_delay_alu instid0(VALU_DEP_1) | instskip(NEXT) | instid1(VALU_DEP_1)
	v_mul_u64_e32 v[4:5], s[12:13], v[4:5]
	v_lshl_add_u64 v[4:5], v[4:5], 3, s[6:7]
	global_load_b64 v[4:5], v[4:5], off
	s_wait_loadcnt 0x0
	v_cmp_o_f64_e64 s0, v[4:5], v[4:5]
	v_ashrrev_i32_e32 v8, 31, v5
	s_delay_alu instid0(VALU_DEP_1) | instskip(NEXT) | instid1(VALU_DEP_1)
	v_or_b32_e32 v9, 0x80000000, v8
	v_xor_b32_e32 v9, v9, v5
	s_delay_alu instid0(VALU_DEP_1) | instskip(NEXT) | instid1(VALU_DEP_1)
	v_dual_cndmask_b32 v5, -1, v9, s0 :: v_dual_bitop2_b32 v4, v8, v4 bitop3:0x14
	v_dual_cndmask_b32 v4, -1, v4, s0 :: v_dual_bitop2_b32 v8, s11, v5 bitop3:0x14
	s_delay_alu instid0(VALU_DEP_1) | instskip(NEXT) | instid1(VALU_DEP_2)
	v_xor_b32_e32 v10, s10, v4
	v_and_b32_e32 v9, s5, v8
	s_delay_alu instid0(VALU_DEP_2) | instskip(NEXT) | instid1(VALU_DEP_1)
	v_and_b32_e32 v8, s4, v10
	v_cmp_eq_u64_e64 s0, 0, v[8:9]
	s_and_b32 exec_lo, exec_lo, s0
	s_cbranch_execz .LBB181_8
; %bb.14:                               ;   in Loop: Header=BB181_9 Depth=1
	v_lshrrev_b64 v[4:5], s1, v[4:5]
	s_delay_alu instid0(VALU_DEP_1) | instskip(NEXT) | instid1(VALU_DEP_1)
	v_and_b32_e32 v4, 0xff, v4
	v_lshlrev_b32_e32 v4, 2, v4
	ds_add_u32 v4, v7
	s_branch .LBB181_8
.LBB181_15:
	s_lshl_b32 s21, s8, 8
.LBB181_16:
	s_bitcmp0_b32 s9, 0
	s_cbranch_scc1 .LBB181_21
; %bb.17:
	v_add_nc_u32_e32 v2, s21, v6
	s_mov_b32 s8, exec_lo
	s_delay_alu instid0(VALU_DEP_1)
	v_cmpx_gt_u32_e64 s23, v2
	s_cbranch_execz .LBB181_20
; %bb.18:
	v_mov_b32_e32 v3, 0
	s_delay_alu instid0(VALU_DEP_1) | instskip(NEXT) | instid1(VALU_DEP_1)
	v_mul_u64_e32 v[2:3], s[12:13], v[2:3]
	v_lshl_add_u64 v[2:3], v[2:3], 3, s[6:7]
	global_load_b64 v[2:3], v[2:3], off
	s_wait_loadcnt 0x0
	v_cmp_o_f64_e64 s0, v[2:3], v[2:3]
	v_ashrrev_i32_e32 v4, 31, v3
	s_delay_alu instid0(VALU_DEP_1) | instskip(NEXT) | instid1(VALU_DEP_1)
	v_or_b32_e32 v5, 0x80000000, v4
	v_xor_b32_e32 v5, v5, v3
	s_delay_alu instid0(VALU_DEP_1) | instskip(NEXT) | instid1(VALU_DEP_1)
	v_dual_cndmask_b32 v3, -1, v5, s0 :: v_dual_bitop2_b32 v2, v4, v2 bitop3:0x14
	v_dual_cndmask_b32 v2, -1, v2, s0 :: v_dual_bitop2_b32 v4, s11, v3 bitop3:0x14
	s_delay_alu instid0(VALU_DEP_1) | instskip(NEXT) | instid1(VALU_DEP_2)
	v_xor_b32_e32 v6, s10, v2
	v_and_b32_e32 v5, s5, v4
	s_delay_alu instid0(VALU_DEP_2) | instskip(NEXT) | instid1(VALU_DEP_1)
	v_and_b32_e32 v4, s4, v6
	v_cmp_eq_u64_e64 s0, 0, v[4:5]
	s_and_b32 exec_lo, exec_lo, s0
	s_cbranch_execz .LBB181_20
; %bb.19:
	v_lshrrev_b64 v[2:3], s1, v[2:3]
	v_mov_b32_e32 v3, 1
	s_delay_alu instid0(VALU_DEP_2) | instskip(NEXT) | instid1(VALU_DEP_1)
	v_and_b32_e32 v2, 0xff, v2
	v_lshlrev_b32_e32 v2, 2, v2
	ds_add_u32 v2, v3
.LBB181_20:
	s_or_b32 exec_lo, exec_lo, s8
.LBB181_21:
	s_wait_dscnt 0x0
	s_barrier_signal -1
	s_barrier_wait -1
	s_and_saveexec_b32 s0, vcc_lo
	s_cbranch_execz .LBB181_23
; %bb.22:
	ds_load_b32 v1, v1
	v_lshl_or_b32 v0, s22, 8, v0
	s_wait_dscnt 0x0
	global_store_b16 v0, v1, s[2:3] scale_offset
.LBB181_23:
	s_endpgm
	.section	.rodata,"a",@progbits
	.p2align	6, 0x0
	.amdhsa_kernel _ZN2at6native6mbtopk23computeBlockDigitCountsIdmmLi2EEEvNS_4cuda6detail10TensorInfoIKT_T0_EEjPjjS8_iijT1_PSB_Ps
		.amdhsa_group_segment_fixed_size 1024
		.amdhsa_private_segment_fixed_size 0
		.amdhsa_kernarg_size 744
		.amdhsa_user_sgpr_count 2
		.amdhsa_user_sgpr_dispatch_ptr 0
		.amdhsa_user_sgpr_queue_ptr 0
		.amdhsa_user_sgpr_kernarg_segment_ptr 1
		.amdhsa_user_sgpr_dispatch_id 0
		.amdhsa_user_sgpr_kernarg_preload_length 0
		.amdhsa_user_sgpr_kernarg_preload_offset 0
		.amdhsa_user_sgpr_private_segment_size 0
		.amdhsa_wavefront_size32 1
		.amdhsa_uses_dynamic_stack 0
		.amdhsa_enable_private_segment 0
		.amdhsa_system_sgpr_workgroup_id_x 1
		.amdhsa_system_sgpr_workgroup_id_y 1
		.amdhsa_system_sgpr_workgroup_id_z 1
		.amdhsa_system_sgpr_workgroup_info 0
		.amdhsa_system_vgpr_workitem_id 0
		.amdhsa_next_free_vgpr 11
		.amdhsa_next_free_sgpr 32
		.amdhsa_named_barrier_count 0
		.amdhsa_reserve_vcc 1
		.amdhsa_float_round_mode_32 0
		.amdhsa_float_round_mode_16_64 0
		.amdhsa_float_denorm_mode_32 3
		.amdhsa_float_denorm_mode_16_64 3
		.amdhsa_fp16_overflow 0
		.amdhsa_memory_ordered 1
		.amdhsa_forward_progress 1
		.amdhsa_inst_pref_size 11
		.amdhsa_round_robin_scheduling 0
		.amdhsa_exception_fp_ieee_invalid_op 0
		.amdhsa_exception_fp_denorm_src 0
		.amdhsa_exception_fp_ieee_div_zero 0
		.amdhsa_exception_fp_ieee_overflow 0
		.amdhsa_exception_fp_ieee_underflow 0
		.amdhsa_exception_fp_ieee_inexact 0
		.amdhsa_exception_int_div_zero 0
	.end_amdhsa_kernel
	.section	.text._ZN2at6native6mbtopk23computeBlockDigitCountsIdmmLi2EEEvNS_4cuda6detail10TensorInfoIKT_T0_EEjPjjS8_iijT1_PSB_Ps,"axG",@progbits,_ZN2at6native6mbtopk23computeBlockDigitCountsIdmmLi2EEEvNS_4cuda6detail10TensorInfoIKT_T0_EEjPjjS8_iijT1_PSB_Ps,comdat
.Lfunc_end181:
	.size	_ZN2at6native6mbtopk23computeBlockDigitCountsIdmmLi2EEEvNS_4cuda6detail10TensorInfoIKT_T0_EEjPjjS8_iijT1_PSB_Ps, .Lfunc_end181-_ZN2at6native6mbtopk23computeBlockDigitCountsIdmmLi2EEEvNS_4cuda6detail10TensorInfoIKT_T0_EEjPjjS8_iijT1_PSB_Ps
                                        ; -- End function
	.set _ZN2at6native6mbtopk23computeBlockDigitCountsIdmmLi2EEEvNS_4cuda6detail10TensorInfoIKT_T0_EEjPjjS8_iijT1_PSB_Ps.num_vgpr, 11
	.set _ZN2at6native6mbtopk23computeBlockDigitCountsIdmmLi2EEEvNS_4cuda6detail10TensorInfoIKT_T0_EEjPjjS8_iijT1_PSB_Ps.num_agpr, 0
	.set _ZN2at6native6mbtopk23computeBlockDigitCountsIdmmLi2EEEvNS_4cuda6detail10TensorInfoIKT_T0_EEjPjjS8_iijT1_PSB_Ps.numbered_sgpr, 32
	.set _ZN2at6native6mbtopk23computeBlockDigitCountsIdmmLi2EEEvNS_4cuda6detail10TensorInfoIKT_T0_EEjPjjS8_iijT1_PSB_Ps.num_named_barrier, 0
	.set _ZN2at6native6mbtopk23computeBlockDigitCountsIdmmLi2EEEvNS_4cuda6detail10TensorInfoIKT_T0_EEjPjjS8_iijT1_PSB_Ps.private_seg_size, 0
	.set _ZN2at6native6mbtopk23computeBlockDigitCountsIdmmLi2EEEvNS_4cuda6detail10TensorInfoIKT_T0_EEjPjjS8_iijT1_PSB_Ps.uses_vcc, 1
	.set _ZN2at6native6mbtopk23computeBlockDigitCountsIdmmLi2EEEvNS_4cuda6detail10TensorInfoIKT_T0_EEjPjjS8_iijT1_PSB_Ps.uses_flat_scratch, 0
	.set _ZN2at6native6mbtopk23computeBlockDigitCountsIdmmLi2EEEvNS_4cuda6detail10TensorInfoIKT_T0_EEjPjjS8_iijT1_PSB_Ps.has_dyn_sized_stack, 0
	.set _ZN2at6native6mbtopk23computeBlockDigitCountsIdmmLi2EEEvNS_4cuda6detail10TensorInfoIKT_T0_EEjPjjS8_iijT1_PSB_Ps.has_recursion, 0
	.set _ZN2at6native6mbtopk23computeBlockDigitCountsIdmmLi2EEEvNS_4cuda6detail10TensorInfoIKT_T0_EEjPjjS8_iijT1_PSB_Ps.has_indirect_call, 0
	.section	.AMDGPU.csdata,"",@progbits
; Kernel info:
; codeLenInByte = 1352
; TotalNumSgprs: 34
; NumVgprs: 11
; ScratchSize: 0
; MemoryBound: 0
; FloatMode: 240
; IeeeMode: 1
; LDSByteSize: 1024 bytes/workgroup (compile time only)
; SGPRBlocks: 0
; VGPRBlocks: 0
; NumSGPRsForWavesPerEU: 34
; NumVGPRsForWavesPerEU: 11
; NamedBarCnt: 0
; Occupancy: 16
; WaveLimiterHint : 1
; COMPUTE_PGM_RSRC2:SCRATCH_EN: 0
; COMPUTE_PGM_RSRC2:USER_SGPR: 2
; COMPUTE_PGM_RSRC2:TRAP_HANDLER: 0
; COMPUTE_PGM_RSRC2:TGID_X_EN: 1
; COMPUTE_PGM_RSRC2:TGID_Y_EN: 1
; COMPUTE_PGM_RSRC2:TGID_Z_EN: 1
; COMPUTE_PGM_RSRC2:TIDIG_COMP_CNT: 0
	.section	.text._ZN2at6native6mbtopk10gatherTopKIdmLi2EEEvNS_4cuda6detail10TensorInfoIKT_T0_EES8_S8_bjS8_NS5_IS6_S8_EES8_NS5_IlS8_EES8_jjPS6_PjSD_j,"axG",@progbits,_ZN2at6native6mbtopk10gatherTopKIdmLi2EEEvNS_4cuda6detail10TensorInfoIKT_T0_EES8_S8_bjS8_NS5_IS6_S8_EES8_NS5_IlS8_EES8_jjPS6_PjSD_j,comdat
	.protected	_ZN2at6native6mbtopk10gatherTopKIdmLi2EEEvNS_4cuda6detail10TensorInfoIKT_T0_EES8_S8_bjS8_NS5_IS6_S8_EES8_NS5_IlS8_EES8_jjPS6_PjSD_j ; -- Begin function _ZN2at6native6mbtopk10gatherTopKIdmLi2EEEvNS_4cuda6detail10TensorInfoIKT_T0_EES8_S8_bjS8_NS5_IS6_S8_EES8_NS5_IlS8_EES8_jjPS6_PjSD_j
	.globl	_ZN2at6native6mbtopk10gatherTopKIdmLi2EEEvNS_4cuda6detail10TensorInfoIKT_T0_EES8_S8_bjS8_NS5_IS6_S8_EES8_NS5_IlS8_EES8_jjPS6_PjSD_j
	.p2align	8
	.type	_ZN2at6native6mbtopk10gatherTopKIdmLi2EEEvNS_4cuda6detail10TensorInfoIKT_T0_EES8_S8_bjS8_NS5_IS6_S8_EES8_NS5_IlS8_EES8_jjPS6_PjSD_j,@function
_ZN2at6native6mbtopk10gatherTopKIdmLi2EEEvNS_4cuda6detail10TensorInfoIKT_T0_EES8_S8_bjS8_NS5_IS6_S8_EES8_NS5_IlS8_EES8_jjPS6_PjSD_j: ; @_ZN2at6native6mbtopk10gatherTopKIdmLi2EEEvNS_4cuda6detail10TensorInfoIKT_T0_EES8_S8_bjS8_NS5_IS6_S8_EES8_NS5_IlS8_EES8_jjPS6_PjSD_j
; %bb.0:
	s_bfe_u32 s2, ttmp6, 0x40010
	s_and_b32 s4, ttmp7, 0xffff
	s_add_co_i32 s5, s2, 1
	s_clause 0x1
	s_load_b32 s6, s[0:1], 0x530
	s_load_b64 s[2:3], s[0:1], 0x538
	s_bfe_u32 s8, ttmp6, 0x4000c
	s_mul_i32 s5, s4, s5
	s_bfe_u32 s7, ttmp6, 0x40004
	s_add_co_i32 s8, s8, 1
	s_bfe_u32 s9, ttmp6, 0x40014
	s_add_co_i32 s7, s7, s5
	s_and_b32 s5, ttmp6, 15
	s_mul_i32 s8, ttmp9, s8
	s_lshr_b32 s10, ttmp7, 16
	s_add_co_i32 s9, s9, 1
	s_add_co_i32 s5, s5, s8
	s_mul_i32 s8, s10, s9
	s_bfe_u32 s9, ttmp6, 0x40008
	s_getreg_b32 s11, hwreg(HW_REG_IB_STS2, 6, 4)
	s_add_co_i32 s9, s9, s8
	s_cmp_eq_u32 s11, 0
	s_cselect_b32 s8, s10, s9
	s_cselect_b32 s4, s4, s7
	s_wait_kmcnt 0x0
	s_mul_i32 s3, s3, s8
	s_cselect_b32 s5, ttmp9, s5
	s_add_co_i32 s3, s3, s4
	s_delay_alu instid0(SALU_CYCLE_1) | instskip(NEXT) | instid1(SALU_CYCLE_1)
	s_mul_i32 s2, s3, s2
	s_add_co_i32 s2, s2, s5
	s_delay_alu instid0(SALU_CYCLE_1)
	s_cmp_ge_u32 s2, s6
	s_cbranch_scc1 .LBB182_48
; %bb.1:
	s_load_b64 s[28:29], s[0:1], 0x510
	s_wait_kmcnt 0x0
	s_cvt_f32_u32 s3, s29
	s_sub_co_i32 s4, 0, s29
	s_lshl_b32 s33, s28, 8
	s_delay_alu instid0(SALU_CYCLE_1) | instskip(SKIP_1) | instid1(TRANS32_DEP_1)
	v_rcp_iflag_f32_e32 v1, s3
	v_nop
	v_readfirstlane_b32 s3, v1
	s_mul_f32 s3, s3, 0x4f7ffffe
	s_delay_alu instid0(SALU_CYCLE_3) | instskip(NEXT) | instid1(SALU_CYCLE_3)
	s_cvt_u32_f32 s3, s3
	s_mul_i32 s4, s4, s3
	s_delay_alu instid0(SALU_CYCLE_1) | instskip(NEXT) | instid1(SALU_CYCLE_1)
	s_mul_hi_u32 s4, s3, s4
	s_add_co_i32 s3, s3, s4
	s_clause 0x1
	s_load_b128 s[4:7], s[0:1], 0x1a0
	s_load_b64 s[30:31], s[0:1], 0x10
	s_mul_hi_u32 s3, s2, s3
	s_delay_alu instid0(SALU_CYCLE_1) | instskip(SKIP_2) | instid1(SALU_CYCLE_1)
	s_mul_i32 s8, s3, s29
	s_add_co_i32 s9, s3, 1
	s_sub_co_i32 s8, s2, s8
	s_sub_co_i32 s10, s8, s29
	s_cmp_ge_u32 s8, s29
	s_cselect_b32 s3, s9, s3
	s_cselect_b32 s8, s10, s8
	s_add_co_i32 s9, s3, 1
	s_cmp_ge_u32 s8, s29
	s_cselect_b32 s34, s9, s3
	s_delay_alu instid0(SALU_CYCLE_1) | instskip(NEXT) | instid1(SALU_CYCLE_1)
	s_mul_i32 s16, s34, s29
	s_sub_co_i32 s50, s2, s16
	s_delay_alu instid0(SALU_CYCLE_1) | instskip(NEXT) | instid1(SALU_CYCLE_1)
	s_add_co_i32 s2, s50, 1
	s_cmp_lt_u32 s2, s29
	s_cbranch_scc1 .LBB182_3
; %bb.2:
	s_mul_i32 s2, s50, s33
	s_mov_b32 s3, 0
	s_wait_kmcnt 0x0
	s_sub_nc_u64 s[8:9], s[4:5], s[2:3]
	s_delay_alu instid0(SALU_CYCLE_1) | instskip(NEXT) | instid1(SALU_CYCLE_1)
	s_add_nc_u64 s[8:9], s[8:9], 0xff
	s_ashr_i32 s2, s9, 31
	s_delay_alu instid0(SALU_CYCLE_1) | instskip(NEXT) | instid1(SALU_CYCLE_1)
	s_lshr_b32 s2, s2, 24
	s_add_nc_u64 s[2:3], s[8:9], s[2:3]
	s_delay_alu instid0(SALU_CYCLE_1) | instskip(NEXT) | instid1(SALU_CYCLE_1)
	s_lshr_b64 s[2:3], s[2:3], 8
	s_mov_b32 s28, s2
.LBB182_3:
	s_load_b64 s[42:43], s[0:1], 0x1d0
	s_mov_b32 s35, 0
	s_mov_b64 s[38:39], 0
	s_wait_kmcnt 0x0
	v_cmp_lt_u64_e64 s2, s[34:35], s[30:31]
	s_mov_b64 s[36:37], 0
	s_and_b32 vcc_lo, exec_lo, s2
	s_cbranch_vccz .LBB182_20
; %bb.4:
	s_load_b64 s[40:41], s[0:1], 0x378
	v_cmp_lt_u64_e64 s2, s[34:35], s[42:43]
	s_and_b32 vcc_lo, exec_lo, s2
	s_cbranch_vccz .LBB182_21
.LBB182_5:
	s_wait_kmcnt 0x0
	v_cmp_lt_u64_e64 s2, s[34:35], s[40:41]
	s_mov_b64 s[46:47], 0
	s_and_b32 vcc_lo, exec_lo, s2
	s_cbranch_vccnz .LBB182_7
.LBB182_6:
	v_cvt_f32_u32_e32 v1, s40
	s_sub_co_i32 s3, 0, s40
	s_mov_b32 s47, 0
	s_delay_alu instid0(VALU_DEP_1) | instskip(SKIP_1) | instid1(TRANS32_DEP_1)
	v_rcp_iflag_f32_e32 v1, v1
	v_nop
	v_mul_f32_e32 v1, 0x4f7ffffe, v1
	s_delay_alu instid0(VALU_DEP_1) | instskip(NEXT) | instid1(VALU_DEP_1)
	v_cvt_u32_f32_e32 v1, v1
	v_readfirstlane_b32 s2, v1
	s_mul_i32 s3, s3, s2
	s_delay_alu instid0(SALU_CYCLE_1) | instskip(NEXT) | instid1(SALU_CYCLE_1)
	s_mul_hi_u32 s3, s2, s3
	s_add_co_i32 s2, s2, s3
	s_delay_alu instid0(SALU_CYCLE_1) | instskip(NEXT) | instid1(SALU_CYCLE_1)
	s_mul_hi_u32 s2, s34, s2
	s_mul_i32 s3, s2, s40
	s_add_co_i32 s8, s2, 1
	s_sub_co_i32 s3, s34, s3
	s_delay_alu instid0(SALU_CYCLE_1)
	s_sub_co_i32 s9, s3, s40
	s_cmp_ge_u32 s3, s40
	s_cselect_b32 s2, s8, s2
	s_cselect_b32 s3, s9, s3
	s_add_co_i32 s8, s2, 1
	s_cmp_ge_u32 s3, s40
	s_cselect_b32 s46, s8, s2
.LBB182_7:
	s_load_b128 s[8:11], s[0:1], 0x518
	s_lshl_b64 s[2:3], s[34:35], 3
	s_mov_b32 s17, 0
	s_wait_kmcnt 0x0
	s_add_nc_u64 s[2:3], s[8:9], s[2:3]
	s_load_b64 s[44:45], s[2:3], 0x0
	s_wait_xcnt 0x0
	v_cmp_ne_u32_e64 s2, 0, v0
	v_cmp_eq_u32_e64 s3, 0, v0
	s_and_saveexec_b32 s24, s3
	s_cbranch_execz .LBB182_25
; %bb.8:
	s_load_b64 s[18:19], s[0:1], 0x528
	s_lshl_b64 s[20:21], s[16:17], 2
	s_cmp_lt_u32 s29, 4
	s_cbranch_scc1 .LBB182_22
; %bb.9:
	s_mov_b64 s[8:9], 0
	s_mov_b32 s16, 0
.LBB182_10:                             ; =>This Inner Loop Header: Depth=1
	s_add_nc_u64 s[22:23], s[10:11], s[20:21]
	s_cmp_ge_u32 s16, s50
	s_load_b128 s[12:15], s[22:23], 0x0
	s_wait_kmcnt 0x0
	s_add_nc_u64 s[22:23], s[18:19], s[20:21]
	s_cbranch_scc0 .LBB182_17
; %bb.11:                               ;   in Loop: Header=BB182_10 Depth=1
	s_add_co_i32 s25, s16, 1
	s_delay_alu instid0(SALU_CYCLE_1)
	s_cmp_ge_u32 s25, s50
	s_cbranch_scc0 .LBB182_18
.LBB182_12:                             ;   in Loop: Header=BB182_10 Depth=1
	s_add_co_i32 s25, s25, 1
	s_delay_alu instid0(SALU_CYCLE_1)
	s_cmp_ge_u32 s25, s50
	s_cbranch_scc0 .LBB182_19
.LBB182_13:                             ;   in Loop: Header=BB182_10 Depth=1
	s_add_co_i32 s25, s25, 1
	s_delay_alu instid0(SALU_CYCLE_1)
	s_cmp_ge_u32 s25, s50
	s_cbranch_scc1 .LBB182_15
.LBB182_14:                             ;   in Loop: Header=BB182_10 Depth=1
	s_load_b32 s22, s[22:23], 0xc
	s_add_co_i32 s9, s15, s9
	s_wait_kmcnt 0x0
	s_add_co_i32 s8, s22, s8
.LBB182_15:                             ;   in Loop: Header=BB182_10 Depth=1
	s_add_co_i32 s12, s12, s17
	s_add_nc_u64 s[10:11], s[10:11], 16
	s_add_co_i32 s12, s12, s13
	s_add_co_i32 s13, s25, 4
	;; [unrolled: 1-line block ×3, first 2 shown]
	s_add_nc_u64 s[18:19], s[18:19], 16
	s_add_co_i32 s17, s12, s15
	s_add_co_i32 s12, s25, 1
	s_cmp_ge_u32 s13, s29
	s_cbranch_scc1 .LBB182_23
; %bb.16:                               ;   in Loop: Header=BB182_10 Depth=1
	s_mov_b32 s16, s12
	s_branch .LBB182_10
.LBB182_17:                             ;   in Loop: Header=BB182_10 Depth=1
	s_load_b32 s25, s[22:23], 0x0
	s_add_co_i32 s9, s12, s9
	s_wait_kmcnt 0x0
	s_add_co_i32 s8, s25, s8
	s_add_co_i32 s25, s16, 1
	s_delay_alu instid0(SALU_CYCLE_1)
	s_cmp_ge_u32 s25, s50
	s_cbranch_scc1 .LBB182_12
.LBB182_18:                             ;   in Loop: Header=BB182_10 Depth=1
	s_load_b32 s26, s[22:23], 0x4
	s_add_co_i32 s9, s13, s9
	s_wait_kmcnt 0x0
	s_add_co_i32 s8, s26, s8
	s_add_co_i32 s25, s25, 1
	s_delay_alu instid0(SALU_CYCLE_1)
	s_cmp_ge_u32 s25, s50
	s_cbranch_scc1 .LBB182_13
.LBB182_19:                             ;   in Loop: Header=BB182_10 Depth=1
	s_load_b32 s26, s[22:23], 0x8
	s_add_co_i32 s9, s14, s9
	s_wait_kmcnt 0x0
	s_add_co_i32 s8, s26, s8
	s_add_co_i32 s25, s25, 1
	s_delay_alu instid0(SALU_CYCLE_1)
	s_cmp_ge_u32 s25, s50
	s_cbranch_scc0 .LBB182_14
	s_branch .LBB182_15
.LBB182_20:
	v_cvt_f32_u32_e32 v1, s30
	s_sub_co_i32 s3, 0, s30
	s_mov_b32 s37, s35
	s_delay_alu instid0(VALU_DEP_1) | instskip(SKIP_1) | instid1(TRANS32_DEP_1)
	v_rcp_iflag_f32_e32 v1, v1
	v_nop
	v_mul_f32_e32 v1, 0x4f7ffffe, v1
	s_delay_alu instid0(VALU_DEP_1) | instskip(NEXT) | instid1(VALU_DEP_1)
	v_cvt_u32_f32_e32 v1, v1
	v_readfirstlane_b32 s2, v1
	s_mul_i32 s3, s3, s2
	s_delay_alu instid0(SALU_CYCLE_1) | instskip(NEXT) | instid1(SALU_CYCLE_1)
	s_mul_hi_u32 s3, s2, s3
	s_add_co_i32 s2, s2, s3
	s_delay_alu instid0(SALU_CYCLE_1) | instskip(NEXT) | instid1(SALU_CYCLE_1)
	s_mul_hi_u32 s2, s34, s2
	s_mul_i32 s3, s2, s30
	s_add_co_i32 s8, s2, 1
	s_sub_co_i32 s3, s34, s3
	s_delay_alu instid0(SALU_CYCLE_1)
	s_sub_co_i32 s9, s3, s30
	s_cmp_ge_u32 s3, s30
	s_cselect_b32 s2, s8, s2
	s_cselect_b32 s3, s9, s3
	s_add_co_i32 s8, s2, 1
	s_cmp_ge_u32 s3, s30
	s_cselect_b32 s36, s8, s2
	s_load_b64 s[40:41], s[0:1], 0x378
	v_cmp_lt_u64_e64 s2, s[34:35], s[42:43]
	s_and_b32 vcc_lo, exec_lo, s2
	s_cbranch_vccnz .LBB182_5
.LBB182_21:
	v_cvt_f32_u32_e32 v1, s42
	s_sub_co_i32 s3, 0, s42
	s_mov_b32 s39, 0
	s_delay_alu instid0(VALU_DEP_1) | instskip(SKIP_1) | instid1(TRANS32_DEP_1)
	v_rcp_iflag_f32_e32 v1, v1
	v_nop
	v_mul_f32_e32 v1, 0x4f7ffffe, v1
	s_delay_alu instid0(VALU_DEP_1) | instskip(NEXT) | instid1(VALU_DEP_1)
	v_cvt_u32_f32_e32 v1, v1
	v_readfirstlane_b32 s2, v1
	s_mul_i32 s3, s3, s2
	s_delay_alu instid0(SALU_CYCLE_1) | instskip(NEXT) | instid1(SALU_CYCLE_1)
	s_mul_hi_u32 s3, s2, s3
	s_add_co_i32 s2, s2, s3
	s_delay_alu instid0(SALU_CYCLE_1) | instskip(NEXT) | instid1(SALU_CYCLE_1)
	s_mul_hi_u32 s2, s34, s2
	s_mul_i32 s3, s2, s42
	s_add_co_i32 s8, s2, 1
	s_sub_co_i32 s3, s34, s3
	s_delay_alu instid0(SALU_CYCLE_1)
	s_sub_co_i32 s9, s3, s42
	s_cmp_ge_u32 s3, s42
	s_cselect_b32 s2, s8, s2
	s_cselect_b32 s3, s9, s3
	s_add_co_i32 s8, s2, 1
	s_cmp_ge_u32 s3, s42
	s_cselect_b32 s38, s8, s2
	s_wait_kmcnt 0x0
	v_cmp_lt_u64_e64 s2, s[34:35], s[40:41]
	s_mov_b64 s[46:47], 0
	s_and_b32 vcc_lo, exec_lo, s2
	s_cbranch_vccz .LBB182_6
	s_branch .LBB182_7
.LBB182_22:
	s_mov_b64 s[8:9], 0
	s_add_nc_u64 s[10:11], s[10:11], s[20:21]
	s_wait_kmcnt 0x0
	s_add_nc_u64 s[12:13], s[18:19], s[20:21]
	s_mov_b32 s14, 0
	s_delay_alu instid0(SALU_CYCLE_1)
	s_cmp_ge_u32 s14, s29
	s_cbranch_scc0 .LBB182_46
	s_branch .LBB182_24
.LBB182_23:
	s_add_co_i32 s14, s16, 4
	s_add_nc_u64 s[12:13], s[18:19], s[20:21]
	s_add_nc_u64 s[10:11], s[10:11], s[20:21]
	s_cmp_ge_u32 s14, s29
	s_cbranch_scc0 .LBB182_46
.LBB182_24:
	v_dual_mov_b32 v2, s8 :: v_dual_mov_b32 v3, s17
	v_dual_mov_b32 v4, s9 :: v_dual_mov_b32 v1, 0
	ds_store_b96 v1, v[2:4] offset:1056
.LBB182_25:
	s_or_b32 exec_lo, exec_lo, s24
	s_clause 0x5
	s_load_b64 s[48:49], s[0:1], 0x0
	s_load_b128 s[16:19], s[0:1], 0xd0
	s_load_b128 s[8:11], s[0:1], 0x1b8
	;; [unrolled: 1-line block ×5, first 2 shown]
	s_cmp_eq_u32 s28, 0
	s_wait_dscnt 0x0
	s_barrier_signal -1
	s_barrier_wait -1
	s_cbranch_scc1 .LBB182_48
; %bb.26:
	s_wait_kmcnt 0x0
	v_cmp_o_f64_e64 s29, s[44:45], s[44:45]
	s_mul_u64 s[30:31], s[36:37], s[30:31]
	v_dual_mov_b32 v7, 0 :: v_dual_lshrrev_b32 v1, 3, v0
	s_sub_nc_u64 s[30:31], s[34:35], s[30:31]
	s_mul_u64 s[16:17], s[36:37], s[16:17]
	s_mul_u64 s[42:43], s[38:39], s[42:43]
	;; [unrolled: 1-line block ×4, first 2 shown]
	s_lshl_b64 s[16:17], s[16:17], 3
	ds_load_b96 v[2:4], v7 offset:1056
	s_sub_nc_u64 s[42:43], s[34:35], s[42:43]
	s_add_nc_u64 s[16:17], s[48:49], s[16:17]
	s_lshl_b64 s[24:25], s[24:25], 3
	s_lshl_b64 s[18:19], s[18:19], 3
	s_mul_u64 s[26:27], s[42:43], s[26:27]
	s_mul_u64 s[38:39], s[46:47], s[40:41]
	;; [unrolled: 1-line block ×3, first 2 shown]
	s_add_nc_u64 s[24:25], s[10:11], s[24:25]
	s_add_nc_u64 s[10:11], s[16:17], s[18:19]
	s_ashr_i32 s18, s45, 31
	s_sub_nc_u64 s[30:31], s[34:35], s[38:39]
	s_lshl_b64 s[26:27], s[26:27], 3
	s_lshl_b64 s[20:21], s[20:21], 3
	s_mov_b32 s19, s18
	s_mul_u64 s[22:23], s[30:31], s[22:23]
	s_add_nc_u64 s[16:17], s[24:25], s[26:27]
	s_add_nc_u64 s[20:21], s[14:15], s[20:21]
	s_or_b64 s[14:15], s[18:19], 0x8000000000000000
	s_load_b32 s24, s[0:1], 0x1b0
	s_lshl_b64 s[22:23], s[22:23], 3
	s_xor_b64 s[14:15], s[14:15], s[44:45]
	v_dual_add_nc_u32 v8, -1, v0 :: v_dual_bitop2_b32 v1, 28, v1 bitop3:0x40
	s_and_b32 s18, s29, exec_lo
	s_load_b64 s[18:19], s[0:1], 0x508
	s_wait_dscnt 0x0
	s_delay_alu instid0(VALU_DEP_1)
	v_dual_add_nc_u32 v2, v2, v3 :: v_dual_lshrrev_b32 v6, 3, v8
	v_lshl_add_u32 v5, v0, 2, v1
	v_and_b32_e32 v1, 0xfc, v0
	v_mbcnt_lo_u32_b32 v10, -1, 0
	v_lshlrev_b32_e32 v9, 5, v0
	v_and_b32_e32 v3, 0x1ffffffc, v6
	v_mad_u32 v6, s50, s33, v0
	s_wait_xcnt 0x0
	v_cmp_gt_u32_e64 s0, 32, v0
	v_dual_add_nc_u32 v12, v1, v9 :: v_dual_bitop2_b32 v13, 15, v10 bitop3:0x40
	v_add_nc_u32_e32 v15, -1, v10
	v_lshl_add_u32 v11, v8, 2, v3
	v_bfe_i32 v14, v10, 4, 1
	s_cselect_b32 s15, s15, -1
	s_cselect_b32 s14, s14, -1
	s_wait_kmcnt 0x0
	s_bitcmp1_b32 s24, 0
	s_add_nc_u64 s[20:21], s[20:21], s[22:23]
	s_cselect_b32 s1, -1, 0
                                        ; implicit-def: $vgpr0_vgpr1
	s_branch .LBB182_29
.LBB182_27:                             ;   in Loop: Header=BB182_29 Depth=1
	s_wait_xcnt 0x0
	s_or_b32 exec_lo, exec_lo, s22
	v_add_nc_u32_e32 v2, v3, v2
.LBB182_28:                             ;   in Loop: Header=BB182_29 Depth=1
	v_add_nc_u32_e32 v4, v16, v4
	v_add_nc_u32_e32 v6, 0x100, v6
	s_add_co_i32 s28, s28, -1
	s_delay_alu instid0(SALU_CYCLE_1)
	s_cmp_lg_u32 s28, 0
	s_cbranch_scc0 .LBB182_48
.LBB182_29:                             ; =>This Inner Loop Header: Depth=1
	v_dual_mov_b32 v3, v7 :: v_dual_mov_b32 v8, v7
	s_mov_b32 s22, exec_lo
	v_cmpx_gt_u64_e64 s[4:5], v[6:7]
	s_cbranch_execz .LBB182_31
; %bb.30:                               ;   in Loop: Header=BB182_29 Depth=1
	v_mul_u64_e32 v[0:1], s[8:9], v[6:7]
	s_delay_alu instid0(VALU_DEP_1) | instskip(SKIP_4) | instid1(VALU_DEP_1)
	v_lshl_add_u64 v[0:1], v[0:1], 3, s[10:11]
	global_load_b64 v[0:1], v[0:1], off
	s_wait_loadcnt 0x0
	v_cmp_o_f64_e32 vcc_lo, v[0:1], v[0:1]
	v_ashrrev_i32_e32 v3, 31, v1
	v_or_b32_e32 v8, 0x80000000, v3
	s_delay_alu instid0(VALU_DEP_1) | instskip(SKIP_1) | instid1(VALU_DEP_1)
	v_xor_b32_e32 v8, v8, v1
	v_xor_b32_e32 v3, v3, v0
	v_dual_cndmask_b32 v9, -1, v8 :: v_dual_cndmask_b32 v8, -1, v3
	s_delay_alu instid0(VALU_DEP_1) | instskip(SKIP_4) | instid1(VALU_DEP_2)
	v_cmp_lt_u64_e32 vcc_lo, s[14:15], v[8:9]
	v_cndmask_b32_e64 v3, 0, 1, vcc_lo
	v_cmp_gt_u64_e32 vcc_lo, s[14:15], v[8:9]
	v_cndmask_b32_e64 v16, 0, 1, vcc_lo
	v_cmp_eq_u64_e32 vcc_lo, s[14:15], v[8:9]
	v_cndmask_b32_e64 v3, v16, v3, s1
	v_cndmask_b32_e64 v8, 0, 1, vcc_lo
	s_delay_alu instid0(VALU_DEP_2)
	v_and_b32_e32 v3, 1, v3
.LBB182_31:                             ;   in Loop: Header=BB182_29 Depth=1
	s_wait_xcnt 0x0
	s_or_b32 exec_lo, exec_lo, s22
	ds_store_b32 v5, v3
	s_wait_dscnt 0x0
	s_barrier_signal -1
	s_barrier_wait -1
	s_and_saveexec_b32 s22, s0
	s_cbranch_execz .LBB182_33
; %bb.32:                               ;   in Loop: Header=BB182_29 Depth=1
	ds_load_2addr_b32 v[16:17], v12 offset1:1
	ds_load_2addr_b32 v[18:19], v12 offset0:2 offset1:3
	ds_load_2addr_b32 v[20:21], v12 offset0:4 offset1:5
	;; [unrolled: 1-line block ×3, first 2 shown]
	v_cmp_ne_u32_e32 vcc_lo, 0, v13
	; wave barrier
	s_wait_dscnt 0x3
	v_add_nc_u32_e32 v9, v17, v16
	s_wait_dscnt 0x2
	s_delay_alu instid0(VALU_DEP_1) | instskip(SKIP_1) | instid1(VALU_DEP_1)
	v_add3_u32 v9, v9, v18, v19
	s_wait_dscnt 0x1
	v_add3_u32 v9, v9, v20, v21
	s_wait_dscnt 0x0
	s_delay_alu instid0(VALU_DEP_1) | instskip(NEXT) | instid1(VALU_DEP_1)
	v_add3_u32 v9, v9, v22, v23
	v_mov_b32_dpp v17, v9 row_shr:1 row_mask:0xf bank_mask:0xf
	s_delay_alu instid0(VALU_DEP_1) | instskip(SKIP_1) | instid1(VALU_DEP_2)
	v_cndmask_b32_e32 v17, 0, v17, vcc_lo
	v_cmp_lt_u32_e32 vcc_lo, 1, v13
	v_add_nc_u32_e32 v9, v17, v9
	s_delay_alu instid0(VALU_DEP_1) | instskip(NEXT) | instid1(VALU_DEP_1)
	v_mov_b32_dpp v17, v9 row_shr:2 row_mask:0xf bank_mask:0xf
	v_cndmask_b32_e32 v17, 0, v17, vcc_lo
	v_cmp_lt_u32_e32 vcc_lo, 3, v13
	s_delay_alu instid0(VALU_DEP_2) | instskip(NEXT) | instid1(VALU_DEP_1)
	v_add_nc_u32_e32 v9, v9, v17
	v_mov_b32_dpp v17, v9 row_shr:4 row_mask:0xf bank_mask:0xf
	s_delay_alu instid0(VALU_DEP_1) | instskip(SKIP_1) | instid1(VALU_DEP_2)
	v_cndmask_b32_e32 v17, 0, v17, vcc_lo
	v_cmp_lt_u32_e32 vcc_lo, 7, v13
	v_add_nc_u32_e32 v9, v9, v17
	s_delay_alu instid0(VALU_DEP_1) | instskip(NEXT) | instid1(VALU_DEP_1)
	v_mov_b32_dpp v17, v9 row_shr:8 row_mask:0xf bank_mask:0xf
	v_cndmask_b32_e32 v17, 0, v17, vcc_lo
	v_cmp_gt_i32_e32 vcc_lo, 0, v15
	s_delay_alu instid0(VALU_DEP_2) | instskip(SKIP_3) | instid1(VALU_DEP_1)
	v_dual_cndmask_b32 v18, v15, v10 :: v_dual_add_nc_u32 v9, v9, v17
	ds_swizzle_b32 v17, v9 offset:swizzle(BROADCAST,32,15)
	s_wait_dscnt 0x0
	v_dual_lshlrev_b32 v18, 2, v18 :: v_dual_bitop2_b32 v17, v14, v17 bitop3:0x40
	v_add_nc_u32_e32 v9, v9, v17
	ds_bpermute_b32 v9, v18, v9
	s_wait_dscnt 0x0
	v_add_nc_u32_e32 v9, v9, v16
	s_delay_alu instid0(VALU_DEP_1)
	v_cndmask_b32_e64 v9, v9, v3, s3
	ds_store_b32 v12, v9
	; wave barrier
	ds_load_2addr_b32 v[16:17], v12 offset0:1 offset1:2
	ds_load_2addr_b32 v[18:19], v12 offset0:3 offset1:4
	;; [unrolled: 1-line block ×3, first 2 shown]
	ds_load_b32 v22, v12 offset:28
	s_wait_dscnt 0x3
	v_add_nc_u32_e32 v9, v16, v9
	s_delay_alu instid0(VALU_DEP_1) | instskip(SKIP_1) | instid1(VALU_DEP_1)
	v_add_nc_u32_e32 v16, v17, v9
	s_wait_dscnt 0x2
	v_add_nc_u32_e32 v17, v18, v16
	s_delay_alu instid0(VALU_DEP_1) | instskip(SKIP_1) | instid1(VALU_DEP_1)
	v_add_nc_u32_e32 v18, v19, v17
	;; [unrolled: 4-line block ×3, first 2 shown]
	s_wait_dscnt 0x0
	v_add_nc_u32_e32 v21, v22, v20
	ds_store_2addr_b32 v12, v9, v16 offset0:1 offset1:2
	ds_store_2addr_b32 v12, v17, v18 offset0:3 offset1:4
	ds_store_2addr_b32 v12, v19, v20 offset0:5 offset1:6
	ds_store_b32 v12, v21 offset:28
.LBB182_33:                             ;   in Loop: Header=BB182_29 Depth=1
	s_or_b32 exec_lo, exec_lo, s22
	v_mov_b32_e32 v9, 0
	s_wait_dscnt 0x0
	s_barrier_signal -1
	s_barrier_wait -1
	s_and_saveexec_b32 s22, s2
; %bb.34:                               ;   in Loop: Header=BB182_29 Depth=1
	ds_load_b32 v9, v11
; %bb.35:                               ;   in Loop: Header=BB182_29 Depth=1
	s_or_b32 exec_lo, exec_lo, s22
	ds_load_b32 v16, v7 offset:1048
	s_mov_b32 s22, exec_lo
	s_wait_dscnt 0x0
	s_barrier_signal -1
	s_barrier_wait -1
	v_cmpx_ne_u32_e32 0, v3
	s_cbranch_execz .LBB182_37
; %bb.36:                               ;   in Loop: Header=BB182_29 Depth=1
	v_dual_mov_b32 v19, v7 :: v_dual_add_nc_u32 v18, v9, v4
	s_delay_alu instid0(VALU_DEP_1) | instskip(SKIP_1) | instid1(VALU_DEP_2)
	v_mul_u64_e32 v[20:21], s[12:13], v[18:19]
	v_mul_u64_e32 v[18:19], s[18:19], v[18:19]
	v_lshl_add_u64 v[20:21], v[20:21], 3, s[16:17]
	s_delay_alu instid0(VALU_DEP_2)
	v_lshl_add_u64 v[18:19], v[18:19], 3, s[20:21]
	global_store_b64 v[20:21], v[0:1], off
	global_store_b64 v[18:19], v[6:7], off
.LBB182_37:                             ;   in Loop: Header=BB182_29 Depth=1
	s_wait_xcnt 0x0
	s_or_b32 exec_lo, exec_lo, s22
	v_mov_b32_e32 v3, v7
	s_delay_alu instid0(VALU_DEP_1)
	v_cmp_le_u64_e32 vcc_lo, s[6:7], v[2:3]
	s_cbranch_vccnz .LBB182_28
; %bb.38:                               ;   in Loop: Header=BB182_29 Depth=1
	ds_store_b32 v5, v8
	s_wait_storecnt_dscnt 0x0
	s_barrier_signal -1
	s_barrier_wait -1
	s_and_saveexec_b32 s22, s0
	s_cbranch_execz .LBB182_40
; %bb.39:                               ;   in Loop: Header=BB182_29 Depth=1
	ds_load_2addr_b32 v[18:19], v12 offset1:1
	ds_load_2addr_b32 v[20:21], v12 offset0:2 offset1:3
	ds_load_2addr_b32 v[22:23], v12 offset0:4 offset1:5
	;; [unrolled: 1-line block ×3, first 2 shown]
	v_cmp_ne_u32_e32 vcc_lo, 0, v13
	; wave barrier
	s_wait_dscnt 0x3
	v_add_nc_u32_e32 v3, v19, v18
	s_wait_dscnt 0x2
	s_delay_alu instid0(VALU_DEP_1) | instskip(SKIP_1) | instid1(VALU_DEP_1)
	v_add3_u32 v3, v3, v20, v21
	s_wait_dscnt 0x1
	v_add3_u32 v3, v3, v22, v23
	s_wait_dscnt 0x0
	s_delay_alu instid0(VALU_DEP_1) | instskip(NEXT) | instid1(VALU_DEP_1)
	v_add3_u32 v3, v3, v24, v25
	v_mov_b32_dpp v9, v3 row_shr:1 row_mask:0xf bank_mask:0xf
	s_delay_alu instid0(VALU_DEP_1) | instskip(SKIP_1) | instid1(VALU_DEP_2)
	v_cndmask_b32_e32 v9, 0, v9, vcc_lo
	v_cmp_lt_u32_e32 vcc_lo, 1, v13
	v_add_nc_u32_e32 v3, v9, v3
	s_delay_alu instid0(VALU_DEP_1) | instskip(NEXT) | instid1(VALU_DEP_1)
	v_mov_b32_dpp v9, v3 row_shr:2 row_mask:0xf bank_mask:0xf
	v_cndmask_b32_e32 v9, 0, v9, vcc_lo
	v_cmp_lt_u32_e32 vcc_lo, 3, v13
	s_delay_alu instid0(VALU_DEP_2) | instskip(NEXT) | instid1(VALU_DEP_1)
	v_add_nc_u32_e32 v3, v3, v9
	v_mov_b32_dpp v9, v3 row_shr:4 row_mask:0xf bank_mask:0xf
	s_delay_alu instid0(VALU_DEP_1) | instskip(SKIP_1) | instid1(VALU_DEP_2)
	v_cndmask_b32_e32 v9, 0, v9, vcc_lo
	v_cmp_lt_u32_e32 vcc_lo, 7, v13
	v_add_nc_u32_e32 v3, v3, v9
	s_delay_alu instid0(VALU_DEP_1) | instskip(NEXT) | instid1(VALU_DEP_1)
	v_mov_b32_dpp v9, v3 row_shr:8 row_mask:0xf bank_mask:0xf
	v_cndmask_b32_e32 v9, 0, v9, vcc_lo
	v_cmp_gt_i32_e32 vcc_lo, 0, v15
	s_delay_alu instid0(VALU_DEP_2)
	v_add_nc_u32_e32 v3, v3, v9
	v_cndmask_b32_e32 v17, v15, v10, vcc_lo
	ds_swizzle_b32 v9, v3 offset:swizzle(BROADCAST,32,15)
	v_lshlrev_b32_e32 v17, 2, v17
	s_wait_dscnt 0x0
	v_and_b32_e32 v9, v14, v9
	s_delay_alu instid0(VALU_DEP_1) | instskip(SKIP_3) | instid1(VALU_DEP_1)
	v_add_nc_u32_e32 v3, v3, v9
	ds_bpermute_b32 v3, v17, v3
	s_wait_dscnt 0x0
	v_add_nc_u32_e32 v3, v3, v18
	v_cndmask_b32_e64 v3, v3, v8, s3
	ds_store_b32 v12, v3
	; wave barrier
	ds_load_2addr_b32 v[18:19], v12 offset0:1 offset1:2
	ds_load_2addr_b32 v[20:21], v12 offset0:3 offset1:4
	;; [unrolled: 1-line block ×3, first 2 shown]
	ds_load_b32 v9, v12 offset:28
	s_wait_dscnt 0x3
	v_add_nc_u32_e32 v3, v18, v3
	s_delay_alu instid0(VALU_DEP_1) | instskip(SKIP_1) | instid1(VALU_DEP_1)
	v_add_nc_u32_e32 v17, v19, v3
	s_wait_dscnt 0x2
	v_add_nc_u32_e32 v18, v20, v17
	s_delay_alu instid0(VALU_DEP_1) | instskip(SKIP_1) | instid1(VALU_DEP_1)
	v_add_nc_u32_e32 v19, v21, v18
	s_wait_dscnt 0x1
	v_add_nc_u32_e32 v20, v22, v19
	s_delay_alu instid0(VALU_DEP_1) | instskip(SKIP_1) | instid1(VALU_DEP_1)
	v_add_nc_u32_e32 v21, v23, v20
	s_wait_dscnt 0x0
	v_add_nc_u32_e32 v9, v9, v21
	ds_store_2addr_b32 v12, v3, v17 offset0:1 offset1:2
	ds_store_2addr_b32 v12, v18, v19 offset0:3 offset1:4
	;; [unrolled: 1-line block ×3, first 2 shown]
	ds_store_b32 v12, v9 offset:28
.LBB182_40:                             ;   in Loop: Header=BB182_29 Depth=1
	s_or_b32 exec_lo, exec_lo, s22
	v_mov_b32_e32 v9, 0
	s_wait_dscnt 0x0
	s_barrier_signal -1
	s_barrier_wait -1
	s_and_saveexec_b32 s22, s2
; %bb.41:                               ;   in Loop: Header=BB182_29 Depth=1
	ds_load_b32 v9, v11
; %bb.42:                               ;   in Loop: Header=BB182_29 Depth=1
	s_or_b32 exec_lo, exec_lo, s22
	ds_load_b32 v3, v7 offset:1048
	s_mov_b32 s22, exec_lo
	s_wait_dscnt 0x0
	s_barrier_signal -1
	s_barrier_wait -1
	v_cmpx_ne_u32_e32 0, v8
	s_cbranch_execz .LBB182_27
; %bb.43:                               ;   in Loop: Header=BB182_29 Depth=1
	v_dual_mov_b32 v9, v7 :: v_dual_add_nc_u32 v8, v9, v2
	s_delay_alu instid0(VALU_DEP_1)
	v_cmp_gt_u64_e32 vcc_lo, s[6:7], v[8:9]
	s_and_b32 exec_lo, exec_lo, vcc_lo
	s_cbranch_execz .LBB182_27
; %bb.44:                               ;   in Loop: Header=BB182_29 Depth=1
	v_mul_u64_e32 v[18:19], s[12:13], v[8:9]
	v_mul_u64_e32 v[8:9], s[18:19], v[8:9]
	s_delay_alu instid0(VALU_DEP_2) | instskip(NEXT) | instid1(VALU_DEP_2)
	v_lshl_add_u64 v[18:19], v[18:19], 3, s[16:17]
	v_lshl_add_u64 v[8:9], v[8:9], 3, s[20:21]
	global_store_b64 v[18:19], v[0:1], off
	global_store_b64 v[8:9], v[6:7], off
	s_branch .LBB182_27
.LBB182_45:                             ;   in Loop: Header=BB182_46 Depth=1
	s_add_co_i32 s14, s14, 1
	s_wait_kmcnt 0x0
	s_add_co_i32 s17, s15, s17
	s_add_nc_u64 s[10:11], s[10:11], 4
	s_cmp_lt_u32 s14, s29
	s_add_nc_u64 s[12:13], s[12:13], 4
	s_cbranch_scc0 .LBB182_24
.LBB182_46:                             ; =>This Inner Loop Header: Depth=1
	s_load_b32 s15, s[10:11], 0x0
	s_cmp_ge_u32 s14, s50
	s_cbranch_scc1 .LBB182_45
; %bb.47:                               ;   in Loop: Header=BB182_46 Depth=1
	s_load_b32 s16, s[12:13], 0x0
	s_wait_kmcnt 0x0
	s_add_co_i32 s9, s15, s9
	s_add_co_i32 s8, s16, s8
	s_branch .LBB182_45
.LBB182_48:
	s_endpgm
	.section	.rodata,"a",@progbits
	.p2align	6, 0x0
	.amdhsa_kernel _ZN2at6native6mbtopk10gatherTopKIdmLi2EEEvNS_4cuda6detail10TensorInfoIKT_T0_EES8_S8_bjS8_NS5_IS6_S8_EES8_NS5_IlS8_EES8_jjPS6_PjSD_j
		.amdhsa_group_segment_fixed_size 1068
		.amdhsa_private_segment_fixed_size 0
		.amdhsa_kernarg_size 1592
		.amdhsa_user_sgpr_count 2
		.amdhsa_user_sgpr_dispatch_ptr 0
		.amdhsa_user_sgpr_queue_ptr 0
		.amdhsa_user_sgpr_kernarg_segment_ptr 1
		.amdhsa_user_sgpr_dispatch_id 0
		.amdhsa_user_sgpr_kernarg_preload_length 0
		.amdhsa_user_sgpr_kernarg_preload_offset 0
		.amdhsa_user_sgpr_private_segment_size 0
		.amdhsa_wavefront_size32 1
		.amdhsa_uses_dynamic_stack 0
		.amdhsa_enable_private_segment 0
		.amdhsa_system_sgpr_workgroup_id_x 1
		.amdhsa_system_sgpr_workgroup_id_y 1
		.amdhsa_system_sgpr_workgroup_id_z 1
		.amdhsa_system_sgpr_workgroup_info 0
		.amdhsa_system_vgpr_workitem_id 0
		.amdhsa_next_free_vgpr 26
		.amdhsa_next_free_sgpr 51
		.amdhsa_named_barrier_count 0
		.amdhsa_reserve_vcc 1
		.amdhsa_float_round_mode_32 0
		.amdhsa_float_round_mode_16_64 0
		.amdhsa_float_denorm_mode_32 3
		.amdhsa_float_denorm_mode_16_64 3
		.amdhsa_fp16_overflow 0
		.amdhsa_memory_ordered 1
		.amdhsa_forward_progress 1
		.amdhsa_inst_pref_size 24
		.amdhsa_round_robin_scheduling 0
		.amdhsa_exception_fp_ieee_invalid_op 0
		.amdhsa_exception_fp_denorm_src 0
		.amdhsa_exception_fp_ieee_div_zero 0
		.amdhsa_exception_fp_ieee_overflow 0
		.amdhsa_exception_fp_ieee_underflow 0
		.amdhsa_exception_fp_ieee_inexact 0
		.amdhsa_exception_int_div_zero 0
	.end_amdhsa_kernel
	.section	.text._ZN2at6native6mbtopk10gatherTopKIdmLi2EEEvNS_4cuda6detail10TensorInfoIKT_T0_EES8_S8_bjS8_NS5_IS6_S8_EES8_NS5_IlS8_EES8_jjPS6_PjSD_j,"axG",@progbits,_ZN2at6native6mbtopk10gatherTopKIdmLi2EEEvNS_4cuda6detail10TensorInfoIKT_T0_EES8_S8_bjS8_NS5_IS6_S8_EES8_NS5_IlS8_EES8_jjPS6_PjSD_j,comdat
.Lfunc_end182:
	.size	_ZN2at6native6mbtopk10gatherTopKIdmLi2EEEvNS_4cuda6detail10TensorInfoIKT_T0_EES8_S8_bjS8_NS5_IS6_S8_EES8_NS5_IlS8_EES8_jjPS6_PjSD_j, .Lfunc_end182-_ZN2at6native6mbtopk10gatherTopKIdmLi2EEEvNS_4cuda6detail10TensorInfoIKT_T0_EES8_S8_bjS8_NS5_IS6_S8_EES8_NS5_IlS8_EES8_jjPS6_PjSD_j
                                        ; -- End function
	.set _ZN2at6native6mbtopk10gatherTopKIdmLi2EEEvNS_4cuda6detail10TensorInfoIKT_T0_EES8_S8_bjS8_NS5_IS6_S8_EES8_NS5_IlS8_EES8_jjPS6_PjSD_j.num_vgpr, 26
	.set _ZN2at6native6mbtopk10gatherTopKIdmLi2EEEvNS_4cuda6detail10TensorInfoIKT_T0_EES8_S8_bjS8_NS5_IS6_S8_EES8_NS5_IlS8_EES8_jjPS6_PjSD_j.num_agpr, 0
	.set _ZN2at6native6mbtopk10gatherTopKIdmLi2EEEvNS_4cuda6detail10TensorInfoIKT_T0_EES8_S8_bjS8_NS5_IS6_S8_EES8_NS5_IlS8_EES8_jjPS6_PjSD_j.numbered_sgpr, 51
	.set _ZN2at6native6mbtopk10gatherTopKIdmLi2EEEvNS_4cuda6detail10TensorInfoIKT_T0_EES8_S8_bjS8_NS5_IS6_S8_EES8_NS5_IlS8_EES8_jjPS6_PjSD_j.num_named_barrier, 0
	.set _ZN2at6native6mbtopk10gatherTopKIdmLi2EEEvNS_4cuda6detail10TensorInfoIKT_T0_EES8_S8_bjS8_NS5_IS6_S8_EES8_NS5_IlS8_EES8_jjPS6_PjSD_j.private_seg_size, 0
	.set _ZN2at6native6mbtopk10gatherTopKIdmLi2EEEvNS_4cuda6detail10TensorInfoIKT_T0_EES8_S8_bjS8_NS5_IS6_S8_EES8_NS5_IlS8_EES8_jjPS6_PjSD_j.uses_vcc, 1
	.set _ZN2at6native6mbtopk10gatherTopKIdmLi2EEEvNS_4cuda6detail10TensorInfoIKT_T0_EES8_S8_bjS8_NS5_IS6_S8_EES8_NS5_IlS8_EES8_jjPS6_PjSD_j.uses_flat_scratch, 0
	.set _ZN2at6native6mbtopk10gatherTopKIdmLi2EEEvNS_4cuda6detail10TensorInfoIKT_T0_EES8_S8_bjS8_NS5_IS6_S8_EES8_NS5_IlS8_EES8_jjPS6_PjSD_j.has_dyn_sized_stack, 0
	.set _ZN2at6native6mbtopk10gatherTopKIdmLi2EEEvNS_4cuda6detail10TensorInfoIKT_T0_EES8_S8_bjS8_NS5_IS6_S8_EES8_NS5_IlS8_EES8_jjPS6_PjSD_j.has_recursion, 0
	.set _ZN2at6native6mbtopk10gatherTopKIdmLi2EEEvNS_4cuda6detail10TensorInfoIKT_T0_EES8_S8_bjS8_NS5_IS6_S8_EES8_NS5_IlS8_EES8_jjPS6_PjSD_j.has_indirect_call, 0
	.section	.AMDGPU.csdata,"",@progbits
; Kernel info:
; codeLenInByte = 3068
; TotalNumSgprs: 53
; NumVgprs: 26
; ScratchSize: 0
; MemoryBound: 0
; FloatMode: 240
; IeeeMode: 1
; LDSByteSize: 1068 bytes/workgroup (compile time only)
; SGPRBlocks: 0
; VGPRBlocks: 1
; NumSGPRsForWavesPerEU: 53
; NumVGPRsForWavesPerEU: 26
; NamedBarCnt: 0
; Occupancy: 16
; WaveLimiterHint : 1
; COMPUTE_PGM_RSRC2:SCRATCH_EN: 0
; COMPUTE_PGM_RSRC2:USER_SGPR: 2
; COMPUTE_PGM_RSRC2:TRAP_HANDLER: 0
; COMPUTE_PGM_RSRC2:TGID_X_EN: 1
; COMPUTE_PGM_RSRC2:TGID_Y_EN: 1
; COMPUTE_PGM_RSRC2:TGID_Z_EN: 1
; COMPUTE_PGM_RSRC2:TIDIG_COMP_CNT: 0
	.section	.text._ZN2at6native6sbtopk10gatherTopKIdmLi2ELb0EEEvNS_4cuda6detail10TensorInfoIKT_T0_EES8_S8_bS8_S8_NS5_IS6_S8_EES8_NS5_IlS8_EES8_PS6_,"axG",@progbits,_ZN2at6native6sbtopk10gatherTopKIdmLi2ELb0EEEvNS_4cuda6detail10TensorInfoIKT_T0_EES8_S8_bS8_S8_NS5_IS6_S8_EES8_NS5_IlS8_EES8_PS6_,comdat
	.protected	_ZN2at6native6sbtopk10gatherTopKIdmLi2ELb0EEEvNS_4cuda6detail10TensorInfoIKT_T0_EES8_S8_bS8_S8_NS5_IS6_S8_EES8_NS5_IlS8_EES8_PS6_ ; -- Begin function _ZN2at6native6sbtopk10gatherTopKIdmLi2ELb0EEEvNS_4cuda6detail10TensorInfoIKT_T0_EES8_S8_bS8_S8_NS5_IS6_S8_EES8_NS5_IlS8_EES8_PS6_
	.globl	_ZN2at6native6sbtopk10gatherTopKIdmLi2ELb0EEEvNS_4cuda6detail10TensorInfoIKT_T0_EES8_S8_bS8_S8_NS5_IS6_S8_EES8_NS5_IlS8_EES8_PS6_
	.p2align	8
	.type	_ZN2at6native6sbtopk10gatherTopKIdmLi2ELb0EEEvNS_4cuda6detail10TensorInfoIKT_T0_EES8_S8_bS8_S8_NS5_IS6_S8_EES8_NS5_IlS8_EES8_PS6_,@function
_ZN2at6native6sbtopk10gatherTopKIdmLi2ELb0EEEvNS_4cuda6detail10TensorInfoIKT_T0_EES8_S8_bS8_S8_NS5_IS6_S8_EES8_NS5_IlS8_EES8_PS6_: ; @_ZN2at6native6sbtopk10gatherTopKIdmLi2ELb0EEEvNS_4cuda6detail10TensorInfoIKT_T0_EES8_S8_bS8_S8_NS5_IS6_S8_EES8_NS5_IlS8_EES8_PS6_
; %bb.0:
	s_clause 0x1
	s_load_b128 s[28:31], s[0:1], 0x1b8
	s_load_b64 s[12:13], s[0:1], 0x520
	s_bfe_u32 s2, ttmp6, 0x40010
	s_and_b32 s3, ttmp7, 0xffff
	s_add_co_i32 s2, s2, 1
	s_bfe_u32 s5, ttmp6, 0x4000c
	s_mul_i32 s2, s3, s2
	s_bfe_u32 s4, ttmp6, 0x40004
	s_add_co_i32 s5, s5, 1
	s_bfe_u32 s6, ttmp6, 0x40014
	s_add_co_i32 s4, s4, s2
	s_and_b32 s2, ttmp6, 15
	s_mul_i32 s5, ttmp9, s5
	s_lshr_b32 s7, ttmp7, 16
	s_add_co_i32 s6, s6, 1
	s_add_co_i32 s2, s2, s5
	s_mul_i32 s5, s7, s6
	s_bfe_u32 s6, ttmp6, 0x40008
	s_getreg_b32 s8, hwreg(HW_REG_IB_STS2, 6, 4)
	s_add_co_i32 s6, s6, s5
	s_cmp_eq_u32 s8, 0
	s_mov_b32 s49, 0
	s_cselect_b32 s5, s7, s6
	s_cselect_b32 s3, s3, s4
	s_wait_kmcnt 0x0
	s_mul_i32 s5, s13, s5
	s_cselect_b32 s13, ttmp9, s2
	s_add_co_i32 s2, s5, s3
	s_delay_alu instid0(SALU_CYCLE_1) | instskip(NEXT) | instid1(SALU_CYCLE_1)
	s_mul_i32 s2, s2, s12
	s_add_co_i32 s48, s2, s13
	s_delay_alu instid0(SALU_CYCLE_1)
	v_cmp_le_u64_e64 s2, s[28:29], s[48:49]
	s_and_b32 vcc_lo, exec_lo, s2
	s_cbranch_vccnz .LBB183_487
; %bb.1:
	s_clause 0x1
	s_load_b64 s[2:3], s[0:1], 0x10
	s_load_b64 s[50:51], s[0:1], 0x1d8
	s_mov_b64 s[52:53], 0
	s_mov_b64 s[6:7], 0
	s_wait_kmcnt 0x0
	v_cmp_lt_u64_e64 s4, s[48:49], s[2:3]
	s_and_b32 vcc_lo, exec_lo, s4
	s_cbranch_vccz .LBB183_488
; %bb.2:
	s_load_b64 s[54:55], s[0:1], 0x380
	v_cmp_lt_u64_e64 s4, s[48:49], s[50:51]
	s_and_b32 vcc_lo, exec_lo, s4
	s_cbranch_vccz .LBB183_489
.LBB183_3:
	s_wait_kmcnt 0x0
	v_cmp_lt_u64_e64 s4, s[48:49], s[54:55]
	s_mov_b64 s[56:57], 0
	s_and_b32 vcc_lo, exec_lo, s4
	s_cbranch_vccnz .LBB183_5
.LBB183_4:
	v_cvt_f32_u32_e32 v1, s54
	s_sub_co_i32 s5, 0, s54
	s_mov_b32 s57, 0
	s_delay_alu instid0(VALU_DEP_1) | instskip(SKIP_1) | instid1(TRANS32_DEP_1)
	v_rcp_iflag_f32_e32 v1, v1
	v_nop
	v_mul_f32_e32 v1, 0x4f7ffffe, v1
	s_delay_alu instid0(VALU_DEP_1) | instskip(NEXT) | instid1(VALU_DEP_1)
	v_cvt_u32_f32_e32 v1, v1
	v_readfirstlane_b32 s4, v1
	s_mul_i32 s5, s5, s4
	s_delay_alu instid0(SALU_CYCLE_1) | instskip(NEXT) | instid1(SALU_CYCLE_1)
	s_mul_hi_u32 s5, s4, s5
	s_add_co_i32 s4, s4, s5
	s_delay_alu instid0(SALU_CYCLE_1) | instskip(NEXT) | instid1(SALU_CYCLE_1)
	s_mul_hi_u32 s4, s48, s4
	s_mul_i32 s5, s4, s54
	s_add_co_i32 s8, s4, 1
	s_sub_co_i32 s5, s48, s5
	s_delay_alu instid0(SALU_CYCLE_1)
	s_sub_co_i32 s9, s5, s54
	s_cmp_ge_u32 s5, s54
	s_cselect_b32 s4, s8, s4
	s_cselect_b32 s5, s9, s5
	s_add_co_i32 s8, s4, 1
	s_cmp_ge_u32 s5, s54
	s_cselect_b32 s56, s8, s4
.LBB183_5:
	s_clause 0x2
	s_load_b128 s[8:11], s[0:1], 0xd0
	s_load_b64 s[16:17], s[0:1], 0x0
	s_load_b128 s[36:39], s[0:1], 0x1a0
	v_cmp_eq_u32_e64 s5, 0, v0
	s_add_nc_u64 s[14:15], s[0:1], 0x520
	s_mov_b32 s27, 0
	s_and_saveexec_b32 s4, s5
	s_cbranch_execz .LBB183_7
; %bb.6:
	s_wait_kmcnt 0x0
	v_dual_mov_b32 v2, 0 :: v_dual_mov_b32 v4, s36
	s_delay_alu instid0(VALU_DEP_1)
	v_dual_mov_b32 v5, s37 :: v_dual_mov_b32 v3, v2
	ds_store_b32 v2, v2 offset:5144
	ds_store_b128 v2, v[2:5] offset:5120
.LBB183_7:
	s_or_b32 exec_lo, exec_lo, s4
	s_clause 0x1
	s_load_b64 s[18:19], s[0:1], 0x370
	s_load_b32 s4, s[0:1], 0x1b0
	v_dual_mov_b32 v21, 0 :: v_dual_lshlrev_b32 v22, 2, v0
	s_mul_u64 s[2:3], s[6:7], s[2:3]
	s_wait_kmcnt 0x0
	s_mul_u64 s[8:9], s[6:7], s[8:9]
	s_load_b64 s[6:7], s[0:1], 0x1c8
                                        ; implicit-def: $vgpr56 : SGPR spill to VGPR lane
	v_dual_mov_b32 v1, v21 :: v_dual_lshlrev_b32 v38, 3, v0
	s_wait_dscnt 0x0
	s_barrier_signal -1
	s_barrier_wait -1
	s_delay_alu instid0(VALU_DEP_1)
	v_mul_u64_e32 v[2:3], s[30:31], v[0:1]
	v_mbcnt_lo_u32_b32 v17, -1, 0
	s_sub_nc_u64 s[2:3], s[48:49], s[2:3]
	v_cmp_gt_u32_e32 vcc_lo, 32, v0
	s_mul_u64 s[10:11], s[2:3], s[10:11]
	s_lshl_b64 s[8:9], s[8:9], 3
	s_lshl_b64 s[10:11], s[10:11], 3
	v_writelane_b32 v56, s18, 0
	s_bitcmp1_b32 s4, 0
	s_add_nc_u64 s[8:9], s[16:17], s[8:9]
	s_cselect_b32 s4, -1, 0
	v_lshlrev_b64_e64 v[4:5], v17, -1
	v_writelane_b32 v56, s19, 1
	s_load_b32 s18, s[14:15], 0xc
	s_xor_b32 s85, s4, -1
	s_add_nc_u64 s[28:29], s[8:9], s[10:11]
	v_cmp_lt_u64_e64 s33, 0x180, s[36:37]
	s_wait_kmcnt 0x0
	v_writelane_b32 v56, s6, 2
	v_cmp_gt_u64_e64 s3, s[36:37], v[0:1]
	v_mov_b64_e32 v[26:27], 0
	v_mov_b64_e32 v[6:7], 0
	;; [unrolled: 1-line block ×3, first 2 shown]
	v_writelane_b32 v56, s7, 3
	v_cmp_gt_i32_e64 s7, 4, v17
	v_mov_b64_e32 v[24:25], 0
	v_mov_b64_e32 v[28:29], 0
	s_mov_b32 s35, s27
	v_cmp_gt_u32_e64 s6, 2, v0
	s_and_b32 s84, vcc_lo, s7
	v_cmp_eq_u32_e64 s2, 0, v17
	v_dual_mov_b32 v23, v21 :: v_dual_lshlrev_b32 v41, 5, v0
	v_add_nc_u32_e32 v39, 0xc00, v38
	s_and_b32 s34, s18, 0xffff
	s_bfe_u32 s7, s18, 0xb0005
	s_cmp_gt_u32 s34, 31
	v_not_b32_e32 v16, v4
	s_cselect_b32 s86, -1, 0
	s_cmp_lt_u32 s13, s12
	v_lshl_add_u64 v[18:19], v[2:3], 3, s[28:29]
	s_cselect_b32 s26, 12, 18
	s_add_co_i32 s8, s7, -1
	s_bfe_u32 s87, s34, 0x30005
	s_and_b32 s8, s8, 0xffff
	v_lshl_or_b32 v42, v17, 3, 0xc00
	s_cmp_gt_u32 s8, 6
	s_movk_i32 s8, 0x3e0
	s_cselect_b32 s88, -1, 0
	s_and_b32 s89, s7, 0x7f8
	v_and_or_b32 v40, v0, s8, 0xc00
	v_mov_b32_e32 v3, 0x3ff00000
	s_add_nc_u64 s[62:63], s[34:35], -1
	s_cmp_lg_u32 s87, 0
	s_add_nc_u64 s[64:65], s[62:63], s[36:37]
	s_cselect_b32 s90, -1, 0
	s_lshl_b32 s91, s34, 3
	s_mov_b32 s92, 62
	s_add_nc_u64 s[66:67], s[14:15], s[26:27]
	s_and_b64 s[68:69], s[36:37], 0xffffffff00000000
	s_mov_b32 s94, 0x4f800000
	s_mov_b32 s93, 0
	;; [unrolled: 1-line block ×3, first 2 shown]
                                        ; implicit-def: $sgpr95
                                        ; implicit-def: $sgpr99
                                        ; implicit-def: $sgpr98
                                        ; implicit-def: $sgpr100
                                        ; implicit-def: $sgpr97
                                        ; implicit-def: $sgpr104
                                        ; implicit-def: $vcc_hi
                                        ; implicit-def: $sgpr101
                                        ; implicit-def: $sgpr103
                                        ; implicit-def: $sgpr102
	s_branch .LBB183_10
.LBB183_8:                              ;   in Loop: Header=BB183_10 Depth=1
	s_or_b32 exec_lo, exec_lo, s10
	v_mov_b64_e32 v[30:31], v[32:33]
	s_and_not1_b32 s10, s102, exec_lo
	s_and_b32 s9, s9, exec_lo
	s_and_not1_b32 s103, s103, exec_lo
	s_or_b32 s102, s10, s9
	s_and_not1_b32 s101, s101, exec_lo
	s_and_not1_b32 vcc_hi, vcc_hi, exec_lo
	s_and_not1_b32 s104, s104, exec_lo
	s_or_not1_b32 s8, s8, exec_lo
.LBB183_9:                              ;   in Loop: Header=BB183_10 Depth=1
	s_or_b32 exec_lo, exec_lo, s7
	s_delay_alu instid0(SALU_CYCLE_1) | instskip(NEXT) | instid1(SALU_CYCLE_1)
	s_and_b32 s7, exec_lo, s8
	s_or_b32 s93, s7, s93
	s_and_not1_b32 s7, s97, exec_lo
	s_and_b32 s8, s102, exec_lo
	s_and_not1_b32 s9, s100, exec_lo
	s_or_b32 s97, s7, s8
	s_and_b32 s7, s103, exec_lo
	s_and_not1_b32 s8, s98, exec_lo
	s_and_b32 s10, s101, exec_lo
	s_or_b32 s100, s9, s7
	s_or_b32 s98, s8, s10
	s_and_not1_b32 s7, s99, exec_lo
	s_and_b32 s8, vcc_hi, exec_lo
	s_and_not1_b32 s9, s95, exec_lo
	s_and_b32 s10, s104, exec_lo
	s_or_b32 s99, s7, s8
	s_or_b32 s95, s9, s10
	s_and_not1_b32 exec_lo, exec_lo, s93
	s_cbranch_execz .LBB183_483
.LBB183_10:                             ; =>This Loop Header: Depth=1
                                        ;     Child Loop BB183_16 Depth 2
                                        ;     Child Loop BB183_29 Depth 2
	;; [unrolled: 1-line block ×24, first 2 shown]
	ds_load_b128 v[8:11], v21 offset:5120
	s_wait_dscnt 0x0
	v_readfirstlane_b32 s71, v9
	v_readfirstlane_b32 s70, v8
	s_cmp_lg_u64 s[70:71], 0
	s_cbranch_scc1 .LBB183_37
; %bb.11:                               ;   in Loop: Header=BB183_10 Depth=1
	s_and_b32 vcc_lo, exec_lo, s33
	s_cbranch_vccz .LBB183_24
; %bb.12:                               ;   in Loop: Header=BB183_10 Depth=1
	v_cmp_gt_u64_e32 vcc_lo, 0x181, v[10:11]
	s_mov_b32 s9, 0
	s_mov_b32 s7, 0
	s_cbranch_vccz .LBB183_25
; %bb.13:                               ;   in Loop: Header=BB183_10 Depth=1
	s_and_saveexec_b32 s10, s3
	s_cbranch_execz .LBB183_92
; %bb.14:                               ;   in Loop: Header=BB183_10 Depth=1
	global_load_u16 v2, v21, s[66:67]
	global_load_b64 v[4:5], v[18:19], off
	v_mov_b64_e32 v[8:9], v[0:1]
	s_mov_b32 s11, 0
	s_wait_loadcnt 0x1
	v_and_b32_e32 v20, 0xffff, v2
	s_branch .LBB183_16
.LBB183_15:                             ;   in Loop: Header=BB183_16 Depth=2
	s_or_b32 exec_lo, exec_lo, s8
	v_mov_b64_e32 v[4:5], v[10:11]
	s_and_not1_b32 exec_lo, exec_lo, s11
	s_cbranch_execz .LBB183_92
.LBB183_16:                             ;   Parent Loop BB183_10 Depth=1
                                        ; =>  This Inner Loop Header: Depth=2
	s_delay_alu instid0(VALU_DEP_1) | instskip(SKIP_2) | instid1(VALU_DEP_2)
	v_add_nc_u64_e32 v[8:9], v[8:9], v[20:21]
	v_mov_b64_e32 v[10:11], 0
	s_mov_b32 s8, exec_lo
	v_cmp_le_u64_e32 vcc_lo, s[36:37], v[8:9]
	s_wait_xcnt 0x0
	v_cmpx_gt_u64_e64 s[36:37], v[8:9]
	s_cbranch_execz .LBB183_18
; %bb.17:                               ;   in Loop: Header=BB183_16 Depth=2
	v_mul_u64_e32 v[10:11], s[30:31], v[8:9]
	s_delay_alu instid0(VALU_DEP_1)
	v_lshl_add_u64 v[10:11], v[10:11], 3, s[28:29]
	global_load_b64 v[10:11], v[10:11], off
.LBB183_18:                             ;   in Loop: Header=BB183_16 Depth=2
	s_wait_xcnt 0x0
	s_or_b32 exec_lo, exec_lo, s8
	s_wait_loadcnt 0x0
	v_cmp_o_f64_e64 s7, v[4:5], v[4:5]
	s_wait_dscnt 0x0
	v_ashrrev_i32_e32 v2, 31, v5
	s_delay_alu instid0(VALU_DEP_1) | instskip(NEXT) | instid1(VALU_DEP_1)
	v_or_b32_e32 v12, 0x80000000, v2
	v_xor_b32_e32 v12, v12, v5
	v_xor_b32_e32 v2, v2, v4
	s_delay_alu instid0(VALU_DEP_1) | instskip(NEXT) | instid1(VALU_DEP_1)
	v_dual_cndmask_b32 v12, -1, v12, s7 :: v_dual_cndmask_b32 v2, -1, v2, s7
	v_and_b32_e32 v13, v12, v29
	s_delay_alu instid0(VALU_DEP_2) | instskip(NEXT) | instid1(VALU_DEP_1)
	v_dual_mov_b32 v2, 0 :: v_dual_bitop2_b32 v12, v2, v28 bitop3:0x40
	v_cmp_eq_u64_e64 s7, v[12:13], v[24:25]
	s_cmp_lg_u32 s7, 0
	s_cselect_b32 s8, -1, 0
	s_delay_alu instid0(SALU_CYCLE_1) | instskip(NEXT) | instid1(SALU_CYCLE_1)
	s_and_b32 s8, s2, s8
	s_and_saveexec_b32 s12, s8
	s_cbranch_execz .LBB183_22
; %bb.19:                               ;   in Loop: Header=BB183_16 Depth=2
	s_mov_b32 s15, exec_lo
	s_bcnt1_i32_b32 s13, s7
	v_mbcnt_lo_u32_b32 v2, s15, 0
	s_mov_b32 s14, exec_lo
                                        ; implicit-def: $vgpr12
	s_delay_alu instid0(VALU_DEP_1)
	v_cmpx_eq_u32_e32 0, v2
; %bb.20:                               ;   in Loop: Header=BB183_16 Depth=2
	s_bcnt1_i32_b32 s8, s15
	s_delay_alu instid0(SALU_CYCLE_1) | instskip(NEXT) | instid1(SALU_CYCLE_1)
	s_mul_i32 s8, s13, s8
	v_mov_b32_e32 v12, s8
	ds_add_rtn_u32 v12, v21, v12 offset:5144
; %bb.21:                               ;   in Loop: Header=BB183_16 Depth=2
	s_or_b32 exec_lo, exec_lo, s14
	s_wait_dscnt 0x0
	v_readfirstlane_b32 s8, v12
	s_delay_alu instid0(VALU_DEP_1)
	v_mad_u32_u24 v2, s13, v2, s8
.LBB183_22:                             ;   in Loop: Header=BB183_16 Depth=2
	s_or_b32 exec_lo, exec_lo, s12
	ds_bpermute_b32 v2, v21, v2
	s_and_b32 s8, exec_lo, vcc_lo
	s_delay_alu instid0(SALU_CYCLE_1)
	s_or_b32 s11, s8, s11
	s_and_saveexec_b32 s8, s7
	s_cbranch_execz .LBB183_15
; %bb.23:                               ;   in Loop: Header=BB183_16 Depth=2
	v_and_b32_e32 v12, s7, v16
	s_delay_alu instid0(VALU_DEP_1) | instskip(NEXT) | instid1(VALU_DEP_1)
	v_bcnt_u32_b32 v12, v12, 0
	v_lshlrev_b32_e32 v12, 3, v12
	s_wait_dscnt 0x0
	s_delay_alu instid0(VALU_DEP_1)
	v_lshl_add_u32 v2, v2, 3, v12
	ds_store_b64 v2, v[4:5]
	s_branch .LBB183_15
.LBB183_24:                             ;   in Loop: Header=BB183_10 Depth=1
	s_mov_b32 s9, -1
	s_mov_b32 s7, 0
.LBB183_25:                             ;   in Loop: Header=BB183_10 Depth=1
	s_and_b32 vcc_lo, exec_lo, s9
	s_cbranch_vccz .LBB183_35
.LBB183_26:                             ;   in Loop: Header=BB183_10 Depth=1
	s_and_saveexec_b32 s7, s3
	s_cbranch_execz .LBB183_32
; %bb.27:                               ;   in Loop: Header=BB183_10 Depth=1
	global_load_u16 v2, v21, s[66:67]
	global_load_b64 v[4:5], v[18:19], off
	s_mov_b32 s8, exec_lo
	s_wait_loadcnt 0x1
	v_and_b32_e32 v8, 0xffff, v2
	v_mov_b32_e32 v2, v0
	s_delay_alu instid0(VALU_DEP_2) | instskip(SKIP_1) | instid1(VALU_DEP_1)
	v_add_nc_u32_e32 v20, v8, v0
	s_wait_xcnt 0x0
	v_cmpx_gt_u64_e64 s[36:37], v[20:21]
	s_cbranch_execz .LBB183_31
; %bb.28:                               ;   in Loop: Header=BB183_10 Depth=1
	v_mov_b64_e32 v[10:11], v[20:21]
	v_mov_b64_e32 v[14:15], v[0:1]
	v_mov_b32_e32 v9, v21
	s_mov_b32 s9, 0
.LBB183_29:                             ;   Parent Loop BB183_10 Depth=1
                                        ; =>  This Inner Loop Header: Depth=2
	s_delay_alu instid0(VALU_DEP_3) | instskip(NEXT) | instid1(VALU_DEP_3)
	v_mov_b64_e32 v[32:33], v[10:11]
	v_lshlrev_b32_e32 v2, 3, v14
	s_wait_loadcnt 0x0
	ds_store_b64 v2, v[4:5]
	v_mul_u64_e32 v[10:11], s[30:31], v[32:33]
	v_mov_b64_e32 v[14:15], v[32:33]
	s_delay_alu instid0(VALU_DEP_2) | instskip(SKIP_3) | instid1(VALU_DEP_1)
	v_lshl_add_u64 v[10:11], v[10:11], 3, s[28:29]
	global_load_b64 v[12:13], v[10:11], off
	s_wait_xcnt 0x0
	v_add_nc_u64_e32 v[10:11], v[32:33], v[8:9]
	v_cmp_le_u64_e32 vcc_lo, s[36:37], v[10:11]
	s_or_b32 s9, vcc_lo, s9
	s_wait_loadcnt 0x0
	v_mov_b64_e32 v[4:5], v[12:13]
	s_and_not1_b32 exec_lo, exec_lo, s9
	s_cbranch_execnz .LBB183_29
; %bb.30:                               ;   in Loop: Header=BB183_10 Depth=1
	s_or_b32 exec_lo, exec_lo, s9
	v_mov_b64_e32 v[4:5], v[12:13]
	v_sub_nc_u32_e32 v2, v10, v8
.LBB183_31:                             ;   in Loop: Header=BB183_10 Depth=1
	s_or_b32 exec_lo, exec_lo, s8
	s_delay_alu instid0(VALU_DEP_1)
	v_lshlrev_b32_e32 v2, 3, v2
	s_wait_loadcnt 0x0
	ds_store_b64 v2, v[4:5]
.LBB183_32:                             ;   in Loop: Header=BB183_10 Depth=1
	s_or_b32 exec_lo, exec_lo, s7
	s_wait_dscnt 0x0
	s_barrier_signal -1
	s_barrier_wait -1
	s_and_saveexec_b32 s7, s5
; %bb.33:                               ;   in Loop: Header=BB183_10 Depth=1
	v_mov_b64_e32 v[4:5], s[36:37]
	ds_store_b64 v21, v[4:5] offset:5120
; %bb.34:                               ;   in Loop: Header=BB183_10 Depth=1
	s_or_b32 exec_lo, exec_lo, s7
	s_mov_b32 s7, -1
	s_wait_dscnt 0x0
	s_barrier_signal -1
	s_barrier_wait -1
.LBB183_35:                             ;   in Loop: Header=BB183_10 Depth=1
	s_and_b32 vcc_lo, exec_lo, s7
	s_mov_b64 s[70:71], 0
	s_cbranch_vccz .LBB183_37
; %bb.36:                               ;   in Loop: Header=BB183_10 Depth=1
	ds_load_b64 v[4:5], v21 offset:5120
	s_wait_dscnt 0x0
	v_readfirstlane_b32 s70, v4
	v_readfirstlane_b32 s71, v5
.LBB183_37:                             ;   in Loop: Header=BB183_10 Depth=1
	s_delay_alu instid0(VALU_DEP_2)
	s_cmp_lt_i32 s70, 1
	s_mov_b32 s7, -1
                                        ; implicit-def: $vgpr8_vgpr9
                                        ; implicit-def: $vgpr12_vgpr13
	s_cbranch_scc1 .LBB183_47
; %bb.38:                               ;   in Loop: Header=BB183_10 Depth=1
	s_and_b32 vcc_lo, exec_lo, s7
	s_cbranch_vccnz .LBB183_61
.LBB183_39:                             ;   in Loop: Header=BB183_10 Depth=1
	s_lshl_b32 s7, s96, 7
	s_and_saveexec_b32 s8, s2
	s_cbranch_execz .LBB183_41
.LBB183_40:                             ;   in Loop: Header=BB183_10 Depth=1
	v_lshl_add_u32 v2, s7, 3, v40
	ds_store_b128 v2, v[8:11]
	ds_store_b128 v2, v[12:15] offset:16
.LBB183_41:                             ;   in Loop: Header=BB183_10 Depth=1
	s_or_b32 exec_lo, exec_lo, s8
	s_wait_dscnt 0x0
	s_barrier_signal -1
	s_barrier_wait -1
	s_and_saveexec_b32 s8, s84
	s_cbranch_execz .LBB183_75
; %bb.42:                               ;   in Loop: Header=BB183_10 Depth=1
	v_mov_b64_e32 v[4:5], 0
	s_and_not1_b32 vcc_lo, exec_lo, s86
	s_cbranch_vccnz .LBB183_74
; %bb.43:                               ;   in Loop: Header=BB183_10 Depth=1
	v_mov_b64_e32 v[4:5], 0
	s_and_not1_b32 vcc_lo, exec_lo, s88
	s_cbranch_vccnz .LBB183_71
; %bb.44:                               ;   in Loop: Header=BB183_10 Depth=1
	v_lshl_add_u32 v2, s96, 10, v42
	s_mov_b32 s9, 0
.LBB183_45:                             ;   Parent Loop BB183_10 Depth=1
                                        ; =>  This Inner Loop Header: Depth=2
	ds_load_2addr_b64 v[8:11], v2 offset1:4
	ds_load_2addr_b64 v[12:15], v2 offset0:8 offset1:12
	s_add_co_i32 s9, s9, 8
	s_delay_alu instid0(SALU_CYCLE_1) | instskip(SKIP_2) | instid1(VALU_DEP_1)
	s_cmp_eq_u32 s89, s9
	s_wait_dscnt 0x1
	v_add_nc_u64_e32 v[4:5], v[8:9], v[4:5]
	v_add_nc_u64_e32 v[4:5], v[10:11], v[4:5]
	ds_load_2addr_b64 v[8:11], v2 offset0:16 offset1:20
	s_wait_dscnt 0x1
	v_add_nc_u64_e32 v[4:5], v[12:13], v[4:5]
	s_delay_alu instid0(VALU_DEP_1) | instskip(SKIP_4) | instid1(VALU_DEP_1)
	v_add_nc_u64_e32 v[4:5], v[14:15], v[4:5]
	ds_load_2addr_b64 v[12:15], v2 offset0:24 offset1:28
	v_add_nc_u32_e32 v2, 0x100, v2
	s_wait_dscnt 0x1
	v_add_nc_u64_e32 v[4:5], v[8:9], v[4:5]
	v_add_nc_u64_e32 v[4:5], v[10:11], v[4:5]
	s_wait_dscnt 0x0
	s_delay_alu instid0(VALU_DEP_1) | instskip(NEXT) | instid1(VALU_DEP_1)
	v_add_nc_u64_e32 v[4:5], v[12:13], v[4:5]
	v_add_nc_u64_e32 v[4:5], v[14:15], v[4:5]
	s_cbranch_scc0 .LBB183_45
; %bb.46:                               ;   in Loop: Header=BB183_10 Depth=1
	s_mov_b32 s9, s89
	s_and_not1_b32 vcc_lo, exec_lo, s90
	s_cbranch_vccz .LBB183_72
	s_branch .LBB183_74
.LBB183_47:                             ;   in Loop: Header=BB183_10 Depth=1
	global_load_u16 v2, v21, s[66:67]
	s_mov_b32 s21, s27
	s_wait_loadcnt 0x0
	v_readfirstlane_b32 s7, v2
	s_and_b32 s7, 0xffff, s7
	s_delay_alu instid0(SALU_CYCLE_1)
	s_lshl_b32 s20, s7, 2
	s_cmp_lg_u64 s[68:69], 0
	s_cbranch_scc0 .LBB183_70
; %bb.48:                               ;   in Loop: Header=BB183_10 Depth=1
	s_cvt_f32_u32 s7, s20
	s_sub_nc_u64 s[10:11], 0, s[20:21]
	s_delay_alu instid0(SALU_CYCLE_2) | instskip(NEXT) | instid1(SALU_CYCLE_3)
	s_fmamk_f32 s7, s94, 0x0, s7
	v_s_rcp_f32 s7, s7
	s_delay_alu instid0(TRANS32_DEP_1) | instskip(NEXT) | instid1(SALU_CYCLE_3)
	s_mul_f32 s7, s7, 0x5f7ffffc
	s_mul_f32 s8, s7, 0x2f800000
	s_delay_alu instid0(SALU_CYCLE_3) | instskip(NEXT) | instid1(SALU_CYCLE_3)
	s_trunc_f32 s8, s8
	s_fmamk_f32 s7, s8, 0xcf800000, s7
	s_cvt_u32_f32 s9, s8
	s_delay_alu instid0(SALU_CYCLE_2) | instskip(NEXT) | instid1(SALU_CYCLE_3)
	s_cvt_u32_f32 s8, s7
	s_mul_u64 s[12:13], s[10:11], s[8:9]
	s_delay_alu instid0(SALU_CYCLE_1)
	s_mul_hi_u32 s15, s8, s13
	s_mul_i32 s14, s8, s13
	s_mul_hi_u32 s26, s8, s12
	s_mul_i32 s16, s9, s12
	s_add_nc_u64 s[14:15], s[26:27], s[14:15]
	s_mul_hi_u32 s7, s9, s12
	s_mul_hi_u32 s17, s9, s13
	s_mul_i32 s12, s9, s13
	s_add_co_u32 s13, s14, s16
	s_add_co_ci_u32 s26, s15, s7
	s_add_co_ci_u32 s13, s17, 0
	s_delay_alu instid0(SALU_CYCLE_1) | instskip(NEXT) | instid1(SALU_CYCLE_1)
	s_add_nc_u64 s[12:13], s[26:27], s[12:13]
	s_add_co_u32 s8, s8, s12
	s_cselect_b32 s7, -1, 0
	s_delay_alu instid0(SALU_CYCLE_1) | instskip(SKIP_1) | instid1(SALU_CYCLE_1)
	s_cmp_lg_u32 s7, 0
	s_add_co_ci_u32 s9, s9, s13
	s_mul_u64 s[10:11], s[10:11], s[8:9]
	s_delay_alu instid0(SALU_CYCLE_1)
	s_mul_hi_u32 s13, s8, s11
	s_mul_i32 s12, s8, s11
	s_mul_hi_u32 s26, s8, s10
	s_mul_i32 s14, s9, s10
	s_add_nc_u64 s[12:13], s[26:27], s[12:13]
	s_mul_hi_u32 s7, s9, s10
	s_mul_hi_u32 s15, s9, s11
	s_mul_i32 s10, s9, s11
	s_add_co_u32 s11, s12, s14
	s_add_co_ci_u32 s26, s13, s7
	s_add_co_ci_u32 s11, s15, 0
	s_delay_alu instid0(SALU_CYCLE_1) | instskip(NEXT) | instid1(SALU_CYCLE_1)
	s_add_nc_u64 s[10:11], s[26:27], s[10:11]
	s_add_co_u32 s7, s8, s10
	s_cselect_b32 s8, -1, 0
	s_mul_hi_u32 s26, s36, s7
	s_cmp_lg_u32 s8, 0
	s_mul_hi_u32 s12, s37, s7
	s_add_co_ci_u32 s10, s9, s11
	s_mul_i32 s7, s37, s7
	s_mul_hi_u32 s9, s36, s10
	s_mul_i32 s8, s36, s10
	s_mul_hi_u32 s11, s37, s10
	s_add_nc_u64 s[8:9], s[26:27], s[8:9]
	s_mul_i32 s10, s37, s10
	s_add_co_u32 s7, s8, s7
	s_add_co_ci_u32 s26, s9, s12
	s_add_co_ci_u32 s11, s11, 0
	s_delay_alu instid0(SALU_CYCLE_1) | instskip(NEXT) | instid1(SALU_CYCLE_1)
	s_add_nc_u64 s[8:9], s[26:27], s[10:11]
	s_and_b64 s[10:11], s[8:9], 0xffffffff00000000
	s_delay_alu instid0(SALU_CYCLE_1) | instskip(NEXT) | instid1(SALU_CYCLE_1)
	s_or_b32 s10, s10, s8
	s_mul_u64 s[8:9], s[20:21], s[10:11]
	s_delay_alu instid0(SALU_CYCLE_1) | instskip(SKIP_1) | instid1(SALU_CYCLE_1)
	s_sub_co_u32 s7, s36, s8
	s_cselect_b32 s8, -1, 0
	s_cmp_lg_u32 s8, 0
	s_sub_co_ci_u32 s8, s37, s9
	s_sub_co_u32 s9, s7, s20
	s_cselect_b32 s10, -1, 0
	s_delay_alu instid0(SALU_CYCLE_1) | instskip(SKIP_3) | instid1(SALU_CYCLE_1)
	s_cmp_lg_u32 s10, 0
	s_sub_co_ci_u32 s10, s8, 0
	s_sub_co_u32 s11, s9, s20
	s_cselect_b32 s12, -1, 0
	s_cmp_lg_u32 s12, 0
	s_sub_co_ci_u32 s12, s10, 0
	s_cmp_ge_u32 s9, s20
	s_cselect_b32 s13, -1, 0
	s_cmp_eq_u32 s10, 0
	s_cselect_b32 s13, s13, -1
	s_delay_alu instid0(SALU_CYCLE_1)
	s_cmp_lg_u32 s13, 0
	s_cselect_b32 s10, s12, s10
	s_cselect_b32 s11, s11, s9
	s_cmp_ge_u32 s7, s20
	s_cselect_b32 s9, -1, 0
	s_cmp_eq_u32 s8, 0
	s_cselect_b32 s9, s9, -1
	s_delay_alu instid0(SALU_CYCLE_1)
	s_cmp_lg_u32 s9, 0
	s_cselect_b32 s9, s10, s8
	s_cselect_b32 s8, s11, s7
	s_cbranch_execnz .LBB183_50
.LBB183_49:                             ;   in Loop: Header=BB183_10 Depth=1
	v_cvt_f32_u32_e32 v4, s20
	s_sub_co_i32 s8, 0, s20
	s_delay_alu instid0(VALU_DEP_1) | instskip(SKIP_1) | instid1(TRANS32_DEP_1)
	v_rcp_iflag_f32_e32 v4, v4
	v_nop
	v_mul_f32_e32 v4, 0x4f7ffffe, v4
	s_delay_alu instid0(VALU_DEP_1) | instskip(NEXT) | instid1(VALU_DEP_1)
	v_cvt_u32_f32_e32 v4, v4
	v_readfirstlane_b32 s7, v4
	s_mul_i32 s8, s8, s7
	s_delay_alu instid0(SALU_CYCLE_1) | instskip(NEXT) | instid1(SALU_CYCLE_1)
	s_mul_hi_u32 s8, s7, s8
	s_add_co_i32 s7, s7, s8
	s_delay_alu instid0(SALU_CYCLE_1) | instskip(NEXT) | instid1(SALU_CYCLE_1)
	s_mul_hi_u32 s7, s36, s7
	s_mul_i32 s7, s7, s20
	s_delay_alu instid0(SALU_CYCLE_1) | instskip(NEXT) | instid1(SALU_CYCLE_1)
	s_sub_co_i32 s7, s36, s7
	s_sub_co_i32 s8, s7, s20
	s_cmp_ge_u32 s7, s20
	s_cselect_b32 s7, s8, s7
	s_delay_alu instid0(SALU_CYCLE_1) | instskip(SKIP_2) | instid1(SALU_CYCLE_1)
	s_sub_co_i32 s8, s7, s20
	s_cmp_ge_u32 s7, s20
	s_cselect_b32 s26, s8, s7
	s_mov_b64 s[8:9], s[26:27]
.LBB183_50:                             ;   in Loop: Header=BB183_10 Depth=1
	v_mov_b64_e32 v[8:9], 0
	v_mov_b64_e32 v[10:11], 0
	;; [unrolled: 1-line block ×4, first 2 shown]
	s_sub_nc_u64 s[22:23], s[36:37], s[8:9]
	s_mov_b32 s19, exec_lo
	v_cmpx_gt_u64_e64 s[22:23], v[22:23]
	s_cbranch_execz .LBB183_54
; %bb.51:                               ;   in Loop: Header=BB183_10 Depth=1
	v_mov_b64_e32 v[4:5], v[22:23]
	s_mov_b64 s[24:25], 0
	s_mov_b32 s58, 0
	s_mov_b64 s[72:73], 0
	s_mov_b64 s[74:75], 0
	s_mov_b64 s[76:77], 0
.LBB183_52:                             ;   Parent Loop BB183_10 Depth=1
                                        ; =>  This Inner Loop Header: Depth=2
	s_delay_alu instid0(VALU_DEP_1) | instskip(SKIP_3) | instid1(VALU_DEP_1)
	v_mul_u64_e32 v[8:9], s[30:31], v[4:5]
	s_lshl_b64 s[8:9], s[30:31], 3
	v_dual_mov_b32 v33, v21 :: v_dual_mov_b32 v35, v21
	v_add_nc_u64_e32 v[4:5], s[20:21], v[4:5]
	v_cmp_le_u64_e32 vcc_lo, s[22:23], v[4:5]
	s_delay_alu instid0(VALU_DEP_4) | instskip(NEXT) | instid1(VALU_DEP_1)
	v_lshl_add_u64 v[8:9], v[8:9], 3, s[28:29]
	v_add_nc_u64_e32 v[10:11], s[8:9], v[8:9]
	global_load_b64 v[14:15], v[8:9], off
	v_mov_b32_e32 v37, v21
	s_wait_xcnt 0x0
	v_add_nc_u64_e32 v[8:9], s[8:9], v[10:11]
	s_clause 0x1
	global_load_b64 v[12:13], v[10:11], off
	global_load_b64 v[10:11], v[8:9], off
	s_wait_xcnt 0x0
	v_add_nc_u64_e32 v[8:9], s[8:9], v[8:9]
	global_load_b64 v[8:9], v[8:9], off
	s_wait_loadcnt 0x3
	v_cmp_o_f64_e64 s7, v[14:15], v[14:15]
	v_ashrrev_i32_e32 v20, 31, v15
	s_delay_alu instid0(VALU_DEP_1)
	v_or_b32_e32 v32, 0x80000000, v20
	s_wait_loadcnt 0x2
	v_dual_ashrrev_i32 v34, 31, v13 :: v_dual_bitop2_b32 v20, v20, v14 bitop3:0x14
	v_cmp_o_f64_e64 s8, v[12:13], v[12:13]
	s_wait_loadcnt 0x1
	v_cmp_o_f64_e64 s9, v[10:11], v[10:11]
	v_xor_b32_e32 v32, v32, v15
	v_ashrrev_i32_e32 v36, 31, v11
	v_or_b32_e32 v14, 0x80000000, v34
	v_xor_b32_e32 v34, v34, v12
	s_wait_loadcnt 0x0
	v_cmp_o_f64_e64 s10, v[8:9], v[8:9]
	v_or_b32_e32 v12, 0x80000000, v36
	v_xor_b32_e32 v14, v14, v13
	s_delay_alu instid0(VALU_DEP_2) | instskip(SKIP_1) | instid1(VALU_DEP_2)
	v_dual_cndmask_b32 v15, -1, v32, s7 :: v_dual_bitop2_b32 v12, v12, v11 bitop3:0x14
	v_dual_ashrrev_i32 v36, 31, v9 :: v_dual_bitop2_b32 v32, v36, v10 bitop3:0x14
	v_and_b32_e32 v13, v15, v29
	s_delay_alu instid0(VALU_DEP_2) | instskip(SKIP_1) | instid1(VALU_DEP_2)
	v_or_b32_e32 v10, 0x80000000, v36
	v_dual_cndmask_b32 v44, -1, v34, s8 :: v_dual_bitop2_b32 v36, v36, v8 bitop3:0x14
	v_dual_cndmask_b32 v45, -1, v14, s8 :: v_dual_bitop2_b32 v10, v10, v9 bitop3:0x14
	s_delay_alu instid0(VALU_DEP_1) | instskip(NEXT) | instid1(VALU_DEP_2)
	v_dual_cndmask_b32 v14, -1, v20, s7 :: v_dual_bitop2_b32 v11, v45, v29 bitop3:0x40
	v_dual_cndmask_b32 v49, -1, v10, s10 :: v_dual_cndmask_b32 v47, -1, v12, s9
	s_delay_alu instid0(VALU_DEP_2) | instskip(SKIP_2) | instid1(VALU_DEP_4)
	v_and_b32_e32 v12, v14, v28
	v_lshrrev_b64 v[14:15], s92, v[14:15]
	v_and_b32_e32 v10, v44, v28
	v_dual_cndmask_b32 v46, -1, v32, s9 :: v_dual_bitop2_b32 v9, v47, v29 bitop3:0x40
	v_cndmask_b32_e64 v48, -1, v36, s10
	v_cmp_eq_u64_e64 s7, v[12:13], v[24:25]
	v_lshrrev_b64 v[12:13], s92, v[44:45]
	v_and_b32_e32 v20, 3, v14
	v_cmp_eq_u64_e64 s8, v[10:11], v[24:25]
	v_lshrrev_b64 v[10:11], s92, v[46:47]
	v_and_b32_e32 v8, v46, v28
	v_and_b32_e32 v51, v49, v29
	v_cmp_eq_u64_e64 s9, 0, v[20:21]
	v_cmp_eq_u64_e64 s11, 1, v[20:21]
	;; [unrolled: 1-line block ×4, first 2 shown]
	v_and_b32_e32 v32, 3, v12
	v_cmp_eq_u64_e64 s10, v[8:9], v[24:25]
	v_and_b32_e32 v34, 3, v10
	s_and_b32 s9, s7, s9
	s_and_b32 s11, s7, s11
	v_cmp_eq_u64_e64 s14, 0, v[32:33]
	v_cndmask_b32_e64 v11, 0, 1, s9
	v_cmp_eq_u64_e64 s9, 1, v[32:33]
	v_cndmask_b32_e64 v12, 0, 1, s11
	v_cmp_eq_u64_e64 s11, 2, v[32:33]
	s_and_b32 s12, s7, s12
	s_and_b32 s7, s7, s13
	v_lshrrev_b64 v[8:9], s92, v[48:49]
	v_cndmask_b32_e64 v13, 0, 1, s12
	v_cmp_eq_u64_e64 s12, 3, v[32:33]
	v_cndmask_b32_e64 v14, 0, 1, s7
	v_cmp_eq_u64_e64 s18, 0, v[34:35]
	s_and_b32 s14, s8, s14
	v_and_b32_e32 v50, v48, v28
	v_cmp_ne_u32_e64 s7, 0, v11
	v_cmp_ne_u32_e64 s15, 0, v13
	;; [unrolled: 1-line block ×3, first 2 shown]
	v_cndmask_b32_e64 v9, 0, 1, s14
	v_cmp_eq_u64_e64 s14, 1, v[34:35]
	s_and_b32 s9, s8, s9
	s_and_b32 s11, s8, s11
	v_and_b32_e32 v36, 3, v8
	v_cndmask_b32_e64 v10, 0, 1, s9
	v_cmp_eq_u64_e64 s9, 2, v[34:35]
	v_cndmask_b32_e64 v11, 0, 1, s11
	s_and_b32 s8, s8, s12
	v_cmp_eq_u64_e64 s11, 3, v[34:35]
	v_cmp_ne_u32_e64 s13, 0, v12
	v_cndmask_b32_e64 v12, 0, 1, s8
	v_cmp_eq_u64_e64 s17, v[50:51], v[24:25]
	s_bcnt1_i32_b32 s26, s7
	s_bcnt1_i32_b32 s41, s15
	s_bcnt1_i32_b32 s42, s16
	v_cmp_ne_u32_e64 s7, 0, v9
	v_cmp_eq_u64_e64 s15, 0, v[36:37]
	s_and_b32 s16, s10, s18
	v_cmp_ne_u32_e64 s8, 0, v10
	v_cmp_ne_u32_e64 s12, 0, v11
	v_cndmask_b32_e64 v8, 0, 1, s16
	v_cmp_eq_u64_e64 s16, 1, v[36:37]
	s_and_b32 s14, s10, s14
	s_bcnt1_i32_b32 s40, s13
	v_cmp_ne_u32_e64 s13, 0, v12
	v_cndmask_b32_e64 v9, 0, 1, s14
	v_cmp_eq_u64_e64 s14, 2, v[36:37]
	s_and_b32 s9, s10, s9
	s_and_b32 s10, s10, s11
	s_bcnt1_i32_b32 s7, s7
	v_cndmask_b32_e64 v10, 0, 1, s9
	v_cmp_eq_u64_e64 s9, 3, v[36:37]
	v_cndmask_b32_e64 v11, 0, 1, s10
	s_bcnt1_i32_b32 s8, s8
	s_bcnt1_i32_b32 s10, s12
	s_add_co_i32 s12, s7, s26
	v_cmp_ne_u32_e64 s7, 0, v8
	s_and_b32 s15, s17, s15
	s_bcnt1_i32_b32 s11, s13
	s_add_co_i32 s13, s8, s40
	v_cmp_ne_u32_e64 s8, 0, v9
	v_cndmask_b32_e64 v8, 0, 1, s15
	s_and_b32 s15, s17, s16
	s_add_co_i32 s18, s10, s41
	v_cmp_ne_u32_e64 s10, 0, v10
	v_cndmask_b32_e64 v9, 0, 1, s15
	s_and_b32 s14, s17, s14
	s_bcnt1_i32_b32 s7, s7
	v_cndmask_b32_e64 v10, 0, 1, s14
	s_and_b32 s9, s17, s9
	s_add_co_i32 s26, s11, s42
	v_cmp_ne_u32_e64 s11, 0, v11
	s_bcnt1_i32_b32 s8, s8
	s_add_co_i32 s12, s12, s7
	v_cmp_ne_u32_e64 s7, 0, v8
	v_cndmask_b32_e64 v11, 0, 1, s9
	s_bcnt1_i32_b32 s9, s10
	s_add_co_i32 s13, s13, s8
	v_cmp_ne_u32_e64 s8, 0, v9
	s_add_co_i32 s14, s18, s9
	v_cmp_ne_u32_e64 s9, 0, v10
	s_bcnt1_i32_b32 s11, s11
	s_bcnt1_i32_b32 s7, s7
	v_cmp_ne_u32_e64 s10, 0, v11
	s_add_co_i32 s11, s26, s11
	s_bcnt1_i32_b32 s8, s8
	s_add_co_i32 s26, s12, s7
	s_bcnt1_i32_b32 s9, s9
	s_add_nc_u64 s[76:77], s[76:77], s[26:27]
	s_add_co_i32 s26, s13, s8
	s_bcnt1_i32_b32 s10, s10
	s_add_nc_u64 s[74:75], s[74:75], s[26:27]
	s_add_co_i32 s26, s14, s9
	v_mov_b64_e32 v[8:9], s[76:77]
	s_add_nc_u64 s[72:73], s[72:73], s[26:27]
	s_add_co_i32 s26, s11, s10
	v_mov_b64_e32 v[10:11], s[74:75]
	s_add_nc_u64 s[24:25], s[24:25], s[26:27]
	v_mov_b64_e32 v[12:13], s[72:73]
	v_mov_b64_e32 v[14:15], s[24:25]
	s_or_b32 s58, vcc_lo, s58
	s_delay_alu instid0(SALU_CYCLE_1)
	s_and_not1_b32 exec_lo, exec_lo, s58
	s_cbranch_execnz .LBB183_52
; %bb.53:                               ;   in Loop: Header=BB183_10 Depth=1
	s_or_b32 exec_lo, exec_lo, s58
.LBB183_54:                             ;   in Loop: Header=BB183_10 Depth=1
	s_delay_alu instid0(SALU_CYCLE_1) | instskip(SKIP_4) | instid1(VALU_DEP_3)
	s_or_b32 exec_lo, exec_lo, s19
	v_add_nc_u64_e32 v[32:33], s[22:23], v[0:1]
	v_and_b32_e32 v4, 0xffff, v2
	v_mov_b32_e32 v5, v21
	s_mov_b32 s10, exec_lo
	v_cmpx_gt_u64_e64 s[36:37], v[32:33]
	s_cbranch_execz .LBB183_60
; %bb.55:                               ;   in Loop: Header=BB183_10 Depth=1
	v_mul_u64_e32 v[34:35], s[30:31], v[32:33]
	s_mov_b32 s11, 0
	s_delay_alu instid0(VALU_DEP_1)
	v_lshl_add_u64 v[34:35], v[34:35], 3, s[28:29]
	global_load_b64 v[36:37], v[34:35], off
	s_branch .LBB183_57
.LBB183_56:                             ;   in Loop: Header=BB183_57 Depth=2
	s_wait_xcnt 0x0
	s_or_b32 exec_lo, exec_lo, s8
	s_wait_loadcnt 0x0
	v_cmp_o_f64_e64 s7, v[36:37], v[36:37]
	v_ashrrev_i32_e32 v2, 31, v37
	s_and_b32 s9, exec_lo, vcc_lo
	s_delay_alu instid0(SALU_CYCLE_1) | instskip(NEXT) | instid1(VALU_DEP_1)
	s_or_b32 s11, s9, s11
	v_or_b32_e32 v20, 0x80000000, v2
	s_delay_alu instid0(VALU_DEP_1) | instskip(SKIP_1) | instid1(VALU_DEP_1)
	v_xor_b32_e32 v20, v20, v37
	v_xor_b32_e32 v2, v2, v36
	v_dual_cndmask_b32 v37, -1, v20, s7 :: v_dual_cndmask_b32 v36, -1, v2, s7
	s_delay_alu instid0(VALU_DEP_1) | instskip(SKIP_2) | instid1(VALU_DEP_1)
	v_lshrrev_b64 v[44:45], s92, v[36:37]
	v_and_b32_e32 v37, v37, v29
	v_and_b32_e32 v36, v36, v28
	v_cmp_eq_u64_e64 s7, v[36:37], v[24:25]
	s_delay_alu instid0(VALU_DEP_4) | instskip(SKIP_1) | instid1(VALU_DEP_2)
	v_and_b32_e32 v20, 3, v44
	v_mov_b64_e32 v[36:37], v[34:35]
	v_cmp_eq_u64_e64 s8, 0, v[20:21]
	v_cmp_eq_u64_e32 vcc_lo, 1, v[20:21]
	v_cmp_eq_u64_e64 s9, 2, v[20:21]
	s_and_b32 s8, s7, s8
	s_and_b32 s12, s7, vcc_lo
	v_cndmask_b32_e64 v2, 0, 1, s8
	v_cmp_eq_u64_e64 s8, 3, v[20:21]
	v_cndmask_b32_e64 v20, 0, 1, s12
	s_and_b32 s9, s7, s9
	v_cmp_ne_u32_e32 vcc_lo, 0, v2
	v_cndmask_b32_e64 v2, 0, 1, s9
	s_delay_alu instid0(VALU_DEP_3) | instskip(SKIP_1) | instid1(SALU_CYCLE_1)
	v_cmp_ne_u32_e64 s9, 0, v20
	s_and_b32 s7, s7, s8
	v_cndmask_b32_e64 v20, 0, 1, s7
	s_bcnt1_i32_b32 s26, vcc_lo
	v_cmp_ne_u32_e32 vcc_lo, 0, v2
	v_add_nc_u64_e32 v[8:9], s[26:27], v[8:9]
	s_bcnt1_i32_b32 s26, s9
	v_cmp_ne_u32_e64 s7, 0, v20
	v_add_nc_u64_e32 v[10:11], s[26:27], v[10:11]
	s_bcnt1_i32_b32 s26, vcc_lo
	s_delay_alu instid0(SALU_CYCLE_1) | instskip(SKIP_1) | instid1(SALU_CYCLE_1)
	v_add_nc_u64_e32 v[12:13], s[26:27], v[12:13]
	s_bcnt1_i32_b32 s26, s7
	v_add_nc_u64_e32 v[14:15], s[26:27], v[14:15]
	s_and_not1_b32 exec_lo, exec_lo, s11
	s_cbranch_execz .LBB183_59
.LBB183_57:                             ;   Parent Loop BB183_10 Depth=1
                                        ; =>  This Inner Loop Header: Depth=2
	v_add_nc_u64_e32 v[32:33], v[32:33], v[4:5]
	s_wait_xcnt 0x0
	v_mov_b64_e32 v[34:35], 0
	s_mov_b32 s8, exec_lo
	s_delay_alu instid0(VALU_DEP_2)
	v_cmp_le_u64_e32 vcc_lo, s[36:37], v[32:33]
	v_cmpx_gt_u64_e64 s[36:37], v[32:33]
	s_cbranch_execz .LBB183_56
; %bb.58:                               ;   in Loop: Header=BB183_57 Depth=2
	v_mul_u64_e32 v[34:35], s[30:31], v[32:33]
	s_delay_alu instid0(VALU_DEP_1)
	v_lshl_add_u64 v[34:35], v[34:35], 3, s[28:29]
	global_load_b64 v[34:35], v[34:35], off
	s_branch .LBB183_56
.LBB183_59:                             ;   in Loop: Header=BB183_10 Depth=1
	s_or_b32 exec_lo, exec_lo, s11
.LBB183_60:                             ;   in Loop: Header=BB183_10 Depth=1
	s_delay_alu instid0(SALU_CYCLE_1)
	s_or_b32 exec_lo, exec_lo, s10
	s_branch .LBB183_39
.LBB183_61:                             ;   in Loop: Header=BB183_10 Depth=1
	global_load_u16 v2, v21, s[66:67]
	v_mov_b32_e32 v5, v21
	s_mov_b32 s75, s27
	v_mov_b64_e32 v[10:11], 0
	v_mov_b64_e32 v[12:13], 0
	;; [unrolled: 1-line block ×3, first 2 shown]
	s_mov_b32 s59, exec_lo
	s_wait_loadcnt 0x0
	v_readfirstlane_b32 s7, v2
	s_and_b32 s58, 0xffff, s7
	s_delay_alu instid0(SALU_CYCLE_1) | instskip(NEXT) | instid1(SALU_CYCLE_1)
	s_lshl_b32 s72, s58, 2
	s_cvt_f32_u32 s7, s72
	s_sub_co_i32 s8, 0, s72
	s_delay_alu instid0(SALU_CYCLE_2) | instskip(SKIP_1) | instid1(TRANS32_DEP_1)
	v_rcp_iflag_f32_e32 v4, s7
	v_nop
	v_readfirstlane_b32 s7, v4
	v_and_b32_e32 v4, 0xffff, v2
	s_mul_f32 s7, s7, 0x4f7ffffe
	s_delay_alu instid0(SALU_CYCLE_3) | instskip(NEXT) | instid1(SALU_CYCLE_3)
	s_cvt_u32_f32 s7, s7
	s_mul_i32 s8, s8, s7
	s_delay_alu instid0(SALU_CYCLE_1) | instskip(NEXT) | instid1(SALU_CYCLE_1)
	s_mul_hi_u32 s8, s7, s8
	s_add_co_i32 s7, s7, s8
	s_delay_alu instid0(SALU_CYCLE_1) | instskip(NEXT) | instid1(SALU_CYCLE_1)
	s_mul_hi_u32 s7, s70, s7
	s_mul_i32 s8, s7, s72
	s_add_co_i32 s9, s7, 1
	s_sub_co_i32 s8, s70, s8
	s_delay_alu instid0(SALU_CYCLE_1)
	s_sub_co_i32 s10, s8, s72
	s_cmp_ge_u32 s8, s72
	s_cselect_b32 s7, s9, s7
	s_cselect_b32 s8, s10, s8
	s_add_co_i32 s9, s7, 1
	s_cmp_ge_u32 s8, s72
	s_cselect_b32 s74, s9, s7
	s_delay_alu instid0(SALU_CYCLE_1) | instskip(NEXT) | instid1(VALU_DEP_1)
	v_mul_u64_e32 v[8:9], s[74:75], v[4:5]
	v_lshlrev_b64_e32 v[32:33], 2, v[8:9]
	v_mov_b64_e32 v[8:9], 0
	s_delay_alu instid0(VALU_DEP_2)
	v_cmpx_gt_u64_e64 v[32:33], v[22:23]
	s_cbranch_execz .LBB183_65
; %bb.62:                               ;   in Loop: Header=BB183_10 Depth=1
	v_mov_b64_e32 v[34:35], v[22:23]
	v_mov_b32_e32 v2, v41
	s_mov_b32 s73, s27
	s_lshl_b32 s60, s58, 5
	s_mov_b64 s[76:77], 0
	s_mov_b32 s61, 0
	s_mov_b64 s[78:79], 0
	s_mov_b64 s[80:81], 0
	;; [unrolled: 1-line block ×3, first 2 shown]
.LBB183_63:                             ;   Parent Loop BB183_10 Depth=1
                                        ; =>  This Inner Loop Header: Depth=2
	ds_load_b128 v[12:15], v2
	ds_load_b128 v[8:11], v2 offset:16
	v_dual_mov_b32 v37, v21 :: v_dual_mov_b32 v45, v21
	v_dual_mov_b32 v47, v21 :: v_dual_add_nc_u32 v2, s60, v2
	v_add_nc_u64_e32 v[34:35], s[72:73], v[34:35]
	s_delay_alu instid0(VALU_DEP_1)
	v_cmp_ge_u64_e32 vcc_lo, v[34:35], v[32:33]
	s_wait_dscnt 0x1
	v_cmp_o_f64_e64 s7, v[12:13], v[12:13]
	v_cmp_o_f64_e64 s8, v[14:15], v[14:15]
	s_wait_dscnt 0x0
	v_cmp_o_f64_e64 s9, v[8:9], v[8:9]
	v_cmp_o_f64_e64 s10, v[10:11], v[10:11]
	v_dual_ashrrev_i32 v20, 31, v13 :: v_dual_ashrrev_i32 v36, 31, v15
	v_dual_ashrrev_i32 v43, 31, v9 :: v_dual_ashrrev_i32 v44, 31, v11
	s_delay_alu instid0(VALU_DEP_2) | instskip(SKIP_1) | instid1(VALU_DEP_4)
	v_or_b32_e32 v46, 0x80000000, v20
	v_xor_b32_e32 v12, v20, v12
	v_or_b32_e32 v20, 0x80000000, v36
	v_xor_b32_e32 v14, v36, v14
	;; [unrolled: 2-line block ×3, first 2 shown]
	v_or_b32_e32 v8, 0x80000000, v44
	s_delay_alu instid0(VALU_DEP_1) | instskip(SKIP_3) | instid1(VALU_DEP_2)
	v_xor_b32_e32 v8, v8, v11
	v_xor_b32_e32 v44, v44, v10
	v_xor_b32_e32 v10, v46, v13
	v_xor_b32_e32 v13, v20, v15
	v_dual_cndmask_b32 v9, -1, v10, s7 :: v_dual_bitop2_b32 v15, v36, v9 bitop3:0x14
	s_delay_alu instid0(VALU_DEP_1)
	v_dual_cndmask_b32 v11, -1, v13, s8 :: v_dual_cndmask_b32 v13, -1, v15, s9
	v_cndmask_b32_e64 v15, -1, v8, s10
	v_dual_cndmask_b32 v8, -1, v12, s7 :: v_dual_cndmask_b32 v10, -1, v14, s8
	v_dual_cndmask_b32 v12, -1, v43, s9 :: v_dual_cndmask_b32 v14, -1, v44, s10
	v_and_b32_e32 v49, v9, v29
	v_and_b32_e32 v51, v11, v29
	s_delay_alu instid0(VALU_DEP_4)
	v_and_b32_e32 v48, v8, v28
	v_and_b32_e32 v50, v10, v28
	v_lshrrev_b64 v[8:9], s92, v[8:9]
	v_lshrrev_b64 v[10:11], s92, v[10:11]
	v_and_b32_e32 v53, v13, v29
	v_and_b32_e32 v52, v12, v28
	v_lshrrev_b64 v[12:13], s92, v[12:13]
	v_and_b32_e32 v55, v15, v29
	v_and_b32_e32 v54, v14, v28
	;; [unrolled: 3-line block ×3, first 2 shown]
	v_cmp_eq_u64_e64 s7, v[48:49], v[24:25]
	v_and_b32_e32 v44, 3, v12
	v_cmp_eq_u64_e64 s8, v[50:51], v[24:25]
	v_cmp_eq_u64_e64 s11, 0, v[20:21]
	v_and_b32_e32 v46, 3, v14
	v_cmp_eq_u64_e64 s12, 0, v[36:37]
	v_cmp_eq_u64_e64 s9, v[52:53], v[24:25]
	;; [unrolled: 1-line block ×15, first 2 shown]
	s_and_b32 s11, s7, s11
	s_and_b32 s12, s8, s12
	v_cmp_eq_u64_e64 s22, 2, v[46:47]
	v_cmp_eq_u64_e64 s26, 3, v[46:47]
	s_and_b32 s13, s9, s13
	s_and_b32 s15, s7, s15
	;; [unrolled: 1-line block ×3, first 2 shown]
	v_cndmask_b32_e64 v8, 0, 1, s11
	v_cndmask_b32_e64 v9, 0, 1, s12
	s_and_b32 s14, s10, s14
	s_and_b32 s17, s9, s17
	;; [unrolled: 1-line block ×4, first 2 shown]
	v_cndmask_b32_e64 v10, 0, 1, s13
	v_cndmask_b32_e64 v12, 0, 1, s15
	;; [unrolled: 1-line block ×3, first 2 shown]
	s_and_b32 s7, s7, s23
	s_and_b32 s8, s8, s24
	;; [unrolled: 1-line block ×4, first 2 shown]
	v_cndmask_b32_e64 v11, 0, 1, s14
	v_cndmask_b32_e64 v14, 0, 1, s17
	;; [unrolled: 1-line block ×4, first 2 shown]
	s_and_b32 s9, s9, s25
	v_cndmask_b32_e64 v44, 0, 1, s7
	v_cndmask_b32_e64 v45, 0, 1, s8
	v_cmp_ne_u32_e64 s7, 0, v8
	v_cmp_ne_u32_e64 s8, 0, v9
	s_and_b32 s22, s10, s22
	v_cndmask_b32_e64 v15, 0, 1, s18
	v_cndmask_b32_e64 v37, 0, 1, s21
	s_and_b32 s10, s10, s26
	v_cndmask_b32_e64 v46, 0, 1, s9
	v_cmp_ne_u32_e64 s9, 0, v10
	v_cmp_ne_u32_e64 s11, 0, v12
	;; [unrolled: 1-line block ×3, first 2 shown]
	v_cndmask_b32_e64 v43, 0, 1, s22
	v_cndmask_b32_e64 v47, 0, 1, s10
	v_cmp_ne_u32_e64 s10, 0, v11
	v_cmp_ne_u32_e64 s13, 0, v14
	;; [unrolled: 1-line block ×4, first 2 shown]
	s_bcnt1_i32_b32 s7, s7
	s_bcnt1_i32_b32 s8, s8
	v_cmp_ne_u32_e64 s14, 0, v15
	v_cmp_ne_u32_e64 s17, 0, v37
	;; [unrolled: 1-line block ×4, first 2 shown]
	s_bcnt1_i32_b32 s9, s9
	s_bcnt1_i32_b32 s11, s11
	;; [unrolled: 1-line block ×3, first 2 shown]
	s_add_co_i32 s7, s8, s7
	v_cmp_ne_u32_e64 s18, 0, v43
	v_cmp_ne_u32_e64 s21, 0, v46
	s_bcnt1_i32_b32 s10, s10
	s_bcnt1_i32_b32 s13, s13
	;; [unrolled: 1-line block ×4, first 2 shown]
	s_add_co_i32 s8, s12, s11
	s_add_co_i32 s7, s7, s9
	v_cmp_ne_u32_e64 s22, 0, v47
	s_bcnt1_i32_b32 s14, s14
	s_bcnt1_i32_b32 s17, s17
	;; [unrolled: 1-line block ×4, first 2 shown]
	s_add_co_i32 s11, s16, s15
	s_add_co_i32 s8, s8, s13
	;; [unrolled: 1-line block ×3, first 2 shown]
	s_bcnt1_i32_b32 s18, s18
	s_bcnt1_i32_b32 s21, s21
	s_add_co_i32 s12, s20, s19
	s_add_co_i32 s9, s11, s17
	s_add_nc_u64 s[82:83], s[82:83], s[26:27]
	s_add_co_i32 s26, s8, s14
	s_bcnt1_i32_b32 s22, s22
	s_add_co_i32 s11, s12, s21
	s_add_nc_u64 s[80:81], s[80:81], s[26:27]
	s_add_co_i32 s26, s9, s18
	v_mov_b64_e32 v[8:9], s[82:83]
	s_add_nc_u64 s[78:79], s[78:79], s[26:27]
	s_add_co_i32 s26, s11, s22
	v_mov_b64_e32 v[10:11], s[80:81]
	s_add_nc_u64 s[76:77], s[76:77], s[26:27]
	v_mov_b64_e32 v[12:13], s[78:79]
	v_mov_b64_e32 v[14:15], s[76:77]
	s_or_b32 s61, vcc_lo, s61
	s_delay_alu instid0(SALU_CYCLE_1)
	s_and_not1_b32 exec_lo, exec_lo, s61
	s_cbranch_execnz .LBB183_63
; %bb.64:                               ;   in Loop: Header=BB183_10 Depth=1
	s_or_b32 exec_lo, exec_lo, s61
.LBB183_65:                             ;   in Loop: Header=BB183_10 Depth=1
	s_delay_alu instid0(SALU_CYCLE_1) | instskip(SKIP_3) | instid1(VALU_DEP_1)
	s_or_b32 exec_lo, exec_lo, s59
	v_add_nc_u64_e32 v[32:33], v[32:33], v[0:1]
	s_and_b64 s[12:13], s[70:71], 0x7fffffff
	s_mov_b32 s14, exec_lo
	v_cmpx_gt_u64_e64 s[12:13], v[32:33]
	s_cbranch_execz .LBB183_69
; %bb.66:                               ;   in Loop: Header=BB183_10 Depth=1
	s_mul_i32 s7, s74, s58
	s_lshl_b32 s16, s58, 3
	v_lshl_add_u32 v2, s7, 5, v38
	s_mov_b32 s15, 0
.LBB183_67:                             ;   Parent Loop BB183_10 Depth=1
                                        ; =>  This Inner Loop Header: Depth=2
	ds_load_b64 v[34:35], v2
	v_add_nc_u64_e32 v[32:33], v[32:33], v[4:5]
	v_add_nc_u32_e32 v2, s16, v2
	s_delay_alu instid0(VALU_DEP_2) | instskip(SKIP_3) | instid1(VALU_DEP_1)
	v_cmp_le_u64_e64 s7, s[12:13], v[32:33]
	s_wait_dscnt 0x0
	v_cmp_o_f64_e32 vcc_lo, v[34:35], v[34:35]
	v_ashrrev_i32_e32 v20, 31, v35
	v_or_b32_e32 v36, 0x80000000, v20
	s_delay_alu instid0(VALU_DEP_1) | instskip(NEXT) | instid1(VALU_DEP_1)
	v_xor_b32_e32 v36, v36, v35
	v_dual_cndmask_b32 v35, -1, v36, vcc_lo :: v_dual_bitop2_b32 v20, v20, v34 bitop3:0x14
	s_delay_alu instid0(VALU_DEP_1) | instskip(NEXT) | instid1(VALU_DEP_1)
	v_dual_cndmask_b32 v34, -1, v20, vcc_lo :: v_dual_bitop2_b32 v37, v35, v29 bitop3:0x40
	v_lshrrev_b64 v[44:45], s92, v[34:35]
	v_and_b32_e32 v36, v34, v28
	s_delay_alu instid0(VALU_DEP_1) | instskip(NEXT) | instid1(VALU_DEP_3)
	v_cmp_eq_u64_e32 vcc_lo, v[36:37], v[24:25]
	v_and_b32_e32 v20, 3, v44
	s_delay_alu instid0(VALU_DEP_1) | instskip(SKIP_4) | instid1(SALU_CYCLE_1)
	v_cmp_eq_u64_e64 s8, 0, v[20:21]
	v_cmp_eq_u64_e64 s9, 1, v[20:21]
	;; [unrolled: 1-line block ×4, first 2 shown]
	s_and_b32 s8, vcc_lo, s8
	v_cndmask_b32_e64 v20, 0, 1, s8
	s_and_b32 s8, vcc_lo, s9
	s_delay_alu instid0(SALU_CYCLE_1) | instskip(SKIP_1) | instid1(SALU_CYCLE_1)
	v_cndmask_b32_e64 v34, 0, 1, s8
	s_and_b32 s8, vcc_lo, s10
	v_cndmask_b32_e64 v35, 0, 1, s8
	s_and_b32 s8, vcc_lo, s11
	v_cmp_ne_u32_e32 vcc_lo, 0, v20
	v_cndmask_b32_e64 v36, 0, 1, s8
	v_cmp_ne_u32_e64 s8, 0, v34
	v_cmp_ne_u32_e64 s9, 0, v35
	s_bcnt1_i32_b32 s26, vcc_lo
	v_cmp_ne_u32_e64 s10, 0, v36
	v_add_nc_u64_e32 v[8:9], s[26:27], v[8:9]
	s_bcnt1_i32_b32 s26, s8
	s_delay_alu instid0(SALU_CYCLE_1) | instskip(SKIP_1) | instid1(SALU_CYCLE_1)
	v_add_nc_u64_e32 v[10:11], s[26:27], v[10:11]
	s_bcnt1_i32_b32 s26, s9
	v_add_nc_u64_e32 v[12:13], s[26:27], v[12:13]
	s_bcnt1_i32_b32 s26, s10
	s_or_b32 s15, s7, s15
	v_add_nc_u64_e32 v[14:15], s[26:27], v[14:15]
	s_and_not1_b32 exec_lo, exec_lo, s15
	s_cbranch_execnz .LBB183_67
; %bb.68:                               ;   in Loop: Header=BB183_10 Depth=1
	s_or_b32 exec_lo, exec_lo, s15
.LBB183_69:                             ;   in Loop: Header=BB183_10 Depth=1
	s_delay_alu instid0(SALU_CYCLE_1)
	s_or_b32 exec_lo, exec_lo, s14
	s_lshl_b32 s7, s96, 7
	s_and_saveexec_b32 s8, s2
	s_cbranch_execnz .LBB183_40
	s_branch .LBB183_41
.LBB183_70:                             ;   in Loop: Header=BB183_10 Depth=1
                                        ; implicit-def: $sgpr8_sgpr9
	s_branch .LBB183_49
.LBB183_71:                             ;   in Loop: Header=BB183_10 Depth=1
	s_mov_b32 s9, 0
	s_and_not1_b32 vcc_lo, exec_lo, s90
	s_cbranch_vccnz .LBB183_74
.LBB183_72:                             ;   in Loop: Header=BB183_10 Depth=1
	s_lshl_b32 s10, s96, 10
	s_lshl_b32 s9, s9, 5
	s_delay_alu instid0(SALU_CYCLE_1)
	v_add3_u32 v2, s10, s9, v42
	s_mov_b32 s9, s87
.LBB183_73:                             ;   Parent Loop BB183_10 Depth=1
                                        ; =>  This Inner Loop Header: Depth=2
	ds_load_b64 v[8:9], v2
	v_add_nc_u32_e32 v2, 32, v2
	s_add_co_i32 s9, s9, -1
	s_delay_alu instid0(SALU_CYCLE_1)
	s_cmp_lg_u32 s9, 0
	s_wait_dscnt 0x0
	v_add_nc_u64_e32 v[4:5], v[8:9], v[4:5]
	s_cbranch_scc1 .LBB183_73
.LBB183_74:                             ;   in Loop: Header=BB183_10 Depth=1
	v_add_lshl_u32 v2, s7, v17, 3
	ds_store_b64 v2, v[4:5] offset:3072
.LBB183_75:                             ;   in Loop: Header=BB183_10 Depth=1
	s_or_b32 exec_lo, exec_lo, s8
	s_lshl_b32 s7, s7, 3
	s_wait_dscnt 0x0
	v_mov_b32_e32 v2, s7
	s_barrier_signal -1
	s_barrier_wait -1
	v_cmp_eq_u64_e64 s7, 1, v[30:31]
	ds_load_b128 v[8:11], v2 offset:3072
	ds_load_b128 v[12:15], v2 offset:3088
	s_lshl_b64 s[12:13], 3, s92
	s_mov_b32 s75, -1
	s_not_b64 s[14:15], s[12:13]
	s_mov_b32 s70, 0
	s_and_not1_b32 vcc_lo, exec_lo, s85
	s_mov_b32 s72, 0
	s_mov_b32 s71, 0
                                        ; implicit-def: $sgpr73
                                        ; implicit-def: $sgpr74
                                        ; implicit-def: $vgpr32_vgpr33
                                        ; implicit-def: $vgpr20
	s_wait_dscnt 0x1
	v_readfirstlane_b32 s11, v9
	v_readfirstlane_b32 s10, v8
	;; [unrolled: 1-line block ×4, first 2 shown]
	s_wait_dscnt 0x0
	v_readfirstlane_b32 s19, v13
	v_readfirstlane_b32 s18, v12
	;; [unrolled: 1-line block ×4, first 2 shown]
                                        ; implicit-def: $vgpr14_vgpr15
                                        ; implicit-def: $vgpr12_vgpr13
                                        ; implicit-def: $vgpr10_vgpr11
	s_cbranch_vccnz .LBB183_278
; %bb.76:                               ;   in Loop: Header=BB183_10 Depth=1
	v_mov_b64_e32 v[14:15], v[24:25]
	v_mov_b64_e32 v[12:13], v[28:29]
	;; [unrolled: 1-line block ×3, first 2 shown]
	s_cmp_eq_u64 s[10:11], 1
                                        ; implicit-def: $sgpr74
                                        ; implicit-def: $sgpr73
	s_cselect_b32 s8, -1, 0
	s_delay_alu instid0(SALU_CYCLE_1)
	s_and_b32 s58, s8, s7
	s_mov_b32 s8, -1
	s_and_saveexec_b32 s59, s58
	s_cbranch_execz .LBB183_113
; %bb.77:                               ;   in Loop: Header=BB183_10 Depth=1
	ds_load_b64 v[4:5], v21 offset:5120
	s_wait_dscnt 0x0
	s_barrier_signal -1
	s_barrier_wait -1
	v_readfirstlane_b32 s8, v4
	v_readfirstlane_b32 s9, v5
	s_and_saveexec_b32 s22, s6
; %bb.78:                               ;   in Loop: Header=BB183_10 Depth=1
	ds_store_b64 v39, v[26:27]
; %bb.79:                               ;   in Loop: Header=BB183_10 Depth=1
	s_or_b32 exec_lo, exec_lo, s22
	v_and_b32_e32 v15, s15, v25
	v_and_b32_e32 v14, s14, v24
	v_or_b32_e32 v13, s13, v29
	v_or_b32_e32 v12, s12, v28
	s_mov_b32 s73, -1
	s_mov_b32 s74, 0
	s_cmp_eq_u64 s[8:9], 0
	s_mov_b32 s24, 0
	s_mov_b32 s25, -1
	s_wait_dscnt 0x0
	s_barrier_signal -1
	s_barrier_wait -1
                                        ; implicit-def: $vgpr10_vgpr11
	s_cbranch_scc1 .LBB183_97
; %bb.80:                               ;   in Loop: Header=BB183_10 Depth=1
	s_add_nc_u64 s[22:23], s[8:9], s[62:63]
	s_delay_alu instid0(SALU_CYCLE_1) | instskip(NEXT) | instid1(SALU_CYCLE_1)
	s_and_b64 s[24:25], s[22:23], 0xffffffff00000000
	s_cmp_lg_u64 s[24:25], 0
	s_cbranch_scc0 .LBB183_140
; %bb.81:                               ;   in Loop: Header=BB183_10 Depth=1
	s_cvt_f32_u32 s24, s34
	s_sub_nc_u64 s[40:41], 0, s[34:35]
	s_delay_alu instid0(SALU_CYCLE_2) | instskip(NEXT) | instid1(SALU_CYCLE_3)
	s_fmamk_f32 s24, s94, 0x0, s24
	v_s_rcp_f32 s24, s24
	s_delay_alu instid0(TRANS32_DEP_1) | instskip(NEXT) | instid1(SALU_CYCLE_3)
	s_mul_f32 s24, s24, 0x5f7ffffc
	s_mul_f32 s25, s24, 0x2f800000
	s_delay_alu instid0(SALU_CYCLE_3) | instskip(NEXT) | instid1(SALU_CYCLE_3)
	s_trunc_f32 s25, s25
	s_fmamk_f32 s24, s25, 0xcf800000, s24
	s_cvt_u32_f32 s25, s25
	s_delay_alu instid0(SALU_CYCLE_2) | instskip(NEXT) | instid1(SALU_CYCLE_3)
	s_cvt_u32_f32 s24, s24
	s_mul_u64 s[42:43], s[40:41], s[24:25]
	s_delay_alu instid0(SALU_CYCLE_1)
	s_mul_hi_u32 s45, s24, s43
	s_mul_i32 s44, s24, s43
	s_mul_hi_u32 s26, s24, s42
	s_mul_i32 s47, s25, s42
	s_add_nc_u64 s[44:45], s[26:27], s[44:45]
	s_mul_hi_u32 s46, s25, s42
	s_mul_hi_u32 s60, s25, s43
	s_add_co_u32 s26, s44, s47
	s_add_co_ci_u32 s26, s45, s46
	s_mul_i32 s42, s25, s43
	s_add_co_ci_u32 s43, s60, 0
	s_delay_alu instid0(SALU_CYCLE_1) | instskip(NEXT) | instid1(SALU_CYCLE_1)
	s_add_nc_u64 s[42:43], s[26:27], s[42:43]
	s_add_co_u32 s24, s24, s42
	s_cselect_b32 s26, -1, 0
	s_delay_alu instid0(SALU_CYCLE_1) | instskip(SKIP_1) | instid1(SALU_CYCLE_1)
	s_cmp_lg_u32 s26, 0
	s_add_co_ci_u32 s25, s25, s43
	s_mul_u64 s[40:41], s[40:41], s[24:25]
	s_delay_alu instid0(SALU_CYCLE_1)
	s_mul_hi_u32 s43, s24, s41
	s_mul_i32 s42, s24, s41
	s_mul_hi_u32 s26, s24, s40
	s_mul_i32 s45, s25, s40
	s_add_nc_u64 s[42:43], s[26:27], s[42:43]
	s_mul_hi_u32 s44, s25, s40
	s_mul_hi_u32 s46, s25, s41
	s_add_co_u32 s26, s42, s45
	s_add_co_ci_u32 s26, s43, s44
	s_mul_i32 s40, s25, s41
	s_add_co_ci_u32 s41, s46, 0
	s_delay_alu instid0(SALU_CYCLE_1) | instskip(NEXT) | instid1(SALU_CYCLE_1)
	s_add_nc_u64 s[40:41], s[26:27], s[40:41]
	s_add_co_u32 s24, s24, s40
	s_cselect_b32 s40, -1, 0
	s_mul_hi_u32 s26, s22, s24
	s_cmp_lg_u32 s40, 0
	s_mul_hi_u32 s42, s23, s24
	s_add_co_ci_u32 s40, s25, s41
	s_mul_i32 s41, s23, s24
	s_mul_hi_u32 s25, s22, s40
	s_mul_i32 s24, s22, s40
	s_mul_hi_u32 s43, s23, s40
	s_add_nc_u64 s[24:25], s[26:27], s[24:25]
	s_mul_i32 s40, s23, s40
	s_add_co_u32 s24, s24, s41
	s_add_co_ci_u32 s26, s25, s42
	s_add_co_ci_u32 s41, s43, 0
	s_delay_alu instid0(SALU_CYCLE_1) | instskip(NEXT) | instid1(SALU_CYCLE_1)
	s_add_nc_u64 s[24:25], s[26:27], s[40:41]
	s_and_b64 s[40:41], s[24:25], 0xffffffff00000000
	s_delay_alu instid0(SALU_CYCLE_1) | instskip(NEXT) | instid1(SALU_CYCLE_1)
	s_or_b32 s40, s40, s24
	s_mul_u64 s[24:25], s[34:35], s[40:41]
	s_delay_alu instid0(SALU_CYCLE_1) | instskip(SKIP_1) | instid1(SALU_CYCLE_1)
	s_sub_co_u32 s24, s22, s24
	s_cselect_b32 s26, -1, 0
	s_cmp_lg_u32 s26, 0
	s_sub_co_ci_u32 s25, s23, s25
	s_sub_co_u32 s26, s24, s34
	s_cselect_b32 s40, -1, 0
	s_delay_alu instid0(SALU_CYCLE_1) | instskip(SKIP_3) | instid1(SALU_CYCLE_1)
	s_cmp_lg_u32 s40, 0
	s_sub_co_ci_u32 s40, s25, 0
	s_sub_co_u32 s41, s26, s34
	s_cselect_b32 s42, -1, 0
	s_cmp_lg_u32 s42, 0
	s_sub_co_ci_u32 s42, s40, 0
	s_cmp_ge_u32 s26, s34
	s_cselect_b32 s43, -1, 0
	s_cmp_eq_u32 s40, 0
	s_cselect_b32 s43, s43, -1
	s_delay_alu instid0(SALU_CYCLE_1)
	s_cmp_lg_u32 s43, 0
	s_cselect_b32 s40, s42, s40
	s_cselect_b32 s26, s41, s26
	s_cmp_ge_u32 s24, s34
	s_cselect_b32 s41, -1, 0
	s_cmp_eq_u32 s25, 0
	s_cselect_b32 s41, s41, -1
	s_delay_alu instid0(SALU_CYCLE_1)
	s_cmp_lg_u32 s41, 0
	s_cselect_b32 s25, s40, s25
	s_cselect_b32 s24, s26, s24
	s_cbranch_execnz .LBB183_83
.LBB183_82:                             ;   in Loop: Header=BB183_10 Depth=1
	v_cvt_f32_u32_e32 v2, s34
	s_sub_co_i32 s25, 0, s34
	s_delay_alu instid0(VALU_DEP_1) | instskip(SKIP_1) | instid1(TRANS32_DEP_1)
	v_rcp_iflag_f32_e32 v2, v2
	v_nop
	v_mul_f32_e32 v2, 0x4f7ffffe, v2
	s_delay_alu instid0(VALU_DEP_1) | instskip(NEXT) | instid1(VALU_DEP_1)
	v_cvt_u32_f32_e32 v2, v2
	v_readfirstlane_b32 s24, v2
	s_mul_i32 s25, s25, s24
	s_delay_alu instid0(SALU_CYCLE_1) | instskip(NEXT) | instid1(SALU_CYCLE_1)
	s_mul_hi_u32 s25, s24, s25
	s_add_co_i32 s24, s24, s25
	s_delay_alu instid0(SALU_CYCLE_1) | instskip(NEXT) | instid1(SALU_CYCLE_1)
	s_mul_hi_u32 s24, s22, s24
	s_mul_i32 s24, s24, s34
	s_delay_alu instid0(SALU_CYCLE_1) | instskip(NEXT) | instid1(SALU_CYCLE_1)
	s_sub_co_i32 s24, s22, s24
	s_sub_co_i32 s25, s24, s34
	s_cmp_ge_u32 s24, s34
	s_cselect_b32 s24, s25, s24
	s_delay_alu instid0(SALU_CYCLE_1) | instskip(SKIP_2) | instid1(SALU_CYCLE_1)
	s_sub_co_i32 s25, s24, s34
	s_cmp_ge_u32 s24, s34
	s_cselect_b32 s26, s25, s24
	s_mov_b64 s[24:25], s[26:27]
.LBB183_83:                             ;   in Loop: Header=BB183_10 Depth=1
	s_delay_alu instid0(SALU_CYCLE_1)
	s_sub_nc_u64 s[22:23], s[22:23], s[24:25]
	s_mov_b32 s25, 0
	s_mov_b32 s24, 0
	s_mov_b32 s26, exec_lo
                                        ; implicit-def: $vgpr10_vgpr11
	v_cmpx_gt_u64_e64 s[22:23], v[0:1]
	s_cbranch_execz .LBB183_96
; %bb.84:                               ;   in Loop: Header=BB183_10 Depth=1
	v_mov_b64_e32 v[32:33], v[0:1]
	v_mov_b32_e32 v20, v38
                                        ; implicit-def: $sgpr40
	s_branch .LBB183_88
.LBB183_85:                             ;   in Loop: Header=BB183_88 Depth=2
	s_or_b32 exec_lo, exec_lo, s41
	s_wait_dscnt 0x0
	s_barrier_signal -1
	s_barrier_wait -1
	ds_load_b128 v[8:11], v21 offset:3072
	s_wait_dscnt 0x0
	s_barrier_signal -1
	s_barrier_wait -1
	v_cmp_neq_f64_e32 vcc_lo, 0, v[8:9]
	s_cbranch_vccnz .LBB183_91
; %bb.86:                               ;   in Loop: Header=BB183_88 Depth=2
	v_add_nc_u64_e32 v[32:33], s[34:35], v[32:33]
	v_add_nc_u32_e32 v20, s91, v20
	s_mov_b32 s41, 0
	s_delay_alu instid0(VALU_DEP_2)
	v_cmp_le_u64_e32 vcc_lo, s[22:23], v[32:33]
	s_or_not1_b32 s42, vcc_lo, exec_lo
.LBB183_87:                             ;   in Loop: Header=BB183_88 Depth=2
	s_delay_alu instid0(SALU_CYCLE_1) | instskip(NEXT) | instid1(SALU_CYCLE_1)
	s_and_b32 s42, exec_lo, s42
	s_or_b32 s24, s42, s24
	s_and_not1_b32 s40, s40, exec_lo
	s_and_b32 s41, s41, exec_lo
	s_delay_alu instid0(SALU_CYCLE_1)
	s_or_b32 s40, s40, s41
	s_and_not1_b32 exec_lo, exec_lo, s24
	s_cbranch_execz .LBB183_95
.LBB183_88:                             ;   Parent Loop BB183_10 Depth=1
                                        ; =>  This Inner Loop Header: Depth=2
	s_mov_b32 s41, exec_lo
	s_delay_alu instid0(VALU_DEP_2)
	v_cmpx_gt_u64_e64 s[8:9], v[32:33]
	s_cbranch_execz .LBB183_85
; %bb.89:                               ;   in Loop: Header=BB183_88 Depth=2
	ds_load_b64 v[4:5], v20
	s_wait_dscnt 0x0
	v_cmp_o_f64_e32 vcc_lo, v[4:5], v[4:5]
	v_ashrrev_i32_e32 v2, 31, v5
	s_delay_alu instid0(VALU_DEP_1) | instskip(NEXT) | instid1(VALU_DEP_1)
	v_or_b32_e32 v8, 0x80000000, v2
	v_xor_b32_e32 v8, v8, v5
	v_xor_b32_e32 v2, v2, v4
	s_delay_alu instid0(VALU_DEP_1) | instskip(NEXT) | instid1(VALU_DEP_1)
	v_dual_cndmask_b32 v8, -1, v8, vcc_lo :: v_dual_cndmask_b32 v2, -1, v2, vcc_lo
	v_and_b32_e32 v9, v8, v13
	s_delay_alu instid0(VALU_DEP_2) | instskip(NEXT) | instid1(VALU_DEP_1)
	v_and_b32_e32 v8, v2, v12
	v_cmp_eq_u64_e32 vcc_lo, v[8:9], v[14:15]
	s_and_b32 exec_lo, exec_lo, vcc_lo
	s_cbranch_execz .LBB183_85
; %bb.90:                               ;   in Loop: Header=BB183_88 Depth=2
	v_mov_b32_e32 v2, v21
	ds_store_b128 v21, v[2:5] offset:3072
	s_branch .LBB183_85
.LBB183_91:                             ;   in Loop: Header=BB183_88 Depth=2
	s_mov_b32 s42, -1
	s_mov_b32 s41, -1
                                        ; implicit-def: $vgpr32_vgpr33
                                        ; implicit-def: $vgpr20
	s_branch .LBB183_87
.LBB183_92:                             ;   in Loop: Header=BB183_10 Depth=1
	s_or_b32 exec_lo, exec_lo, s10
	s_wait_dscnt 0x0
	s_barrier_signal -1
	s_barrier_wait -1
	s_and_saveexec_b32 s7, s5
	s_cbranch_execz .LBB183_94
; %bb.93:                               ;   in Loop: Header=BB183_10 Depth=1
	ds_load_b32 v4, v21 offset:5144
	s_wait_dscnt 0x0
	v_ashrrev_i32_e32 v5, 31, v4
	ds_store_b64 v21, v[4:5] offset:5120
.LBB183_94:                             ;   in Loop: Header=BB183_10 Depth=1
	s_or_b32 exec_lo, exec_lo, s7
	s_wait_dscnt 0x0
	s_barrier_signal -1
	s_mov_b32 s7, -1
	s_barrier_wait -1
	s_and_b32 vcc_lo, exec_lo, s9
	s_cbranch_vccnz .LBB183_26
	s_branch .LBB183_35
.LBB183_95:                             ;   in Loop: Header=BB183_10 Depth=1
	s_or_b32 exec_lo, exec_lo, s24
	s_delay_alu instid0(SALU_CYCLE_1)
	s_and_b32 s24, s40, exec_lo
.LBB183_96:                             ;   in Loop: Header=BB183_10 Depth=1
	s_or_b32 exec_lo, exec_lo, s26
.LBB183_97:                             ;   in Loop: Header=BB183_10 Depth=1
	s_delay_alu instid0(SALU_CYCLE_1)
	s_and_b32 vcc_lo, exec_lo, s25
	s_cbranch_vccz .LBB183_112
; %bb.98:                               ;   in Loop: Header=BB183_10 Depth=1
	s_and_b64 s[8:9], s[64:65], 0xffffffff00000000
	s_delay_alu instid0(SALU_CYCLE_1)
	s_cmp_lg_u64 s[8:9], 0
	s_cbranch_scc0 .LBB183_141
; %bb.99:                               ;   in Loop: Header=BB183_10 Depth=1
	s_cvt_f32_u32 s8, s34
	s_sub_nc_u64 s[22:23], 0, s[34:35]
	s_delay_alu instid0(SALU_CYCLE_2) | instskip(NEXT) | instid1(SALU_CYCLE_3)
	s_fmamk_f32 s8, s94, 0x0, s8
	v_s_rcp_f32 s8, s8
	s_delay_alu instid0(TRANS32_DEP_1) | instskip(NEXT) | instid1(SALU_CYCLE_3)
	s_mul_f32 s8, s8, 0x5f7ffffc
	s_mul_f32 s9, s8, 0x2f800000
	s_delay_alu instid0(SALU_CYCLE_3) | instskip(NEXT) | instid1(SALU_CYCLE_3)
	s_trunc_f32 s9, s9
	s_fmamk_f32 s8, s9, 0xcf800000, s8
	s_cvt_u32_f32 s9, s9
	s_delay_alu instid0(SALU_CYCLE_2) | instskip(NEXT) | instid1(SALU_CYCLE_3)
	s_cvt_u32_f32 s8, s8
	s_mul_u64 s[40:41], s[22:23], s[8:9]
	s_delay_alu instid0(SALU_CYCLE_1)
	s_mul_hi_u32 s43, s8, s41
	s_mul_i32 s42, s8, s41
	s_mul_hi_u32 s26, s8, s40
	s_mul_i32 s44, s9, s40
	s_add_nc_u64 s[42:43], s[26:27], s[42:43]
	s_mul_hi_u32 s25, s9, s40
	s_mul_hi_u32 s45, s9, s41
	s_add_co_u32 s26, s42, s44
	s_add_co_ci_u32 s26, s43, s25
	s_mul_i32 s40, s9, s41
	s_add_co_ci_u32 s41, s45, 0
	s_delay_alu instid0(SALU_CYCLE_1) | instskip(NEXT) | instid1(SALU_CYCLE_1)
	s_add_nc_u64 s[40:41], s[26:27], s[40:41]
	s_add_co_u32 s8, s8, s40
	s_cselect_b32 s25, -1, 0
	s_delay_alu instid0(SALU_CYCLE_1) | instskip(SKIP_1) | instid1(SALU_CYCLE_1)
	s_cmp_lg_u32 s25, 0
	s_add_co_ci_u32 s9, s9, s41
	s_mul_u64 s[22:23], s[22:23], s[8:9]
	s_delay_alu instid0(SALU_CYCLE_1)
	s_mul_hi_u32 s41, s8, s23
	s_mul_i32 s40, s8, s23
	s_mul_hi_u32 s26, s8, s22
	s_mul_i32 s42, s9, s22
	s_add_nc_u64 s[40:41], s[26:27], s[40:41]
	s_mul_hi_u32 s25, s9, s22
	s_mul_hi_u32 s43, s9, s23
	s_mul_i32 s22, s9, s23
	s_add_co_u32 s23, s40, s42
	s_add_co_ci_u32 s26, s41, s25
	s_add_co_ci_u32 s23, s43, 0
	s_delay_alu instid0(SALU_CYCLE_1) | instskip(NEXT) | instid1(SALU_CYCLE_1)
	s_add_nc_u64 s[22:23], s[26:27], s[22:23]
	s_add_co_u32 s8, s8, s22
	s_cselect_b32 s22, -1, 0
	s_mul_hi_u32 s26, s64, s8
	s_cmp_lg_u32 s22, 0
	s_mul_hi_u32 s25, s65, s8
	s_add_co_ci_u32 s22, s9, s23
	s_mul_i32 s23, s65, s8
	s_mul_hi_u32 s9, s64, s22
	s_mul_i32 s8, s64, s22
	s_mul_hi_u32 s40, s65, s22
	s_add_nc_u64 s[8:9], s[26:27], s[8:9]
	s_mul_i32 s22, s65, s22
	s_add_co_u32 s8, s8, s23
	s_add_co_ci_u32 s26, s9, s25
	s_add_co_ci_u32 s23, s40, 0
	s_delay_alu instid0(SALU_CYCLE_1) | instskip(NEXT) | instid1(SALU_CYCLE_1)
	s_add_nc_u64 s[8:9], s[26:27], s[22:23]
	s_and_b64 s[22:23], s[8:9], 0xffffffff00000000
	s_delay_alu instid0(SALU_CYCLE_1) | instskip(NEXT) | instid1(SALU_CYCLE_1)
	s_or_b32 s22, s22, s8
	s_mul_u64 s[8:9], s[34:35], s[22:23]
	s_delay_alu instid0(SALU_CYCLE_1) | instskip(SKIP_1) | instid1(SALU_CYCLE_1)
	s_sub_co_u32 s8, s64, s8
	s_cselect_b32 s22, -1, 0
	s_cmp_lg_u32 s22, 0
	s_sub_co_ci_u32 s9, s65, s9
	s_sub_co_u32 s22, s8, s34
	s_cselect_b32 s23, -1, 0
	s_delay_alu instid0(SALU_CYCLE_1) | instskip(SKIP_3) | instid1(SALU_CYCLE_1)
	s_cmp_lg_u32 s23, 0
	s_sub_co_ci_u32 s23, s9, 0
	s_sub_co_u32 s25, s22, s34
	s_cselect_b32 s26, -1, 0
	s_cmp_lg_u32 s26, 0
	s_sub_co_ci_u32 s26, s23, 0
	s_cmp_ge_u32 s22, s34
	s_cselect_b32 s40, -1, 0
	s_cmp_eq_u32 s23, 0
	s_cselect_b32 s40, s40, -1
	s_delay_alu instid0(SALU_CYCLE_1)
	s_cmp_lg_u32 s40, 0
	s_cselect_b32 s23, s26, s23
	s_cselect_b32 s22, s25, s22
	s_cmp_ge_u32 s8, s34
	s_cselect_b32 s25, -1, 0
	s_cmp_eq_u32 s9, 0
	s_cselect_b32 s25, s25, -1
	s_delay_alu instid0(SALU_CYCLE_1)
	s_cmp_lg_u32 s25, 0
	s_cselect_b32 s9, s23, s9
	s_cselect_b32 s8, s22, s8
	s_cbranch_execnz .LBB183_101
.LBB183_100:                            ;   in Loop: Header=BB183_10 Depth=1
	v_cvt_f32_u32_e32 v2, s34
	s_sub_co_i32 s9, 0, s34
	s_delay_alu instid0(VALU_DEP_1) | instskip(SKIP_1) | instid1(TRANS32_DEP_1)
	v_rcp_iflag_f32_e32 v2, v2
	v_nop
	v_mul_f32_e32 v2, 0x4f7ffffe, v2
	s_delay_alu instid0(VALU_DEP_1) | instskip(NEXT) | instid1(VALU_DEP_1)
	v_cvt_u32_f32_e32 v2, v2
	v_readfirstlane_b32 s8, v2
	s_mul_i32 s9, s9, s8
	s_delay_alu instid0(SALU_CYCLE_1) | instskip(NEXT) | instid1(SALU_CYCLE_1)
	s_mul_hi_u32 s9, s8, s9
	s_add_co_i32 s8, s8, s9
	s_delay_alu instid0(SALU_CYCLE_1) | instskip(NEXT) | instid1(SALU_CYCLE_1)
	s_mul_hi_u32 s8, s64, s8
	s_mul_i32 s8, s8, s34
	s_delay_alu instid0(SALU_CYCLE_1) | instskip(NEXT) | instid1(SALU_CYCLE_1)
	s_sub_co_i32 s8, s64, s8
	s_sub_co_i32 s9, s8, s34
	s_cmp_ge_u32 s8, s34
	s_cselect_b32 s8, s9, s8
	s_delay_alu instid0(SALU_CYCLE_1) | instskip(SKIP_2) | instid1(SALU_CYCLE_1)
	s_sub_co_i32 s9, s8, s34
	s_cmp_ge_u32 s8, s34
	s_cselect_b32 s26, s9, s8
	s_mov_b64 s[8:9], s[26:27]
.LBB183_101:                            ;   in Loop: Header=BB183_10 Depth=1
	s_delay_alu instid0(SALU_CYCLE_1)
	s_sub_nc_u64 s[8:9], s[64:65], s[8:9]
	s_mov_b32 s22, exec_lo
                                        ; implicit-def: $vgpr10_vgpr11
	v_nop
	v_cmpx_gt_u64_e64 s[8:9], v[0:1]
	s_cbranch_execz .LBB183_111
; %bb.102:                              ;   in Loop: Header=BB183_10 Depth=1
	v_mov_b64_e32 v[32:33], v[0:1]
	s_mov_b32 s25, 0
                                        ; implicit-def: $sgpr23
	s_branch .LBB183_106
.LBB183_103:                            ;   in Loop: Header=BB183_106 Depth=2
	s_or_b32 exec_lo, exec_lo, s26
	s_wait_dscnt 0x0
	s_barrier_signal -1
	s_barrier_wait -1
	ds_load_b128 v[8:11], v21 offset:3072
	s_wait_dscnt 0x0
	s_barrier_signal -1
	s_barrier_wait -1
	v_cmp_neq_f64_e32 vcc_lo, 0, v[8:9]
	s_cbranch_vccnz .LBB183_109
; %bb.104:                              ;   in Loop: Header=BB183_106 Depth=2
	v_add_nc_u64_e32 v[32:33], s[34:35], v[32:33]
	s_mov_b32 s26, 0
	s_delay_alu instid0(VALU_DEP_1)
	v_cmp_le_u64_e32 vcc_lo, s[8:9], v[32:33]
	s_or_not1_b32 s40, vcc_lo, exec_lo
.LBB183_105:                            ;   in Loop: Header=BB183_106 Depth=2
	s_delay_alu instid0(SALU_CYCLE_1) | instskip(NEXT) | instid1(SALU_CYCLE_1)
	s_and_b32 s40, exec_lo, s40
	s_or_b32 s25, s40, s25
	s_and_not1_b32 s23, s23, exec_lo
	s_and_b32 s26, s26, exec_lo
	s_delay_alu instid0(SALU_CYCLE_1)
	s_or_b32 s23, s23, s26
	s_and_not1_b32 exec_lo, exec_lo, s25
	s_cbranch_execz .LBB183_110
.LBB183_106:                            ;   Parent Loop BB183_10 Depth=1
                                        ; =>  This Inner Loop Header: Depth=2
	s_mov_b32 s26, exec_lo
	s_delay_alu instid0(VALU_DEP_1)
	v_cmpx_gt_u64_e64 s[36:37], v[32:33]
	s_cbranch_execz .LBB183_103
; %bb.107:                              ;   in Loop: Header=BB183_106 Depth=2
	v_mul_u64_e32 v[4:5], s[30:31], v[32:33]
	s_delay_alu instid0(VALU_DEP_1) | instskip(SKIP_4) | instid1(VALU_DEP_1)
	v_lshl_add_u64 v[4:5], v[4:5], 3, s[28:29]
	global_load_b64 v[4:5], v[4:5], off
	s_wait_loadcnt 0x0
	v_cmp_o_f64_e32 vcc_lo, v[4:5], v[4:5]
	v_ashrrev_i32_e32 v2, 31, v5
	v_or_b32_e32 v8, 0x80000000, v2
	s_delay_alu instid0(VALU_DEP_1) | instskip(SKIP_1) | instid1(VALU_DEP_1)
	v_xor_b32_e32 v8, v8, v5
	v_xor_b32_e32 v2, v2, v4
	v_dual_cndmask_b32 v8, -1, v8, vcc_lo :: v_dual_cndmask_b32 v2, -1, v2, vcc_lo
	s_delay_alu instid0(VALU_DEP_1) | instskip(NEXT) | instid1(VALU_DEP_2)
	v_and_b32_e32 v9, v8, v13
	v_and_b32_e32 v8, v2, v12
	s_delay_alu instid0(VALU_DEP_1)
	v_cmp_eq_u64_e32 vcc_lo, v[8:9], v[14:15]
	s_and_b32 exec_lo, exec_lo, vcc_lo
	s_cbranch_execz .LBB183_103
; %bb.108:                              ;   in Loop: Header=BB183_106 Depth=2
	v_mov_b32_e32 v2, v21
	ds_store_b128 v21, v[2:5] offset:3072
	s_branch .LBB183_103
.LBB183_109:                            ;   in Loop: Header=BB183_106 Depth=2
	s_mov_b32 s40, -1
	s_mov_b32 s26, -1
                                        ; implicit-def: $vgpr32_vgpr33
	s_branch .LBB183_105
.LBB183_110:                            ;   in Loop: Header=BB183_10 Depth=1
	s_or_b32 exec_lo, exec_lo, s25
	s_delay_alu instid0(SALU_CYCLE_1) | instskip(SKIP_1) | instid1(SALU_CYCLE_1)
	s_and_not1_b32 s8, s24, exec_lo
	s_and_b32 s9, s23, exec_lo
	s_or_b32 s24, s8, s9
.LBB183_111:                            ;   in Loop: Header=BB183_10 Depth=1
	s_or_b32 exec_lo, exec_lo, s22
	s_mov_b32 s73, 0
	s_mov_b32 s74, -1
.LBB183_112:                            ;   in Loop: Header=BB183_10 Depth=1
	s_or_not1_b32 s8, s24, exec_lo
.LBB183_113:                            ;   in Loop: Header=BB183_10 Depth=1
	s_or_b32 exec_lo, exec_lo, s59
	s_mov_b32 s75, 0
	s_mov_b32 s72, 0
	;; [unrolled: 1-line block ×3, first 2 shown]
                                        ; implicit-def: $vgpr32_vgpr33
                                        ; implicit-def: $vgpr20
	s_and_saveexec_b32 s76, s8
	s_cbranch_execz .LBB183_277
; %bb.114:                              ;   in Loop: Header=BB183_10 Depth=1
	v_mov_b64_e32 v[32:33], 1
	v_mov_b32_e32 v20, 1
	s_xor_b32 s22, s58, -1
	s_mov_b32 s9, 0
	s_and_saveexec_b32 s8, s22
	s_cbranch_execz .LBB183_123
; %bb.115:                              ;   in Loop: Header=BB183_10 Depth=1
	s_mov_b32 s9, exec_lo
	v_cmpx_ge_u64_e64 s[10:11], v[30:31]
	s_xor_b32 s9, exec_lo, s9
	s_cbranch_execz .LBB183_120
; %bb.116:                              ;   in Loop: Header=BB183_10 Depth=1
	ds_load_b64 v[4:5], v21 offset:5120
	v_and_b32_e32 v15, s15, v15
	v_and_b32_e32 v14, s14, v14
	v_or_b32_e32 v13, s13, v13
	v_or_b32_e32 v12, s12, v12
	s_wait_dscnt 0x0
	v_cmp_ne_u64_e32 vcc_lo, 0, v[4:5]
	s_cbranch_vccnz .LBB183_120
; %bb.117:                              ;   in Loop: Header=BB183_10 Depth=1
	s_and_saveexec_b32 s22, s5
; %bb.118:                              ;   in Loop: Header=BB183_10 Depth=1
	v_mov_b64_e32 v[4:5], s[10:11]
	ds_store_b64 v21, v[4:5] offset:5128
; %bb.119:                              ;   in Loop: Header=BB183_10 Depth=1
	s_or_b32 exec_lo, exec_lo, s22
	s_wait_dscnt 0x0
	s_barrier_signal -1
	s_barrier_wait -1
.LBB183_120:                            ;   in Loop: Header=BB183_10 Depth=1
	s_or_saveexec_b32 s9, s9
	v_mov_b64_e32 v[32:33], v[30:31]
	v_mov_b32_e32 v20, 8
	s_mov_b32 s22, 0
	s_xor_b32 exec_lo, exec_lo, s9
; %bb.121:                              ;   in Loop: Header=BB183_10 Depth=1
	v_sub_nc_u64_e64 v[32:33], v[30:31], s[10:11]
	v_mov_b32_e32 v20, 0
	s_mov_b32 s22, exec_lo
; %bb.122:                              ;   in Loop: Header=BB183_10 Depth=1
	s_or_b32 exec_lo, exec_lo, s9
	s_delay_alu instid0(SALU_CYCLE_1)
	s_and_b32 s9, s22, exec_lo
.LBB183_123:                            ;   in Loop: Header=BB183_10 Depth=1
	s_or_b32 exec_lo, exec_lo, s8
	s_mov_b32 s8, -1
                                        ; implicit-def: $sgpr72
                                        ; implicit-def: $sgpr77
	s_and_saveexec_b32 s22, s9
	s_delay_alu instid0(SALU_CYCLE_1)
	s_xor_b32 s71, exec_lo, s22
	s_cbranch_execz .LBB183_274
; %bb.124:                              ;   in Loop: Header=BB183_10 Depth=1
	v_cmp_eq_u64_e32 vcc_lo, 1, v[32:33]
	s_cmp_eq_u64 s[16:17], 1
                                        ; implicit-def: $sgpr77
                                        ; implicit-def: $sgpr72
	s_cselect_b32 s8, -1, 0
	s_delay_alu instid0(SALU_CYCLE_1)
	s_and_b32 s79, s8, vcc_lo
	s_mov_b32 s8, -1
	s_and_saveexec_b32 s58, s79
	s_cbranch_execz .LBB183_160
; %bb.125:                              ;   in Loop: Header=BB183_10 Depth=1
	ds_load_b64 v[4:5], v21 offset:5120
	s_wait_dscnt 0x0
	s_barrier_signal -1
	s_barrier_wait -1
	v_readfirstlane_b32 s8, v4
	v_readfirstlane_b32 s9, v5
	s_and_saveexec_b32 s22, s6
; %bb.126:                              ;   in Loop: Header=BB183_10 Depth=1
	ds_store_b64 v39, v[26:27]
; %bb.127:                              ;   in Loop: Header=BB183_10 Depth=1
	s_or_b32 exec_lo, exec_lo, s22
	v_and_b32_e32 v2, s15, v15
	v_and_b32_e32 v4, s14, v14
	s_lshl_b64 s[22:23], 1, s92
	v_or_b32_e32 v13, s13, v13
	v_or_b32_e32 v12, s12, v12
	;; [unrolled: 1-line block ×4, first 2 shown]
	s_mov_b32 s72, -1
	s_mov_b32 s77, 0
	s_cmp_eq_u64 s[8:9], 0
	s_mov_b32 s24, 0
	s_mov_b32 s25, -1
	s_wait_dscnt 0x0
	s_barrier_signal -1
	s_barrier_wait -1
                                        ; implicit-def: $vgpr10_vgpr11
	s_cbranch_scc1 .LBB183_144
; %bb.128:                              ;   in Loop: Header=BB183_10 Depth=1
	s_add_nc_u64 s[22:23], s[8:9], s[62:63]
	s_delay_alu instid0(SALU_CYCLE_1) | instskip(NEXT) | instid1(SALU_CYCLE_1)
	s_and_b64 s[24:25], s[22:23], 0xffffffff00000000
	s_cmp_lg_u64 s[24:25], 0
	s_cbranch_scc0 .LBB183_187
; %bb.129:                              ;   in Loop: Header=BB183_10 Depth=1
	s_cvt_f32_u32 s24, s34
	s_sub_nc_u64 s[40:41], 0, s[34:35]
	s_delay_alu instid0(SALU_CYCLE_2) | instskip(NEXT) | instid1(SALU_CYCLE_3)
	s_fmamk_f32 s24, s94, 0x0, s24
	v_s_rcp_f32 s24, s24
	s_delay_alu instid0(TRANS32_DEP_1) | instskip(NEXT) | instid1(SALU_CYCLE_3)
	s_mul_f32 s24, s24, 0x5f7ffffc
	s_mul_f32 s25, s24, 0x2f800000
	s_delay_alu instid0(SALU_CYCLE_3) | instskip(NEXT) | instid1(SALU_CYCLE_3)
	s_trunc_f32 s25, s25
	s_fmamk_f32 s24, s25, 0xcf800000, s24
	s_cvt_u32_f32 s25, s25
	s_delay_alu instid0(SALU_CYCLE_2) | instskip(NEXT) | instid1(SALU_CYCLE_3)
	s_cvt_u32_f32 s24, s24
	s_mul_u64 s[42:43], s[40:41], s[24:25]
	s_delay_alu instid0(SALU_CYCLE_1)
	s_mul_hi_u32 s61, s24, s43
	s_mul_i32 s60, s24, s43
	s_mul_hi_u32 s26, s24, s42
	s_mul_i32 s45, s25, s42
	s_add_nc_u64 s[60:61], s[26:27], s[60:61]
	s_mul_hi_u32 s44, s25, s42
	s_mul_hi_u32 s46, s25, s43
	s_add_co_u32 s26, s60, s45
	s_add_co_ci_u32 s26, s61, s44
	s_mul_i32 s42, s25, s43
	s_add_co_ci_u32 s43, s46, 0
	s_delay_alu instid0(SALU_CYCLE_1) | instskip(NEXT) | instid1(SALU_CYCLE_1)
	s_add_nc_u64 s[42:43], s[26:27], s[42:43]
	s_add_co_u32 s24, s24, s42
	s_cselect_b32 s26, -1, 0
	s_delay_alu instid0(SALU_CYCLE_1) | instskip(SKIP_1) | instid1(SALU_CYCLE_1)
	s_cmp_lg_u32 s26, 0
	s_add_co_ci_u32 s25, s25, s43
	s_mul_u64 s[40:41], s[40:41], s[24:25]
	s_delay_alu instid0(SALU_CYCLE_1)
	s_mul_hi_u32 s43, s24, s41
	s_mul_i32 s42, s24, s41
	s_mul_hi_u32 s26, s24, s40
	s_mul_i32 s45, s25, s40
	s_add_nc_u64 s[42:43], s[26:27], s[42:43]
	s_mul_hi_u32 s44, s25, s40
	s_mul_hi_u32 s46, s25, s41
	s_add_co_u32 s26, s42, s45
	s_add_co_ci_u32 s26, s43, s44
	s_mul_i32 s40, s25, s41
	s_add_co_ci_u32 s41, s46, 0
	s_delay_alu instid0(SALU_CYCLE_1) | instskip(NEXT) | instid1(SALU_CYCLE_1)
	s_add_nc_u64 s[40:41], s[26:27], s[40:41]
	s_add_co_u32 s24, s24, s40
	s_cselect_b32 s40, -1, 0
	s_mul_hi_u32 s26, s22, s24
	s_cmp_lg_u32 s40, 0
	s_mul_hi_u32 s42, s23, s24
	s_add_co_ci_u32 s40, s25, s41
	s_mul_i32 s41, s23, s24
	s_mul_hi_u32 s25, s22, s40
	s_mul_i32 s24, s22, s40
	s_mul_hi_u32 s43, s23, s40
	s_add_nc_u64 s[24:25], s[26:27], s[24:25]
	s_mul_i32 s40, s23, s40
	s_add_co_u32 s24, s24, s41
	s_add_co_ci_u32 s26, s25, s42
	s_add_co_ci_u32 s41, s43, 0
	s_delay_alu instid0(SALU_CYCLE_1) | instskip(NEXT) | instid1(SALU_CYCLE_1)
	s_add_nc_u64 s[24:25], s[26:27], s[40:41]
	s_and_b64 s[40:41], s[24:25], 0xffffffff00000000
	s_delay_alu instid0(SALU_CYCLE_1) | instskip(NEXT) | instid1(SALU_CYCLE_1)
	s_or_b32 s40, s40, s24
	s_mul_u64 s[24:25], s[34:35], s[40:41]
	s_delay_alu instid0(SALU_CYCLE_1) | instskip(SKIP_1) | instid1(SALU_CYCLE_1)
	s_sub_co_u32 s24, s22, s24
	s_cselect_b32 s26, -1, 0
	s_cmp_lg_u32 s26, 0
	s_sub_co_ci_u32 s25, s23, s25
	s_sub_co_u32 s26, s24, s34
	s_cselect_b32 s40, -1, 0
	s_delay_alu instid0(SALU_CYCLE_1) | instskip(SKIP_3) | instid1(SALU_CYCLE_1)
	s_cmp_lg_u32 s40, 0
	s_sub_co_ci_u32 s40, s25, 0
	s_sub_co_u32 s41, s26, s34
	s_cselect_b32 s42, -1, 0
	s_cmp_lg_u32 s42, 0
	s_sub_co_ci_u32 s42, s40, 0
	s_cmp_ge_u32 s26, s34
	s_cselect_b32 s43, -1, 0
	s_cmp_eq_u32 s40, 0
	s_cselect_b32 s43, s43, -1
	s_delay_alu instid0(SALU_CYCLE_1)
	s_cmp_lg_u32 s43, 0
	s_cselect_b32 s40, s42, s40
	s_cselect_b32 s26, s41, s26
	s_cmp_ge_u32 s24, s34
	s_cselect_b32 s41, -1, 0
	s_cmp_eq_u32 s25, 0
	s_cselect_b32 s41, s41, -1
	s_delay_alu instid0(SALU_CYCLE_1)
	s_cmp_lg_u32 s41, 0
	s_cselect_b32 s25, s40, s25
	s_cselect_b32 s24, s26, s24
	s_cbranch_execnz .LBB183_131
.LBB183_130:                            ;   in Loop: Header=BB183_10 Depth=1
	v_cvt_f32_u32_e32 v2, s34
	s_sub_co_i32 s25, 0, s34
	s_delay_alu instid0(VALU_DEP_1) | instskip(SKIP_1) | instid1(TRANS32_DEP_1)
	v_rcp_iflag_f32_e32 v2, v2
	v_nop
	v_mul_f32_e32 v2, 0x4f7ffffe, v2
	s_delay_alu instid0(VALU_DEP_1) | instskip(NEXT) | instid1(VALU_DEP_1)
	v_cvt_u32_f32_e32 v2, v2
	v_readfirstlane_b32 s24, v2
	s_mul_i32 s25, s25, s24
	s_delay_alu instid0(SALU_CYCLE_1) | instskip(NEXT) | instid1(SALU_CYCLE_1)
	s_mul_hi_u32 s25, s24, s25
	s_add_co_i32 s24, s24, s25
	s_delay_alu instid0(SALU_CYCLE_1) | instskip(NEXT) | instid1(SALU_CYCLE_1)
	s_mul_hi_u32 s24, s22, s24
	s_mul_i32 s24, s24, s34
	s_delay_alu instid0(SALU_CYCLE_1) | instskip(NEXT) | instid1(SALU_CYCLE_1)
	s_sub_co_i32 s24, s22, s24
	s_sub_co_i32 s25, s24, s34
	s_cmp_ge_u32 s24, s34
	s_cselect_b32 s24, s25, s24
	s_delay_alu instid0(SALU_CYCLE_1) | instskip(SKIP_2) | instid1(SALU_CYCLE_1)
	s_sub_co_i32 s25, s24, s34
	s_cmp_ge_u32 s24, s34
	s_cselect_b32 s26, s25, s24
	s_mov_b64 s[24:25], s[26:27]
.LBB183_131:                            ;   in Loop: Header=BB183_10 Depth=1
	s_delay_alu instid0(SALU_CYCLE_1)
	s_sub_nc_u64 s[22:23], s[22:23], s[24:25]
	s_mov_b32 s25, 0
	s_mov_b32 s24, 0
	s_mov_b32 s26, exec_lo
                                        ; implicit-def: $vgpr10_vgpr11
	v_cmpx_gt_u64_e64 s[22:23], v[0:1]
	s_cbranch_execz .LBB183_143
; %bb.132:                              ;   in Loop: Header=BB183_10 Depth=1
	v_mov_b64_e32 v[34:35], v[0:1]
	v_mov_b32_e32 v36, v38
                                        ; implicit-def: $sgpr40
	s_branch .LBB183_136
.LBB183_133:                            ;   in Loop: Header=BB183_136 Depth=2
	s_or_b32 exec_lo, exec_lo, s41
	s_wait_dscnt 0x0
	s_barrier_signal -1
	s_barrier_wait -1
	ds_load_b128 v[8:11], v21 offset:3072
	s_wait_dscnt 0x0
	s_barrier_signal -1
	s_barrier_wait -1
	v_cmp_neq_f64_e32 vcc_lo, 0, v[8:9]
	s_cbranch_vccnz .LBB183_139
; %bb.134:                              ;   in Loop: Header=BB183_136 Depth=2
	v_add_nc_u64_e32 v[34:35], s[34:35], v[34:35]
	v_add_nc_u32_e32 v36, s91, v36
	s_mov_b32 s41, 0
	s_delay_alu instid0(VALU_DEP_2)
	v_cmp_le_u64_e32 vcc_lo, s[22:23], v[34:35]
	s_or_not1_b32 s42, vcc_lo, exec_lo
.LBB183_135:                            ;   in Loop: Header=BB183_136 Depth=2
	s_delay_alu instid0(SALU_CYCLE_1) | instskip(NEXT) | instid1(SALU_CYCLE_1)
	s_and_b32 s42, exec_lo, s42
	s_or_b32 s24, s42, s24
	s_and_not1_b32 s40, s40, exec_lo
	s_and_b32 s41, s41, exec_lo
	s_delay_alu instid0(SALU_CYCLE_1)
	s_or_b32 s40, s40, s41
	s_and_not1_b32 exec_lo, exec_lo, s24
	s_cbranch_execz .LBB183_142
.LBB183_136:                            ;   Parent Loop BB183_10 Depth=1
                                        ; =>  This Inner Loop Header: Depth=2
	s_mov_b32 s41, exec_lo
	s_delay_alu instid0(VALU_DEP_2)
	v_cmpx_gt_u64_e64 s[8:9], v[34:35]
	s_cbranch_execz .LBB183_133
; %bb.137:                              ;   in Loop: Header=BB183_136 Depth=2
	ds_load_b64 v[4:5], v36
	s_wait_dscnt 0x0
	v_cmp_o_f64_e32 vcc_lo, v[4:5], v[4:5]
	v_ashrrev_i32_e32 v2, 31, v5
	s_delay_alu instid0(VALU_DEP_1) | instskip(NEXT) | instid1(VALU_DEP_1)
	v_or_b32_e32 v8, 0x80000000, v2
	v_xor_b32_e32 v8, v8, v5
	v_xor_b32_e32 v2, v2, v4
	s_delay_alu instid0(VALU_DEP_1) | instskip(NEXT) | instid1(VALU_DEP_1)
	v_dual_cndmask_b32 v8, -1, v8, vcc_lo :: v_dual_cndmask_b32 v2, -1, v2, vcc_lo
	v_and_b32_e32 v9, v8, v13
	s_delay_alu instid0(VALU_DEP_2) | instskip(NEXT) | instid1(VALU_DEP_1)
	v_and_b32_e32 v8, v2, v12
	v_cmp_eq_u64_e32 vcc_lo, v[8:9], v[14:15]
	s_and_b32 exec_lo, exec_lo, vcc_lo
	s_cbranch_execz .LBB183_133
; %bb.138:                              ;   in Loop: Header=BB183_136 Depth=2
	v_mov_b32_e32 v2, v21
	ds_store_b128 v21, v[2:5] offset:3072
	s_branch .LBB183_133
.LBB183_139:                            ;   in Loop: Header=BB183_136 Depth=2
	s_mov_b32 s42, -1
	s_mov_b32 s41, -1
                                        ; implicit-def: $vgpr34_vgpr35
                                        ; implicit-def: $vgpr36
	s_branch .LBB183_135
.LBB183_140:                            ;   in Loop: Header=BB183_10 Depth=1
                                        ; implicit-def: $sgpr24_sgpr25
	s_branch .LBB183_82
.LBB183_141:                            ;   in Loop: Header=BB183_10 Depth=1
                                        ; implicit-def: $sgpr8_sgpr9
	s_branch .LBB183_100
.LBB183_142:                            ;   in Loop: Header=BB183_10 Depth=1
	s_or_b32 exec_lo, exec_lo, s24
	s_delay_alu instid0(SALU_CYCLE_1)
	s_and_b32 s24, s40, exec_lo
.LBB183_143:                            ;   in Loop: Header=BB183_10 Depth=1
	s_or_b32 exec_lo, exec_lo, s26
.LBB183_144:                            ;   in Loop: Header=BB183_10 Depth=1
	s_delay_alu instid0(SALU_CYCLE_1)
	s_and_b32 vcc_lo, exec_lo, s25
	s_cbranch_vccz .LBB183_159
; %bb.145:                              ;   in Loop: Header=BB183_10 Depth=1
	s_and_b64 s[8:9], s[64:65], 0xffffffff00000000
	s_delay_alu instid0(SALU_CYCLE_1)
	s_cmp_lg_u64 s[8:9], 0
	s_cbranch_scc0 .LBB183_188
; %bb.146:                              ;   in Loop: Header=BB183_10 Depth=1
	s_cvt_f32_u32 s8, s34
	s_sub_nc_u64 s[22:23], 0, s[34:35]
	s_delay_alu instid0(SALU_CYCLE_2) | instskip(NEXT) | instid1(SALU_CYCLE_3)
	s_fmamk_f32 s8, s94, 0x0, s8
	v_s_rcp_f32 s8, s8
	s_delay_alu instid0(TRANS32_DEP_1) | instskip(NEXT) | instid1(SALU_CYCLE_3)
	s_mul_f32 s8, s8, 0x5f7ffffc
	s_mul_f32 s9, s8, 0x2f800000
	s_delay_alu instid0(SALU_CYCLE_3) | instskip(NEXT) | instid1(SALU_CYCLE_3)
	s_trunc_f32 s9, s9
	s_fmamk_f32 s8, s9, 0xcf800000, s8
	s_cvt_u32_f32 s9, s9
	s_delay_alu instid0(SALU_CYCLE_2) | instskip(NEXT) | instid1(SALU_CYCLE_3)
	s_cvt_u32_f32 s8, s8
	s_mul_u64 s[40:41], s[22:23], s[8:9]
	s_delay_alu instid0(SALU_CYCLE_1)
	s_mul_hi_u32 s43, s8, s41
	s_mul_i32 s42, s8, s41
	s_mul_hi_u32 s26, s8, s40
	s_mul_i32 s44, s9, s40
	s_add_nc_u64 s[42:43], s[26:27], s[42:43]
	s_mul_hi_u32 s25, s9, s40
	s_mul_hi_u32 s45, s9, s41
	s_add_co_u32 s26, s42, s44
	s_add_co_ci_u32 s26, s43, s25
	s_mul_i32 s40, s9, s41
	s_add_co_ci_u32 s41, s45, 0
	s_delay_alu instid0(SALU_CYCLE_1) | instskip(NEXT) | instid1(SALU_CYCLE_1)
	s_add_nc_u64 s[40:41], s[26:27], s[40:41]
	s_add_co_u32 s8, s8, s40
	s_cselect_b32 s25, -1, 0
	s_delay_alu instid0(SALU_CYCLE_1) | instskip(SKIP_1) | instid1(SALU_CYCLE_1)
	s_cmp_lg_u32 s25, 0
	s_add_co_ci_u32 s9, s9, s41
	s_mul_u64 s[22:23], s[22:23], s[8:9]
	s_delay_alu instid0(SALU_CYCLE_1)
	s_mul_hi_u32 s41, s8, s23
	s_mul_i32 s40, s8, s23
	s_mul_hi_u32 s26, s8, s22
	s_mul_i32 s42, s9, s22
	s_add_nc_u64 s[40:41], s[26:27], s[40:41]
	s_mul_hi_u32 s25, s9, s22
	s_mul_hi_u32 s43, s9, s23
	s_mul_i32 s22, s9, s23
	s_add_co_u32 s23, s40, s42
	s_add_co_ci_u32 s26, s41, s25
	s_add_co_ci_u32 s23, s43, 0
	s_delay_alu instid0(SALU_CYCLE_1) | instskip(NEXT) | instid1(SALU_CYCLE_1)
	s_add_nc_u64 s[22:23], s[26:27], s[22:23]
	s_add_co_u32 s8, s8, s22
	s_cselect_b32 s22, -1, 0
	s_mul_hi_u32 s26, s64, s8
	s_cmp_lg_u32 s22, 0
	s_mul_hi_u32 s25, s65, s8
	s_add_co_ci_u32 s22, s9, s23
	s_mul_i32 s23, s65, s8
	s_mul_hi_u32 s9, s64, s22
	s_mul_i32 s8, s64, s22
	s_mul_hi_u32 s40, s65, s22
	s_add_nc_u64 s[8:9], s[26:27], s[8:9]
	s_mul_i32 s22, s65, s22
	s_add_co_u32 s8, s8, s23
	s_add_co_ci_u32 s26, s9, s25
	s_add_co_ci_u32 s23, s40, 0
	s_delay_alu instid0(SALU_CYCLE_1) | instskip(NEXT) | instid1(SALU_CYCLE_1)
	s_add_nc_u64 s[8:9], s[26:27], s[22:23]
	s_and_b64 s[22:23], s[8:9], 0xffffffff00000000
	s_delay_alu instid0(SALU_CYCLE_1) | instskip(NEXT) | instid1(SALU_CYCLE_1)
	s_or_b32 s22, s22, s8
	s_mul_u64 s[8:9], s[34:35], s[22:23]
	s_delay_alu instid0(SALU_CYCLE_1) | instskip(SKIP_1) | instid1(SALU_CYCLE_1)
	s_sub_co_u32 s8, s64, s8
	s_cselect_b32 s22, -1, 0
	s_cmp_lg_u32 s22, 0
	s_sub_co_ci_u32 s9, s65, s9
	s_sub_co_u32 s22, s8, s34
	s_cselect_b32 s23, -1, 0
	s_delay_alu instid0(SALU_CYCLE_1) | instskip(SKIP_3) | instid1(SALU_CYCLE_1)
	s_cmp_lg_u32 s23, 0
	s_sub_co_ci_u32 s23, s9, 0
	s_sub_co_u32 s25, s22, s34
	s_cselect_b32 s26, -1, 0
	s_cmp_lg_u32 s26, 0
	s_sub_co_ci_u32 s26, s23, 0
	s_cmp_ge_u32 s22, s34
	s_cselect_b32 s40, -1, 0
	s_cmp_eq_u32 s23, 0
	s_cselect_b32 s40, s40, -1
	s_delay_alu instid0(SALU_CYCLE_1)
	s_cmp_lg_u32 s40, 0
	s_cselect_b32 s23, s26, s23
	s_cselect_b32 s22, s25, s22
	s_cmp_ge_u32 s8, s34
	s_cselect_b32 s25, -1, 0
	s_cmp_eq_u32 s9, 0
	s_cselect_b32 s25, s25, -1
	s_delay_alu instid0(SALU_CYCLE_1)
	s_cmp_lg_u32 s25, 0
	s_cselect_b32 s9, s23, s9
	s_cselect_b32 s8, s22, s8
	s_cbranch_execnz .LBB183_148
.LBB183_147:                            ;   in Loop: Header=BB183_10 Depth=1
	v_cvt_f32_u32_e32 v2, s34
	s_sub_co_i32 s9, 0, s34
	s_delay_alu instid0(VALU_DEP_1) | instskip(SKIP_1) | instid1(TRANS32_DEP_1)
	v_rcp_iflag_f32_e32 v2, v2
	v_nop
	v_mul_f32_e32 v2, 0x4f7ffffe, v2
	s_delay_alu instid0(VALU_DEP_1) | instskip(NEXT) | instid1(VALU_DEP_1)
	v_cvt_u32_f32_e32 v2, v2
	v_readfirstlane_b32 s8, v2
	s_mul_i32 s9, s9, s8
	s_delay_alu instid0(SALU_CYCLE_1) | instskip(NEXT) | instid1(SALU_CYCLE_1)
	s_mul_hi_u32 s9, s8, s9
	s_add_co_i32 s8, s8, s9
	s_delay_alu instid0(SALU_CYCLE_1) | instskip(NEXT) | instid1(SALU_CYCLE_1)
	s_mul_hi_u32 s8, s64, s8
	s_mul_i32 s8, s8, s34
	s_delay_alu instid0(SALU_CYCLE_1) | instskip(NEXT) | instid1(SALU_CYCLE_1)
	s_sub_co_i32 s8, s64, s8
	s_sub_co_i32 s9, s8, s34
	s_cmp_ge_u32 s8, s34
	s_cselect_b32 s8, s9, s8
	s_delay_alu instid0(SALU_CYCLE_1) | instskip(SKIP_2) | instid1(SALU_CYCLE_1)
	s_sub_co_i32 s9, s8, s34
	s_cmp_ge_u32 s8, s34
	s_cselect_b32 s26, s9, s8
	s_mov_b64 s[8:9], s[26:27]
.LBB183_148:                            ;   in Loop: Header=BB183_10 Depth=1
	s_delay_alu instid0(SALU_CYCLE_1)
	s_sub_nc_u64 s[8:9], s[64:65], s[8:9]
	s_mov_b32 s22, exec_lo
                                        ; implicit-def: $vgpr10_vgpr11
	v_nop
	v_cmpx_gt_u64_e64 s[8:9], v[0:1]
	s_cbranch_execz .LBB183_158
; %bb.149:                              ;   in Loop: Header=BB183_10 Depth=1
	v_mov_b64_e32 v[34:35], v[0:1]
	s_mov_b32 s23, 0
                                        ; implicit-def: $sgpr25
	s_branch .LBB183_153
.LBB183_150:                            ;   in Loop: Header=BB183_153 Depth=2
	s_or_b32 exec_lo, exec_lo, s26
	s_wait_dscnt 0x0
	s_barrier_signal -1
	s_barrier_wait -1
	ds_load_b128 v[8:11], v21 offset:3072
	s_wait_dscnt 0x0
	s_barrier_signal -1
	s_barrier_wait -1
	v_cmp_eq_f64_e32 vcc_lo, 0, v[8:9]
	s_cbranch_vccz .LBB183_156
; %bb.151:                              ;   in Loop: Header=BB183_153 Depth=2
	v_add_nc_u64_e32 v[34:35], s[34:35], v[34:35]
	s_mov_b32 s26, 0
	s_delay_alu instid0(VALU_DEP_1)
	v_cmp_le_u64_e32 vcc_lo, s[8:9], v[34:35]
	s_or_not1_b32 s40, vcc_lo, exec_lo
.LBB183_152:                            ;   in Loop: Header=BB183_153 Depth=2
	s_delay_alu instid0(SALU_CYCLE_1) | instskip(NEXT) | instid1(SALU_CYCLE_1)
	s_and_b32 s40, exec_lo, s40
	s_or_b32 s23, s40, s23
	s_and_not1_b32 s25, s25, exec_lo
	s_and_b32 s26, s26, exec_lo
	s_delay_alu instid0(SALU_CYCLE_1)
	s_or_b32 s25, s25, s26
	s_and_not1_b32 exec_lo, exec_lo, s23
	s_cbranch_execz .LBB183_157
.LBB183_153:                            ;   Parent Loop BB183_10 Depth=1
                                        ; =>  This Inner Loop Header: Depth=2
	s_mov_b32 s26, exec_lo
	s_delay_alu instid0(VALU_DEP_1)
	v_cmpx_gt_u64_e64 s[36:37], v[34:35]
	s_cbranch_execz .LBB183_150
; %bb.154:                              ;   in Loop: Header=BB183_153 Depth=2
	v_mul_u64_e32 v[4:5], s[30:31], v[34:35]
	s_delay_alu instid0(VALU_DEP_1) | instskip(SKIP_4) | instid1(VALU_DEP_1)
	v_lshl_add_u64 v[4:5], v[4:5], 3, s[28:29]
	global_load_b64 v[4:5], v[4:5], off
	s_wait_loadcnt 0x0
	v_cmp_o_f64_e32 vcc_lo, v[4:5], v[4:5]
	v_ashrrev_i32_e32 v2, 31, v5
	v_or_b32_e32 v8, 0x80000000, v2
	s_delay_alu instid0(VALU_DEP_1) | instskip(SKIP_1) | instid1(VALU_DEP_1)
	v_xor_b32_e32 v8, v8, v5
	v_xor_b32_e32 v2, v2, v4
	v_dual_cndmask_b32 v8, -1, v8, vcc_lo :: v_dual_cndmask_b32 v2, -1, v2, vcc_lo
	s_delay_alu instid0(VALU_DEP_1) | instskip(NEXT) | instid1(VALU_DEP_2)
	v_and_b32_e32 v9, v8, v13
	v_and_b32_e32 v8, v2, v12
	s_delay_alu instid0(VALU_DEP_1)
	v_cmp_eq_u64_e32 vcc_lo, v[8:9], v[14:15]
	s_and_b32 exec_lo, exec_lo, vcc_lo
	s_cbranch_execz .LBB183_150
; %bb.155:                              ;   in Loop: Header=BB183_153 Depth=2
	v_mov_b32_e32 v2, v21
	ds_store_b128 v21, v[2:5] offset:3072
	s_branch .LBB183_150
.LBB183_156:                            ;   in Loop: Header=BB183_153 Depth=2
	s_mov_b32 s40, -1
	s_mov_b32 s26, -1
                                        ; implicit-def: $vgpr34_vgpr35
	s_branch .LBB183_152
.LBB183_157:                            ;   in Loop: Header=BB183_10 Depth=1
	s_or_b32 exec_lo, exec_lo, s23
	s_delay_alu instid0(SALU_CYCLE_1) | instskip(SKIP_1) | instid1(SALU_CYCLE_1)
	s_and_not1_b32 s8, s24, exec_lo
	s_and_b32 s9, s25, exec_lo
	s_or_b32 s24, s8, s9
.LBB183_158:                            ;   in Loop: Header=BB183_10 Depth=1
	s_or_b32 exec_lo, exec_lo, s22
	s_mov_b32 s72, 0
	s_mov_b32 s77, -1
.LBB183_159:                            ;   in Loop: Header=BB183_10 Depth=1
	s_or_not1_b32 s8, s24, exec_lo
.LBB183_160:                            ;   in Loop: Header=BB183_10 Depth=1
	s_or_b32 exec_lo, exec_lo, s58
	s_mov_b32 s9, 0
	s_and_saveexec_b32 s78, s8
	s_cbranch_execz .LBB183_273
; %bb.161:                              ;   in Loop: Header=BB183_10 Depth=1
	v_mov_b64_e32 v[34:35], 1
	v_mov_b32_e32 v20, 1
	s_xor_b32 s22, s79, -1
	s_delay_alu instid0(SALU_CYCLE_1)
	s_and_saveexec_b32 s8, s22
	s_cbranch_execz .LBB183_170
; %bb.162:                              ;   in Loop: Header=BB183_10 Depth=1
	s_mov_b32 s9, exec_lo
	v_cmpx_ge_u64_e64 s[16:17], v[32:33]
	s_xor_b32 s9, exec_lo, s9
	s_cbranch_execz .LBB183_167
; %bb.163:                              ;   in Loop: Header=BB183_10 Depth=1
	ds_load_b64 v[4:5], v21 offset:5120
	v_and_b32_e32 v2, s15, v15
	v_and_b32_e32 v8, s14, v14
	s_lshl_b64 s[22:23], 1, s92
	v_or_b32_e32 v13, s13, v13
	v_or_b32_e32 v12, s12, v12
	;; [unrolled: 1-line block ×4, first 2 shown]
	s_wait_dscnt 0x0
	v_cmp_ne_u64_e32 vcc_lo, 0, v[4:5]
	s_cbranch_vccnz .LBB183_167
; %bb.164:                              ;   in Loop: Header=BB183_10 Depth=1
	s_and_saveexec_b32 s22, s5
; %bb.165:                              ;   in Loop: Header=BB183_10 Depth=1
	v_mov_b64_e32 v[4:5], s[16:17]
	ds_store_b64 v21, v[4:5] offset:5128
; %bb.166:                              ;   in Loop: Header=BB183_10 Depth=1
	s_or_b32 exec_lo, exec_lo, s22
	s_wait_dscnt 0x0
	s_barrier_signal -1
	s_barrier_wait -1
.LBB183_167:                            ;   in Loop: Header=BB183_10 Depth=1
	s_or_saveexec_b32 s9, s9
	v_mov_b32_e32 v20, 8
	s_mov_b32 s22, 0
	s_xor_b32 exec_lo, exec_lo, s9
; %bb.168:                              ;   in Loop: Header=BB183_10 Depth=1
	v_sub_nc_u64_e64 v[32:33], v[32:33], s[16:17]
	v_mov_b32_e32 v20, 0
	s_mov_b32 s22, exec_lo
; %bb.169:                              ;   in Loop: Header=BB183_10 Depth=1
	s_or_b32 exec_lo, exec_lo, s9
	s_delay_alu instid0(VALU_DEP_2)
	v_mov_b64_e32 v[34:35], v[32:33]
	s_and_b32 s9, s22, exec_lo
.LBB183_170:                            ;   in Loop: Header=BB183_10 Depth=1
	s_or_b32 exec_lo, exec_lo, s8
	s_mov_b32 s8, -1
                                        ; implicit-def: $sgpr80
                                        ; implicit-def: $sgpr81
	s_and_saveexec_b32 s79, s9
	s_cbranch_execz .LBB183_272
; %bb.171:                              ;   in Loop: Header=BB183_10 Depth=1
	s_delay_alu instid0(VALU_DEP_1) | instskip(SKIP_2) | instid1(SALU_CYCLE_1)
	v_cmp_eq_u64_e32 vcc_lo, 1, v[34:35]
	s_cmp_eq_u64 s[18:19], 1
                                        ; implicit-def: $sgpr81
                                        ; implicit-def: $sgpr80
	s_cselect_b32 s8, -1, 0
	s_and_b32 s83, s8, vcc_lo
	s_mov_b32 s8, -1
	s_and_saveexec_b32 s58, s83
	s_cbranch_execz .LBB183_207
; %bb.172:                              ;   in Loop: Header=BB183_10 Depth=1
	ds_load_b64 v[4:5], v21 offset:5120
	s_wait_dscnt 0x0
	s_barrier_signal -1
	s_barrier_wait -1
	v_readfirstlane_b32 s8, v4
	v_readfirstlane_b32 s9, v5
	s_and_saveexec_b32 s22, s6
; %bb.173:                              ;   in Loop: Header=BB183_10 Depth=1
	ds_store_b64 v39, v[26:27]
; %bb.174:                              ;   in Loop: Header=BB183_10 Depth=1
	s_or_b32 exec_lo, exec_lo, s22
	v_and_b32_e32 v2, s15, v15
	v_and_b32_e32 v4, s14, v14
	s_lshl_b64 s[22:23], 2, s92
	v_or_b32_e32 v13, s13, v13
	v_or_b32_e32 v12, s12, v12
	;; [unrolled: 1-line block ×4, first 2 shown]
	s_mov_b32 s80, -1
	s_mov_b32 s81, 0
	s_cmp_eq_u64 s[8:9], 0
	s_mov_b32 s24, 0
	s_mov_b32 s25, -1
	s_wait_dscnt 0x0
	s_barrier_signal -1
	s_barrier_wait -1
                                        ; implicit-def: $vgpr10_vgpr11
	s_cbranch_scc1 .LBB183_191
; %bb.175:                              ;   in Loop: Header=BB183_10 Depth=1
	s_add_nc_u64 s[22:23], s[8:9], s[62:63]
	s_delay_alu instid0(SALU_CYCLE_1) | instskip(NEXT) | instid1(SALU_CYCLE_1)
	s_and_b64 s[24:25], s[22:23], 0xffffffff00000000
	s_cmp_lg_u64 s[24:25], 0
	s_cbranch_scc0 .LBB183_224
; %bb.176:                              ;   in Loop: Header=BB183_10 Depth=1
	s_cvt_f32_u32 s24, s34
	s_sub_nc_u64 s[40:41], 0, s[34:35]
	s_delay_alu instid0(SALU_CYCLE_2) | instskip(NEXT) | instid1(SALU_CYCLE_3)
	s_fmamk_f32 s24, s94, 0x0, s24
	v_s_rcp_f32 s24, s24
	s_delay_alu instid0(TRANS32_DEP_1) | instskip(NEXT) | instid1(SALU_CYCLE_3)
	s_mul_f32 s24, s24, 0x5f7ffffc
	s_mul_f32 s25, s24, 0x2f800000
	s_delay_alu instid0(SALU_CYCLE_3) | instskip(NEXT) | instid1(SALU_CYCLE_3)
	s_trunc_f32 s25, s25
	s_fmamk_f32 s24, s25, 0xcf800000, s24
	s_cvt_u32_f32 s25, s25
	s_delay_alu instid0(SALU_CYCLE_2) | instskip(NEXT) | instid1(SALU_CYCLE_3)
	s_cvt_u32_f32 s24, s24
	s_mul_u64 s[42:43], s[40:41], s[24:25]
	s_delay_alu instid0(SALU_CYCLE_1)
	s_mul_hi_u32 s61, s24, s43
	s_mul_i32 s60, s24, s43
	s_mul_hi_u32 s26, s24, s42
	s_mul_i32 s45, s25, s42
	s_add_nc_u64 s[60:61], s[26:27], s[60:61]
	s_mul_hi_u32 s44, s25, s42
	s_mul_hi_u32 s46, s25, s43
	s_add_co_u32 s26, s60, s45
	s_add_co_ci_u32 s26, s61, s44
	s_mul_i32 s42, s25, s43
	s_add_co_ci_u32 s43, s46, 0
	s_delay_alu instid0(SALU_CYCLE_1) | instskip(NEXT) | instid1(SALU_CYCLE_1)
	s_add_nc_u64 s[42:43], s[26:27], s[42:43]
	s_add_co_u32 s24, s24, s42
	s_cselect_b32 s26, -1, 0
	s_delay_alu instid0(SALU_CYCLE_1) | instskip(SKIP_1) | instid1(SALU_CYCLE_1)
	s_cmp_lg_u32 s26, 0
	s_add_co_ci_u32 s25, s25, s43
	s_mul_u64 s[40:41], s[40:41], s[24:25]
	s_delay_alu instid0(SALU_CYCLE_1)
	s_mul_hi_u32 s43, s24, s41
	s_mul_i32 s42, s24, s41
	s_mul_hi_u32 s26, s24, s40
	s_mul_i32 s45, s25, s40
	s_add_nc_u64 s[42:43], s[26:27], s[42:43]
	s_mul_hi_u32 s44, s25, s40
	s_mul_hi_u32 s46, s25, s41
	s_add_co_u32 s26, s42, s45
	s_add_co_ci_u32 s26, s43, s44
	s_mul_i32 s40, s25, s41
	s_add_co_ci_u32 s41, s46, 0
	s_delay_alu instid0(SALU_CYCLE_1) | instskip(NEXT) | instid1(SALU_CYCLE_1)
	s_add_nc_u64 s[40:41], s[26:27], s[40:41]
	s_add_co_u32 s24, s24, s40
	s_cselect_b32 s40, -1, 0
	s_mul_hi_u32 s26, s22, s24
	s_cmp_lg_u32 s40, 0
	s_mul_hi_u32 s42, s23, s24
	s_add_co_ci_u32 s40, s25, s41
	s_mul_i32 s41, s23, s24
	s_mul_hi_u32 s25, s22, s40
	s_mul_i32 s24, s22, s40
	s_mul_hi_u32 s43, s23, s40
	s_add_nc_u64 s[24:25], s[26:27], s[24:25]
	s_mul_i32 s40, s23, s40
	s_add_co_u32 s24, s24, s41
	s_add_co_ci_u32 s26, s25, s42
	s_add_co_ci_u32 s41, s43, 0
	s_delay_alu instid0(SALU_CYCLE_1) | instskip(NEXT) | instid1(SALU_CYCLE_1)
	s_add_nc_u64 s[24:25], s[26:27], s[40:41]
	s_and_b64 s[40:41], s[24:25], 0xffffffff00000000
	s_delay_alu instid0(SALU_CYCLE_1) | instskip(NEXT) | instid1(SALU_CYCLE_1)
	s_or_b32 s40, s40, s24
	s_mul_u64 s[24:25], s[34:35], s[40:41]
	s_delay_alu instid0(SALU_CYCLE_1) | instskip(SKIP_1) | instid1(SALU_CYCLE_1)
	s_sub_co_u32 s24, s22, s24
	s_cselect_b32 s26, -1, 0
	s_cmp_lg_u32 s26, 0
	s_sub_co_ci_u32 s25, s23, s25
	s_sub_co_u32 s26, s24, s34
	s_cselect_b32 s40, -1, 0
	s_delay_alu instid0(SALU_CYCLE_1) | instskip(SKIP_3) | instid1(SALU_CYCLE_1)
	s_cmp_lg_u32 s40, 0
	s_sub_co_ci_u32 s40, s25, 0
	s_sub_co_u32 s41, s26, s34
	s_cselect_b32 s42, -1, 0
	s_cmp_lg_u32 s42, 0
	s_sub_co_ci_u32 s42, s40, 0
	s_cmp_ge_u32 s26, s34
	s_cselect_b32 s43, -1, 0
	s_cmp_eq_u32 s40, 0
	s_cselect_b32 s43, s43, -1
	s_delay_alu instid0(SALU_CYCLE_1)
	s_cmp_lg_u32 s43, 0
	s_cselect_b32 s40, s42, s40
	s_cselect_b32 s26, s41, s26
	s_cmp_ge_u32 s24, s34
	s_cselect_b32 s41, -1, 0
	s_cmp_eq_u32 s25, 0
	s_cselect_b32 s41, s41, -1
	s_delay_alu instid0(SALU_CYCLE_1)
	s_cmp_lg_u32 s41, 0
	s_cselect_b32 s25, s40, s25
	s_cselect_b32 s24, s26, s24
	s_cbranch_execnz .LBB183_178
.LBB183_177:                            ;   in Loop: Header=BB183_10 Depth=1
	v_cvt_f32_u32_e32 v2, s34
	s_sub_co_i32 s25, 0, s34
	s_delay_alu instid0(VALU_DEP_1) | instskip(SKIP_1) | instid1(TRANS32_DEP_1)
	v_rcp_iflag_f32_e32 v2, v2
	v_nop
	v_mul_f32_e32 v2, 0x4f7ffffe, v2
	s_delay_alu instid0(VALU_DEP_1) | instskip(NEXT) | instid1(VALU_DEP_1)
	v_cvt_u32_f32_e32 v2, v2
	v_readfirstlane_b32 s24, v2
	s_mul_i32 s25, s25, s24
	s_delay_alu instid0(SALU_CYCLE_1) | instskip(NEXT) | instid1(SALU_CYCLE_1)
	s_mul_hi_u32 s25, s24, s25
	s_add_co_i32 s24, s24, s25
	s_delay_alu instid0(SALU_CYCLE_1) | instskip(NEXT) | instid1(SALU_CYCLE_1)
	s_mul_hi_u32 s24, s22, s24
	s_mul_i32 s24, s24, s34
	s_delay_alu instid0(SALU_CYCLE_1) | instskip(NEXT) | instid1(SALU_CYCLE_1)
	s_sub_co_i32 s24, s22, s24
	s_sub_co_i32 s25, s24, s34
	s_cmp_ge_u32 s24, s34
	s_cselect_b32 s24, s25, s24
	s_delay_alu instid0(SALU_CYCLE_1) | instskip(SKIP_2) | instid1(SALU_CYCLE_1)
	s_sub_co_i32 s25, s24, s34
	s_cmp_ge_u32 s24, s34
	s_cselect_b32 s26, s25, s24
	s_mov_b64 s[24:25], s[26:27]
.LBB183_178:                            ;   in Loop: Header=BB183_10 Depth=1
	s_delay_alu instid0(SALU_CYCLE_1)
	s_sub_nc_u64 s[22:23], s[22:23], s[24:25]
	s_mov_b32 s25, 0
	s_mov_b32 s24, 0
	s_mov_b32 s26, exec_lo
                                        ; implicit-def: $vgpr10_vgpr11
	v_cmpx_gt_u64_e64 s[22:23], v[0:1]
	s_cbranch_execz .LBB183_190
; %bb.179:                              ;   in Loop: Header=BB183_10 Depth=1
	v_mov_b64_e32 v[32:33], v[0:1]
	v_mov_b32_e32 v36, v38
                                        ; implicit-def: $sgpr59
	s_branch .LBB183_183
.LBB183_180:                            ;   in Loop: Header=BB183_183 Depth=2
	s_or_b32 exec_lo, exec_lo, s40
	s_wait_dscnt 0x0
	s_barrier_signal -1
	s_barrier_wait -1
	ds_load_b128 v[8:11], v21 offset:3072
	s_wait_dscnt 0x0
	s_barrier_signal -1
	s_barrier_wait -1
	v_cmp_neq_f64_e32 vcc_lo, 0, v[8:9]
	s_cbranch_vccnz .LBB183_186
; %bb.181:                              ;   in Loop: Header=BB183_183 Depth=2
	v_add_nc_u64_e32 v[32:33], s[34:35], v[32:33]
	v_add_nc_u32_e32 v36, s91, v36
	s_mov_b32 s40, 0
	s_delay_alu instid0(VALU_DEP_2)
	v_cmp_le_u64_e32 vcc_lo, s[22:23], v[32:33]
	s_or_not1_b32 s41, vcc_lo, exec_lo
.LBB183_182:                            ;   in Loop: Header=BB183_183 Depth=2
	s_delay_alu instid0(SALU_CYCLE_1) | instskip(NEXT) | instid1(SALU_CYCLE_1)
	s_and_b32 s41, exec_lo, s41
	s_or_b32 s24, s41, s24
	s_and_not1_b32 s41, s59, exec_lo
	s_and_b32 s40, s40, exec_lo
	s_delay_alu instid0(SALU_CYCLE_1)
	s_or_b32 s59, s41, s40
	s_and_not1_b32 exec_lo, exec_lo, s24
	s_cbranch_execz .LBB183_189
.LBB183_183:                            ;   Parent Loop BB183_10 Depth=1
                                        ; =>  This Inner Loop Header: Depth=2
	s_mov_b32 s40, exec_lo
	s_delay_alu instid0(VALU_DEP_2)
	v_cmpx_gt_u64_e64 s[8:9], v[32:33]
	s_cbranch_execz .LBB183_180
; %bb.184:                              ;   in Loop: Header=BB183_183 Depth=2
	ds_load_b64 v[4:5], v36
	s_wait_dscnt 0x0
	v_cmp_o_f64_e32 vcc_lo, v[4:5], v[4:5]
	v_ashrrev_i32_e32 v2, 31, v5
	s_delay_alu instid0(VALU_DEP_1) | instskip(NEXT) | instid1(VALU_DEP_1)
	v_or_b32_e32 v8, 0x80000000, v2
	v_xor_b32_e32 v8, v8, v5
	v_xor_b32_e32 v2, v2, v4
	s_delay_alu instid0(VALU_DEP_1) | instskip(NEXT) | instid1(VALU_DEP_1)
	v_dual_cndmask_b32 v8, -1, v8, vcc_lo :: v_dual_cndmask_b32 v2, -1, v2, vcc_lo
	v_and_b32_e32 v9, v8, v13
	s_delay_alu instid0(VALU_DEP_2) | instskip(NEXT) | instid1(VALU_DEP_1)
	v_and_b32_e32 v8, v2, v12
	v_cmp_eq_u64_e32 vcc_lo, v[8:9], v[14:15]
	s_and_b32 exec_lo, exec_lo, vcc_lo
	s_cbranch_execz .LBB183_180
; %bb.185:                              ;   in Loop: Header=BB183_183 Depth=2
	v_mov_b32_e32 v2, v21
	ds_store_b128 v21, v[2:5] offset:3072
	s_branch .LBB183_180
.LBB183_186:                            ;   in Loop: Header=BB183_183 Depth=2
	s_mov_b32 s41, -1
	s_mov_b32 s40, -1
                                        ; implicit-def: $vgpr32_vgpr33
                                        ; implicit-def: $vgpr36
	s_branch .LBB183_182
.LBB183_187:                            ;   in Loop: Header=BB183_10 Depth=1
                                        ; implicit-def: $sgpr24_sgpr25
	s_branch .LBB183_130
.LBB183_188:                            ;   in Loop: Header=BB183_10 Depth=1
                                        ; implicit-def: $sgpr8_sgpr9
	s_branch .LBB183_147
.LBB183_189:                            ;   in Loop: Header=BB183_10 Depth=1
	s_or_b32 exec_lo, exec_lo, s24
	s_delay_alu instid0(SALU_CYCLE_1)
	s_and_b32 s24, s59, exec_lo
.LBB183_190:                            ;   in Loop: Header=BB183_10 Depth=1
	s_or_b32 exec_lo, exec_lo, s26
.LBB183_191:                            ;   in Loop: Header=BB183_10 Depth=1
	s_delay_alu instid0(SALU_CYCLE_1)
	s_and_b32 vcc_lo, exec_lo, s25
	s_cbranch_vccz .LBB183_206
; %bb.192:                              ;   in Loop: Header=BB183_10 Depth=1
	s_and_b64 s[8:9], s[64:65], 0xffffffff00000000
	s_delay_alu instid0(SALU_CYCLE_1)
	s_cmp_lg_u64 s[8:9], 0
	s_cbranch_scc0 .LBB183_225
; %bb.193:                              ;   in Loop: Header=BB183_10 Depth=1
	s_cvt_f32_u32 s8, s34
	s_sub_nc_u64 s[22:23], 0, s[34:35]
	s_delay_alu instid0(SALU_CYCLE_2) | instskip(NEXT) | instid1(SALU_CYCLE_3)
	s_fmamk_f32 s8, s94, 0x0, s8
	v_s_rcp_f32 s8, s8
	s_delay_alu instid0(TRANS32_DEP_1) | instskip(NEXT) | instid1(SALU_CYCLE_3)
	s_mul_f32 s8, s8, 0x5f7ffffc
	s_mul_f32 s9, s8, 0x2f800000
	s_delay_alu instid0(SALU_CYCLE_3) | instskip(NEXT) | instid1(SALU_CYCLE_3)
	s_trunc_f32 s9, s9
	s_fmamk_f32 s8, s9, 0xcf800000, s8
	s_cvt_u32_f32 s9, s9
	s_delay_alu instid0(SALU_CYCLE_2) | instskip(NEXT) | instid1(SALU_CYCLE_3)
	s_cvt_u32_f32 s8, s8
	s_mul_u64 s[40:41], s[22:23], s[8:9]
	s_delay_alu instid0(SALU_CYCLE_1)
	s_mul_hi_u32 s43, s8, s41
	s_mul_i32 s42, s8, s41
	s_mul_hi_u32 s26, s8, s40
	s_mul_i32 s44, s9, s40
	s_add_nc_u64 s[42:43], s[26:27], s[42:43]
	s_mul_hi_u32 s25, s9, s40
	s_mul_hi_u32 s45, s9, s41
	s_add_co_u32 s26, s42, s44
	s_add_co_ci_u32 s26, s43, s25
	s_mul_i32 s40, s9, s41
	s_add_co_ci_u32 s41, s45, 0
	s_delay_alu instid0(SALU_CYCLE_1) | instskip(NEXT) | instid1(SALU_CYCLE_1)
	s_add_nc_u64 s[40:41], s[26:27], s[40:41]
	s_add_co_u32 s8, s8, s40
	s_cselect_b32 s25, -1, 0
	s_delay_alu instid0(SALU_CYCLE_1) | instskip(SKIP_1) | instid1(SALU_CYCLE_1)
	s_cmp_lg_u32 s25, 0
	s_add_co_ci_u32 s9, s9, s41
	s_mul_u64 s[22:23], s[22:23], s[8:9]
	s_delay_alu instid0(SALU_CYCLE_1)
	s_mul_hi_u32 s41, s8, s23
	s_mul_i32 s40, s8, s23
	s_mul_hi_u32 s26, s8, s22
	s_mul_i32 s42, s9, s22
	s_add_nc_u64 s[40:41], s[26:27], s[40:41]
	s_mul_hi_u32 s25, s9, s22
	s_mul_hi_u32 s43, s9, s23
	s_mul_i32 s22, s9, s23
	s_add_co_u32 s23, s40, s42
	s_add_co_ci_u32 s26, s41, s25
	s_add_co_ci_u32 s23, s43, 0
	s_delay_alu instid0(SALU_CYCLE_1) | instskip(NEXT) | instid1(SALU_CYCLE_1)
	s_add_nc_u64 s[22:23], s[26:27], s[22:23]
	s_add_co_u32 s8, s8, s22
	s_cselect_b32 s22, -1, 0
	s_mul_hi_u32 s26, s64, s8
	s_cmp_lg_u32 s22, 0
	s_mul_hi_u32 s25, s65, s8
	s_add_co_ci_u32 s22, s9, s23
	s_mul_i32 s23, s65, s8
	s_mul_hi_u32 s9, s64, s22
	s_mul_i32 s8, s64, s22
	s_mul_hi_u32 s40, s65, s22
	s_add_nc_u64 s[8:9], s[26:27], s[8:9]
	s_mul_i32 s22, s65, s22
	s_add_co_u32 s8, s8, s23
	s_add_co_ci_u32 s26, s9, s25
	s_add_co_ci_u32 s23, s40, 0
	s_delay_alu instid0(SALU_CYCLE_1) | instskip(NEXT) | instid1(SALU_CYCLE_1)
	s_add_nc_u64 s[8:9], s[26:27], s[22:23]
	s_and_b64 s[22:23], s[8:9], 0xffffffff00000000
	s_delay_alu instid0(SALU_CYCLE_1) | instskip(NEXT) | instid1(SALU_CYCLE_1)
	s_or_b32 s22, s22, s8
	s_mul_u64 s[8:9], s[34:35], s[22:23]
	s_delay_alu instid0(SALU_CYCLE_1) | instskip(SKIP_1) | instid1(SALU_CYCLE_1)
	s_sub_co_u32 s8, s64, s8
	s_cselect_b32 s22, -1, 0
	s_cmp_lg_u32 s22, 0
	s_sub_co_ci_u32 s9, s65, s9
	s_sub_co_u32 s22, s8, s34
	s_cselect_b32 s23, -1, 0
	s_delay_alu instid0(SALU_CYCLE_1) | instskip(SKIP_3) | instid1(SALU_CYCLE_1)
	s_cmp_lg_u32 s23, 0
	s_sub_co_ci_u32 s23, s9, 0
	s_sub_co_u32 s25, s22, s34
	s_cselect_b32 s26, -1, 0
	s_cmp_lg_u32 s26, 0
	s_sub_co_ci_u32 s26, s23, 0
	s_cmp_ge_u32 s22, s34
	s_cselect_b32 s40, -1, 0
	s_cmp_eq_u32 s23, 0
	s_cselect_b32 s40, s40, -1
	s_delay_alu instid0(SALU_CYCLE_1)
	s_cmp_lg_u32 s40, 0
	s_cselect_b32 s23, s26, s23
	s_cselect_b32 s22, s25, s22
	s_cmp_ge_u32 s8, s34
	s_cselect_b32 s25, -1, 0
	s_cmp_eq_u32 s9, 0
	s_cselect_b32 s25, s25, -1
	s_delay_alu instid0(SALU_CYCLE_1)
	s_cmp_lg_u32 s25, 0
	s_cselect_b32 s9, s23, s9
	s_cselect_b32 s8, s22, s8
	s_cbranch_execnz .LBB183_195
.LBB183_194:                            ;   in Loop: Header=BB183_10 Depth=1
	v_cvt_f32_u32_e32 v2, s34
	s_sub_co_i32 s9, 0, s34
	s_delay_alu instid0(VALU_DEP_1) | instskip(SKIP_1) | instid1(TRANS32_DEP_1)
	v_rcp_iflag_f32_e32 v2, v2
	v_nop
	v_mul_f32_e32 v2, 0x4f7ffffe, v2
	s_delay_alu instid0(VALU_DEP_1) | instskip(NEXT) | instid1(VALU_DEP_1)
	v_cvt_u32_f32_e32 v2, v2
	v_readfirstlane_b32 s8, v2
	s_mul_i32 s9, s9, s8
	s_delay_alu instid0(SALU_CYCLE_1) | instskip(NEXT) | instid1(SALU_CYCLE_1)
	s_mul_hi_u32 s9, s8, s9
	s_add_co_i32 s8, s8, s9
	s_delay_alu instid0(SALU_CYCLE_1) | instskip(NEXT) | instid1(SALU_CYCLE_1)
	s_mul_hi_u32 s8, s64, s8
	s_mul_i32 s8, s8, s34
	s_delay_alu instid0(SALU_CYCLE_1) | instskip(NEXT) | instid1(SALU_CYCLE_1)
	s_sub_co_i32 s8, s64, s8
	s_sub_co_i32 s9, s8, s34
	s_cmp_ge_u32 s8, s34
	s_cselect_b32 s8, s9, s8
	s_delay_alu instid0(SALU_CYCLE_1) | instskip(SKIP_2) | instid1(SALU_CYCLE_1)
	s_sub_co_i32 s9, s8, s34
	s_cmp_ge_u32 s8, s34
	s_cselect_b32 s26, s9, s8
	s_mov_b64 s[8:9], s[26:27]
.LBB183_195:                            ;   in Loop: Header=BB183_10 Depth=1
	s_delay_alu instid0(SALU_CYCLE_1)
	s_sub_nc_u64 s[8:9], s[64:65], s[8:9]
	s_mov_b32 s22, exec_lo
                                        ; implicit-def: $vgpr10_vgpr11
	v_nop
	v_cmpx_gt_u64_e64 s[8:9], v[0:1]
	s_cbranch_execz .LBB183_205
; %bb.196:                              ;   in Loop: Header=BB183_10 Depth=1
	v_mov_b64_e32 v[32:33], v[0:1]
	s_mov_b32 s23, 0
                                        ; implicit-def: $sgpr25
	s_branch .LBB183_200
.LBB183_197:                            ;   in Loop: Header=BB183_200 Depth=2
	s_or_b32 exec_lo, exec_lo, s26
	s_wait_dscnt 0x0
	s_barrier_signal -1
	s_barrier_wait -1
	ds_load_b128 v[8:11], v21 offset:3072
	s_wait_dscnt 0x0
	s_barrier_signal -1
	s_barrier_wait -1
	v_cmp_eq_f64_e32 vcc_lo, 0, v[8:9]
	s_cbranch_vccz .LBB183_203
; %bb.198:                              ;   in Loop: Header=BB183_200 Depth=2
	v_add_nc_u64_e32 v[32:33], s[34:35], v[32:33]
	s_mov_b32 s26, 0
	s_delay_alu instid0(VALU_DEP_1)
	v_cmp_le_u64_e32 vcc_lo, s[8:9], v[32:33]
	s_or_not1_b32 s40, vcc_lo, exec_lo
.LBB183_199:                            ;   in Loop: Header=BB183_200 Depth=2
	s_delay_alu instid0(SALU_CYCLE_1) | instskip(NEXT) | instid1(SALU_CYCLE_1)
	s_and_b32 s40, exec_lo, s40
	s_or_b32 s23, s40, s23
	s_and_not1_b32 s25, s25, exec_lo
	s_and_b32 s26, s26, exec_lo
	s_delay_alu instid0(SALU_CYCLE_1)
	s_or_b32 s25, s25, s26
	s_and_not1_b32 exec_lo, exec_lo, s23
	s_cbranch_execz .LBB183_204
.LBB183_200:                            ;   Parent Loop BB183_10 Depth=1
                                        ; =>  This Inner Loop Header: Depth=2
	s_mov_b32 s26, exec_lo
	s_delay_alu instid0(VALU_DEP_1)
	v_cmpx_gt_u64_e64 s[36:37], v[32:33]
	s_cbranch_execz .LBB183_197
; %bb.201:                              ;   in Loop: Header=BB183_200 Depth=2
	v_mul_u64_e32 v[4:5], s[30:31], v[32:33]
	s_delay_alu instid0(VALU_DEP_1) | instskip(SKIP_4) | instid1(VALU_DEP_1)
	v_lshl_add_u64 v[4:5], v[4:5], 3, s[28:29]
	global_load_b64 v[4:5], v[4:5], off
	s_wait_loadcnt 0x0
	v_cmp_o_f64_e32 vcc_lo, v[4:5], v[4:5]
	v_ashrrev_i32_e32 v2, 31, v5
	v_or_b32_e32 v8, 0x80000000, v2
	s_delay_alu instid0(VALU_DEP_1) | instskip(SKIP_1) | instid1(VALU_DEP_1)
	v_xor_b32_e32 v8, v8, v5
	v_xor_b32_e32 v2, v2, v4
	v_dual_cndmask_b32 v8, -1, v8, vcc_lo :: v_dual_cndmask_b32 v2, -1, v2, vcc_lo
	s_delay_alu instid0(VALU_DEP_1) | instskip(NEXT) | instid1(VALU_DEP_2)
	v_and_b32_e32 v9, v8, v13
	v_and_b32_e32 v8, v2, v12
	s_delay_alu instid0(VALU_DEP_1)
	v_cmp_eq_u64_e32 vcc_lo, v[8:9], v[14:15]
	s_and_b32 exec_lo, exec_lo, vcc_lo
	s_cbranch_execz .LBB183_197
; %bb.202:                              ;   in Loop: Header=BB183_200 Depth=2
	v_mov_b32_e32 v2, v21
	ds_store_b128 v21, v[2:5] offset:3072
	s_branch .LBB183_197
.LBB183_203:                            ;   in Loop: Header=BB183_200 Depth=2
	s_mov_b32 s40, -1
	s_mov_b32 s26, -1
                                        ; implicit-def: $vgpr32_vgpr33
	s_branch .LBB183_199
.LBB183_204:                            ;   in Loop: Header=BB183_10 Depth=1
	s_or_b32 exec_lo, exec_lo, s23
	s_delay_alu instid0(SALU_CYCLE_1) | instskip(SKIP_1) | instid1(SALU_CYCLE_1)
	s_and_not1_b32 s8, s24, exec_lo
	s_and_b32 s9, s25, exec_lo
	s_or_b32 s24, s8, s9
.LBB183_205:                            ;   in Loop: Header=BB183_10 Depth=1
	s_or_b32 exec_lo, exec_lo, s22
	s_mov_b32 s80, 0
	s_mov_b32 s81, -1
.LBB183_206:                            ;   in Loop: Header=BB183_10 Depth=1
	s_or_not1_b32 s8, s24, exec_lo
.LBB183_207:                            ;   in Loop: Header=BB183_10 Depth=1
	s_or_b32 exec_lo, exec_lo, s58
	s_mov_b32 s9, 0
	s_and_saveexec_b32 s82, s8
	s_cbranch_execz .LBB183_271
; %bb.208:                              ;   in Loop: Header=BB183_10 Depth=1
	v_mov_b64_e32 v[32:33], 1
	v_mov_b32_e32 v20, 1
	s_xor_b32 s22, s83, -1
	s_delay_alu instid0(SALU_CYCLE_1)
	s_and_saveexec_b32 s8, s22
	s_cbranch_execz .LBB183_217
; %bb.209:                              ;   in Loop: Header=BB183_10 Depth=1
	s_mov_b32 s9, exec_lo
	v_cmpx_ge_u64_e64 s[18:19], v[34:35]
	s_xor_b32 s9, exec_lo, s9
	s_cbranch_execz .LBB183_214
; %bb.210:                              ;   in Loop: Header=BB183_10 Depth=1
	ds_load_b64 v[4:5], v21 offset:5120
	v_and_b32_e32 v2, s15, v15
	v_and_b32_e32 v8, s14, v14
	s_lshl_b64 s[22:23], 2, s92
	v_or_b32_e32 v13, s13, v13
	v_or_b32_e32 v12, s12, v12
	;; [unrolled: 1-line block ×4, first 2 shown]
	s_wait_dscnt 0x0
	v_cmp_ne_u64_e32 vcc_lo, 0, v[4:5]
	s_cbranch_vccnz .LBB183_214
; %bb.211:                              ;   in Loop: Header=BB183_10 Depth=1
	s_and_saveexec_b32 s22, s5
; %bb.212:                              ;   in Loop: Header=BB183_10 Depth=1
	v_mov_b64_e32 v[4:5], s[18:19]
	ds_store_b64 v21, v[4:5] offset:5128
; %bb.213:                              ;   in Loop: Header=BB183_10 Depth=1
	s_or_b32 exec_lo, exec_lo, s22
	s_wait_dscnt 0x0
	s_barrier_signal -1
	s_barrier_wait -1
.LBB183_214:                            ;   in Loop: Header=BB183_10 Depth=1
	s_or_saveexec_b32 s9, s9
	v_mov_b32_e32 v20, 8
	s_mov_b32 s22, 0
	s_xor_b32 exec_lo, exec_lo, s9
; %bb.215:                              ;   in Loop: Header=BB183_10 Depth=1
	v_sub_nc_u64_e64 v[34:35], v[34:35], s[18:19]
	v_mov_b32_e32 v20, 0
	s_mov_b32 s22, exec_lo
; %bb.216:                              ;   in Loop: Header=BB183_10 Depth=1
	s_or_b32 exec_lo, exec_lo, s9
	s_delay_alu instid0(VALU_DEP_2)
	v_mov_b64_e32 v[32:33], v[34:35]
	s_and_b32 s9, s22, exec_lo
.LBB183_217:                            ;   in Loop: Header=BB183_10 Depth=1
	s_or_b32 exec_lo, exec_lo, s8
	s_mov_b32 s8, -1
                                        ; implicit-def: $sgpr61
                                        ; implicit-def: $sgpr60
	s_and_saveexec_b32 s83, s9
	s_cbranch_execz .LBB183_270
; %bb.218:                              ;   in Loop: Header=BB183_10 Depth=1
	s_delay_alu instid0(VALU_DEP_1) | instskip(SKIP_3) | instid1(SALU_CYCLE_1)
	v_cmp_eq_u64_e32 vcc_lo, 1, v[32:33]
	s_cmp_eq_u64 s[20:21], 1
	s_mov_b32 s9, -1
	s_cselect_b32 s8, -1, 0
                                        ; implicit-def: $sgpr61
                                        ; implicit-def: $sgpr60
	s_and_b32 s58, s8, vcc_lo
	s_delay_alu instid0(SALU_CYCLE_1)
	s_and_saveexec_b32 s59, s58
	s_cbranch_execz .LBB183_258
; %bb.219:                              ;   in Loop: Header=BB183_10 Depth=1
	ds_load_b64 v[4:5], v21 offset:5120
	s_wait_dscnt 0x0
	s_barrier_signal -1
	s_barrier_wait -1
	v_readfirstlane_b32 s8, v4
	v_readfirstlane_b32 s9, v5
	s_and_saveexec_b32 s22, s6
; %bb.220:                              ;   in Loop: Header=BB183_10 Depth=1
	ds_store_b64 v39, v[26:27]
; %bb.221:                              ;   in Loop: Header=BB183_10 Depth=1
	s_or_b32 exec_lo, exec_lo, s22
	v_or_b32_e32 v15, s13, v15
	v_or_b32_e32 v14, s12, v14
	;; [unrolled: 1-line block ×4, first 2 shown]
	s_mov_b32 s60, -1
	s_mov_b32 s61, 0
	s_cmp_eq_u64 s[8:9], 0
	s_mov_b32 s24, 0
	s_mov_b32 s25, -1
	s_wait_dscnt 0x0
	s_barrier_signal -1
	s_barrier_wait -1
                                        ; implicit-def: $vgpr10_vgpr11
	s_cbranch_scc1 .LBB183_240
; %bb.222:                              ;   in Loop: Header=BB183_10 Depth=1
	s_add_nc_u64 s[22:23], s[8:9], s[62:63]
	s_delay_alu instid0(SALU_CYCLE_1) | instskip(NEXT) | instid1(SALU_CYCLE_1)
	s_and_b64 s[24:25], s[22:23], 0xffffffff00000000
	s_cmp_lg_u64 s[24:25], 0
	s_cbranch_scc0 .LBB183_226
; %bb.223:                              ;   in Loop: Header=BB183_10 Depth=1
	s_cvt_f32_u32 s24, s34
	s_sub_nc_u64 s[40:41], 0, s[34:35]
	s_delay_alu instid0(SALU_CYCLE_2) | instskip(NEXT) | instid1(SALU_CYCLE_3)
	s_fmamk_f32 s24, s94, 0x0, s24
	v_s_rcp_f32 s24, s24
	s_delay_alu instid0(TRANS32_DEP_1) | instskip(NEXT) | instid1(SALU_CYCLE_3)
	s_mul_f32 s24, s24, 0x5f7ffffc
	s_mul_f32 s25, s24, 0x2f800000
	s_delay_alu instid0(SALU_CYCLE_3) | instskip(NEXT) | instid1(SALU_CYCLE_3)
	s_trunc_f32 s25, s25
	s_fmamk_f32 s24, s25, 0xcf800000, s24
	s_cvt_u32_f32 s25, s25
	s_delay_alu instid0(SALU_CYCLE_2) | instskip(NEXT) | instid1(SALU_CYCLE_3)
	s_cvt_u32_f32 s24, s24
	s_mul_u64 s[42:43], s[40:41], s[24:25]
	s_delay_alu instid0(SALU_CYCLE_1)
	s_mul_hi_u32 s45, s24, s43
	s_mul_i32 s44, s24, s43
	s_mul_hi_u32 s26, s24, s42
	s_mul_i32 s47, s25, s42
	s_add_nc_u64 s[44:45], s[26:27], s[44:45]
	s_mul_hi_u32 s46, s25, s42
	s_mul_hi_u32 vcc_lo, s25, s43
	s_add_co_u32 s26, s44, s47
	s_add_co_ci_u32 s26, s45, s46
	s_mul_i32 s42, s25, s43
	s_add_co_ci_u32 s43, vcc_lo, 0
	s_delay_alu instid0(SALU_CYCLE_1) | instskip(NEXT) | instid1(SALU_CYCLE_1)
	s_add_nc_u64 s[42:43], s[26:27], s[42:43]
	s_add_co_u32 s24, s24, s42
	s_cselect_b32 s26, -1, 0
	s_delay_alu instid0(SALU_CYCLE_1) | instskip(SKIP_1) | instid1(SALU_CYCLE_1)
	s_cmp_lg_u32 s26, 0
	s_add_co_ci_u32 s25, s25, s43
	s_mul_u64 s[40:41], s[40:41], s[24:25]
	s_delay_alu instid0(SALU_CYCLE_1)
	s_mul_hi_u32 s43, s24, s41
	s_mul_i32 s42, s24, s41
	s_mul_hi_u32 s26, s24, s40
	s_mul_i32 s45, s25, s40
	s_add_nc_u64 s[42:43], s[26:27], s[42:43]
	s_mul_hi_u32 s44, s25, s40
	s_mul_hi_u32 s46, s25, s41
	s_add_co_u32 s26, s42, s45
	s_add_co_ci_u32 s26, s43, s44
	s_mul_i32 s40, s25, s41
	s_add_co_ci_u32 s41, s46, 0
	s_delay_alu instid0(SALU_CYCLE_1) | instskip(NEXT) | instid1(SALU_CYCLE_1)
	s_add_nc_u64 s[40:41], s[26:27], s[40:41]
	s_add_co_u32 s24, s24, s40
	s_cselect_b32 s40, -1, 0
	s_mul_hi_u32 s26, s22, s24
	s_cmp_lg_u32 s40, 0
	s_mul_hi_u32 s42, s23, s24
	s_add_co_ci_u32 s40, s25, s41
	s_mul_i32 s41, s23, s24
	s_mul_hi_u32 s25, s22, s40
	s_mul_i32 s24, s22, s40
	s_mul_hi_u32 s43, s23, s40
	s_add_nc_u64 s[24:25], s[26:27], s[24:25]
	s_mul_i32 s40, s23, s40
	s_add_co_u32 s24, s24, s41
	s_add_co_ci_u32 s26, s25, s42
	s_add_co_ci_u32 s41, s43, 0
	s_delay_alu instid0(SALU_CYCLE_1) | instskip(NEXT) | instid1(SALU_CYCLE_1)
	s_add_nc_u64 s[24:25], s[26:27], s[40:41]
	s_and_b64 s[40:41], s[24:25], 0xffffffff00000000
	s_delay_alu instid0(SALU_CYCLE_1) | instskip(NEXT) | instid1(SALU_CYCLE_1)
	s_or_b32 s40, s40, s24
	s_mul_u64 s[24:25], s[34:35], s[40:41]
	s_delay_alu instid0(SALU_CYCLE_1) | instskip(SKIP_1) | instid1(SALU_CYCLE_1)
	s_sub_co_u32 s24, s22, s24
	s_cselect_b32 s26, -1, 0
	s_cmp_lg_u32 s26, 0
	s_sub_co_ci_u32 s25, s23, s25
	s_sub_co_u32 s26, s24, s34
	s_cselect_b32 s40, -1, 0
	s_delay_alu instid0(SALU_CYCLE_1) | instskip(SKIP_3) | instid1(SALU_CYCLE_1)
	s_cmp_lg_u32 s40, 0
	s_sub_co_ci_u32 s40, s25, 0
	s_sub_co_u32 s41, s26, s34
	s_cselect_b32 s42, -1, 0
	s_cmp_lg_u32 s42, 0
	s_sub_co_ci_u32 s42, s40, 0
	s_cmp_ge_u32 s26, s34
	s_cselect_b32 s43, -1, 0
	s_cmp_eq_u32 s40, 0
	s_cselect_b32 s43, s43, -1
	s_delay_alu instid0(SALU_CYCLE_1)
	s_cmp_lg_u32 s43, 0
	s_cselect_b32 s40, s42, s40
	s_cselect_b32 s26, s41, s26
	s_cmp_ge_u32 s24, s34
	s_cselect_b32 s41, -1, 0
	s_cmp_eq_u32 s25, 0
	s_cselect_b32 s41, s41, -1
	s_delay_alu instid0(SALU_CYCLE_1)
	s_cmp_lg_u32 s41, 0
	s_cselect_b32 s25, s40, s25
	s_cselect_b32 s24, s26, s24
	s_mov_b32 s26, 0
	s_branch .LBB183_227
.LBB183_224:                            ;   in Loop: Header=BB183_10 Depth=1
                                        ; implicit-def: $sgpr24_sgpr25
	s_branch .LBB183_177
.LBB183_225:                            ;   in Loop: Header=BB183_10 Depth=1
                                        ; implicit-def: $sgpr8_sgpr9
	s_branch .LBB183_194
.LBB183_226:                            ;   in Loop: Header=BB183_10 Depth=1
	s_mov_b32 s26, -1
                                        ; implicit-def: $sgpr24_sgpr25
.LBB183_227:                            ;   in Loop: Header=BB183_10 Depth=1
	s_delay_alu instid0(SALU_CYCLE_1)
	s_and_not1_b32 vcc_lo, exec_lo, s26
	s_cbranch_vccnz .LBB183_229
; %bb.228:                              ;   in Loop: Header=BB183_10 Depth=1
	v_cvt_f32_u32_e32 v2, s34
	s_sub_co_i32 s25, 0, s34
	s_delay_alu instid0(VALU_DEP_1) | instskip(SKIP_1) | instid1(TRANS32_DEP_1)
	v_rcp_iflag_f32_e32 v2, v2
	v_nop
	v_mul_f32_e32 v2, 0x4f7ffffe, v2
	s_delay_alu instid0(VALU_DEP_1) | instskip(NEXT) | instid1(VALU_DEP_1)
	v_cvt_u32_f32_e32 v2, v2
	v_readfirstlane_b32 s24, v2
	s_mul_i32 s25, s25, s24
	s_delay_alu instid0(SALU_CYCLE_1) | instskip(NEXT) | instid1(SALU_CYCLE_1)
	s_mul_hi_u32 s25, s24, s25
	s_add_co_i32 s24, s24, s25
	s_delay_alu instid0(SALU_CYCLE_1) | instskip(NEXT) | instid1(SALU_CYCLE_1)
	s_mul_hi_u32 s24, s22, s24
	s_mul_i32 s24, s24, s34
	s_delay_alu instid0(SALU_CYCLE_1) | instskip(NEXT) | instid1(SALU_CYCLE_1)
	s_sub_co_i32 s24, s22, s24
	s_sub_co_i32 s25, s24, s34
	s_cmp_ge_u32 s24, s34
	s_cselect_b32 s24, s25, s24
	s_delay_alu instid0(SALU_CYCLE_1) | instskip(SKIP_2) | instid1(SALU_CYCLE_1)
	s_sub_co_i32 s25, s24, s34
	s_cmp_ge_u32 s24, s34
	s_cselect_b32 s26, s25, s24
	s_mov_b64 s[24:25], s[26:27]
.LBB183_229:                            ;   in Loop: Header=BB183_10 Depth=1
	s_delay_alu instid0(SALU_CYCLE_1)
	s_sub_nc_u64 s[22:23], s[22:23], s[24:25]
	s_mov_b32 s25, 0
	s_mov_b32 s24, 0
	s_mov_b32 s26, exec_lo
                                        ; implicit-def: $vgpr10_vgpr11
	v_cmpx_gt_u64_e64 s[22:23], v[0:1]
	s_cbranch_execz .LBB183_239
; %bb.230:                              ;   in Loop: Header=BB183_10 Depth=1
	v_mov_b64_e32 v[34:35], v[0:1]
	v_mov_b32_e32 v36, v38
                                        ; implicit-def: $sgpr40
	s_branch .LBB183_234
.LBB183_231:                            ;   in Loop: Header=BB183_234 Depth=2
	s_or_b32 exec_lo, exec_lo, s41
	s_wait_dscnt 0x0
	s_barrier_signal -1
	s_barrier_wait -1
	ds_load_b128 v[8:11], v21 offset:3072
	s_wait_dscnt 0x0
	s_barrier_signal -1
	s_barrier_wait -1
	v_cmp_neq_f64_e32 vcc_lo, 0, v[8:9]
	s_cbranch_vccnz .LBB183_237
; %bb.232:                              ;   in Loop: Header=BB183_234 Depth=2
	v_add_nc_u64_e32 v[34:35], s[34:35], v[34:35]
	v_add_nc_u32_e32 v36, s91, v36
	s_mov_b32 s41, 0
	s_delay_alu instid0(VALU_DEP_2)
	v_cmp_le_u64_e32 vcc_lo, s[22:23], v[34:35]
	s_or_not1_b32 s42, vcc_lo, exec_lo
.LBB183_233:                            ;   in Loop: Header=BB183_234 Depth=2
	s_delay_alu instid0(SALU_CYCLE_1) | instskip(NEXT) | instid1(SALU_CYCLE_1)
	s_and_b32 s42, exec_lo, s42
	s_or_b32 s24, s42, s24
	s_and_not1_b32 s40, s40, exec_lo
	s_and_b32 s41, s41, exec_lo
	s_delay_alu instid0(SALU_CYCLE_1)
	s_or_b32 s40, s40, s41
	s_and_not1_b32 exec_lo, exec_lo, s24
	s_cbranch_execz .LBB183_238
.LBB183_234:                            ;   Parent Loop BB183_10 Depth=1
                                        ; =>  This Inner Loop Header: Depth=2
	s_mov_b32 s41, exec_lo
	s_delay_alu instid0(VALU_DEP_2)
	v_cmpx_gt_u64_e64 s[8:9], v[34:35]
	s_cbranch_execz .LBB183_231
; %bb.235:                              ;   in Loop: Header=BB183_234 Depth=2
	ds_load_b64 v[4:5], v36
	s_wait_dscnt 0x0
	v_cmp_o_f64_e32 vcc_lo, v[4:5], v[4:5]
	v_ashrrev_i32_e32 v2, 31, v5
	s_delay_alu instid0(VALU_DEP_1) | instskip(NEXT) | instid1(VALU_DEP_1)
	v_or_b32_e32 v8, 0x80000000, v2
	v_xor_b32_e32 v8, v8, v5
	v_xor_b32_e32 v2, v2, v4
	s_delay_alu instid0(VALU_DEP_1) | instskip(NEXT) | instid1(VALU_DEP_1)
	v_dual_cndmask_b32 v8, -1, v8, vcc_lo :: v_dual_cndmask_b32 v2, -1, v2, vcc_lo
	v_and_b32_e32 v9, v8, v13
	s_delay_alu instid0(VALU_DEP_2) | instskip(NEXT) | instid1(VALU_DEP_1)
	v_and_b32_e32 v8, v2, v12
	v_cmp_eq_u64_e32 vcc_lo, v[8:9], v[14:15]
	s_and_b32 exec_lo, exec_lo, vcc_lo
	s_cbranch_execz .LBB183_231
; %bb.236:                              ;   in Loop: Header=BB183_234 Depth=2
	v_mov_b32_e32 v2, v21
	ds_store_b128 v21, v[2:5] offset:3072
	s_branch .LBB183_231
.LBB183_237:                            ;   in Loop: Header=BB183_234 Depth=2
	s_mov_b32 s42, -1
	s_mov_b32 s41, -1
                                        ; implicit-def: $vgpr34_vgpr35
                                        ; implicit-def: $vgpr36
	s_branch .LBB183_233
.LBB183_238:                            ;   in Loop: Header=BB183_10 Depth=1
	s_or_b32 exec_lo, exec_lo, s24
	s_delay_alu instid0(SALU_CYCLE_1)
	s_and_b32 s24, s40, exec_lo
.LBB183_239:                            ;   in Loop: Header=BB183_10 Depth=1
	s_or_b32 exec_lo, exec_lo, s26
.LBB183_240:                            ;   in Loop: Header=BB183_10 Depth=1
	s_delay_alu instid0(SALU_CYCLE_1)
	s_and_b32 vcc_lo, exec_lo, s25
	s_cbranch_vccz .LBB183_257
; %bb.241:                              ;   in Loop: Header=BB183_10 Depth=1
	s_and_b64 s[8:9], s[64:65], 0xffffffff00000000
	s_delay_alu instid0(SALU_CYCLE_1)
	s_cmp_lg_u64 s[8:9], 0
	s_cbranch_scc0 .LBB183_243
; %bb.242:                              ;   in Loop: Header=BB183_10 Depth=1
	s_cvt_f32_u32 s8, s34
	s_sub_nc_u64 s[22:23], 0, s[34:35]
	s_delay_alu instid0(SALU_CYCLE_2) | instskip(NEXT) | instid1(SALU_CYCLE_3)
	s_fmamk_f32 s8, s94, 0x0, s8
	v_s_rcp_f32 s8, s8
	s_delay_alu instid0(TRANS32_DEP_1) | instskip(NEXT) | instid1(SALU_CYCLE_3)
	s_mul_f32 s8, s8, 0x5f7ffffc
	s_mul_f32 s9, s8, 0x2f800000
	s_delay_alu instid0(SALU_CYCLE_3) | instskip(NEXT) | instid1(SALU_CYCLE_3)
	s_trunc_f32 s9, s9
	s_fmamk_f32 s8, s9, 0xcf800000, s8
	s_cvt_u32_f32 s9, s9
	s_delay_alu instid0(SALU_CYCLE_2) | instskip(NEXT) | instid1(SALU_CYCLE_3)
	s_cvt_u32_f32 s8, s8
	s_mul_u64 s[40:41], s[22:23], s[8:9]
	s_delay_alu instid0(SALU_CYCLE_1)
	s_mul_hi_u32 s43, s8, s41
	s_mul_i32 s42, s8, s41
	s_mul_hi_u32 s26, s8, s40
	s_mul_i32 s44, s9, s40
	s_add_nc_u64 s[42:43], s[26:27], s[42:43]
	s_mul_hi_u32 s25, s9, s40
	s_mul_hi_u32 s45, s9, s41
	s_add_co_u32 s26, s42, s44
	s_add_co_ci_u32 s26, s43, s25
	s_mul_i32 s40, s9, s41
	s_add_co_ci_u32 s41, s45, 0
	s_delay_alu instid0(SALU_CYCLE_1) | instskip(NEXT) | instid1(SALU_CYCLE_1)
	s_add_nc_u64 s[40:41], s[26:27], s[40:41]
	s_add_co_u32 s8, s8, s40
	s_cselect_b32 s25, -1, 0
	s_delay_alu instid0(SALU_CYCLE_1) | instskip(SKIP_1) | instid1(SALU_CYCLE_1)
	s_cmp_lg_u32 s25, 0
	s_add_co_ci_u32 s9, s9, s41
	s_mul_u64 s[22:23], s[22:23], s[8:9]
	s_delay_alu instid0(SALU_CYCLE_1)
	s_mul_hi_u32 s41, s8, s23
	s_mul_i32 s40, s8, s23
	s_mul_hi_u32 s26, s8, s22
	s_mul_i32 s42, s9, s22
	s_add_nc_u64 s[40:41], s[26:27], s[40:41]
	s_mul_hi_u32 s25, s9, s22
	s_mul_hi_u32 s43, s9, s23
	s_mul_i32 s22, s9, s23
	s_add_co_u32 s23, s40, s42
	s_add_co_ci_u32 s26, s41, s25
	s_add_co_ci_u32 s23, s43, 0
	s_delay_alu instid0(SALU_CYCLE_1) | instskip(NEXT) | instid1(SALU_CYCLE_1)
	s_add_nc_u64 s[22:23], s[26:27], s[22:23]
	s_add_co_u32 s8, s8, s22
	s_cselect_b32 s22, -1, 0
	s_mul_hi_u32 s26, s64, s8
	s_cmp_lg_u32 s22, 0
	s_mul_hi_u32 s25, s65, s8
	s_add_co_ci_u32 s22, s9, s23
	s_mul_i32 s23, s65, s8
	s_mul_hi_u32 s9, s64, s22
	s_mul_i32 s8, s64, s22
	s_mul_hi_u32 s40, s65, s22
	s_add_nc_u64 s[8:9], s[26:27], s[8:9]
	s_mul_i32 s22, s65, s22
	s_add_co_u32 s8, s8, s23
	s_add_co_ci_u32 s26, s9, s25
	s_add_co_ci_u32 s23, s40, 0
	s_delay_alu instid0(SALU_CYCLE_1) | instskip(NEXT) | instid1(SALU_CYCLE_1)
	s_add_nc_u64 s[8:9], s[26:27], s[22:23]
	s_and_b64 s[22:23], s[8:9], 0xffffffff00000000
	s_delay_alu instid0(SALU_CYCLE_1) | instskip(NEXT) | instid1(SALU_CYCLE_1)
	s_or_b32 s22, s22, s8
	s_mul_u64 s[8:9], s[34:35], s[22:23]
	s_delay_alu instid0(SALU_CYCLE_1) | instskip(SKIP_1) | instid1(SALU_CYCLE_1)
	s_sub_co_u32 s8, s64, s8
	s_cselect_b32 s22, -1, 0
	s_cmp_lg_u32 s22, 0
	s_sub_co_ci_u32 s9, s65, s9
	s_sub_co_u32 s22, s8, s34
	s_cselect_b32 s23, -1, 0
	s_delay_alu instid0(SALU_CYCLE_1) | instskip(SKIP_3) | instid1(SALU_CYCLE_1)
	s_cmp_lg_u32 s23, 0
	s_sub_co_ci_u32 s23, s9, 0
	s_sub_co_u32 s25, s22, s34
	s_cselect_b32 s26, -1, 0
	s_cmp_lg_u32 s26, 0
	s_sub_co_ci_u32 s26, s23, 0
	s_cmp_ge_u32 s22, s34
	s_cselect_b32 s40, -1, 0
	s_cmp_eq_u32 s23, 0
	s_cselect_b32 s40, s40, -1
	s_delay_alu instid0(SALU_CYCLE_1)
	s_cmp_lg_u32 s40, 0
	s_cselect_b32 s23, s26, s23
	s_cselect_b32 s22, s25, s22
	s_cmp_ge_u32 s8, s34
	s_cselect_b32 s25, -1, 0
	s_cmp_eq_u32 s9, 0
	s_cselect_b32 s25, s25, -1
	s_delay_alu instid0(SALU_CYCLE_1)
	s_cmp_lg_u32 s25, 0
	s_cselect_b32 s9, s23, s9
	s_cselect_b32 s8, s22, s8
	s_mov_b32 s22, 0
	s_branch .LBB183_244
.LBB183_243:                            ;   in Loop: Header=BB183_10 Depth=1
	s_mov_b32 s22, -1
                                        ; implicit-def: $sgpr8_sgpr9
.LBB183_244:                            ;   in Loop: Header=BB183_10 Depth=1
	s_delay_alu instid0(SALU_CYCLE_1)
	s_and_not1_b32 vcc_lo, exec_lo, s22
	s_cbranch_vccnz .LBB183_246
; %bb.245:                              ;   in Loop: Header=BB183_10 Depth=1
	v_cvt_f32_u32_e32 v2, s34
	s_sub_co_i32 s9, 0, s34
	s_delay_alu instid0(VALU_DEP_1) | instskip(SKIP_1) | instid1(TRANS32_DEP_1)
	v_rcp_iflag_f32_e32 v2, v2
	v_nop
	v_mul_f32_e32 v2, 0x4f7ffffe, v2
	s_delay_alu instid0(VALU_DEP_1) | instskip(NEXT) | instid1(VALU_DEP_1)
	v_cvt_u32_f32_e32 v2, v2
	v_readfirstlane_b32 s8, v2
	s_mul_i32 s9, s9, s8
	s_delay_alu instid0(SALU_CYCLE_1) | instskip(NEXT) | instid1(SALU_CYCLE_1)
	s_mul_hi_u32 s9, s8, s9
	s_add_co_i32 s8, s8, s9
	s_delay_alu instid0(SALU_CYCLE_1) | instskip(NEXT) | instid1(SALU_CYCLE_1)
	s_mul_hi_u32 s8, s64, s8
	s_mul_i32 s8, s8, s34
	s_delay_alu instid0(SALU_CYCLE_1) | instskip(NEXT) | instid1(SALU_CYCLE_1)
	s_sub_co_i32 s8, s64, s8
	s_sub_co_i32 s9, s8, s34
	s_cmp_ge_u32 s8, s34
	s_cselect_b32 s8, s9, s8
	s_delay_alu instid0(SALU_CYCLE_1) | instskip(SKIP_2) | instid1(SALU_CYCLE_1)
	s_sub_co_i32 s9, s8, s34
	s_cmp_ge_u32 s8, s34
	s_cselect_b32 s26, s9, s8
	s_mov_b64 s[8:9], s[26:27]
.LBB183_246:                            ;   in Loop: Header=BB183_10 Depth=1
	s_delay_alu instid0(SALU_CYCLE_1)
	s_sub_nc_u64 s[8:9], s[64:65], s[8:9]
	s_mov_b32 s22, exec_lo
                                        ; implicit-def: $vgpr10_vgpr11
	v_nop
	v_cmpx_gt_u64_e64 s[8:9], v[0:1]
	s_cbranch_execz .LBB183_256
; %bb.247:                              ;   in Loop: Header=BB183_10 Depth=1
	v_mov_b64_e32 v[34:35], v[0:1]
	s_mov_b32 s23, 0
                                        ; implicit-def: $sgpr25
	s_branch .LBB183_251
.LBB183_248:                            ;   in Loop: Header=BB183_251 Depth=2
	s_or_b32 exec_lo, exec_lo, s26
	s_wait_dscnt 0x0
	s_barrier_signal -1
	s_barrier_wait -1
	ds_load_b128 v[8:11], v21 offset:3072
	s_wait_dscnt 0x0
	s_barrier_signal -1
	s_barrier_wait -1
	v_cmp_eq_f64_e32 vcc_lo, 0, v[8:9]
	s_cbranch_vccz .LBB183_254
; %bb.249:                              ;   in Loop: Header=BB183_251 Depth=2
	v_add_nc_u64_e32 v[34:35], s[34:35], v[34:35]
	s_mov_b32 s26, 0
	s_delay_alu instid0(VALU_DEP_1)
	v_cmp_le_u64_e32 vcc_lo, s[8:9], v[34:35]
	s_or_not1_b32 s40, vcc_lo, exec_lo
.LBB183_250:                            ;   in Loop: Header=BB183_251 Depth=2
	s_delay_alu instid0(SALU_CYCLE_1) | instskip(NEXT) | instid1(SALU_CYCLE_1)
	s_and_b32 s40, exec_lo, s40
	s_or_b32 s23, s40, s23
	s_and_not1_b32 s25, s25, exec_lo
	s_and_b32 s26, s26, exec_lo
	s_delay_alu instid0(SALU_CYCLE_1)
	s_or_b32 s25, s25, s26
	s_and_not1_b32 exec_lo, exec_lo, s23
	s_cbranch_execz .LBB183_255
.LBB183_251:                            ;   Parent Loop BB183_10 Depth=1
                                        ; =>  This Inner Loop Header: Depth=2
	s_mov_b32 s26, exec_lo
	s_delay_alu instid0(VALU_DEP_1)
	v_cmpx_gt_u64_e64 s[36:37], v[34:35]
	s_cbranch_execz .LBB183_248
; %bb.252:                              ;   in Loop: Header=BB183_251 Depth=2
	v_mul_u64_e32 v[4:5], s[30:31], v[34:35]
	s_delay_alu instid0(VALU_DEP_1) | instskip(SKIP_4) | instid1(VALU_DEP_1)
	v_lshl_add_u64 v[4:5], v[4:5], 3, s[28:29]
	global_load_b64 v[4:5], v[4:5], off
	s_wait_loadcnt 0x0
	v_cmp_o_f64_e32 vcc_lo, v[4:5], v[4:5]
	v_ashrrev_i32_e32 v2, 31, v5
	v_or_b32_e32 v8, 0x80000000, v2
	s_delay_alu instid0(VALU_DEP_1) | instskip(SKIP_1) | instid1(VALU_DEP_1)
	v_xor_b32_e32 v8, v8, v5
	v_xor_b32_e32 v2, v2, v4
	v_dual_cndmask_b32 v8, -1, v8, vcc_lo :: v_dual_cndmask_b32 v2, -1, v2, vcc_lo
	s_delay_alu instid0(VALU_DEP_1) | instskip(NEXT) | instid1(VALU_DEP_2)
	v_and_b32_e32 v9, v8, v13
	v_and_b32_e32 v8, v2, v12
	s_delay_alu instid0(VALU_DEP_1)
	v_cmp_eq_u64_e32 vcc_lo, v[8:9], v[14:15]
	s_and_b32 exec_lo, exec_lo, vcc_lo
	s_cbranch_execz .LBB183_248
; %bb.253:                              ;   in Loop: Header=BB183_251 Depth=2
	v_mov_b32_e32 v2, v21
	ds_store_b128 v21, v[2:5] offset:3072
	s_branch .LBB183_248
.LBB183_254:                            ;   in Loop: Header=BB183_251 Depth=2
	s_mov_b32 s40, -1
	s_mov_b32 s26, -1
                                        ; implicit-def: $vgpr34_vgpr35
	s_branch .LBB183_250
.LBB183_255:                            ;   in Loop: Header=BB183_10 Depth=1
	s_or_b32 exec_lo, exec_lo, s23
	s_delay_alu instid0(SALU_CYCLE_1) | instskip(SKIP_1) | instid1(SALU_CYCLE_1)
	s_and_not1_b32 s8, s24, exec_lo
	s_and_b32 s9, s25, exec_lo
	s_or_b32 s24, s8, s9
.LBB183_256:                            ;   in Loop: Header=BB183_10 Depth=1
	s_or_b32 exec_lo, exec_lo, s22
	s_mov_b32 s60, 0
	s_mov_b32 s61, -1
.LBB183_257:                            ;   in Loop: Header=BB183_10 Depth=1
	s_or_not1_b32 s9, s24, exec_lo
.LBB183_258:                            ;   in Loop: Header=BB183_10 Depth=1
	s_or_b32 exec_lo, exec_lo, s59
	s_mov_b32 s22, 0
	s_and_saveexec_b32 s8, s9
	s_cbranch_execz .LBB183_269
; %bb.259:                              ;   in Loop: Header=BB183_10 Depth=1
	v_mov_b64_e32 v[4:5], 1
	v_mov_b32_e32 v20, 1
	s_xor_b32 s22, s58, -1
	s_delay_alu instid0(SALU_CYCLE_1)
	s_and_saveexec_b32 s9, s22
	s_cbranch_execz .LBB183_268
; %bb.260:                              ;   in Loop: Header=BB183_10 Depth=1
	s_mov_b32 s22, exec_lo
	v_cmpx_ge_u64_e64 s[20:21], v[32:33]
	s_xor_b32 s22, exec_lo, s22
	s_cbranch_execz .LBB183_265
; %bb.261:                              ;   in Loop: Header=BB183_10 Depth=1
	ds_load_b64 v[4:5], v21 offset:5120
	v_or_b32_e32 v15, s13, v15
	v_or_b32_e32 v14, s12, v14
	;; [unrolled: 1-line block ×4, first 2 shown]
	s_wait_dscnt 0x0
	v_cmp_ne_u64_e32 vcc_lo, 0, v[4:5]
	s_cbranch_vccnz .LBB183_265
; %bb.262:                              ;   in Loop: Header=BB183_10 Depth=1
	s_and_saveexec_b32 s23, s5
; %bb.263:                              ;   in Loop: Header=BB183_10 Depth=1
	v_mov_b64_e32 v[4:5], s[20:21]
	ds_store_b64 v21, v[4:5] offset:5128
; %bb.264:                              ;   in Loop: Header=BB183_10 Depth=1
	s_or_b32 exec_lo, exec_lo, s23
	s_wait_dscnt 0x0
	s_barrier_signal -1
	s_barrier_wait -1
.LBB183_265:                            ;   in Loop: Header=BB183_10 Depth=1
	s_and_not1_saveexec_b32 s22, s22
; %bb.266:                              ;   in Loop: Header=BB183_10 Depth=1
	v_sub_nc_u64_e64 v[32:33], v[32:33], s[20:21]
; %bb.267:                              ;   in Loop: Header=BB183_10 Depth=1
	s_or_b32 exec_lo, exec_lo, s22
	s_delay_alu instid0(VALU_DEP_1)
	v_mov_b64_e32 v[4:5], v[32:33]
	v_mov_b32_e32 v20, 8
.LBB183_268:                            ;   in Loop: Header=BB183_10 Depth=1
	s_or_b32 exec_lo, exec_lo, s9
	s_delay_alu instid0(VALU_DEP_2)
	v_mov_b64_e32 v[32:33], v[4:5]
	s_mov_b32 s22, exec_lo
.LBB183_269:                            ;   in Loop: Header=BB183_10 Depth=1
	s_or_b32 exec_lo, exec_lo, s8
	s_delay_alu instid0(SALU_CYCLE_1)
	s_or_not1_b32 s8, s22, exec_lo
.LBB183_270:                            ;   in Loop: Header=BB183_10 Depth=1
	s_or_b32 exec_lo, exec_lo, s83
	s_delay_alu instid0(VALU_DEP_1)
	v_mov_b64_e32 v[34:35], v[32:33]
	s_and_not1_b32 s9, s81, exec_lo
	s_and_b32 s22, s61, exec_lo
	s_and_not1_b32 s23, s80, exec_lo
	s_and_b32 s24, s60, exec_lo
	s_or_b32 s81, s9, s22
	s_or_b32 s80, s23, s24
	s_and_b32 s9, s8, exec_lo
.LBB183_271:                            ;   in Loop: Header=BB183_10 Depth=1
	s_or_b32 exec_lo, exec_lo, s82
	s_delay_alu instid0(SALU_CYCLE_1)
	s_or_not1_b32 s8, s9, exec_lo
.LBB183_272:                            ;   in Loop: Header=BB183_10 Depth=1
	s_or_b32 exec_lo, exec_lo, s79
	v_mov_b64_e32 v[32:33], v[34:35]
	s_and_not1_b32 s9, s77, exec_lo
	s_and_b32 s22, s81, exec_lo
	s_and_not1_b32 s23, s72, exec_lo
	s_and_b32 s24, s80, exec_lo
	s_or_b32 s77, s9, s22
	s_or_b32 s72, s23, s24
	s_and_b32 s9, s8, exec_lo
.LBB183_273:                            ;   in Loop: Header=BB183_10 Depth=1
	s_or_b32 exec_lo, exec_lo, s78
	s_delay_alu instid0(SALU_CYCLE_1)
	s_or_not1_b32 s8, s9, exec_lo
.LBB183_274:                            ;   in Loop: Header=BB183_10 Depth=1
	s_or_b32 exec_lo, exec_lo, s71
	s_mov_b32 s9, 0
	s_mov_b32 s22, 0
	s_and_saveexec_b32 s23, s8
	s_delay_alu instid0(SALU_CYCLE_1)
	s_xor_b32 s23, exec_lo, s23
; %bb.275:                              ;   in Loop: Header=BB183_10 Depth=1
	v_cmp_ne_u32_e32 vcc_lo, 8, v20
	v_cmp_eq_u32_e64 s8, 8, v20
	s_and_b32 s22, vcc_lo, exec_lo
	s_and_b32 s9, s8, exec_lo
; %bb.276:                              ;   in Loop: Header=BB183_10 Depth=1
	s_or_b32 exec_lo, exec_lo, s23
	s_delay_alu instid0(SALU_CYCLE_1)
	s_and_not1_b32 s8, s74, exec_lo
	s_and_b32 s23, s77, exec_lo
	s_and_not1_b32 s24, s73, exec_lo
	s_and_b32 s25, s72, exec_lo
	s_or_b32 s74, s8, s23
	s_or_b32 s73, s24, s25
	s_and_b32 s71, s22, exec_lo
	s_and_b32 s72, s9, exec_lo
.LBB183_277:                            ;   in Loop: Header=BB183_10 Depth=1
	s_or_b32 exec_lo, exec_lo, s76
.LBB183_278:                            ;   in Loop: Header=BB183_10 Depth=1
	s_delay_alu instid0(SALU_CYCLE_1)
	s_and_b32 vcc_lo, exec_lo, s75
	s_cbranch_vccz .LBB183_295
; %bb.279:                              ;   in Loop: Header=BB183_10 Depth=1
	s_cmp_eq_u64 s[20:21], 1
                                        ; implicit-def: $sgpr75
                                        ; implicit-def: $sgpr70
	s_cselect_b32 s8, -1, 0
	s_delay_alu instid0(SALU_CYCLE_1)
	s_and_b32 s7, s8, s7
	s_mov_b32 s8, -1
	s_and_saveexec_b32 s58, s7
	s_cbranch_execz .LBB183_314
; %bb.280:                              ;   in Loop: Header=BB183_10 Depth=1
	ds_load_b64 v[4:5], v21 offset:5120
	s_wait_dscnt 0x0
	s_barrier_signal -1
	s_barrier_wait -1
	v_readfirstlane_b32 s8, v4
	v_readfirstlane_b32 s9, v5
	s_and_saveexec_b32 s22, s6
; %bb.281:                              ;   in Loop: Header=BB183_10 Depth=1
	ds_store_b64 v39, v[26:27]
; %bb.282:                              ;   in Loop: Header=BB183_10 Depth=1
	s_or_b32 exec_lo, exec_lo, s22
	v_or_b32_e32 v25, s13, v25
	v_or_b32_e32 v24, s12, v24
	v_or_b32_e32 v29, s13, v29
	v_or_b32_e32 v28, s12, v28
	s_mov_b32 s70, -1
	s_mov_b32 s75, 0
	s_cmp_eq_u64 s[8:9], 0
	s_mov_b32 s24, 0
	s_mov_b32 s25, -1
	s_wait_dscnt 0x0
	s_barrier_signal -1
	s_barrier_wait -1
                                        ; implicit-def: $vgpr6_vgpr7
	s_cbranch_scc1 .LBB183_298
; %bb.283:                              ;   in Loop: Header=BB183_10 Depth=1
	s_add_nc_u64 s[22:23], s[8:9], s[62:63]
	s_delay_alu instid0(SALU_CYCLE_1) | instskip(NEXT) | instid1(SALU_CYCLE_1)
	s_and_b64 s[24:25], s[22:23], 0xffffffff00000000
	s_cmp_lg_u64 s[24:25], 0
	s_cbranch_scc0 .LBB183_341
; %bb.284:                              ;   in Loop: Header=BB183_10 Depth=1
	s_cvt_f32_u32 s24, s34
	s_sub_nc_u64 s[40:41], 0, s[34:35]
	s_delay_alu instid0(SALU_CYCLE_2) | instskip(NEXT) | instid1(SALU_CYCLE_3)
	s_fmamk_f32 s24, s94, 0x0, s24
	v_s_rcp_f32 s24, s24
	s_delay_alu instid0(TRANS32_DEP_1) | instskip(NEXT) | instid1(SALU_CYCLE_3)
	s_mul_f32 s24, s24, 0x5f7ffffc
	s_mul_f32 s25, s24, 0x2f800000
	s_delay_alu instid0(SALU_CYCLE_3) | instskip(NEXT) | instid1(SALU_CYCLE_3)
	s_trunc_f32 s25, s25
	s_fmamk_f32 s24, s25, 0xcf800000, s24
	s_cvt_u32_f32 s25, s25
	s_delay_alu instid0(SALU_CYCLE_2) | instskip(NEXT) | instid1(SALU_CYCLE_3)
	s_cvt_u32_f32 s24, s24
	s_mul_u64 s[42:43], s[40:41], s[24:25]
	s_delay_alu instid0(SALU_CYCLE_1)
	s_mul_hi_u32 s61, s24, s43
	s_mul_i32 s60, s24, s43
	s_mul_hi_u32 s26, s24, s42
	s_mul_i32 s45, s25, s42
	s_add_nc_u64 s[60:61], s[26:27], s[60:61]
	s_mul_hi_u32 s44, s25, s42
	s_mul_hi_u32 s46, s25, s43
	s_add_co_u32 s26, s60, s45
	s_add_co_ci_u32 s26, s61, s44
	s_mul_i32 s42, s25, s43
	s_add_co_ci_u32 s43, s46, 0
	s_delay_alu instid0(SALU_CYCLE_1) | instskip(NEXT) | instid1(SALU_CYCLE_1)
	s_add_nc_u64 s[42:43], s[26:27], s[42:43]
	s_add_co_u32 s24, s24, s42
	s_cselect_b32 s26, -1, 0
	s_delay_alu instid0(SALU_CYCLE_1) | instskip(SKIP_1) | instid1(SALU_CYCLE_1)
	s_cmp_lg_u32 s26, 0
	s_add_co_ci_u32 s25, s25, s43
	s_mul_u64 s[40:41], s[40:41], s[24:25]
	s_delay_alu instid0(SALU_CYCLE_1)
	s_mul_hi_u32 s43, s24, s41
	s_mul_i32 s42, s24, s41
	s_mul_hi_u32 s26, s24, s40
	s_mul_i32 s45, s25, s40
	s_add_nc_u64 s[42:43], s[26:27], s[42:43]
	s_mul_hi_u32 s44, s25, s40
	s_mul_hi_u32 s46, s25, s41
	s_add_co_u32 s26, s42, s45
	s_add_co_ci_u32 s26, s43, s44
	s_mul_i32 s40, s25, s41
	s_add_co_ci_u32 s41, s46, 0
	s_delay_alu instid0(SALU_CYCLE_1) | instskip(NEXT) | instid1(SALU_CYCLE_1)
	s_add_nc_u64 s[40:41], s[26:27], s[40:41]
	s_add_co_u32 s24, s24, s40
	s_cselect_b32 s40, -1, 0
	s_mul_hi_u32 s26, s22, s24
	s_cmp_lg_u32 s40, 0
	s_mul_hi_u32 s42, s23, s24
	s_add_co_ci_u32 s40, s25, s41
	s_mul_i32 s41, s23, s24
	s_mul_hi_u32 s25, s22, s40
	s_mul_i32 s24, s22, s40
	s_mul_hi_u32 s43, s23, s40
	s_add_nc_u64 s[24:25], s[26:27], s[24:25]
	s_mul_i32 s40, s23, s40
	s_add_co_u32 s24, s24, s41
	s_add_co_ci_u32 s26, s25, s42
	s_add_co_ci_u32 s41, s43, 0
	s_delay_alu instid0(SALU_CYCLE_1) | instskip(NEXT) | instid1(SALU_CYCLE_1)
	s_add_nc_u64 s[24:25], s[26:27], s[40:41]
	s_and_b64 s[40:41], s[24:25], 0xffffffff00000000
	s_delay_alu instid0(SALU_CYCLE_1) | instskip(NEXT) | instid1(SALU_CYCLE_1)
	s_or_b32 s40, s40, s24
	s_mul_u64 s[24:25], s[34:35], s[40:41]
	s_delay_alu instid0(SALU_CYCLE_1) | instskip(SKIP_1) | instid1(SALU_CYCLE_1)
	s_sub_co_u32 s24, s22, s24
	s_cselect_b32 s26, -1, 0
	s_cmp_lg_u32 s26, 0
	s_sub_co_ci_u32 s25, s23, s25
	s_sub_co_u32 s26, s24, s34
	s_cselect_b32 s40, -1, 0
	s_delay_alu instid0(SALU_CYCLE_1) | instskip(SKIP_3) | instid1(SALU_CYCLE_1)
	s_cmp_lg_u32 s40, 0
	s_sub_co_ci_u32 s40, s25, 0
	s_sub_co_u32 s41, s26, s34
	s_cselect_b32 s42, -1, 0
	s_cmp_lg_u32 s42, 0
	s_sub_co_ci_u32 s42, s40, 0
	s_cmp_ge_u32 s26, s34
	s_cselect_b32 s43, -1, 0
	s_cmp_eq_u32 s40, 0
	s_cselect_b32 s43, s43, -1
	s_delay_alu instid0(SALU_CYCLE_1)
	s_cmp_lg_u32 s43, 0
	s_cselect_b32 s40, s42, s40
	s_cselect_b32 s26, s41, s26
	s_cmp_ge_u32 s24, s34
	s_cselect_b32 s41, -1, 0
	s_cmp_eq_u32 s25, 0
	s_cselect_b32 s41, s41, -1
	s_delay_alu instid0(SALU_CYCLE_1)
	s_cmp_lg_u32 s41, 0
	s_cselect_b32 s25, s40, s25
	s_cselect_b32 s24, s26, s24
	s_cbranch_execnz .LBB183_286
.LBB183_285:                            ;   in Loop: Header=BB183_10 Depth=1
	v_cvt_f32_u32_e32 v2, s34
	s_sub_co_i32 s25, 0, s34
	s_delay_alu instid0(VALU_DEP_1) | instskip(SKIP_1) | instid1(TRANS32_DEP_1)
	v_rcp_iflag_f32_e32 v2, v2
	v_nop
	v_mul_f32_e32 v2, 0x4f7ffffe, v2
	s_delay_alu instid0(VALU_DEP_1) | instskip(NEXT) | instid1(VALU_DEP_1)
	v_cvt_u32_f32_e32 v2, v2
	v_readfirstlane_b32 s24, v2
	s_mul_i32 s25, s25, s24
	s_delay_alu instid0(SALU_CYCLE_1) | instskip(NEXT) | instid1(SALU_CYCLE_1)
	s_mul_hi_u32 s25, s24, s25
	s_add_co_i32 s24, s24, s25
	s_delay_alu instid0(SALU_CYCLE_1) | instskip(NEXT) | instid1(SALU_CYCLE_1)
	s_mul_hi_u32 s24, s22, s24
	s_mul_i32 s24, s24, s34
	s_delay_alu instid0(SALU_CYCLE_1) | instskip(NEXT) | instid1(SALU_CYCLE_1)
	s_sub_co_i32 s24, s22, s24
	s_sub_co_i32 s25, s24, s34
	s_cmp_ge_u32 s24, s34
	s_cselect_b32 s24, s25, s24
	s_delay_alu instid0(SALU_CYCLE_1) | instskip(SKIP_2) | instid1(SALU_CYCLE_1)
	s_sub_co_i32 s25, s24, s34
	s_cmp_ge_u32 s24, s34
	s_cselect_b32 s26, s25, s24
	s_mov_b64 s[24:25], s[26:27]
.LBB183_286:                            ;   in Loop: Header=BB183_10 Depth=1
	s_delay_alu instid0(SALU_CYCLE_1)
	s_sub_nc_u64 s[22:23], s[22:23], s[24:25]
	s_mov_b32 s25, 0
	s_mov_b32 s24, 0
	s_mov_b32 s26, exec_lo
                                        ; implicit-def: $vgpr6_vgpr7
	v_cmpx_gt_u64_e64 s[22:23], v[0:1]
	s_cbranch_execz .LBB183_297
; %bb.287:                              ;   in Loop: Header=BB183_10 Depth=1
	v_mov_b64_e32 v[8:9], v[0:1]
	v_mov_b32_e32 v10, v38
                                        ; implicit-def: $sgpr40
	s_branch .LBB183_291
.LBB183_288:                            ;   in Loop: Header=BB183_291 Depth=2
	s_or_b32 exec_lo, exec_lo, s41
	s_wait_dscnt 0x0
	s_barrier_signal -1
	s_barrier_wait -1
	ds_load_b128 v[4:7], v21 offset:3072
	s_wait_dscnt 0x0
	s_barrier_signal -1
	s_barrier_wait -1
	v_cmp_neq_f64_e32 vcc_lo, 0, v[4:5]
	s_cbranch_vccnz .LBB183_294
; %bb.289:                              ;   in Loop: Header=BB183_291 Depth=2
	v_add_nc_u64_e32 v[8:9], s[34:35], v[8:9]
	v_add_nc_u32_e32 v10, s91, v10
	s_mov_b32 s41, 0
	s_delay_alu instid0(VALU_DEP_2)
	v_cmp_le_u64_e32 vcc_lo, s[22:23], v[8:9]
	s_or_not1_b32 s42, vcc_lo, exec_lo
.LBB183_290:                            ;   in Loop: Header=BB183_291 Depth=2
	s_delay_alu instid0(SALU_CYCLE_1) | instskip(NEXT) | instid1(SALU_CYCLE_1)
	s_and_b32 s42, exec_lo, s42
	s_or_b32 s24, s42, s24
	s_and_not1_b32 s40, s40, exec_lo
	s_and_b32 s41, s41, exec_lo
	s_delay_alu instid0(SALU_CYCLE_1)
	s_or_b32 s40, s40, s41
	s_and_not1_b32 exec_lo, exec_lo, s24
	s_cbranch_execz .LBB183_296
.LBB183_291:                            ;   Parent Loop BB183_10 Depth=1
                                        ; =>  This Inner Loop Header: Depth=2
	s_mov_b32 s41, exec_lo
	s_delay_alu instid0(VALU_DEP_2)
	v_cmpx_gt_u64_e64 s[8:9], v[8:9]
	s_cbranch_execz .LBB183_288
; %bb.292:                              ;   in Loop: Header=BB183_291 Depth=2
	ds_load_b64 v[4:5], v10
	s_wait_dscnt 0x0
	v_cmp_o_f64_e32 vcc_lo, v[4:5], v[4:5]
	v_ashrrev_i32_e32 v2, 31, v5
	s_delay_alu instid0(VALU_DEP_1) | instskip(NEXT) | instid1(VALU_DEP_1)
	v_or_b32_e32 v6, 0x80000000, v2
	v_xor_b32_e32 v6, v6, v5
	s_delay_alu instid0(VALU_DEP_1) | instskip(NEXT) | instid1(VALU_DEP_1)
	v_dual_cndmask_b32 v6, -1, v6, vcc_lo :: v_dual_bitop2_b32 v2, v2, v4 bitop3:0x14
	v_dual_cndmask_b32 v2, -1, v2, vcc_lo :: v_dual_bitop2_b32 v7, v6, v29 bitop3:0x40
	s_delay_alu instid0(VALU_DEP_1) | instskip(NEXT) | instid1(VALU_DEP_1)
	v_and_b32_e32 v6, v2, v28
	v_cmp_eq_u64_e32 vcc_lo, v[6:7], v[24:25]
	s_and_b32 exec_lo, exec_lo, vcc_lo
	s_cbranch_execz .LBB183_288
; %bb.293:                              ;   in Loop: Header=BB183_291 Depth=2
	v_mov_b32_e32 v2, v21
	ds_store_b128 v21, v[2:5] offset:3072
	s_branch .LBB183_288
.LBB183_294:                            ;   in Loop: Header=BB183_291 Depth=2
	s_mov_b32 s42, -1
	s_mov_b32 s41, -1
                                        ; implicit-def: $vgpr8_vgpr9
                                        ; implicit-def: $vgpr10
	s_branch .LBB183_290
.LBB183_295:                            ;   in Loop: Header=BB183_10 Depth=1
	v_mov_b64_e32 v[24:25], v[14:15]
	v_mov_b64_e32 v[28:29], v[12:13]
	;; [unrolled: 1-line block ×3, first 2 shown]
	s_mov_b32 s75, 0
	s_and_saveexec_b32 s7, s72
	s_cbranch_execnz .LBB183_479
	s_branch .LBB183_480
.LBB183_296:                            ;   in Loop: Header=BB183_10 Depth=1
	s_or_b32 exec_lo, exec_lo, s24
	s_delay_alu instid0(SALU_CYCLE_1)
	s_and_b32 s24, s40, exec_lo
.LBB183_297:                            ;   in Loop: Header=BB183_10 Depth=1
	s_or_b32 exec_lo, exec_lo, s26
.LBB183_298:                            ;   in Loop: Header=BB183_10 Depth=1
	s_delay_alu instid0(SALU_CYCLE_1)
	s_and_b32 vcc_lo, exec_lo, s25
	s_cbranch_vccz .LBB183_313
; %bb.299:                              ;   in Loop: Header=BB183_10 Depth=1
	s_and_b64 s[8:9], s[64:65], 0xffffffff00000000
	s_delay_alu instid0(SALU_CYCLE_1)
	s_cmp_lg_u64 s[8:9], 0
	s_cbranch_scc0 .LBB183_342
; %bb.300:                              ;   in Loop: Header=BB183_10 Depth=1
	s_cvt_f32_u32 s8, s34
	s_sub_nc_u64 s[22:23], 0, s[34:35]
	s_delay_alu instid0(SALU_CYCLE_2) | instskip(NEXT) | instid1(SALU_CYCLE_3)
	s_fmamk_f32 s8, s94, 0x0, s8
	v_s_rcp_f32 s8, s8
	s_delay_alu instid0(TRANS32_DEP_1) | instskip(NEXT) | instid1(SALU_CYCLE_3)
	s_mul_f32 s8, s8, 0x5f7ffffc
	s_mul_f32 s9, s8, 0x2f800000
	s_delay_alu instid0(SALU_CYCLE_3) | instskip(NEXT) | instid1(SALU_CYCLE_3)
	s_trunc_f32 s9, s9
	s_fmamk_f32 s8, s9, 0xcf800000, s8
	s_cvt_u32_f32 s9, s9
	s_delay_alu instid0(SALU_CYCLE_2) | instskip(NEXT) | instid1(SALU_CYCLE_3)
	s_cvt_u32_f32 s8, s8
	s_mul_u64 s[40:41], s[22:23], s[8:9]
	s_delay_alu instid0(SALU_CYCLE_1)
	s_mul_hi_u32 s43, s8, s41
	s_mul_i32 s42, s8, s41
	s_mul_hi_u32 s26, s8, s40
	s_mul_i32 s44, s9, s40
	s_add_nc_u64 s[42:43], s[26:27], s[42:43]
	s_mul_hi_u32 s25, s9, s40
	s_mul_hi_u32 s45, s9, s41
	s_add_co_u32 s26, s42, s44
	s_add_co_ci_u32 s26, s43, s25
	s_mul_i32 s40, s9, s41
	s_add_co_ci_u32 s41, s45, 0
	s_delay_alu instid0(SALU_CYCLE_1) | instskip(NEXT) | instid1(SALU_CYCLE_1)
	s_add_nc_u64 s[40:41], s[26:27], s[40:41]
	s_add_co_u32 s8, s8, s40
	s_cselect_b32 s25, -1, 0
	s_delay_alu instid0(SALU_CYCLE_1) | instskip(SKIP_1) | instid1(SALU_CYCLE_1)
	s_cmp_lg_u32 s25, 0
	s_add_co_ci_u32 s9, s9, s41
	s_mul_u64 s[22:23], s[22:23], s[8:9]
	s_delay_alu instid0(SALU_CYCLE_1)
	s_mul_hi_u32 s41, s8, s23
	s_mul_i32 s40, s8, s23
	s_mul_hi_u32 s26, s8, s22
	s_mul_i32 s42, s9, s22
	s_add_nc_u64 s[40:41], s[26:27], s[40:41]
	s_mul_hi_u32 s25, s9, s22
	s_mul_hi_u32 s43, s9, s23
	s_mul_i32 s22, s9, s23
	s_add_co_u32 s23, s40, s42
	s_add_co_ci_u32 s26, s41, s25
	s_add_co_ci_u32 s23, s43, 0
	s_delay_alu instid0(SALU_CYCLE_1) | instskip(NEXT) | instid1(SALU_CYCLE_1)
	s_add_nc_u64 s[22:23], s[26:27], s[22:23]
	s_add_co_u32 s8, s8, s22
	s_cselect_b32 s22, -1, 0
	s_mul_hi_u32 s26, s64, s8
	s_cmp_lg_u32 s22, 0
	s_mul_hi_u32 s25, s65, s8
	s_add_co_ci_u32 s22, s9, s23
	s_mul_i32 s23, s65, s8
	s_mul_hi_u32 s9, s64, s22
	s_mul_i32 s8, s64, s22
	s_mul_hi_u32 s40, s65, s22
	s_add_nc_u64 s[8:9], s[26:27], s[8:9]
	s_mul_i32 s22, s65, s22
	s_add_co_u32 s8, s8, s23
	s_add_co_ci_u32 s26, s9, s25
	s_add_co_ci_u32 s23, s40, 0
	s_delay_alu instid0(SALU_CYCLE_1) | instskip(NEXT) | instid1(SALU_CYCLE_1)
	s_add_nc_u64 s[8:9], s[26:27], s[22:23]
	s_and_b64 s[22:23], s[8:9], 0xffffffff00000000
	s_delay_alu instid0(SALU_CYCLE_1) | instskip(NEXT) | instid1(SALU_CYCLE_1)
	s_or_b32 s22, s22, s8
	s_mul_u64 s[8:9], s[34:35], s[22:23]
	s_delay_alu instid0(SALU_CYCLE_1) | instskip(SKIP_1) | instid1(SALU_CYCLE_1)
	s_sub_co_u32 s8, s64, s8
	s_cselect_b32 s22, -1, 0
	s_cmp_lg_u32 s22, 0
	s_sub_co_ci_u32 s9, s65, s9
	s_sub_co_u32 s22, s8, s34
	s_cselect_b32 s23, -1, 0
	s_delay_alu instid0(SALU_CYCLE_1) | instskip(SKIP_3) | instid1(SALU_CYCLE_1)
	s_cmp_lg_u32 s23, 0
	s_sub_co_ci_u32 s23, s9, 0
	s_sub_co_u32 s25, s22, s34
	s_cselect_b32 s26, -1, 0
	s_cmp_lg_u32 s26, 0
	s_sub_co_ci_u32 s26, s23, 0
	s_cmp_ge_u32 s22, s34
	s_cselect_b32 s40, -1, 0
	s_cmp_eq_u32 s23, 0
	s_cselect_b32 s40, s40, -1
	s_delay_alu instid0(SALU_CYCLE_1)
	s_cmp_lg_u32 s40, 0
	s_cselect_b32 s23, s26, s23
	s_cselect_b32 s22, s25, s22
	s_cmp_ge_u32 s8, s34
	s_cselect_b32 s25, -1, 0
	s_cmp_eq_u32 s9, 0
	s_cselect_b32 s25, s25, -1
	s_delay_alu instid0(SALU_CYCLE_1)
	s_cmp_lg_u32 s25, 0
	s_cselect_b32 s9, s23, s9
	s_cselect_b32 s8, s22, s8
	s_cbranch_execnz .LBB183_302
.LBB183_301:                            ;   in Loop: Header=BB183_10 Depth=1
	v_cvt_f32_u32_e32 v2, s34
	s_sub_co_i32 s9, 0, s34
	s_delay_alu instid0(VALU_DEP_1) | instskip(SKIP_1) | instid1(TRANS32_DEP_1)
	v_rcp_iflag_f32_e32 v2, v2
	v_nop
	v_mul_f32_e32 v2, 0x4f7ffffe, v2
	s_delay_alu instid0(VALU_DEP_1) | instskip(NEXT) | instid1(VALU_DEP_1)
	v_cvt_u32_f32_e32 v2, v2
	v_readfirstlane_b32 s8, v2
	s_mul_i32 s9, s9, s8
	s_delay_alu instid0(SALU_CYCLE_1) | instskip(NEXT) | instid1(SALU_CYCLE_1)
	s_mul_hi_u32 s9, s8, s9
	s_add_co_i32 s8, s8, s9
	s_delay_alu instid0(SALU_CYCLE_1) | instskip(NEXT) | instid1(SALU_CYCLE_1)
	s_mul_hi_u32 s8, s64, s8
	s_mul_i32 s8, s8, s34
	s_delay_alu instid0(SALU_CYCLE_1) | instskip(NEXT) | instid1(SALU_CYCLE_1)
	s_sub_co_i32 s8, s64, s8
	s_sub_co_i32 s9, s8, s34
	s_cmp_ge_u32 s8, s34
	s_cselect_b32 s8, s9, s8
	s_delay_alu instid0(SALU_CYCLE_1) | instskip(SKIP_2) | instid1(SALU_CYCLE_1)
	s_sub_co_i32 s9, s8, s34
	s_cmp_ge_u32 s8, s34
	s_cselect_b32 s26, s9, s8
	s_mov_b64 s[8:9], s[26:27]
.LBB183_302:                            ;   in Loop: Header=BB183_10 Depth=1
	s_delay_alu instid0(SALU_CYCLE_1)
	s_sub_nc_u64 s[8:9], s[64:65], s[8:9]
	s_mov_b32 s22, exec_lo
                                        ; implicit-def: $vgpr6_vgpr7
	v_nop
	v_cmpx_gt_u64_e64 s[8:9], v[0:1]
	s_cbranch_execz .LBB183_312
; %bb.303:                              ;   in Loop: Header=BB183_10 Depth=1
	v_mov_b64_e32 v[8:9], v[0:1]
	s_mov_b32 s25, 0
                                        ; implicit-def: $sgpr23
	s_branch .LBB183_307
.LBB183_304:                            ;   in Loop: Header=BB183_307 Depth=2
	s_or_b32 exec_lo, exec_lo, s26
	s_wait_dscnt 0x0
	s_barrier_signal -1
	s_barrier_wait -1
	ds_load_b128 v[4:7], v21 offset:3072
	s_wait_dscnt 0x0
	s_barrier_signal -1
	s_barrier_wait -1
	v_cmp_neq_f64_e32 vcc_lo, 0, v[4:5]
	s_cbranch_vccnz .LBB183_310
; %bb.305:                              ;   in Loop: Header=BB183_307 Depth=2
	v_add_nc_u64_e32 v[8:9], s[34:35], v[8:9]
	s_mov_b32 s26, 0
	s_delay_alu instid0(VALU_DEP_1)
	v_cmp_le_u64_e32 vcc_lo, s[8:9], v[8:9]
	s_or_not1_b32 s40, vcc_lo, exec_lo
.LBB183_306:                            ;   in Loop: Header=BB183_307 Depth=2
	s_delay_alu instid0(SALU_CYCLE_1) | instskip(NEXT) | instid1(SALU_CYCLE_1)
	s_and_b32 s40, exec_lo, s40
	s_or_b32 s25, s40, s25
	s_and_not1_b32 s23, s23, exec_lo
	s_and_b32 s26, s26, exec_lo
	s_delay_alu instid0(SALU_CYCLE_1)
	s_or_b32 s23, s23, s26
	s_and_not1_b32 exec_lo, exec_lo, s25
	s_cbranch_execz .LBB183_311
.LBB183_307:                            ;   Parent Loop BB183_10 Depth=1
                                        ; =>  This Inner Loop Header: Depth=2
	s_mov_b32 s26, exec_lo
	s_delay_alu instid0(VALU_DEP_1)
	v_cmpx_gt_u64_e64 s[36:37], v[8:9]
	s_cbranch_execz .LBB183_304
; %bb.308:                              ;   in Loop: Header=BB183_307 Depth=2
	v_mul_u64_e32 v[4:5], s[30:31], v[8:9]
	s_delay_alu instid0(VALU_DEP_1) | instskip(SKIP_4) | instid1(VALU_DEP_1)
	v_lshl_add_u64 v[4:5], v[4:5], 3, s[28:29]
	global_load_b64 v[4:5], v[4:5], off
	s_wait_loadcnt 0x0
	v_cmp_o_f64_e32 vcc_lo, v[4:5], v[4:5]
	v_ashrrev_i32_e32 v2, 31, v5
	v_or_b32_e32 v6, 0x80000000, v2
	s_delay_alu instid0(VALU_DEP_1) | instskip(NEXT) | instid1(VALU_DEP_1)
	v_xor_b32_e32 v6, v6, v5
	v_dual_cndmask_b32 v6, -1, v6, vcc_lo :: v_dual_bitop2_b32 v2, v2, v4 bitop3:0x14
	s_delay_alu instid0(VALU_DEP_1) | instskip(NEXT) | instid1(VALU_DEP_1)
	v_dual_cndmask_b32 v2, -1, v2, vcc_lo :: v_dual_bitop2_b32 v7, v6, v29 bitop3:0x40
	v_and_b32_e32 v6, v2, v28
	s_delay_alu instid0(VALU_DEP_1)
	v_cmp_eq_u64_e32 vcc_lo, v[6:7], v[24:25]
	s_and_b32 exec_lo, exec_lo, vcc_lo
	s_cbranch_execz .LBB183_304
; %bb.309:                              ;   in Loop: Header=BB183_307 Depth=2
	v_mov_b32_e32 v2, v21
	ds_store_b128 v21, v[2:5] offset:3072
	s_branch .LBB183_304
.LBB183_310:                            ;   in Loop: Header=BB183_307 Depth=2
	s_mov_b32 s40, -1
	s_mov_b32 s26, -1
                                        ; implicit-def: $vgpr8_vgpr9
	s_branch .LBB183_306
.LBB183_311:                            ;   in Loop: Header=BB183_10 Depth=1
	s_or_b32 exec_lo, exec_lo, s25
	s_delay_alu instid0(SALU_CYCLE_1) | instskip(SKIP_1) | instid1(SALU_CYCLE_1)
	s_and_not1_b32 s8, s24, exec_lo
	s_and_b32 s9, s23, exec_lo
	s_or_b32 s24, s8, s9
.LBB183_312:                            ;   in Loop: Header=BB183_10 Depth=1
	s_or_b32 exec_lo, exec_lo, s22
	s_mov_b32 s70, 0
	s_mov_b32 s75, -1
.LBB183_313:                            ;   in Loop: Header=BB183_10 Depth=1
	s_or_not1_b32 s8, s24, exec_lo
.LBB183_314:                            ;   in Loop: Header=BB183_10 Depth=1
	s_or_b32 exec_lo, exec_lo, s58
                                        ; implicit-def: $vgpr32_vgpr33
                                        ; implicit-def: $vgpr20
	s_and_saveexec_b32 s24, s8
	s_cbranch_execz .LBB183_478
; %bb.315:                              ;   in Loop: Header=BB183_10 Depth=1
	v_mov_b64_e32 v[32:33], 1
	v_mov_b32_e32 v20, 1
	s_xor_b32 s8, s7, -1
	s_mov_b32 s9, 0
	s_and_saveexec_b32 s7, s8
	s_cbranch_execz .LBB183_324
; %bb.316:                              ;   in Loop: Header=BB183_10 Depth=1
	s_mov_b32 s8, exec_lo
	v_cmpx_ge_u64_e64 s[20:21], v[30:31]
	s_xor_b32 s8, exec_lo, s8
	s_cbranch_execz .LBB183_321
; %bb.317:                              ;   in Loop: Header=BB183_10 Depth=1
	ds_load_b64 v[4:5], v21 offset:5120
	v_or_b32_e32 v25, s13, v25
	v_or_b32_e32 v24, s12, v24
	;; [unrolled: 1-line block ×4, first 2 shown]
	s_wait_dscnt 0x0
	v_cmp_ne_u64_e32 vcc_lo, 0, v[4:5]
	s_cbranch_vccnz .LBB183_321
; %bb.318:                              ;   in Loop: Header=BB183_10 Depth=1
	s_and_saveexec_b32 s9, s5
; %bb.319:                              ;   in Loop: Header=BB183_10 Depth=1
	v_mov_b64_e32 v[4:5], s[20:21]
	ds_store_b64 v21, v[4:5] offset:5128
; %bb.320:                              ;   in Loop: Header=BB183_10 Depth=1
	s_or_b32 exec_lo, exec_lo, s9
	s_wait_dscnt 0x0
	s_barrier_signal -1
	s_barrier_wait -1
.LBB183_321:                            ;   in Loop: Header=BB183_10 Depth=1
	s_or_saveexec_b32 s8, s8
	v_mov_b32_e32 v20, 5
	s_mov_b32 s9, 0
	s_xor_b32 exec_lo, exec_lo, s8
; %bb.322:                              ;   in Loop: Header=BB183_10 Depth=1
	v_sub_nc_u64_e64 v[30:31], v[30:31], s[20:21]
	v_mov_b32_e32 v20, 0
	s_mov_b32 s9, exec_lo
; %bb.323:                              ;   in Loop: Header=BB183_10 Depth=1
	s_or_b32 exec_lo, exec_lo, s8
	s_delay_alu instid0(VALU_DEP_2)
	v_mov_b64_e32 v[32:33], v[30:31]
	s_and_b32 s9, s9, exec_lo
.LBB183_324:                            ;   in Loop: Header=BB183_10 Depth=1
	s_or_b32 exec_lo, exec_lo, s7
	s_mov_b32 s8, -1
                                        ; implicit-def: $sgpr25
                                        ; implicit-def: $sgpr73
	s_and_saveexec_b32 s7, s9
	s_delay_alu instid0(SALU_CYCLE_1)
	s_xor_b32 s7, exec_lo, s7
	s_cbranch_execz .LBB183_475
; %bb.325:                              ;   in Loop: Header=BB183_10 Depth=1
	v_cmp_eq_u64_e32 vcc_lo, 1, v[32:33]
	s_cmp_eq_u64 s[18:19], 1
                                        ; implicit-def: $sgpr73
                                        ; implicit-def: $sgpr25
	s_cselect_b32 s8, -1, 0
	s_delay_alu instid0(SALU_CYCLE_1)
	s_and_b32 s74, s8, vcc_lo
	s_mov_b32 s8, -1
	s_and_saveexec_b32 s58, s74
	s_cbranch_execz .LBB183_361
; %bb.326:                              ;   in Loop: Header=BB183_10 Depth=1
	ds_load_b64 v[4:5], v21 offset:5120
	s_wait_dscnt 0x0
	s_barrier_signal -1
	s_barrier_wait -1
	v_readfirstlane_b32 s8, v4
	v_readfirstlane_b32 s9, v5
	s_and_saveexec_b32 s20, s6
; %bb.327:                              ;   in Loop: Header=BB183_10 Depth=1
	ds_store_b64 v39, v[26:27]
; %bb.328:                              ;   in Loop: Header=BB183_10 Depth=1
	s_or_b32 exec_lo, exec_lo, s20
	v_and_b32_e32 v2, s15, v25
	v_and_b32_e32 v4, s14, v24
	s_lshl_b64 s[20:21], 2, s92
	v_or_b32_e32 v29, s13, v29
	v_or_b32_e32 v28, s12, v28
	;; [unrolled: 1-line block ×4, first 2 shown]
	s_mov_b32 s25, -1
	s_mov_b32 s73, 0
	s_cmp_eq_u64 s[8:9], 0
	s_mov_b32 s22, 0
	s_mov_b32 s23, -1
	s_wait_dscnt 0x0
	s_barrier_signal -1
	s_barrier_wait -1
                                        ; implicit-def: $vgpr6_vgpr7
	s_cbranch_scc1 .LBB183_345
; %bb.329:                              ;   in Loop: Header=BB183_10 Depth=1
	s_add_nc_u64 s[20:21], s[8:9], s[62:63]
	s_delay_alu instid0(SALU_CYCLE_1) | instskip(NEXT) | instid1(SALU_CYCLE_1)
	s_and_b64 s[22:23], s[20:21], 0xffffffff00000000
	s_cmp_lg_u64 s[22:23], 0
	s_cbranch_scc0 .LBB183_388
; %bb.330:                              ;   in Loop: Header=BB183_10 Depth=1
	s_cvt_f32_u32 s22, s34
	s_sub_nc_u64 s[40:41], 0, s[34:35]
	s_delay_alu instid0(SALU_CYCLE_2) | instskip(NEXT) | instid1(SALU_CYCLE_3)
	s_fmamk_f32 s22, s94, 0x0, s22
	v_s_rcp_f32 s22, s22
	s_delay_alu instid0(TRANS32_DEP_1) | instskip(NEXT) | instid1(SALU_CYCLE_3)
	s_mul_f32 s22, s22, 0x5f7ffffc
	s_mul_f32 s23, s22, 0x2f800000
	s_delay_alu instid0(SALU_CYCLE_3) | instskip(NEXT) | instid1(SALU_CYCLE_3)
	s_trunc_f32 s23, s23
	s_fmamk_f32 s22, s23, 0xcf800000, s22
	s_cvt_u32_f32 s23, s23
	s_delay_alu instid0(SALU_CYCLE_2) | instskip(NEXT) | instid1(SALU_CYCLE_3)
	s_cvt_u32_f32 s22, s22
	s_mul_u64 s[42:43], s[40:41], s[22:23]
	s_delay_alu instid0(SALU_CYCLE_1)
	s_mul_hi_u32 s61, s22, s43
	s_mul_i32 s60, s22, s43
	s_mul_hi_u32 s26, s22, s42
	s_mul_i32 s45, s23, s42
	s_add_nc_u64 s[60:61], s[26:27], s[60:61]
	s_mul_hi_u32 s44, s23, s42
	s_mul_hi_u32 s46, s23, s43
	s_add_co_u32 s26, s60, s45
	s_add_co_ci_u32 s26, s61, s44
	s_mul_i32 s42, s23, s43
	s_add_co_ci_u32 s43, s46, 0
	s_delay_alu instid0(SALU_CYCLE_1) | instskip(NEXT) | instid1(SALU_CYCLE_1)
	s_add_nc_u64 s[42:43], s[26:27], s[42:43]
	s_add_co_u32 s22, s22, s42
	s_cselect_b32 s26, -1, 0
	s_delay_alu instid0(SALU_CYCLE_1) | instskip(SKIP_1) | instid1(SALU_CYCLE_1)
	s_cmp_lg_u32 s26, 0
	s_add_co_ci_u32 s23, s23, s43
	s_mul_u64 s[40:41], s[40:41], s[22:23]
	s_delay_alu instid0(SALU_CYCLE_1)
	s_mul_hi_u32 s43, s22, s41
	s_mul_i32 s42, s22, s41
	s_mul_hi_u32 s26, s22, s40
	s_mul_i32 s45, s23, s40
	s_add_nc_u64 s[42:43], s[26:27], s[42:43]
	s_mul_hi_u32 s44, s23, s40
	s_mul_hi_u32 s46, s23, s41
	s_add_co_u32 s26, s42, s45
	s_add_co_ci_u32 s26, s43, s44
	s_mul_i32 s40, s23, s41
	s_add_co_ci_u32 s41, s46, 0
	s_delay_alu instid0(SALU_CYCLE_1) | instskip(NEXT) | instid1(SALU_CYCLE_1)
	s_add_nc_u64 s[40:41], s[26:27], s[40:41]
	s_add_co_u32 s22, s22, s40
	s_cselect_b32 s40, -1, 0
	s_mul_hi_u32 s26, s20, s22
	s_cmp_lg_u32 s40, 0
	s_mul_hi_u32 s42, s21, s22
	s_add_co_ci_u32 s40, s23, s41
	s_mul_i32 s41, s21, s22
	s_mul_hi_u32 s23, s20, s40
	s_mul_i32 s22, s20, s40
	s_mul_hi_u32 s43, s21, s40
	s_add_nc_u64 s[22:23], s[26:27], s[22:23]
	s_mul_i32 s40, s21, s40
	s_add_co_u32 s22, s22, s41
	s_add_co_ci_u32 s26, s23, s42
	s_add_co_ci_u32 s41, s43, 0
	s_delay_alu instid0(SALU_CYCLE_1) | instskip(NEXT) | instid1(SALU_CYCLE_1)
	s_add_nc_u64 s[22:23], s[26:27], s[40:41]
	s_and_b64 s[40:41], s[22:23], 0xffffffff00000000
	s_delay_alu instid0(SALU_CYCLE_1) | instskip(NEXT) | instid1(SALU_CYCLE_1)
	s_or_b32 s40, s40, s22
	s_mul_u64 s[22:23], s[34:35], s[40:41]
	s_delay_alu instid0(SALU_CYCLE_1) | instskip(SKIP_1) | instid1(SALU_CYCLE_1)
	s_sub_co_u32 s22, s20, s22
	s_cselect_b32 s26, -1, 0
	s_cmp_lg_u32 s26, 0
	s_sub_co_ci_u32 s23, s21, s23
	s_sub_co_u32 s26, s22, s34
	s_cselect_b32 s40, -1, 0
	s_delay_alu instid0(SALU_CYCLE_1) | instskip(SKIP_3) | instid1(SALU_CYCLE_1)
	s_cmp_lg_u32 s40, 0
	s_sub_co_ci_u32 s40, s23, 0
	s_sub_co_u32 s41, s26, s34
	s_cselect_b32 s42, -1, 0
	s_cmp_lg_u32 s42, 0
	s_sub_co_ci_u32 s42, s40, 0
	s_cmp_ge_u32 s26, s34
	s_cselect_b32 s43, -1, 0
	s_cmp_eq_u32 s40, 0
	s_cselect_b32 s43, s43, -1
	s_delay_alu instid0(SALU_CYCLE_1)
	s_cmp_lg_u32 s43, 0
	s_cselect_b32 s40, s42, s40
	s_cselect_b32 s26, s41, s26
	s_cmp_ge_u32 s22, s34
	s_cselect_b32 s41, -1, 0
	s_cmp_eq_u32 s23, 0
	s_cselect_b32 s41, s41, -1
	s_delay_alu instid0(SALU_CYCLE_1)
	s_cmp_lg_u32 s41, 0
	s_cselect_b32 s23, s40, s23
	s_cselect_b32 s22, s26, s22
	s_cbranch_execnz .LBB183_332
.LBB183_331:                            ;   in Loop: Header=BB183_10 Depth=1
	v_cvt_f32_u32_e32 v2, s34
	s_sub_co_i32 s23, 0, s34
	s_delay_alu instid0(VALU_DEP_1) | instskip(SKIP_1) | instid1(TRANS32_DEP_1)
	v_rcp_iflag_f32_e32 v2, v2
	v_nop
	v_mul_f32_e32 v2, 0x4f7ffffe, v2
	s_delay_alu instid0(VALU_DEP_1) | instskip(NEXT) | instid1(VALU_DEP_1)
	v_cvt_u32_f32_e32 v2, v2
	v_readfirstlane_b32 s22, v2
	s_mul_i32 s23, s23, s22
	s_delay_alu instid0(SALU_CYCLE_1) | instskip(NEXT) | instid1(SALU_CYCLE_1)
	s_mul_hi_u32 s23, s22, s23
	s_add_co_i32 s22, s22, s23
	s_delay_alu instid0(SALU_CYCLE_1) | instskip(NEXT) | instid1(SALU_CYCLE_1)
	s_mul_hi_u32 s22, s20, s22
	s_mul_i32 s22, s22, s34
	s_delay_alu instid0(SALU_CYCLE_1) | instskip(NEXT) | instid1(SALU_CYCLE_1)
	s_sub_co_i32 s22, s20, s22
	s_sub_co_i32 s23, s22, s34
	s_cmp_ge_u32 s22, s34
	s_cselect_b32 s22, s23, s22
	s_delay_alu instid0(SALU_CYCLE_1) | instskip(SKIP_2) | instid1(SALU_CYCLE_1)
	s_sub_co_i32 s23, s22, s34
	s_cmp_ge_u32 s22, s34
	s_cselect_b32 s26, s23, s22
	s_mov_b64 s[22:23], s[26:27]
.LBB183_332:                            ;   in Loop: Header=BB183_10 Depth=1
	s_delay_alu instid0(SALU_CYCLE_1)
	s_sub_nc_u64 s[20:21], s[20:21], s[22:23]
	s_mov_b32 s23, 0
	s_mov_b32 s22, 0
	s_mov_b32 s26, exec_lo
                                        ; implicit-def: $vgpr6_vgpr7
	v_cmpx_gt_u64_e64 s[20:21], v[0:1]
	s_cbranch_execz .LBB183_344
; %bb.333:                              ;   in Loop: Header=BB183_10 Depth=1
	v_mov_b64_e32 v[8:9], v[0:1]
	v_mov_b32_e32 v10, v38
                                        ; implicit-def: $sgpr40
	s_branch .LBB183_337
.LBB183_334:                            ;   in Loop: Header=BB183_337 Depth=2
	s_or_b32 exec_lo, exec_lo, s41
	s_wait_dscnt 0x0
	s_barrier_signal -1
	s_barrier_wait -1
	ds_load_b128 v[4:7], v21 offset:3072
	s_wait_dscnt 0x0
	s_barrier_signal -1
	s_barrier_wait -1
	v_cmp_neq_f64_e32 vcc_lo, 0, v[4:5]
	s_cbranch_vccnz .LBB183_340
; %bb.335:                              ;   in Loop: Header=BB183_337 Depth=2
	v_add_nc_u64_e32 v[8:9], s[34:35], v[8:9]
	v_add_nc_u32_e32 v10, s91, v10
	s_mov_b32 s41, 0
	s_delay_alu instid0(VALU_DEP_2)
	v_cmp_le_u64_e32 vcc_lo, s[20:21], v[8:9]
	s_or_not1_b32 s42, vcc_lo, exec_lo
.LBB183_336:                            ;   in Loop: Header=BB183_337 Depth=2
	s_delay_alu instid0(SALU_CYCLE_1) | instskip(NEXT) | instid1(SALU_CYCLE_1)
	s_and_b32 s42, exec_lo, s42
	s_or_b32 s22, s42, s22
	s_and_not1_b32 s40, s40, exec_lo
	s_and_b32 s41, s41, exec_lo
	s_delay_alu instid0(SALU_CYCLE_1)
	s_or_b32 s40, s40, s41
	s_and_not1_b32 exec_lo, exec_lo, s22
	s_cbranch_execz .LBB183_343
.LBB183_337:                            ;   Parent Loop BB183_10 Depth=1
                                        ; =>  This Inner Loop Header: Depth=2
	s_mov_b32 s41, exec_lo
	s_delay_alu instid0(VALU_DEP_2)
	v_cmpx_gt_u64_e64 s[8:9], v[8:9]
	s_cbranch_execz .LBB183_334
; %bb.338:                              ;   in Loop: Header=BB183_337 Depth=2
	ds_load_b64 v[4:5], v10
	s_wait_dscnt 0x0
	v_cmp_o_f64_e32 vcc_lo, v[4:5], v[4:5]
	v_ashrrev_i32_e32 v2, 31, v5
	s_delay_alu instid0(VALU_DEP_1) | instskip(NEXT) | instid1(VALU_DEP_1)
	v_or_b32_e32 v6, 0x80000000, v2
	v_xor_b32_e32 v6, v6, v5
	s_delay_alu instid0(VALU_DEP_1) | instskip(NEXT) | instid1(VALU_DEP_1)
	v_dual_cndmask_b32 v6, -1, v6, vcc_lo :: v_dual_bitop2_b32 v2, v2, v4 bitop3:0x14
	v_dual_cndmask_b32 v2, -1, v2, vcc_lo :: v_dual_bitop2_b32 v7, v6, v29 bitop3:0x40
	s_delay_alu instid0(VALU_DEP_1) | instskip(NEXT) | instid1(VALU_DEP_1)
	v_and_b32_e32 v6, v2, v28
	v_cmp_eq_u64_e32 vcc_lo, v[6:7], v[24:25]
	s_and_b32 exec_lo, exec_lo, vcc_lo
	s_cbranch_execz .LBB183_334
; %bb.339:                              ;   in Loop: Header=BB183_337 Depth=2
	v_mov_b32_e32 v2, v21
	ds_store_b128 v21, v[2:5] offset:3072
	s_branch .LBB183_334
.LBB183_340:                            ;   in Loop: Header=BB183_337 Depth=2
	s_mov_b32 s42, -1
	s_mov_b32 s41, -1
                                        ; implicit-def: $vgpr8_vgpr9
                                        ; implicit-def: $vgpr10
	s_branch .LBB183_336
.LBB183_341:                            ;   in Loop: Header=BB183_10 Depth=1
                                        ; implicit-def: $sgpr24_sgpr25
	s_branch .LBB183_285
.LBB183_342:                            ;   in Loop: Header=BB183_10 Depth=1
                                        ; implicit-def: $sgpr8_sgpr9
	s_branch .LBB183_301
.LBB183_343:                            ;   in Loop: Header=BB183_10 Depth=1
	s_or_b32 exec_lo, exec_lo, s22
	s_delay_alu instid0(SALU_CYCLE_1)
	s_and_b32 s22, s40, exec_lo
.LBB183_344:                            ;   in Loop: Header=BB183_10 Depth=1
	s_or_b32 exec_lo, exec_lo, s26
.LBB183_345:                            ;   in Loop: Header=BB183_10 Depth=1
	s_delay_alu instid0(SALU_CYCLE_1)
	s_and_b32 vcc_lo, exec_lo, s23
	s_cbranch_vccz .LBB183_360
; %bb.346:                              ;   in Loop: Header=BB183_10 Depth=1
	s_and_b64 s[8:9], s[64:65], 0xffffffff00000000
	s_delay_alu instid0(SALU_CYCLE_1)
	s_cmp_lg_u64 s[8:9], 0
	s_cbranch_scc0 .LBB183_389
; %bb.347:                              ;   in Loop: Header=BB183_10 Depth=1
	s_cvt_f32_u32 s8, s34
	s_sub_nc_u64 s[20:21], 0, s[34:35]
	s_delay_alu instid0(SALU_CYCLE_2) | instskip(NEXT) | instid1(SALU_CYCLE_3)
	s_fmamk_f32 s8, s94, 0x0, s8
	v_s_rcp_f32 s8, s8
	s_delay_alu instid0(TRANS32_DEP_1) | instskip(NEXT) | instid1(SALU_CYCLE_3)
	s_mul_f32 s8, s8, 0x5f7ffffc
	s_mul_f32 s9, s8, 0x2f800000
	s_delay_alu instid0(SALU_CYCLE_3) | instskip(NEXT) | instid1(SALU_CYCLE_3)
	s_trunc_f32 s9, s9
	s_fmamk_f32 s8, s9, 0xcf800000, s8
	s_cvt_u32_f32 s9, s9
	s_delay_alu instid0(SALU_CYCLE_2) | instskip(NEXT) | instid1(SALU_CYCLE_3)
	s_cvt_u32_f32 s8, s8
	s_mul_u64 s[40:41], s[20:21], s[8:9]
	s_delay_alu instid0(SALU_CYCLE_1)
	s_mul_hi_u32 s43, s8, s41
	s_mul_i32 s42, s8, s41
	s_mul_hi_u32 s26, s8, s40
	s_mul_i32 s25, s9, s40
	s_add_nc_u64 s[42:43], s[26:27], s[42:43]
	s_mul_hi_u32 s23, s9, s40
	s_mul_hi_u32 s44, s9, s41
	s_add_co_u32 s25, s42, s25
	s_add_co_ci_u32 s26, s43, s23
	s_mul_i32 s40, s9, s41
	s_add_co_ci_u32 s41, s44, 0
	s_delay_alu instid0(SALU_CYCLE_1) | instskip(NEXT) | instid1(SALU_CYCLE_1)
	s_add_nc_u64 s[40:41], s[26:27], s[40:41]
	s_add_co_u32 s8, s8, s40
	s_cselect_b32 s23, -1, 0
	s_delay_alu instid0(SALU_CYCLE_1) | instskip(SKIP_1) | instid1(SALU_CYCLE_1)
	s_cmp_lg_u32 s23, 0
	s_add_co_ci_u32 s9, s9, s41
	s_mul_u64 s[20:21], s[20:21], s[8:9]
	s_delay_alu instid0(SALU_CYCLE_1)
	s_mul_hi_u32 s41, s8, s21
	s_mul_i32 s40, s8, s21
	s_mul_hi_u32 s26, s8, s20
	s_mul_i32 s25, s9, s20
	s_add_nc_u64 s[40:41], s[26:27], s[40:41]
	s_mul_hi_u32 s23, s9, s20
	s_mul_hi_u32 s42, s9, s21
	s_mul_i32 s20, s9, s21
	s_add_co_u32 s21, s40, s25
	s_add_co_ci_u32 s26, s41, s23
	s_add_co_ci_u32 s21, s42, 0
	s_delay_alu instid0(SALU_CYCLE_1) | instskip(NEXT) | instid1(SALU_CYCLE_1)
	s_add_nc_u64 s[20:21], s[26:27], s[20:21]
	s_add_co_u32 s8, s8, s20
	s_cselect_b32 s20, -1, 0
	s_mul_hi_u32 s26, s64, s8
	s_cmp_lg_u32 s20, 0
	s_mul_hi_u32 s23, s65, s8
	s_add_co_ci_u32 s20, s9, s21
	s_mul_i32 s21, s65, s8
	s_mul_hi_u32 s9, s64, s20
	s_mul_i32 s8, s64, s20
	s_mul_hi_u32 s25, s65, s20
	s_add_nc_u64 s[8:9], s[26:27], s[8:9]
	s_mul_i32 s20, s65, s20
	s_add_co_u32 s8, s8, s21
	s_add_co_ci_u32 s26, s9, s23
	s_add_co_ci_u32 s21, s25, 0
	s_delay_alu instid0(SALU_CYCLE_1) | instskip(NEXT) | instid1(SALU_CYCLE_1)
	s_add_nc_u64 s[8:9], s[26:27], s[20:21]
	s_and_b64 s[20:21], s[8:9], 0xffffffff00000000
	s_delay_alu instid0(SALU_CYCLE_1) | instskip(NEXT) | instid1(SALU_CYCLE_1)
	s_or_b32 s20, s20, s8
	s_mul_u64 s[8:9], s[34:35], s[20:21]
	s_delay_alu instid0(SALU_CYCLE_1) | instskip(SKIP_1) | instid1(SALU_CYCLE_1)
	s_sub_co_u32 s8, s64, s8
	s_cselect_b32 s20, -1, 0
	s_cmp_lg_u32 s20, 0
	s_sub_co_ci_u32 s9, s65, s9
	s_sub_co_u32 s20, s8, s34
	s_cselect_b32 s21, -1, 0
	s_delay_alu instid0(SALU_CYCLE_1) | instskip(SKIP_3) | instid1(SALU_CYCLE_1)
	s_cmp_lg_u32 s21, 0
	s_sub_co_ci_u32 s21, s9, 0
	s_sub_co_u32 s23, s20, s34
	s_cselect_b32 s25, -1, 0
	s_cmp_lg_u32 s25, 0
	s_sub_co_ci_u32 s25, s21, 0
	s_cmp_ge_u32 s20, s34
	s_cselect_b32 s26, -1, 0
	s_cmp_eq_u32 s21, 0
	s_cselect_b32 s26, s26, -1
	s_delay_alu instid0(SALU_CYCLE_1)
	s_cmp_lg_u32 s26, 0
	s_cselect_b32 s21, s25, s21
	s_cselect_b32 s20, s23, s20
	s_cmp_ge_u32 s8, s34
	s_cselect_b32 s23, -1, 0
	s_cmp_eq_u32 s9, 0
	s_cselect_b32 s23, s23, -1
	s_delay_alu instid0(SALU_CYCLE_1)
	s_cmp_lg_u32 s23, 0
	s_cselect_b32 s9, s21, s9
	s_cselect_b32 s8, s20, s8
	s_cbranch_execnz .LBB183_349
.LBB183_348:                            ;   in Loop: Header=BB183_10 Depth=1
	v_cvt_f32_u32_e32 v2, s34
	s_sub_co_i32 s9, 0, s34
	s_delay_alu instid0(VALU_DEP_1) | instskip(SKIP_1) | instid1(TRANS32_DEP_1)
	v_rcp_iflag_f32_e32 v2, v2
	v_nop
	v_mul_f32_e32 v2, 0x4f7ffffe, v2
	s_delay_alu instid0(VALU_DEP_1) | instskip(NEXT) | instid1(VALU_DEP_1)
	v_cvt_u32_f32_e32 v2, v2
	v_readfirstlane_b32 s8, v2
	s_mul_i32 s9, s9, s8
	s_delay_alu instid0(SALU_CYCLE_1) | instskip(NEXT) | instid1(SALU_CYCLE_1)
	s_mul_hi_u32 s9, s8, s9
	s_add_co_i32 s8, s8, s9
	s_delay_alu instid0(SALU_CYCLE_1) | instskip(NEXT) | instid1(SALU_CYCLE_1)
	s_mul_hi_u32 s8, s64, s8
	s_mul_i32 s8, s8, s34
	s_delay_alu instid0(SALU_CYCLE_1) | instskip(NEXT) | instid1(SALU_CYCLE_1)
	s_sub_co_i32 s8, s64, s8
	s_sub_co_i32 s9, s8, s34
	s_cmp_ge_u32 s8, s34
	s_cselect_b32 s8, s9, s8
	s_delay_alu instid0(SALU_CYCLE_1) | instskip(SKIP_2) | instid1(SALU_CYCLE_1)
	s_sub_co_i32 s9, s8, s34
	s_cmp_ge_u32 s8, s34
	s_cselect_b32 s26, s9, s8
	s_mov_b64 s[8:9], s[26:27]
.LBB183_349:                            ;   in Loop: Header=BB183_10 Depth=1
	s_delay_alu instid0(SALU_CYCLE_1)
	s_sub_nc_u64 s[8:9], s[64:65], s[8:9]
	s_mov_b32 s20, exec_lo
                                        ; implicit-def: $vgpr6_vgpr7
	v_nop
	v_cmpx_gt_u64_e64 s[8:9], v[0:1]
	s_cbranch_execz .LBB183_359
; %bb.350:                              ;   in Loop: Header=BB183_10 Depth=1
	v_mov_b64_e32 v[8:9], v[0:1]
	s_mov_b32 s21, 0
                                        ; implicit-def: $sgpr23
	s_branch .LBB183_354
.LBB183_351:                            ;   in Loop: Header=BB183_354 Depth=2
	s_or_b32 exec_lo, exec_lo, s25
	s_wait_dscnt 0x0
	s_barrier_signal -1
	s_barrier_wait -1
	ds_load_b128 v[4:7], v21 offset:3072
	s_wait_dscnt 0x0
	s_barrier_signal -1
	s_barrier_wait -1
	v_cmp_eq_f64_e32 vcc_lo, 0, v[4:5]
	s_cbranch_vccz .LBB183_357
; %bb.352:                              ;   in Loop: Header=BB183_354 Depth=2
	v_add_nc_u64_e32 v[8:9], s[34:35], v[8:9]
	s_mov_b32 s25, 0
	s_delay_alu instid0(VALU_DEP_1)
	v_cmp_le_u64_e32 vcc_lo, s[8:9], v[8:9]
	s_or_not1_b32 s26, vcc_lo, exec_lo
.LBB183_353:                            ;   in Loop: Header=BB183_354 Depth=2
	s_delay_alu instid0(SALU_CYCLE_1) | instskip(NEXT) | instid1(SALU_CYCLE_1)
	s_and_b32 s26, exec_lo, s26
	s_or_b32 s21, s26, s21
	s_and_not1_b32 s23, s23, exec_lo
	s_and_b32 s25, s25, exec_lo
	s_delay_alu instid0(SALU_CYCLE_1)
	s_or_b32 s23, s23, s25
	s_and_not1_b32 exec_lo, exec_lo, s21
	s_cbranch_execz .LBB183_358
.LBB183_354:                            ;   Parent Loop BB183_10 Depth=1
                                        ; =>  This Inner Loop Header: Depth=2
	s_mov_b32 s25, exec_lo
	s_delay_alu instid0(VALU_DEP_1)
	v_cmpx_gt_u64_e64 s[36:37], v[8:9]
	s_cbranch_execz .LBB183_351
; %bb.355:                              ;   in Loop: Header=BB183_354 Depth=2
	v_mul_u64_e32 v[4:5], s[30:31], v[8:9]
	s_delay_alu instid0(VALU_DEP_1) | instskip(SKIP_4) | instid1(VALU_DEP_1)
	v_lshl_add_u64 v[4:5], v[4:5], 3, s[28:29]
	global_load_b64 v[4:5], v[4:5], off
	s_wait_loadcnt 0x0
	v_cmp_o_f64_e32 vcc_lo, v[4:5], v[4:5]
	v_ashrrev_i32_e32 v2, 31, v5
	v_or_b32_e32 v6, 0x80000000, v2
	s_delay_alu instid0(VALU_DEP_1) | instskip(NEXT) | instid1(VALU_DEP_1)
	v_xor_b32_e32 v6, v6, v5
	v_dual_cndmask_b32 v6, -1, v6, vcc_lo :: v_dual_bitop2_b32 v2, v2, v4 bitop3:0x14
	s_delay_alu instid0(VALU_DEP_1) | instskip(NEXT) | instid1(VALU_DEP_1)
	v_dual_cndmask_b32 v2, -1, v2, vcc_lo :: v_dual_bitop2_b32 v7, v6, v29 bitop3:0x40
	v_and_b32_e32 v6, v2, v28
	s_delay_alu instid0(VALU_DEP_1)
	v_cmp_eq_u64_e32 vcc_lo, v[6:7], v[24:25]
	s_and_b32 exec_lo, exec_lo, vcc_lo
	s_cbranch_execz .LBB183_351
; %bb.356:                              ;   in Loop: Header=BB183_354 Depth=2
	v_mov_b32_e32 v2, v21
	ds_store_b128 v21, v[2:5] offset:3072
	s_branch .LBB183_351
.LBB183_357:                            ;   in Loop: Header=BB183_354 Depth=2
	s_mov_b32 s26, -1
	s_mov_b32 s25, -1
                                        ; implicit-def: $vgpr8_vgpr9
	s_branch .LBB183_353
.LBB183_358:                            ;   in Loop: Header=BB183_10 Depth=1
	s_or_b32 exec_lo, exec_lo, s21
	s_delay_alu instid0(SALU_CYCLE_1) | instskip(SKIP_1) | instid1(SALU_CYCLE_1)
	s_and_not1_b32 s8, s22, exec_lo
	s_and_b32 s9, s23, exec_lo
	s_or_b32 s22, s8, s9
.LBB183_359:                            ;   in Loop: Header=BB183_10 Depth=1
	s_or_b32 exec_lo, exec_lo, s20
	s_mov_b32 s25, 0
	s_mov_b32 s73, -1
.LBB183_360:                            ;   in Loop: Header=BB183_10 Depth=1
	s_or_not1_b32 s8, s22, exec_lo
.LBB183_361:                            ;   in Loop: Header=BB183_10 Depth=1
	s_or_b32 exec_lo, exec_lo, s58
	s_mov_b32 s9, 0
	s_and_saveexec_b32 s22, s8
	s_cbranch_execz .LBB183_474
; %bb.362:                              ;   in Loop: Header=BB183_10 Depth=1
	v_mov_b64_e32 v[8:9], 1
	v_mov_b32_e32 v20, 1
	s_xor_b32 s20, s74, -1
	s_delay_alu instid0(SALU_CYCLE_1)
	s_and_saveexec_b32 s8, s20
	s_cbranch_execz .LBB183_371
; %bb.363:                              ;   in Loop: Header=BB183_10 Depth=1
	s_mov_b32 s9, exec_lo
	v_cmpx_ge_u64_e64 s[18:19], v[32:33]
	s_xor_b32 s9, exec_lo, s9
	s_cbranch_execz .LBB183_368
; %bb.364:                              ;   in Loop: Header=BB183_10 Depth=1
	ds_load_b64 v[4:5], v21 offset:5120
	v_and_b32_e32 v2, s15, v25
	v_and_b32_e32 v8, s14, v24
	s_lshl_b64 s[20:21], 2, s92
	v_or_b32_e32 v29, s13, v29
	v_or_b32_e32 v28, s12, v28
	;; [unrolled: 1-line block ×4, first 2 shown]
	s_wait_dscnt 0x0
	v_cmp_ne_u64_e32 vcc_lo, 0, v[4:5]
	s_cbranch_vccnz .LBB183_368
; %bb.365:                              ;   in Loop: Header=BB183_10 Depth=1
	s_and_saveexec_b32 s20, s5
; %bb.366:                              ;   in Loop: Header=BB183_10 Depth=1
	v_mov_b64_e32 v[4:5], s[18:19]
	ds_store_b64 v21, v[4:5] offset:5128
; %bb.367:                              ;   in Loop: Header=BB183_10 Depth=1
	s_or_b32 exec_lo, exec_lo, s20
	s_wait_dscnt 0x0
	s_barrier_signal -1
	s_barrier_wait -1
.LBB183_368:                            ;   in Loop: Header=BB183_10 Depth=1
	s_or_saveexec_b32 s9, s9
	v_mov_b32_e32 v20, 5
	s_mov_b32 s20, 0
	s_xor_b32 exec_lo, exec_lo, s9
; %bb.369:                              ;   in Loop: Header=BB183_10 Depth=1
	v_sub_nc_u64_e64 v[32:33], v[32:33], s[18:19]
	v_mov_b32_e32 v20, 0
	s_mov_b32 s20, exec_lo
; %bb.370:                              ;   in Loop: Header=BB183_10 Depth=1
	s_or_b32 exec_lo, exec_lo, s9
	s_delay_alu instid0(VALU_DEP_2)
	v_mov_b64_e32 v[8:9], v[32:33]
	s_and_b32 s9, s20, exec_lo
.LBB183_371:                            ;   in Loop: Header=BB183_10 Depth=1
	s_or_b32 exec_lo, exec_lo, s8
	s_mov_b32 s8, -1
                                        ; implicit-def: $sgpr74
                                        ; implicit-def: $sgpr76
	s_and_saveexec_b32 s23, s9
	s_cbranch_execz .LBB183_473
; %bb.372:                              ;   in Loop: Header=BB183_10 Depth=1
	s_delay_alu instid0(VALU_DEP_1) | instskip(SKIP_2) | instid1(SALU_CYCLE_1)
	v_cmp_eq_u64_e32 vcc_lo, 1, v[8:9]
	s_cmp_eq_u64 s[16:17], 1
                                        ; implicit-def: $sgpr76
                                        ; implicit-def: $sgpr74
	s_cselect_b32 s8, -1, 0
	s_and_b32 s77, s8, vcc_lo
	s_mov_b32 s8, -1
	s_and_saveexec_b32 s58, s77
	s_cbranch_execz .LBB183_408
; %bb.373:                              ;   in Loop: Header=BB183_10 Depth=1
	ds_load_b64 v[4:5], v21 offset:5120
	s_wait_dscnt 0x0
	s_barrier_signal -1
	s_barrier_wait -1
	v_readfirstlane_b32 s8, v4
	v_readfirstlane_b32 s9, v5
	s_and_saveexec_b32 s18, s6
; %bb.374:                              ;   in Loop: Header=BB183_10 Depth=1
	ds_store_b64 v39, v[26:27]
; %bb.375:                              ;   in Loop: Header=BB183_10 Depth=1
	s_or_b32 exec_lo, exec_lo, s18
	v_and_b32_e32 v2, s15, v25
	v_and_b32_e32 v4, s14, v24
	s_lshl_b64 s[18:19], 1, s92
	v_or_b32_e32 v29, s13, v29
	v_or_b32_e32 v28, s12, v28
	;; [unrolled: 1-line block ×4, first 2 shown]
	s_mov_b32 s74, -1
	s_mov_b32 s76, 0
	s_cmp_eq_u64 s[8:9], 0
	s_mov_b32 s20, 0
	s_mov_b32 s21, -1
	s_wait_dscnt 0x0
	s_barrier_signal -1
	s_barrier_wait -1
                                        ; implicit-def: $vgpr6_vgpr7
	s_cbranch_scc1 .LBB183_392
; %bb.376:                              ;   in Loop: Header=BB183_10 Depth=1
	s_add_nc_u64 s[18:19], s[8:9], s[62:63]
	s_delay_alu instid0(SALU_CYCLE_1) | instskip(NEXT) | instid1(SALU_CYCLE_1)
	s_and_b64 s[20:21], s[18:19], 0xffffffff00000000
	s_cmp_lg_u64 s[20:21], 0
	s_cbranch_scc0 .LBB183_425
; %bb.377:                              ;   in Loop: Header=BB183_10 Depth=1
	s_cvt_f32_u32 s20, s34
	s_sub_nc_u64 s[40:41], 0, s[34:35]
	s_delay_alu instid0(SALU_CYCLE_2) | instskip(NEXT) | instid1(SALU_CYCLE_3)
	s_fmamk_f32 s20, s94, 0x0, s20
	v_s_rcp_f32 s20, s20
	s_delay_alu instid0(TRANS32_DEP_1) | instskip(NEXT) | instid1(SALU_CYCLE_3)
	s_mul_f32 s20, s20, 0x5f7ffffc
	s_mul_f32 s21, s20, 0x2f800000
	s_delay_alu instid0(SALU_CYCLE_3) | instskip(NEXT) | instid1(SALU_CYCLE_3)
	s_trunc_f32 s21, s21
	s_fmamk_f32 s20, s21, 0xcf800000, s20
	s_cvt_u32_f32 s21, s21
	s_delay_alu instid0(SALU_CYCLE_2) | instskip(NEXT) | instid1(SALU_CYCLE_3)
	s_cvt_u32_f32 s20, s20
	s_mul_u64 s[42:43], s[40:41], s[20:21]
	s_delay_alu instid0(SALU_CYCLE_1)
	s_mul_hi_u32 s61, s20, s43
	s_mul_i32 s60, s20, s43
	s_mul_hi_u32 s26, s20, s42
	s_mul_i32 s45, s21, s42
	s_add_nc_u64 s[60:61], s[26:27], s[60:61]
	s_mul_hi_u32 s44, s21, s42
	s_mul_hi_u32 s46, s21, s43
	s_add_co_u32 s26, s60, s45
	s_add_co_ci_u32 s26, s61, s44
	s_mul_i32 s42, s21, s43
	s_add_co_ci_u32 s43, s46, 0
	s_delay_alu instid0(SALU_CYCLE_1) | instskip(NEXT) | instid1(SALU_CYCLE_1)
	s_add_nc_u64 s[42:43], s[26:27], s[42:43]
	s_add_co_u32 s20, s20, s42
	s_cselect_b32 s26, -1, 0
	s_delay_alu instid0(SALU_CYCLE_1) | instskip(SKIP_1) | instid1(SALU_CYCLE_1)
	s_cmp_lg_u32 s26, 0
	s_add_co_ci_u32 s21, s21, s43
	s_mul_u64 s[40:41], s[40:41], s[20:21]
	s_delay_alu instid0(SALU_CYCLE_1)
	s_mul_hi_u32 s43, s20, s41
	s_mul_i32 s42, s20, s41
	s_mul_hi_u32 s26, s20, s40
	s_mul_i32 s45, s21, s40
	s_add_nc_u64 s[42:43], s[26:27], s[42:43]
	s_mul_hi_u32 s44, s21, s40
	s_mul_hi_u32 s46, s21, s41
	s_add_co_u32 s26, s42, s45
	s_add_co_ci_u32 s26, s43, s44
	s_mul_i32 s40, s21, s41
	s_add_co_ci_u32 s41, s46, 0
	s_delay_alu instid0(SALU_CYCLE_1) | instskip(NEXT) | instid1(SALU_CYCLE_1)
	s_add_nc_u64 s[40:41], s[26:27], s[40:41]
	s_add_co_u32 s20, s20, s40
	s_cselect_b32 s40, -1, 0
	s_mul_hi_u32 s26, s18, s20
	s_cmp_lg_u32 s40, 0
	s_mul_hi_u32 s42, s19, s20
	s_add_co_ci_u32 s40, s21, s41
	s_mul_i32 s41, s19, s20
	s_mul_hi_u32 s21, s18, s40
	s_mul_i32 s20, s18, s40
	s_mul_hi_u32 s43, s19, s40
	s_add_nc_u64 s[20:21], s[26:27], s[20:21]
	s_mul_i32 s40, s19, s40
	s_add_co_u32 s20, s20, s41
	s_add_co_ci_u32 s26, s21, s42
	s_add_co_ci_u32 s41, s43, 0
	s_delay_alu instid0(SALU_CYCLE_1) | instskip(NEXT) | instid1(SALU_CYCLE_1)
	s_add_nc_u64 s[20:21], s[26:27], s[40:41]
	s_and_b64 s[40:41], s[20:21], 0xffffffff00000000
	s_delay_alu instid0(SALU_CYCLE_1) | instskip(NEXT) | instid1(SALU_CYCLE_1)
	s_or_b32 s40, s40, s20
	s_mul_u64 s[20:21], s[34:35], s[40:41]
	s_delay_alu instid0(SALU_CYCLE_1) | instskip(SKIP_1) | instid1(SALU_CYCLE_1)
	s_sub_co_u32 s20, s18, s20
	s_cselect_b32 s26, -1, 0
	s_cmp_lg_u32 s26, 0
	s_sub_co_ci_u32 s21, s19, s21
	s_sub_co_u32 s26, s20, s34
	s_cselect_b32 s40, -1, 0
	s_delay_alu instid0(SALU_CYCLE_1) | instskip(SKIP_3) | instid1(SALU_CYCLE_1)
	s_cmp_lg_u32 s40, 0
	s_sub_co_ci_u32 s40, s21, 0
	s_sub_co_u32 s41, s26, s34
	s_cselect_b32 s42, -1, 0
	s_cmp_lg_u32 s42, 0
	s_sub_co_ci_u32 s42, s40, 0
	s_cmp_ge_u32 s26, s34
	s_cselect_b32 s43, -1, 0
	s_cmp_eq_u32 s40, 0
	s_cselect_b32 s43, s43, -1
	s_delay_alu instid0(SALU_CYCLE_1)
	s_cmp_lg_u32 s43, 0
	s_cselect_b32 s40, s42, s40
	s_cselect_b32 s26, s41, s26
	s_cmp_ge_u32 s20, s34
	s_cselect_b32 s41, -1, 0
	s_cmp_eq_u32 s21, 0
	s_cselect_b32 s41, s41, -1
	s_delay_alu instid0(SALU_CYCLE_1)
	s_cmp_lg_u32 s41, 0
	s_cselect_b32 s21, s40, s21
	s_cselect_b32 s20, s26, s20
	s_cbranch_execnz .LBB183_379
.LBB183_378:                            ;   in Loop: Header=BB183_10 Depth=1
	v_cvt_f32_u32_e32 v2, s34
	s_sub_co_i32 s21, 0, s34
	s_delay_alu instid0(VALU_DEP_1) | instskip(SKIP_1) | instid1(TRANS32_DEP_1)
	v_rcp_iflag_f32_e32 v2, v2
	v_nop
	v_mul_f32_e32 v2, 0x4f7ffffe, v2
	s_delay_alu instid0(VALU_DEP_1) | instskip(NEXT) | instid1(VALU_DEP_1)
	v_cvt_u32_f32_e32 v2, v2
	v_readfirstlane_b32 s20, v2
	s_mul_i32 s21, s21, s20
	s_delay_alu instid0(SALU_CYCLE_1) | instskip(NEXT) | instid1(SALU_CYCLE_1)
	s_mul_hi_u32 s21, s20, s21
	s_add_co_i32 s20, s20, s21
	s_delay_alu instid0(SALU_CYCLE_1) | instskip(NEXT) | instid1(SALU_CYCLE_1)
	s_mul_hi_u32 s20, s18, s20
	s_mul_i32 s20, s20, s34
	s_delay_alu instid0(SALU_CYCLE_1) | instskip(NEXT) | instid1(SALU_CYCLE_1)
	s_sub_co_i32 s20, s18, s20
	s_sub_co_i32 s21, s20, s34
	s_cmp_ge_u32 s20, s34
	s_cselect_b32 s20, s21, s20
	s_delay_alu instid0(SALU_CYCLE_1) | instskip(SKIP_2) | instid1(SALU_CYCLE_1)
	s_sub_co_i32 s21, s20, s34
	s_cmp_ge_u32 s20, s34
	s_cselect_b32 s26, s21, s20
	s_mov_b64 s[20:21], s[26:27]
.LBB183_379:                            ;   in Loop: Header=BB183_10 Depth=1
	s_delay_alu instid0(SALU_CYCLE_1)
	s_sub_nc_u64 s[18:19], s[18:19], s[20:21]
	s_mov_b32 s21, 0
	s_mov_b32 s20, 0
	s_mov_b32 s26, exec_lo
                                        ; implicit-def: $vgpr6_vgpr7
	v_cmpx_gt_u64_e64 s[18:19], v[0:1]
	s_cbranch_execz .LBB183_391
; %bb.380:                              ;   in Loop: Header=BB183_10 Depth=1
	v_mov_b64_e32 v[10:11], v[0:1]
	v_mov_b32_e32 v12, v38
                                        ; implicit-def: $sgpr40
	s_branch .LBB183_384
.LBB183_381:                            ;   in Loop: Header=BB183_384 Depth=2
	s_or_b32 exec_lo, exec_lo, s41
	s_wait_dscnt 0x0
	s_barrier_signal -1
	s_barrier_wait -1
	ds_load_b128 v[4:7], v21 offset:3072
	s_wait_dscnt 0x0
	s_barrier_signal -1
	s_barrier_wait -1
	v_cmp_neq_f64_e32 vcc_lo, 0, v[4:5]
	s_cbranch_vccnz .LBB183_387
; %bb.382:                              ;   in Loop: Header=BB183_384 Depth=2
	v_add_nc_u64_e32 v[10:11], s[34:35], v[10:11]
	v_add_nc_u32_e32 v12, s91, v12
	s_mov_b32 s41, 0
	s_delay_alu instid0(VALU_DEP_2)
	v_cmp_le_u64_e32 vcc_lo, s[18:19], v[10:11]
	s_or_not1_b32 s42, vcc_lo, exec_lo
.LBB183_383:                            ;   in Loop: Header=BB183_384 Depth=2
	s_delay_alu instid0(SALU_CYCLE_1) | instskip(NEXT) | instid1(SALU_CYCLE_1)
	s_and_b32 s42, exec_lo, s42
	s_or_b32 s20, s42, s20
	s_and_not1_b32 s40, s40, exec_lo
	s_and_b32 s41, s41, exec_lo
	s_delay_alu instid0(SALU_CYCLE_1)
	s_or_b32 s40, s40, s41
	s_and_not1_b32 exec_lo, exec_lo, s20
	s_cbranch_execz .LBB183_390
.LBB183_384:                            ;   Parent Loop BB183_10 Depth=1
                                        ; =>  This Inner Loop Header: Depth=2
	s_mov_b32 s41, exec_lo
	s_delay_alu instid0(VALU_DEP_2)
	v_cmpx_gt_u64_e64 s[8:9], v[10:11]
	s_cbranch_execz .LBB183_381
; %bb.385:                              ;   in Loop: Header=BB183_384 Depth=2
	ds_load_b64 v[4:5], v12
	s_wait_dscnt 0x0
	v_cmp_o_f64_e32 vcc_lo, v[4:5], v[4:5]
	v_ashrrev_i32_e32 v2, 31, v5
	s_delay_alu instid0(VALU_DEP_1) | instskip(NEXT) | instid1(VALU_DEP_1)
	v_or_b32_e32 v6, 0x80000000, v2
	v_xor_b32_e32 v6, v6, v5
	s_delay_alu instid0(VALU_DEP_1) | instskip(NEXT) | instid1(VALU_DEP_1)
	v_dual_cndmask_b32 v6, -1, v6, vcc_lo :: v_dual_bitop2_b32 v2, v2, v4 bitop3:0x14
	v_dual_cndmask_b32 v2, -1, v2, vcc_lo :: v_dual_bitop2_b32 v7, v6, v29 bitop3:0x40
	s_delay_alu instid0(VALU_DEP_1) | instskip(NEXT) | instid1(VALU_DEP_1)
	v_and_b32_e32 v6, v2, v28
	v_cmp_eq_u64_e32 vcc_lo, v[6:7], v[24:25]
	s_and_b32 exec_lo, exec_lo, vcc_lo
	s_cbranch_execz .LBB183_381
; %bb.386:                              ;   in Loop: Header=BB183_384 Depth=2
	v_mov_b32_e32 v2, v21
	ds_store_b128 v21, v[2:5] offset:3072
	s_branch .LBB183_381
.LBB183_387:                            ;   in Loop: Header=BB183_384 Depth=2
	s_mov_b32 s42, -1
	s_mov_b32 s41, -1
                                        ; implicit-def: $vgpr10_vgpr11
                                        ; implicit-def: $vgpr12
	s_branch .LBB183_383
.LBB183_388:                            ;   in Loop: Header=BB183_10 Depth=1
                                        ; implicit-def: $sgpr22_sgpr23
	s_branch .LBB183_331
.LBB183_389:                            ;   in Loop: Header=BB183_10 Depth=1
                                        ; implicit-def: $sgpr8_sgpr9
	s_branch .LBB183_348
.LBB183_390:                            ;   in Loop: Header=BB183_10 Depth=1
	s_or_b32 exec_lo, exec_lo, s20
	s_delay_alu instid0(SALU_CYCLE_1)
	s_and_b32 s20, s40, exec_lo
.LBB183_391:                            ;   in Loop: Header=BB183_10 Depth=1
	s_or_b32 exec_lo, exec_lo, s26
.LBB183_392:                            ;   in Loop: Header=BB183_10 Depth=1
	s_delay_alu instid0(SALU_CYCLE_1)
	s_and_b32 vcc_lo, exec_lo, s21
	s_cbranch_vccz .LBB183_407
; %bb.393:                              ;   in Loop: Header=BB183_10 Depth=1
	s_and_b64 s[8:9], s[64:65], 0xffffffff00000000
	s_delay_alu instid0(SALU_CYCLE_1)
	s_cmp_lg_u64 s[8:9], 0
	s_cbranch_scc0 .LBB183_426
; %bb.394:                              ;   in Loop: Header=BB183_10 Depth=1
	s_cvt_f32_u32 s8, s34
	s_sub_nc_u64 s[18:19], 0, s[34:35]
	s_delay_alu instid0(SALU_CYCLE_2) | instskip(NEXT) | instid1(SALU_CYCLE_3)
	s_fmamk_f32 s8, s94, 0x0, s8
	v_s_rcp_f32 s8, s8
	s_delay_alu instid0(TRANS32_DEP_1) | instskip(NEXT) | instid1(SALU_CYCLE_3)
	s_mul_f32 s8, s8, 0x5f7ffffc
	s_mul_f32 s9, s8, 0x2f800000
	s_delay_alu instid0(SALU_CYCLE_3) | instskip(NEXT) | instid1(SALU_CYCLE_3)
	s_trunc_f32 s9, s9
	s_fmamk_f32 s8, s9, 0xcf800000, s8
	s_cvt_u32_f32 s9, s9
	s_delay_alu instid0(SALU_CYCLE_2) | instskip(NEXT) | instid1(SALU_CYCLE_3)
	s_cvt_u32_f32 s8, s8
	s_mul_u64 s[40:41], s[18:19], s[8:9]
	s_delay_alu instid0(SALU_CYCLE_1)
	s_mul_hi_u32 s43, s8, s41
	s_mul_i32 s42, s8, s41
	s_mul_hi_u32 s26, s8, s40
	s_mul_i32 s44, s9, s40
	s_add_nc_u64 s[42:43], s[26:27], s[42:43]
	s_mul_hi_u32 s21, s9, s40
	s_mul_hi_u32 s45, s9, s41
	s_add_co_u32 s26, s42, s44
	s_add_co_ci_u32 s26, s43, s21
	s_mul_i32 s40, s9, s41
	s_add_co_ci_u32 s41, s45, 0
	s_delay_alu instid0(SALU_CYCLE_1) | instskip(NEXT) | instid1(SALU_CYCLE_1)
	s_add_nc_u64 s[40:41], s[26:27], s[40:41]
	s_add_co_u32 s8, s8, s40
	s_cselect_b32 s21, -1, 0
	s_delay_alu instid0(SALU_CYCLE_1) | instskip(SKIP_1) | instid1(SALU_CYCLE_1)
	s_cmp_lg_u32 s21, 0
	s_add_co_ci_u32 s9, s9, s41
	s_mul_u64 s[18:19], s[18:19], s[8:9]
	s_delay_alu instid0(SALU_CYCLE_1)
	s_mul_hi_u32 s41, s8, s19
	s_mul_i32 s40, s8, s19
	s_mul_hi_u32 s26, s8, s18
	s_mul_i32 s42, s9, s18
	s_add_nc_u64 s[40:41], s[26:27], s[40:41]
	s_mul_hi_u32 s21, s9, s18
	s_mul_hi_u32 s43, s9, s19
	s_mul_i32 s18, s9, s19
	s_add_co_u32 s19, s40, s42
	s_add_co_ci_u32 s26, s41, s21
	s_add_co_ci_u32 s19, s43, 0
	s_delay_alu instid0(SALU_CYCLE_1) | instskip(NEXT) | instid1(SALU_CYCLE_1)
	s_add_nc_u64 s[18:19], s[26:27], s[18:19]
	s_add_co_u32 s8, s8, s18
	s_cselect_b32 s18, -1, 0
	s_mul_hi_u32 s26, s64, s8
	s_cmp_lg_u32 s18, 0
	s_mul_hi_u32 s21, s65, s8
	s_add_co_ci_u32 s18, s9, s19
	s_mul_i32 s19, s65, s8
	s_mul_hi_u32 s9, s64, s18
	s_mul_i32 s8, s64, s18
	s_mul_hi_u32 s40, s65, s18
	s_add_nc_u64 s[8:9], s[26:27], s[8:9]
	s_mul_i32 s18, s65, s18
	s_add_co_u32 s8, s8, s19
	s_add_co_ci_u32 s26, s9, s21
	s_add_co_ci_u32 s19, s40, 0
	s_delay_alu instid0(SALU_CYCLE_1) | instskip(NEXT) | instid1(SALU_CYCLE_1)
	s_add_nc_u64 s[8:9], s[26:27], s[18:19]
	s_and_b64 s[18:19], s[8:9], 0xffffffff00000000
	s_delay_alu instid0(SALU_CYCLE_1) | instskip(NEXT) | instid1(SALU_CYCLE_1)
	s_or_b32 s18, s18, s8
	s_mul_u64 s[8:9], s[34:35], s[18:19]
	s_delay_alu instid0(SALU_CYCLE_1) | instskip(SKIP_1) | instid1(SALU_CYCLE_1)
	s_sub_co_u32 s8, s64, s8
	s_cselect_b32 s18, -1, 0
	s_cmp_lg_u32 s18, 0
	s_sub_co_ci_u32 s9, s65, s9
	s_sub_co_u32 s18, s8, s34
	s_cselect_b32 s19, -1, 0
	s_delay_alu instid0(SALU_CYCLE_1) | instskip(SKIP_3) | instid1(SALU_CYCLE_1)
	s_cmp_lg_u32 s19, 0
	s_sub_co_ci_u32 s19, s9, 0
	s_sub_co_u32 s21, s18, s34
	s_cselect_b32 s26, -1, 0
	s_cmp_lg_u32 s26, 0
	s_sub_co_ci_u32 s26, s19, 0
	s_cmp_ge_u32 s18, s34
	s_cselect_b32 s40, -1, 0
	s_cmp_eq_u32 s19, 0
	s_cselect_b32 s40, s40, -1
	s_delay_alu instid0(SALU_CYCLE_1)
	s_cmp_lg_u32 s40, 0
	s_cselect_b32 s19, s26, s19
	s_cselect_b32 s18, s21, s18
	s_cmp_ge_u32 s8, s34
	s_cselect_b32 s21, -1, 0
	s_cmp_eq_u32 s9, 0
	s_cselect_b32 s21, s21, -1
	s_delay_alu instid0(SALU_CYCLE_1)
	s_cmp_lg_u32 s21, 0
	s_cselect_b32 s9, s19, s9
	s_cselect_b32 s8, s18, s8
	s_cbranch_execnz .LBB183_396
.LBB183_395:                            ;   in Loop: Header=BB183_10 Depth=1
	v_cvt_f32_u32_e32 v2, s34
	s_sub_co_i32 s9, 0, s34
	s_delay_alu instid0(VALU_DEP_1) | instskip(SKIP_1) | instid1(TRANS32_DEP_1)
	v_rcp_iflag_f32_e32 v2, v2
	v_nop
	v_mul_f32_e32 v2, 0x4f7ffffe, v2
	s_delay_alu instid0(VALU_DEP_1) | instskip(NEXT) | instid1(VALU_DEP_1)
	v_cvt_u32_f32_e32 v2, v2
	v_readfirstlane_b32 s8, v2
	s_mul_i32 s9, s9, s8
	s_delay_alu instid0(SALU_CYCLE_1) | instskip(NEXT) | instid1(SALU_CYCLE_1)
	s_mul_hi_u32 s9, s8, s9
	s_add_co_i32 s8, s8, s9
	s_delay_alu instid0(SALU_CYCLE_1) | instskip(NEXT) | instid1(SALU_CYCLE_1)
	s_mul_hi_u32 s8, s64, s8
	s_mul_i32 s8, s8, s34
	s_delay_alu instid0(SALU_CYCLE_1) | instskip(NEXT) | instid1(SALU_CYCLE_1)
	s_sub_co_i32 s8, s64, s8
	s_sub_co_i32 s9, s8, s34
	s_cmp_ge_u32 s8, s34
	s_cselect_b32 s8, s9, s8
	s_delay_alu instid0(SALU_CYCLE_1) | instskip(SKIP_2) | instid1(SALU_CYCLE_1)
	s_sub_co_i32 s9, s8, s34
	s_cmp_ge_u32 s8, s34
	s_cselect_b32 s26, s9, s8
	s_mov_b64 s[8:9], s[26:27]
.LBB183_396:                            ;   in Loop: Header=BB183_10 Depth=1
	s_delay_alu instid0(SALU_CYCLE_1)
	s_sub_nc_u64 s[8:9], s[64:65], s[8:9]
	s_mov_b32 s18, exec_lo
                                        ; implicit-def: $vgpr6_vgpr7
	v_nop
	v_cmpx_gt_u64_e64 s[8:9], v[0:1]
	s_cbranch_execz .LBB183_406
; %bb.397:                              ;   in Loop: Header=BB183_10 Depth=1
	v_mov_b64_e32 v[10:11], v[0:1]
	s_mov_b32 s19, 0
                                        ; implicit-def: $sgpr21
	s_branch .LBB183_401
.LBB183_398:                            ;   in Loop: Header=BB183_401 Depth=2
	s_or_b32 exec_lo, exec_lo, s26
	s_wait_dscnt 0x0
	s_barrier_signal -1
	s_barrier_wait -1
	ds_load_b128 v[4:7], v21 offset:3072
	s_wait_dscnt 0x0
	s_barrier_signal -1
	s_barrier_wait -1
	v_cmp_eq_f64_e32 vcc_lo, 0, v[4:5]
	s_cbranch_vccz .LBB183_404
; %bb.399:                              ;   in Loop: Header=BB183_401 Depth=2
	v_add_nc_u64_e32 v[10:11], s[34:35], v[10:11]
	s_mov_b32 s26, 0
	s_delay_alu instid0(VALU_DEP_1)
	v_cmp_le_u64_e32 vcc_lo, s[8:9], v[10:11]
	s_or_not1_b32 s40, vcc_lo, exec_lo
.LBB183_400:                            ;   in Loop: Header=BB183_401 Depth=2
	s_delay_alu instid0(SALU_CYCLE_1) | instskip(NEXT) | instid1(SALU_CYCLE_1)
	s_and_b32 s40, exec_lo, s40
	s_or_b32 s19, s40, s19
	s_and_not1_b32 s21, s21, exec_lo
	s_and_b32 s26, s26, exec_lo
	s_delay_alu instid0(SALU_CYCLE_1)
	s_or_b32 s21, s21, s26
	s_and_not1_b32 exec_lo, exec_lo, s19
	s_cbranch_execz .LBB183_405
.LBB183_401:                            ;   Parent Loop BB183_10 Depth=1
                                        ; =>  This Inner Loop Header: Depth=2
	s_mov_b32 s26, exec_lo
	s_delay_alu instid0(VALU_DEP_1)
	v_cmpx_gt_u64_e64 s[36:37], v[10:11]
	s_cbranch_execz .LBB183_398
; %bb.402:                              ;   in Loop: Header=BB183_401 Depth=2
	v_mul_u64_e32 v[4:5], s[30:31], v[10:11]
	s_delay_alu instid0(VALU_DEP_1) | instskip(SKIP_4) | instid1(VALU_DEP_1)
	v_lshl_add_u64 v[4:5], v[4:5], 3, s[28:29]
	global_load_b64 v[4:5], v[4:5], off
	s_wait_loadcnt 0x0
	v_cmp_o_f64_e32 vcc_lo, v[4:5], v[4:5]
	v_ashrrev_i32_e32 v2, 31, v5
	v_or_b32_e32 v6, 0x80000000, v2
	s_delay_alu instid0(VALU_DEP_1) | instskip(NEXT) | instid1(VALU_DEP_1)
	v_xor_b32_e32 v6, v6, v5
	v_dual_cndmask_b32 v6, -1, v6, vcc_lo :: v_dual_bitop2_b32 v2, v2, v4 bitop3:0x14
	s_delay_alu instid0(VALU_DEP_1) | instskip(NEXT) | instid1(VALU_DEP_1)
	v_dual_cndmask_b32 v2, -1, v2, vcc_lo :: v_dual_bitop2_b32 v7, v6, v29 bitop3:0x40
	v_and_b32_e32 v6, v2, v28
	s_delay_alu instid0(VALU_DEP_1)
	v_cmp_eq_u64_e32 vcc_lo, v[6:7], v[24:25]
	s_and_b32 exec_lo, exec_lo, vcc_lo
	s_cbranch_execz .LBB183_398
; %bb.403:                              ;   in Loop: Header=BB183_401 Depth=2
	v_mov_b32_e32 v2, v21
	ds_store_b128 v21, v[2:5] offset:3072
	s_branch .LBB183_398
.LBB183_404:                            ;   in Loop: Header=BB183_401 Depth=2
	s_mov_b32 s40, -1
	s_mov_b32 s26, -1
                                        ; implicit-def: $vgpr10_vgpr11
	s_branch .LBB183_400
.LBB183_405:                            ;   in Loop: Header=BB183_10 Depth=1
	s_or_b32 exec_lo, exec_lo, s19
	s_delay_alu instid0(SALU_CYCLE_1) | instskip(SKIP_1) | instid1(SALU_CYCLE_1)
	s_and_not1_b32 s8, s20, exec_lo
	s_and_b32 s9, s21, exec_lo
	s_or_b32 s20, s8, s9
.LBB183_406:                            ;   in Loop: Header=BB183_10 Depth=1
	s_or_b32 exec_lo, exec_lo, s18
	s_mov_b32 s74, 0
	s_mov_b32 s76, -1
.LBB183_407:                            ;   in Loop: Header=BB183_10 Depth=1
	s_or_not1_b32 s8, s20, exec_lo
.LBB183_408:                            ;   in Loop: Header=BB183_10 Depth=1
	s_or_b32 exec_lo, exec_lo, s58
	s_mov_b32 s9, 0
	s_and_saveexec_b32 s20, s8
	s_cbranch_execz .LBB183_472
; %bb.409:                              ;   in Loop: Header=BB183_10 Depth=1
	v_mov_b64_e32 v[10:11], 1
	v_mov_b32_e32 v20, 1
	s_xor_b32 s18, s77, -1
	s_delay_alu instid0(SALU_CYCLE_1)
	s_and_saveexec_b32 s8, s18
	s_cbranch_execz .LBB183_418
; %bb.410:                              ;   in Loop: Header=BB183_10 Depth=1
	s_mov_b32 s9, exec_lo
	v_cmpx_ge_u64_e64 s[16:17], v[8:9]
	s_xor_b32 s9, exec_lo, s9
	s_cbranch_execz .LBB183_415
; %bb.411:                              ;   in Loop: Header=BB183_10 Depth=1
	ds_load_b64 v[4:5], v21 offset:5120
	v_and_b32_e32 v2, s15, v25
	v_and_b32_e32 v10, s14, v24
	s_lshl_b64 s[18:19], 1, s92
	v_or_b32_e32 v29, s13, v29
	v_or_b32_e32 v28, s12, v28
	;; [unrolled: 1-line block ×4, first 2 shown]
	s_wait_dscnt 0x0
	v_cmp_ne_u64_e32 vcc_lo, 0, v[4:5]
	s_cbranch_vccnz .LBB183_415
; %bb.412:                              ;   in Loop: Header=BB183_10 Depth=1
	s_and_saveexec_b32 s18, s5
; %bb.413:                              ;   in Loop: Header=BB183_10 Depth=1
	v_mov_b64_e32 v[4:5], s[16:17]
	ds_store_b64 v21, v[4:5] offset:5128
; %bb.414:                              ;   in Loop: Header=BB183_10 Depth=1
	s_or_b32 exec_lo, exec_lo, s18
	s_wait_dscnt 0x0
	s_barrier_signal -1
	s_barrier_wait -1
.LBB183_415:                            ;   in Loop: Header=BB183_10 Depth=1
	s_or_saveexec_b32 s9, s9
	v_mov_b32_e32 v20, 5
	s_mov_b32 s18, 0
	s_xor_b32 exec_lo, exec_lo, s9
; %bb.416:                              ;   in Loop: Header=BB183_10 Depth=1
	v_sub_nc_u64_e64 v[8:9], v[8:9], s[16:17]
	v_mov_b32_e32 v20, 0
	s_mov_b32 s18, exec_lo
; %bb.417:                              ;   in Loop: Header=BB183_10 Depth=1
	s_or_b32 exec_lo, exec_lo, s9
	s_delay_alu instid0(VALU_DEP_2)
	v_mov_b64_e32 v[10:11], v[8:9]
	s_and_b32 s9, s18, exec_lo
.LBB183_418:                            ;   in Loop: Header=BB183_10 Depth=1
	s_or_b32 exec_lo, exec_lo, s8
	s_mov_b32 s8, -1
                                        ; implicit-def: $sgpr61
                                        ; implicit-def: $sgpr60
	s_and_saveexec_b32 s21, s9
	s_cbranch_execz .LBB183_471
; %bb.419:                              ;   in Loop: Header=BB183_10 Depth=1
	s_delay_alu instid0(VALU_DEP_1) | instskip(SKIP_3) | instid1(SALU_CYCLE_1)
	v_cmp_eq_u64_e32 vcc_lo, 1, v[10:11]
	s_cmp_eq_u64 s[10:11], 1
	s_mov_b32 s9, -1
	s_cselect_b32 s8, -1, 0
                                        ; implicit-def: $sgpr61
                                        ; implicit-def: $sgpr60
	s_and_b32 s58, s8, vcc_lo
	s_delay_alu instid0(SALU_CYCLE_1)
	s_and_saveexec_b32 s59, s58
	s_cbranch_execz .LBB183_459
; %bb.420:                              ;   in Loop: Header=BB183_10 Depth=1
	ds_load_b64 v[4:5], v21 offset:5120
	s_wait_dscnt 0x0
	s_barrier_signal -1
	s_barrier_wait -1
	v_readfirstlane_b32 s8, v4
	v_readfirstlane_b32 s9, v5
	s_and_saveexec_b32 s16, s6
; %bb.421:                              ;   in Loop: Header=BB183_10 Depth=1
	ds_store_b64 v39, v[26:27]
; %bb.422:                              ;   in Loop: Header=BB183_10 Depth=1
	s_or_b32 exec_lo, exec_lo, s16
	v_and_b32_e32 v25, s15, v25
	v_and_b32_e32 v24, s14, v24
	v_or_b32_e32 v29, s13, v29
	v_or_b32_e32 v28, s12, v28
	s_mov_b32 s60, -1
	s_mov_b32 s61, 0
	s_cmp_eq_u64 s[8:9], 0
	s_mov_b32 s18, 0
	s_mov_b32 s19, -1
	s_wait_dscnt 0x0
	s_barrier_signal -1
	s_barrier_wait -1
                                        ; implicit-def: $vgpr6_vgpr7
	s_cbranch_scc1 .LBB183_441
; %bb.423:                              ;   in Loop: Header=BB183_10 Depth=1
	s_add_nc_u64 s[16:17], s[8:9], s[62:63]
	s_delay_alu instid0(SALU_CYCLE_1) | instskip(NEXT) | instid1(SALU_CYCLE_1)
	s_and_b64 s[18:19], s[16:17], 0xffffffff00000000
	s_cmp_lg_u64 s[18:19], 0
	s_cbranch_scc0 .LBB183_427
; %bb.424:                              ;   in Loop: Header=BB183_10 Depth=1
	s_cvt_f32_u32 s18, s34
	s_sub_nc_u64 s[40:41], 0, s[34:35]
	s_delay_alu instid0(SALU_CYCLE_2) | instskip(NEXT) | instid1(SALU_CYCLE_3)
	s_fmamk_f32 s18, s94, 0x0, s18
	v_s_rcp_f32 s18, s18
	s_delay_alu instid0(TRANS32_DEP_1) | instskip(NEXT) | instid1(SALU_CYCLE_3)
	s_mul_f32 s18, s18, 0x5f7ffffc
	s_mul_f32 s19, s18, 0x2f800000
	s_delay_alu instid0(SALU_CYCLE_3) | instskip(NEXT) | instid1(SALU_CYCLE_3)
	s_trunc_f32 s19, s19
	s_fmamk_f32 s18, s19, 0xcf800000, s18
	s_cvt_u32_f32 s19, s19
	s_delay_alu instid0(SALU_CYCLE_2) | instskip(NEXT) | instid1(SALU_CYCLE_3)
	s_cvt_u32_f32 s18, s18
	s_mul_u64 s[42:43], s[40:41], s[18:19]
	s_delay_alu instid0(SALU_CYCLE_1)
	s_mul_hi_u32 s79, s18, s43
	s_mul_i32 s78, s18, s43
	s_mul_hi_u32 s26, s18, s42
	s_mul_i32 s45, s19, s42
	s_add_nc_u64 s[78:79], s[26:27], s[78:79]
	s_mul_hi_u32 s44, s19, s42
	s_mul_hi_u32 s46, s19, s43
	s_add_co_u32 s26, s78, s45
	s_add_co_ci_u32 s26, s79, s44
	s_mul_i32 s42, s19, s43
	s_add_co_ci_u32 s43, s46, 0
	s_delay_alu instid0(SALU_CYCLE_1) | instskip(NEXT) | instid1(SALU_CYCLE_1)
	s_add_nc_u64 s[42:43], s[26:27], s[42:43]
	s_add_co_u32 s18, s18, s42
	s_cselect_b32 s26, -1, 0
	s_delay_alu instid0(SALU_CYCLE_1) | instskip(SKIP_1) | instid1(SALU_CYCLE_1)
	s_cmp_lg_u32 s26, 0
	s_add_co_ci_u32 s19, s19, s43
	s_mul_u64 s[40:41], s[40:41], s[18:19]
	s_delay_alu instid0(SALU_CYCLE_1)
	s_mul_hi_u32 s43, s18, s41
	s_mul_i32 s42, s18, s41
	s_mul_hi_u32 s26, s18, s40
	s_mul_i32 s45, s19, s40
	s_add_nc_u64 s[42:43], s[26:27], s[42:43]
	s_mul_hi_u32 s44, s19, s40
	s_mul_hi_u32 s46, s19, s41
	s_add_co_u32 s26, s42, s45
	s_add_co_ci_u32 s26, s43, s44
	s_mul_i32 s40, s19, s41
	s_add_co_ci_u32 s41, s46, 0
	s_delay_alu instid0(SALU_CYCLE_1) | instskip(NEXT) | instid1(SALU_CYCLE_1)
	s_add_nc_u64 s[40:41], s[26:27], s[40:41]
	s_add_co_u32 s18, s18, s40
	s_cselect_b32 s40, -1, 0
	s_mul_hi_u32 s26, s16, s18
	s_cmp_lg_u32 s40, 0
	s_mul_hi_u32 s42, s17, s18
	s_add_co_ci_u32 s40, s19, s41
	s_mul_i32 s41, s17, s18
	s_mul_hi_u32 s19, s16, s40
	s_mul_i32 s18, s16, s40
	s_mul_hi_u32 s43, s17, s40
	s_add_nc_u64 s[18:19], s[26:27], s[18:19]
	s_mul_i32 s40, s17, s40
	s_add_co_u32 s18, s18, s41
	s_add_co_ci_u32 s26, s19, s42
	s_add_co_ci_u32 s41, s43, 0
	s_delay_alu instid0(SALU_CYCLE_1) | instskip(NEXT) | instid1(SALU_CYCLE_1)
	s_add_nc_u64 s[18:19], s[26:27], s[40:41]
	s_and_b64 s[40:41], s[18:19], 0xffffffff00000000
	s_delay_alu instid0(SALU_CYCLE_1) | instskip(NEXT) | instid1(SALU_CYCLE_1)
	s_or_b32 s40, s40, s18
	s_mul_u64 s[18:19], s[34:35], s[40:41]
	s_delay_alu instid0(SALU_CYCLE_1) | instskip(SKIP_1) | instid1(SALU_CYCLE_1)
	s_sub_co_u32 s18, s16, s18
	s_cselect_b32 s26, -1, 0
	s_cmp_lg_u32 s26, 0
	s_sub_co_ci_u32 s19, s17, s19
	s_sub_co_u32 s26, s18, s34
	s_cselect_b32 s40, -1, 0
	s_delay_alu instid0(SALU_CYCLE_1) | instskip(SKIP_3) | instid1(SALU_CYCLE_1)
	s_cmp_lg_u32 s40, 0
	s_sub_co_ci_u32 s40, s19, 0
	s_sub_co_u32 s41, s26, s34
	s_cselect_b32 s42, -1, 0
	s_cmp_lg_u32 s42, 0
	s_sub_co_ci_u32 s42, s40, 0
	s_cmp_ge_u32 s26, s34
	s_cselect_b32 s43, -1, 0
	s_cmp_eq_u32 s40, 0
	s_cselect_b32 s43, s43, -1
	s_delay_alu instid0(SALU_CYCLE_1)
	s_cmp_lg_u32 s43, 0
	s_cselect_b32 s40, s42, s40
	s_cselect_b32 s26, s41, s26
	s_cmp_ge_u32 s18, s34
	s_cselect_b32 s41, -1, 0
	s_cmp_eq_u32 s19, 0
	s_cselect_b32 s41, s41, -1
	s_delay_alu instid0(SALU_CYCLE_1)
	s_cmp_lg_u32 s41, 0
	s_cselect_b32 s19, s40, s19
	s_cselect_b32 s18, s26, s18
	s_mov_b32 s26, 0
	s_branch .LBB183_428
.LBB183_425:                            ;   in Loop: Header=BB183_10 Depth=1
                                        ; implicit-def: $sgpr20_sgpr21
	s_branch .LBB183_378
.LBB183_426:                            ;   in Loop: Header=BB183_10 Depth=1
                                        ; implicit-def: $sgpr8_sgpr9
	s_branch .LBB183_395
.LBB183_427:                            ;   in Loop: Header=BB183_10 Depth=1
	s_mov_b32 s26, -1
                                        ; implicit-def: $sgpr18_sgpr19
.LBB183_428:                            ;   in Loop: Header=BB183_10 Depth=1
	s_delay_alu instid0(SALU_CYCLE_1)
	s_and_not1_b32 vcc_lo, exec_lo, s26
	s_cbranch_vccnz .LBB183_430
; %bb.429:                              ;   in Loop: Header=BB183_10 Depth=1
	v_cvt_f32_u32_e32 v2, s34
	s_sub_co_i32 s19, 0, s34
	s_delay_alu instid0(VALU_DEP_1) | instskip(SKIP_1) | instid1(TRANS32_DEP_1)
	v_rcp_iflag_f32_e32 v2, v2
	v_nop
	v_mul_f32_e32 v2, 0x4f7ffffe, v2
	s_delay_alu instid0(VALU_DEP_1) | instskip(NEXT) | instid1(VALU_DEP_1)
	v_cvt_u32_f32_e32 v2, v2
	v_readfirstlane_b32 s18, v2
	s_mul_i32 s19, s19, s18
	s_delay_alu instid0(SALU_CYCLE_1) | instskip(NEXT) | instid1(SALU_CYCLE_1)
	s_mul_hi_u32 s19, s18, s19
	s_add_co_i32 s18, s18, s19
	s_delay_alu instid0(SALU_CYCLE_1) | instskip(NEXT) | instid1(SALU_CYCLE_1)
	s_mul_hi_u32 s18, s16, s18
	s_mul_i32 s18, s18, s34
	s_delay_alu instid0(SALU_CYCLE_1) | instskip(NEXT) | instid1(SALU_CYCLE_1)
	s_sub_co_i32 s18, s16, s18
	s_sub_co_i32 s19, s18, s34
	s_cmp_ge_u32 s18, s34
	s_cselect_b32 s18, s19, s18
	s_delay_alu instid0(SALU_CYCLE_1) | instskip(SKIP_2) | instid1(SALU_CYCLE_1)
	s_sub_co_i32 s19, s18, s34
	s_cmp_ge_u32 s18, s34
	s_cselect_b32 s26, s19, s18
	s_mov_b64 s[18:19], s[26:27]
.LBB183_430:                            ;   in Loop: Header=BB183_10 Depth=1
	s_delay_alu instid0(SALU_CYCLE_1)
	s_sub_nc_u64 s[16:17], s[16:17], s[18:19]
	s_mov_b32 s19, 0
	s_mov_b32 s18, 0
	s_mov_b32 s26, exec_lo
                                        ; implicit-def: $vgpr6_vgpr7
	v_cmpx_gt_u64_e64 s[16:17], v[0:1]
	s_cbranch_execz .LBB183_440
; %bb.431:                              ;   in Loop: Header=BB183_10 Depth=1
	v_mov_b64_e32 v[8:9], v[0:1]
	v_mov_b32_e32 v12, v38
                                        ; implicit-def: $sgpr40
	s_branch .LBB183_435
.LBB183_432:                            ;   in Loop: Header=BB183_435 Depth=2
	s_or_b32 exec_lo, exec_lo, s41
	s_wait_dscnt 0x0
	s_barrier_signal -1
	s_barrier_wait -1
	ds_load_b128 v[4:7], v21 offset:3072
	s_wait_dscnt 0x0
	s_barrier_signal -1
	s_barrier_wait -1
	v_cmp_neq_f64_e32 vcc_lo, 0, v[4:5]
	s_cbranch_vccnz .LBB183_438
; %bb.433:                              ;   in Loop: Header=BB183_435 Depth=2
	v_add_nc_u64_e32 v[8:9], s[34:35], v[8:9]
	v_add_nc_u32_e32 v12, s91, v12
	s_mov_b32 s41, 0
	s_delay_alu instid0(VALU_DEP_2)
	v_cmp_le_u64_e32 vcc_lo, s[16:17], v[8:9]
	s_or_not1_b32 s42, vcc_lo, exec_lo
.LBB183_434:                            ;   in Loop: Header=BB183_435 Depth=2
	s_delay_alu instid0(SALU_CYCLE_1) | instskip(NEXT) | instid1(SALU_CYCLE_1)
	s_and_b32 s42, exec_lo, s42
	s_or_b32 s18, s42, s18
	s_and_not1_b32 s40, s40, exec_lo
	s_and_b32 s41, s41, exec_lo
	s_delay_alu instid0(SALU_CYCLE_1)
	s_or_b32 s40, s40, s41
	s_and_not1_b32 exec_lo, exec_lo, s18
	s_cbranch_execz .LBB183_439
.LBB183_435:                            ;   Parent Loop BB183_10 Depth=1
                                        ; =>  This Inner Loop Header: Depth=2
	s_mov_b32 s41, exec_lo
	s_delay_alu instid0(VALU_DEP_2)
	v_cmpx_gt_u64_e64 s[8:9], v[8:9]
	s_cbranch_execz .LBB183_432
; %bb.436:                              ;   in Loop: Header=BB183_435 Depth=2
	ds_load_b64 v[4:5], v12
	s_wait_dscnt 0x0
	v_cmp_o_f64_e32 vcc_lo, v[4:5], v[4:5]
	v_ashrrev_i32_e32 v2, 31, v5
	s_delay_alu instid0(VALU_DEP_1) | instskip(NEXT) | instid1(VALU_DEP_1)
	v_or_b32_e32 v6, 0x80000000, v2
	v_xor_b32_e32 v6, v6, v5
	s_delay_alu instid0(VALU_DEP_1) | instskip(NEXT) | instid1(VALU_DEP_1)
	v_dual_cndmask_b32 v6, -1, v6, vcc_lo :: v_dual_bitop2_b32 v2, v2, v4 bitop3:0x14
	v_dual_cndmask_b32 v2, -1, v2, vcc_lo :: v_dual_bitop2_b32 v7, v6, v29 bitop3:0x40
	s_delay_alu instid0(VALU_DEP_1) | instskip(NEXT) | instid1(VALU_DEP_1)
	v_and_b32_e32 v6, v2, v28
	v_cmp_eq_u64_e32 vcc_lo, v[6:7], v[24:25]
	s_and_b32 exec_lo, exec_lo, vcc_lo
	s_cbranch_execz .LBB183_432
; %bb.437:                              ;   in Loop: Header=BB183_435 Depth=2
	v_mov_b32_e32 v2, v21
	ds_store_b128 v21, v[2:5] offset:3072
	s_branch .LBB183_432
.LBB183_438:                            ;   in Loop: Header=BB183_435 Depth=2
	s_mov_b32 s42, -1
	s_mov_b32 s41, -1
                                        ; implicit-def: $vgpr8_vgpr9
                                        ; implicit-def: $vgpr12
	s_branch .LBB183_434
.LBB183_439:                            ;   in Loop: Header=BB183_10 Depth=1
	s_or_b32 exec_lo, exec_lo, s18
	s_delay_alu instid0(SALU_CYCLE_1)
	s_and_b32 s18, s40, exec_lo
.LBB183_440:                            ;   in Loop: Header=BB183_10 Depth=1
	s_or_b32 exec_lo, exec_lo, s26
.LBB183_441:                            ;   in Loop: Header=BB183_10 Depth=1
	s_delay_alu instid0(SALU_CYCLE_1)
	s_and_b32 vcc_lo, exec_lo, s19
	s_cbranch_vccz .LBB183_458
; %bb.442:                              ;   in Loop: Header=BB183_10 Depth=1
	s_and_b64 s[8:9], s[64:65], 0xffffffff00000000
	s_delay_alu instid0(SALU_CYCLE_1)
	s_cmp_lg_u64 s[8:9], 0
	s_cbranch_scc0 .LBB183_444
; %bb.443:                              ;   in Loop: Header=BB183_10 Depth=1
	s_cvt_f32_u32 s8, s34
	s_sub_nc_u64 s[16:17], 0, s[34:35]
	s_delay_alu instid0(SALU_CYCLE_2) | instskip(NEXT) | instid1(SALU_CYCLE_3)
	s_fmamk_f32 s8, s94, 0x0, s8
	v_s_rcp_f32 s8, s8
	s_delay_alu instid0(TRANS32_DEP_1) | instskip(NEXT) | instid1(SALU_CYCLE_3)
	s_mul_f32 s8, s8, 0x5f7ffffc
	s_mul_f32 s9, s8, 0x2f800000
	s_delay_alu instid0(SALU_CYCLE_3) | instskip(NEXT) | instid1(SALU_CYCLE_3)
	s_trunc_f32 s9, s9
	s_fmamk_f32 s8, s9, 0xcf800000, s8
	s_cvt_u32_f32 s9, s9
	s_delay_alu instid0(SALU_CYCLE_2) | instskip(NEXT) | instid1(SALU_CYCLE_3)
	s_cvt_u32_f32 s8, s8
	s_mul_u64 s[40:41], s[16:17], s[8:9]
	s_delay_alu instid0(SALU_CYCLE_1)
	s_mul_hi_u32 s43, s8, s41
	s_mul_i32 s42, s8, s41
	s_mul_hi_u32 s26, s8, s40
	s_mul_i32 s44, s9, s40
	s_add_nc_u64 s[42:43], s[26:27], s[42:43]
	s_mul_hi_u32 s19, s9, s40
	s_mul_hi_u32 s45, s9, s41
	s_add_co_u32 s26, s42, s44
	s_add_co_ci_u32 s26, s43, s19
	s_mul_i32 s40, s9, s41
	s_add_co_ci_u32 s41, s45, 0
	s_delay_alu instid0(SALU_CYCLE_1) | instskip(NEXT) | instid1(SALU_CYCLE_1)
	s_add_nc_u64 s[40:41], s[26:27], s[40:41]
	s_add_co_u32 s8, s8, s40
	s_cselect_b32 s19, -1, 0
	s_delay_alu instid0(SALU_CYCLE_1) | instskip(SKIP_1) | instid1(SALU_CYCLE_1)
	s_cmp_lg_u32 s19, 0
	s_add_co_ci_u32 s9, s9, s41
	s_mul_u64 s[16:17], s[16:17], s[8:9]
	s_delay_alu instid0(SALU_CYCLE_1)
	s_mul_hi_u32 s41, s8, s17
	s_mul_i32 s40, s8, s17
	s_mul_hi_u32 s26, s8, s16
	s_mul_i32 s42, s9, s16
	s_add_nc_u64 s[40:41], s[26:27], s[40:41]
	s_mul_hi_u32 s19, s9, s16
	s_mul_hi_u32 s43, s9, s17
	s_mul_i32 s16, s9, s17
	s_add_co_u32 s17, s40, s42
	s_add_co_ci_u32 s26, s41, s19
	s_add_co_ci_u32 s17, s43, 0
	s_delay_alu instid0(SALU_CYCLE_1) | instskip(NEXT) | instid1(SALU_CYCLE_1)
	s_add_nc_u64 s[16:17], s[26:27], s[16:17]
	s_add_co_u32 s8, s8, s16
	s_cselect_b32 s16, -1, 0
	s_mul_hi_u32 s26, s64, s8
	s_cmp_lg_u32 s16, 0
	s_mul_hi_u32 s19, s65, s8
	s_add_co_ci_u32 s16, s9, s17
	s_mul_i32 s17, s65, s8
	s_mul_hi_u32 s9, s64, s16
	s_mul_i32 s8, s64, s16
	s_mul_hi_u32 s40, s65, s16
	s_add_nc_u64 s[8:9], s[26:27], s[8:9]
	s_mul_i32 s16, s65, s16
	s_add_co_u32 s8, s8, s17
	s_add_co_ci_u32 s26, s9, s19
	s_add_co_ci_u32 s17, s40, 0
	s_delay_alu instid0(SALU_CYCLE_1) | instskip(NEXT) | instid1(SALU_CYCLE_1)
	s_add_nc_u64 s[8:9], s[26:27], s[16:17]
	s_and_b64 s[16:17], s[8:9], 0xffffffff00000000
	s_delay_alu instid0(SALU_CYCLE_1) | instskip(NEXT) | instid1(SALU_CYCLE_1)
	s_or_b32 s16, s16, s8
	s_mul_u64 s[8:9], s[34:35], s[16:17]
	s_delay_alu instid0(SALU_CYCLE_1) | instskip(SKIP_1) | instid1(SALU_CYCLE_1)
	s_sub_co_u32 s8, s64, s8
	s_cselect_b32 s16, -1, 0
	s_cmp_lg_u32 s16, 0
	s_sub_co_ci_u32 s9, s65, s9
	s_sub_co_u32 s16, s8, s34
	s_cselect_b32 s17, -1, 0
	s_delay_alu instid0(SALU_CYCLE_1) | instskip(SKIP_3) | instid1(SALU_CYCLE_1)
	s_cmp_lg_u32 s17, 0
	s_sub_co_ci_u32 s17, s9, 0
	s_sub_co_u32 s19, s16, s34
	s_cselect_b32 s26, -1, 0
	s_cmp_lg_u32 s26, 0
	s_sub_co_ci_u32 s26, s17, 0
	s_cmp_ge_u32 s16, s34
	s_cselect_b32 s40, -1, 0
	s_cmp_eq_u32 s17, 0
	s_cselect_b32 s40, s40, -1
	s_delay_alu instid0(SALU_CYCLE_1)
	s_cmp_lg_u32 s40, 0
	s_cselect_b32 s17, s26, s17
	s_cselect_b32 s16, s19, s16
	s_cmp_ge_u32 s8, s34
	s_cselect_b32 s19, -1, 0
	s_cmp_eq_u32 s9, 0
	s_cselect_b32 s19, s19, -1
	s_delay_alu instid0(SALU_CYCLE_1)
	s_cmp_lg_u32 s19, 0
	s_cselect_b32 s9, s17, s9
	s_cselect_b32 s8, s16, s8
	s_mov_b32 s16, 0
	s_branch .LBB183_445
.LBB183_444:                            ;   in Loop: Header=BB183_10 Depth=1
	s_mov_b32 s16, -1
                                        ; implicit-def: $sgpr8_sgpr9
.LBB183_445:                            ;   in Loop: Header=BB183_10 Depth=1
	s_delay_alu instid0(SALU_CYCLE_1)
	s_and_not1_b32 vcc_lo, exec_lo, s16
	s_cbranch_vccnz .LBB183_447
; %bb.446:                              ;   in Loop: Header=BB183_10 Depth=1
	v_cvt_f32_u32_e32 v2, s34
	s_sub_co_i32 s9, 0, s34
	s_delay_alu instid0(VALU_DEP_1) | instskip(SKIP_1) | instid1(TRANS32_DEP_1)
	v_rcp_iflag_f32_e32 v2, v2
	v_nop
	v_mul_f32_e32 v2, 0x4f7ffffe, v2
	s_delay_alu instid0(VALU_DEP_1) | instskip(NEXT) | instid1(VALU_DEP_1)
	v_cvt_u32_f32_e32 v2, v2
	v_readfirstlane_b32 s8, v2
	s_mul_i32 s9, s9, s8
	s_delay_alu instid0(SALU_CYCLE_1) | instskip(NEXT) | instid1(SALU_CYCLE_1)
	s_mul_hi_u32 s9, s8, s9
	s_add_co_i32 s8, s8, s9
	s_delay_alu instid0(SALU_CYCLE_1) | instskip(NEXT) | instid1(SALU_CYCLE_1)
	s_mul_hi_u32 s8, s64, s8
	s_mul_i32 s8, s8, s34
	s_delay_alu instid0(SALU_CYCLE_1) | instskip(NEXT) | instid1(SALU_CYCLE_1)
	s_sub_co_i32 s8, s64, s8
	s_sub_co_i32 s9, s8, s34
	s_cmp_ge_u32 s8, s34
	s_cselect_b32 s8, s9, s8
	s_delay_alu instid0(SALU_CYCLE_1) | instskip(SKIP_2) | instid1(SALU_CYCLE_1)
	s_sub_co_i32 s9, s8, s34
	s_cmp_ge_u32 s8, s34
	s_cselect_b32 s26, s9, s8
	s_mov_b64 s[8:9], s[26:27]
.LBB183_447:                            ;   in Loop: Header=BB183_10 Depth=1
	s_delay_alu instid0(SALU_CYCLE_1)
	s_sub_nc_u64 s[8:9], s[64:65], s[8:9]
	s_mov_b32 s16, exec_lo
                                        ; implicit-def: $vgpr6_vgpr7
	v_nop
	v_cmpx_gt_u64_e64 s[8:9], v[0:1]
	s_cbranch_execz .LBB183_457
; %bb.448:                              ;   in Loop: Header=BB183_10 Depth=1
	v_mov_b64_e32 v[8:9], v[0:1]
	s_mov_b32 s17, 0
                                        ; implicit-def: $sgpr19
	s_branch .LBB183_452
.LBB183_449:                            ;   in Loop: Header=BB183_452 Depth=2
	s_or_b32 exec_lo, exec_lo, s26
	s_wait_dscnt 0x0
	s_barrier_signal -1
	s_barrier_wait -1
	ds_load_b128 v[4:7], v21 offset:3072
	s_wait_dscnt 0x0
	s_barrier_signal -1
	s_barrier_wait -1
	v_cmp_eq_f64_e32 vcc_lo, 0, v[4:5]
	s_cbranch_vccz .LBB183_455
; %bb.450:                              ;   in Loop: Header=BB183_452 Depth=2
	v_add_nc_u64_e32 v[8:9], s[34:35], v[8:9]
	s_mov_b32 s26, 0
	s_delay_alu instid0(VALU_DEP_1)
	v_cmp_le_u64_e32 vcc_lo, s[8:9], v[8:9]
	s_or_not1_b32 s40, vcc_lo, exec_lo
.LBB183_451:                            ;   in Loop: Header=BB183_452 Depth=2
	s_delay_alu instid0(SALU_CYCLE_1) | instskip(NEXT) | instid1(SALU_CYCLE_1)
	s_and_b32 s40, exec_lo, s40
	s_or_b32 s17, s40, s17
	s_and_not1_b32 s19, s19, exec_lo
	s_and_b32 s26, s26, exec_lo
	s_delay_alu instid0(SALU_CYCLE_1)
	s_or_b32 s19, s19, s26
	s_and_not1_b32 exec_lo, exec_lo, s17
	s_cbranch_execz .LBB183_456
.LBB183_452:                            ;   Parent Loop BB183_10 Depth=1
                                        ; =>  This Inner Loop Header: Depth=2
	s_mov_b32 s26, exec_lo
	s_delay_alu instid0(VALU_DEP_1)
	v_cmpx_gt_u64_e64 s[36:37], v[8:9]
	s_cbranch_execz .LBB183_449
; %bb.453:                              ;   in Loop: Header=BB183_452 Depth=2
	v_mul_u64_e32 v[4:5], s[30:31], v[8:9]
	s_delay_alu instid0(VALU_DEP_1) | instskip(SKIP_4) | instid1(VALU_DEP_1)
	v_lshl_add_u64 v[4:5], v[4:5], 3, s[28:29]
	global_load_b64 v[4:5], v[4:5], off
	s_wait_loadcnt 0x0
	v_cmp_o_f64_e32 vcc_lo, v[4:5], v[4:5]
	v_ashrrev_i32_e32 v2, 31, v5
	v_or_b32_e32 v6, 0x80000000, v2
	s_delay_alu instid0(VALU_DEP_1) | instskip(NEXT) | instid1(VALU_DEP_1)
	v_xor_b32_e32 v6, v6, v5
	v_dual_cndmask_b32 v6, -1, v6, vcc_lo :: v_dual_bitop2_b32 v2, v2, v4 bitop3:0x14
	s_delay_alu instid0(VALU_DEP_1) | instskip(NEXT) | instid1(VALU_DEP_1)
	v_dual_cndmask_b32 v2, -1, v2, vcc_lo :: v_dual_bitop2_b32 v7, v6, v29 bitop3:0x40
	v_and_b32_e32 v6, v2, v28
	s_delay_alu instid0(VALU_DEP_1)
	v_cmp_eq_u64_e32 vcc_lo, v[6:7], v[24:25]
	s_and_b32 exec_lo, exec_lo, vcc_lo
	s_cbranch_execz .LBB183_449
; %bb.454:                              ;   in Loop: Header=BB183_452 Depth=2
	v_mov_b32_e32 v2, v21
	ds_store_b128 v21, v[2:5] offset:3072
	s_branch .LBB183_449
.LBB183_455:                            ;   in Loop: Header=BB183_452 Depth=2
	s_mov_b32 s40, -1
	s_mov_b32 s26, -1
                                        ; implicit-def: $vgpr8_vgpr9
	s_branch .LBB183_451
.LBB183_456:                            ;   in Loop: Header=BB183_10 Depth=1
	s_or_b32 exec_lo, exec_lo, s17
	s_delay_alu instid0(SALU_CYCLE_1) | instskip(SKIP_1) | instid1(SALU_CYCLE_1)
	s_and_not1_b32 s8, s18, exec_lo
	s_and_b32 s9, s19, exec_lo
	s_or_b32 s18, s8, s9
.LBB183_457:                            ;   in Loop: Header=BB183_10 Depth=1
	s_or_b32 exec_lo, exec_lo, s16
	s_mov_b32 s60, 0
	s_mov_b32 s61, -1
.LBB183_458:                            ;   in Loop: Header=BB183_10 Depth=1
	s_or_not1_b32 s9, s18, exec_lo
.LBB183_459:                            ;   in Loop: Header=BB183_10 Depth=1
	s_or_b32 exec_lo, exec_lo, s59
	s_mov_b32 s16, 0
	s_and_saveexec_b32 s8, s9
	s_cbranch_execz .LBB183_470
; %bb.460:                              ;   in Loop: Header=BB183_10 Depth=1
	v_mov_b64_e32 v[4:5], 1
	v_mov_b32_e32 v20, 1
	s_xor_b32 s16, s58, -1
	s_delay_alu instid0(SALU_CYCLE_1)
	s_and_saveexec_b32 s9, s16
	s_cbranch_execz .LBB183_469
; %bb.461:                              ;   in Loop: Header=BB183_10 Depth=1
	s_mov_b32 s16, exec_lo
	v_cmpx_ge_u64_e64 s[10:11], v[10:11]
	s_xor_b32 s16, exec_lo, s16
	s_cbranch_execz .LBB183_466
; %bb.462:                              ;   in Loop: Header=BB183_10 Depth=1
	ds_load_b64 v[4:5], v21 offset:5120
	v_and_b32_e32 v25, s15, v25
	v_and_b32_e32 v24, s14, v24
	v_or_b32_e32 v29, s13, v29
	v_or_b32_e32 v28, s12, v28
	s_wait_dscnt 0x0
	v_cmp_ne_u64_e32 vcc_lo, 0, v[4:5]
	s_cbranch_vccnz .LBB183_466
; %bb.463:                              ;   in Loop: Header=BB183_10 Depth=1
	s_and_saveexec_b32 s12, s5
; %bb.464:                              ;   in Loop: Header=BB183_10 Depth=1
	v_mov_b64_e32 v[4:5], s[10:11]
	ds_store_b64 v21, v[4:5] offset:5128
; %bb.465:                              ;   in Loop: Header=BB183_10 Depth=1
	s_or_b32 exec_lo, exec_lo, s12
	s_wait_dscnt 0x0
	s_barrier_signal -1
	s_barrier_wait -1
.LBB183_466:                            ;   in Loop: Header=BB183_10 Depth=1
	s_and_not1_saveexec_b32 s12, s16
; %bb.467:                              ;   in Loop: Header=BB183_10 Depth=1
	v_sub_nc_u64_e64 v[10:11], v[10:11], s[10:11]
; %bb.468:                              ;   in Loop: Header=BB183_10 Depth=1
	s_or_b32 exec_lo, exec_lo, s12
	s_delay_alu instid0(VALU_DEP_1)
	v_mov_b64_e32 v[4:5], v[10:11]
	v_mov_b32_e32 v20, 5
.LBB183_469:                            ;   in Loop: Header=BB183_10 Depth=1
	s_or_b32 exec_lo, exec_lo, s9
	s_delay_alu instid0(VALU_DEP_2)
	v_mov_b64_e32 v[10:11], v[4:5]
	s_mov_b32 s16, exec_lo
.LBB183_470:                            ;   in Loop: Header=BB183_10 Depth=1
	s_or_b32 exec_lo, exec_lo, s8
	s_delay_alu instid0(SALU_CYCLE_1)
	s_or_not1_b32 s8, s16, exec_lo
.LBB183_471:                            ;   in Loop: Header=BB183_10 Depth=1
	s_or_b32 exec_lo, exec_lo, s21
	s_delay_alu instid0(SALU_CYCLE_1)
	s_and_not1_b32 s9, s76, exec_lo
	s_and_b32 s10, s61, exec_lo
	s_and_not1_b32 s11, s74, exec_lo
	s_and_b32 s12, s60, exec_lo
	v_mov_b64_e32 v[8:9], v[10:11]
	s_or_b32 s76, s9, s10
	s_or_b32 s74, s11, s12
	s_and_b32 s9, s8, exec_lo
.LBB183_472:                            ;   in Loop: Header=BB183_10 Depth=1
	s_or_b32 exec_lo, exec_lo, s20
	s_delay_alu instid0(SALU_CYCLE_1)
	s_or_not1_b32 s8, s9, exec_lo
.LBB183_473:                            ;   in Loop: Header=BB183_10 Depth=1
	s_or_b32 exec_lo, exec_lo, s23
	s_delay_alu instid0(SALU_CYCLE_1)
	s_and_not1_b32 s9, s73, exec_lo
	s_and_b32 s10, s76, exec_lo
	s_and_not1_b32 s11, s25, exec_lo
	s_and_b32 s12, s74, exec_lo
	v_mov_b64_e32 v[32:33], v[8:9]
	s_or_b32 s73, s9, s10
	s_or_b32 s25, s11, s12
	s_and_b32 s9, s8, exec_lo
.LBB183_474:                            ;   in Loop: Header=BB183_10 Depth=1
	s_or_b32 exec_lo, exec_lo, s22
	s_delay_alu instid0(SALU_CYCLE_1)
	s_or_not1_b32 s8, s9, exec_lo
.LBB183_475:                            ;   in Loop: Header=BB183_10 Depth=1
	s_or_b32 exec_lo, exec_lo, s7
	s_mov_b32 s7, s72
	s_mov_b32 s9, s71
	s_and_saveexec_b32 s10, s8
; %bb.476:                              ;   in Loop: Header=BB183_10 Depth=1
	v_cmp_ne_u32_e32 vcc_lo, 5, v20
	v_cmp_eq_u32_e64 s7, 5, v20
	s_and_not1_b32 s8, s71, exec_lo
	s_and_not1_b32 s11, s72, exec_lo
	s_and_b32 s9, vcc_lo, exec_lo
	s_and_b32 s7, s7, exec_lo
	s_or_b32 s9, s8, s9
	s_or_b32 s7, s11, s7
; %bb.477:                              ;   in Loop: Header=BB183_10 Depth=1
	s_or_b32 exec_lo, exec_lo, s10
	s_delay_alu instid0(SALU_CYCLE_1)
	s_and_not1_b32 s8, s75, exec_lo
	s_and_b32 s10, s73, exec_lo
	s_and_not1_b32 s11, s70, exec_lo
	s_and_b32 s12, s25, exec_lo
	s_or_b32 s75, s8, s10
	s_and_not1_b32 s8, s71, exec_lo
	s_and_b32 s9, s9, exec_lo
	s_and_not1_b32 s10, s72, exec_lo
	s_and_b32 s7, s7, exec_lo
	s_or_b32 s70, s11, s12
	s_or_b32 s71, s8, s9
	;; [unrolled: 1-line block ×3, first 2 shown]
.LBB183_478:                            ;   in Loop: Header=BB183_10 Depth=1
	s_or_b32 exec_lo, exec_lo, s24
	s_mov_b32 s73, 0
	s_mov_b32 s74, 0
	s_and_saveexec_b32 s7, s72
.LBB183_479:                            ;   in Loop: Header=BB183_10 Depth=1
	v_mov_b32_e32 v20, 0
	s_or_b32 s71, s71, exec_lo
.LBB183_480:                            ;   in Loop: Header=BB183_10 Depth=1
	s_or_b32 exec_lo, exec_lo, s7
	v_mov_b64_e32 v[30:31], v[32:33]
	s_and_not1_b32 s7, s103, exec_lo
	s_and_b32 s9, s75, exec_lo
	s_and_not1_b32 s10, s101, exec_lo
	s_and_b32 s11, s70, exec_lo
	s_or_b32 s103, s7, s9
	s_or_b32 s101, s10, s11
	s_and_not1_b32 s7, vcc_hi, exec_lo
	s_and_b32 s9, s74, exec_lo
	s_and_not1_b32 s10, s104, exec_lo
	s_and_b32 s11, s73, exec_lo
	s_mov_b32 s8, -1
	s_and_not1_b32 s102, s102, exec_lo
	s_or_b32 vcc_hi, s7, s9
	s_or_b32 s104, s10, s11
	s_and_saveexec_b32 s7, s71
	s_delay_alu instid0(SALU_CYCLE_1)
	s_xor_b32 s7, exec_lo, s7
	s_cbranch_execz .LBB183_9
; %bb.481:                              ;   in Loop: Header=BB183_10 Depth=1
	s_mov_b32 s9, -1
	s_mov_b32 s10, exec_lo
	v_cmpx_eq_u32_e32 0, v20
	s_cbranch_execz .LBB183_8
; %bb.482:                              ;   in Loop: Header=BB183_10 Depth=1
	s_xor_b32 s96, s96, 1
	s_add_co_i32 s11, s92, -2
	s_cmp_eq_u32 s92, 0
	s_mov_b32 s92, s11
	s_cselect_b32 s8, -1, 0
	s_xor_b32 s9, exec_lo, -1
	s_or_not1_b32 s8, s8, exec_lo
	s_branch .LBB183_8
.LBB183_483:
	s_or_b32 exec_lo, exec_lo, s93
	s_xor_b32 s7, s100, -1
	s_xor_b32 s9, s98, -1
	;; [unrolled: 1-line block ×5, first 2 shown]
	s_mov_b32 s8, 0
	s_and_saveexec_b32 s12, s11
	s_delay_alu instid0(SALU_CYCLE_1)
	s_xor_b32 s16, exec_lo, s12
	s_cbranch_execnz .LBB183_490
; %bb.484:
	s_and_not1_saveexec_b32 s0, s16
	s_cbranch_execnz .LBB183_509
.LBB183_485:
	s_or_b32 exec_lo, exec_lo, s0
	s_and_saveexec_b32 s0, s8
.LBB183_486:
	; divergent unreachable
.LBB183_487:
	s_endpgm
.LBB183_488:
	v_cvt_f32_u32_e32 v1, s2
	s_sub_co_i32 s5, 0, s2
	s_delay_alu instid0(VALU_DEP_1) | instskip(SKIP_1) | instid1(TRANS32_DEP_1)
	v_rcp_iflag_f32_e32 v1, v1
	v_nop
	v_mul_f32_e32 v1, 0x4f7ffffe, v1
	s_delay_alu instid0(VALU_DEP_1) | instskip(NEXT) | instid1(VALU_DEP_1)
	v_cvt_u32_f32_e32 v1, v1
	v_readfirstlane_b32 s4, v1
	s_mul_i32 s5, s5, s4
	s_delay_alu instid0(SALU_CYCLE_1) | instskip(NEXT) | instid1(SALU_CYCLE_1)
	s_mul_hi_u32 s5, s4, s5
	s_add_co_i32 s4, s4, s5
	s_delay_alu instid0(SALU_CYCLE_1) | instskip(NEXT) | instid1(SALU_CYCLE_1)
	s_mul_hi_u32 s4, s48, s4
	s_mul_i32 s5, s4, s2
	s_add_co_i32 s6, s4, 1
	s_sub_co_i32 s5, s48, s5
	s_delay_alu instid0(SALU_CYCLE_1)
	s_sub_co_i32 s7, s5, s2
	s_cmp_ge_u32 s5, s2
	s_cselect_b32 s4, s6, s4
	s_cselect_b32 s5, s7, s5
	s_add_co_i32 s6, s4, 1
	s_cmp_ge_u32 s5, s2
	s_mov_b32 s7, 0
	s_cselect_b32 s6, s6, s4
	s_load_b64 s[54:55], s[0:1], 0x380
	v_cmp_lt_u64_e64 s4, s[48:49], s[50:51]
	s_and_b32 vcc_lo, exec_lo, s4
	s_cbranch_vccnz .LBB183_3
.LBB183_489:
	v_cvt_f32_u32_e32 v1, s50
	s_sub_co_i32 s5, 0, s50
	s_mov_b32 s53, 0
	s_delay_alu instid0(VALU_DEP_1) | instskip(SKIP_1) | instid1(TRANS32_DEP_1)
	v_rcp_iflag_f32_e32 v1, v1
	v_nop
	v_mul_f32_e32 v1, 0x4f7ffffe, v1
	s_delay_alu instid0(VALU_DEP_1) | instskip(NEXT) | instid1(VALU_DEP_1)
	v_cvt_u32_f32_e32 v1, v1
	v_readfirstlane_b32 s4, v1
	s_mul_i32 s5, s5, s4
	s_delay_alu instid0(SALU_CYCLE_1) | instskip(NEXT) | instid1(SALU_CYCLE_1)
	s_mul_hi_u32 s5, s4, s5
	s_add_co_i32 s4, s4, s5
	s_delay_alu instid0(SALU_CYCLE_1) | instskip(NEXT) | instid1(SALU_CYCLE_1)
	s_mul_hi_u32 s4, s48, s4
	s_mul_i32 s5, s4, s50
	s_add_co_i32 s8, s4, 1
	s_sub_co_i32 s5, s48, s5
	s_delay_alu instid0(SALU_CYCLE_1)
	s_sub_co_i32 s9, s5, s50
	s_cmp_ge_u32 s5, s50
	s_cselect_b32 s4, s8, s4
	s_cselect_b32 s5, s9, s5
	s_add_co_i32 s8, s4, 1
	s_cmp_ge_u32 s5, s50
	s_cselect_b32 s52, s8, s4
	s_wait_kmcnt 0x0
	v_cmp_lt_u64_e64 s4, s[48:49], s[54:55]
	s_mov_b64 s[56:57], 0
	s_and_b32 vcc_lo, exec_lo, s4
	s_cbranch_vccz .LBB183_4
	s_branch .LBB183_5
.LBB183_490:
	s_and_saveexec_b32 s11, s10
	s_delay_alu instid0(SALU_CYCLE_1)
	s_xor_b32 s17, exec_lo, s11
	s_cbranch_execz .LBB183_507
; %bb.491:
	s_and_saveexec_b32 s10, s9
	s_delay_alu instid0(SALU_CYCLE_1)
	s_xor_b32 s18, exec_lo, s10
	s_cbranch_execz .LBB183_505
; %bb.492:
	;; [unrolled: 5-line block ×3, first 2 shown]
	s_and_saveexec_b32 s7, s6
	s_delay_alu instid0(SALU_CYCLE_1)
	s_xor_b32 s6, exec_lo, s7
; %bb.494:
	v_dual_mov_b32 v3, 0 :: v_dual_lshrrev_b32 v2, 31, v25
	s_delay_alu instid0(VALU_DEP_1) | instskip(NEXT) | instid1(VALU_DEP_1)
	v_add_nc_u64_e32 v[2:3], -1, v[2:3]
	v_or_b32_e32 v3, 0x80000000, v3
	s_delay_alu instid0(VALU_DEP_2) | instskip(NEXT) | instid1(VALU_DEP_2)
	v_xor_b32_e32 v6, v2, v24
	v_xor_b32_e32 v7, v3, v25
; %bb.495:
	s_or_b32 exec_lo, exec_lo, s6
	s_and_saveexec_b32 s6, s5
; %bb.496:
	v_mov_b64_e32 v[2:3], 0
	v_mov_b32_e32 v4, 0
	ds_store_b64 v4, v[2:3] offset:5136
; %bb.497:
	s_or_b32 exec_lo, exec_lo, s6
	v_mov_b64_e32 v[4:5], 0
	s_wait_dscnt 0x0
	s_barrier_signal -1
	s_barrier_wait -1
	s_and_saveexec_b32 s5, s3
	s_cbranch_execz .LBB183_499
; %bb.498:
	global_load_b64 v[4:5], v[18:19], off
.LBB183_499:
	s_wait_xcnt 0x0
	s_or_b32 exec_lo, exec_lo, s5
	s_clause 0x1
	s_load_b128 s[24:27], s[0:1], 0x298
	s_load_b128 s[40:43], s[0:1], 0x440
	v_cmp_o_f64_e64 s5, v[6:7], v[6:7]
	v_ashrrev_i32_e32 v2, 31, v7
	s_clause 0x1
	s_load_b64 s[6:7], s[0:1], 0x368
	s_load_b64 s[8:9], s[0:1], 0x510
	s_add_nc_u64 s[10:11], s[36:37], 31
	s_mov_b64 s[12:13], 0xffffffffffffffe0
	s_mul_u64 s[14:15], s[52:53], s[50:51]
	s_and_b64 s[10:11], s[10:11], s[12:13]
	v_or_b32_e32 v3, 0x80000000, v2
	s_wait_xcnt 0x0
	s_sub_nc_u64 s[0:1], s[48:49], s[14:15]
	v_cmp_gt_u64_e32 vcc_lo, s[10:11], v[0:1]
	s_mov_b32 s21, -1
	v_xor_b32_e32 v3, v3, v7
	v_xor_b32_e32 v2, v2, v6
	s_wait_kmcnt 0x0
	s_mov_b64 s[46:47], s[26:27]
	s_mov_b64 s[44:45], s[24:25]
	s_mul_u64 s[24:25], s[56:57], s[54:55]
	s_mul_u64 s[22:23], s[52:53], s[44:45]
	s_sub_nc_u64 s[12:13], s[48:49], s[24:25]
	v_readlane_b32 s24, v56, 2
	v_readlane_b32 s25, v56, 3
	s_lshl_b64 s[14:15], s[22:23], 3
	s_mul_u64 s[26:27], s[56:57], s[40:41]
	s_mul_u64 s[0:1], s[0:1], s[46:47]
	s_lshl_b64 s[22:23], s[26:27], 3
	s_add_nc_u64 s[14:15], s[24:25], s[14:15]
	v_readlane_b32 s24, v56, 0
	v_readlane_b32 s25, v56, 1
	s_mul_u64 s[12:13], s[12:13], s[42:43]
	v_dual_cndmask_b32 v3, -1, v3, s5 :: v_dual_cndmask_b32 v2, -1, v2, s5
	s_lshl_b64 s[0:1], s[0:1], 3
	s_add_nc_u64 s[22:23], s[24:25], s[22:23]
	s_lshl_b64 s[24:25], s[12:13], 3
	s_add_nc_u64 s[12:13], s[14:15], s[0:1]
	s_add_nc_u64 s[14:15], s[22:23], s[24:25]
	s_mov_b32 s5, 0
	s_mov_b32 s1, 0
	s_and_saveexec_b32 s20, vcc_lo
	s_cbranch_execnz .LBB183_510
; %bb.500:
	s_or_b32 exec_lo, exec_lo, s20
	s_and_saveexec_b32 s4, s21
	s_cbranch_execnz .LBB183_527
.LBB183_501:
	s_or_b32 exec_lo, exec_lo, s4
	s_and_saveexec_b32 s0, s1
	s_delay_alu instid0(SALU_CYCLE_1)
	s_xor_b32 s0, exec_lo, s0
	s_cbranch_execnz .LBB183_552
.LBB183_502:
	s_or_b32 exec_lo, exec_lo, s0
	s_delay_alu instid0(SALU_CYCLE_1)
	s_and_b32 s8, s5, exec_lo
.LBB183_503:
	s_and_not1_saveexec_b32 s0, s19
	s_cbranch_execnz .LBB183_554
.LBB183_504:
	s_or_b32 exec_lo, exec_lo, s0
	s_delay_alu instid0(SALU_CYCLE_1)
	s_and_b32 s8, s8, exec_lo
.LBB183_505:
	s_and_not1_saveexec_b32 s0, s18
	s_cbranch_execnz .LBB183_553
.LBB183_506:
	s_or_b32 exec_lo, exec_lo, s0
	s_delay_alu instid0(SALU_CYCLE_1)
	s_and_b32 s8, s8, exec_lo
.LBB183_507:
	s_and_not1_saveexec_b32 s0, s17
	s_cbranch_execnz .LBB183_548
.LBB183_508:
	s_or_b32 exec_lo, exec_lo, s0
	s_delay_alu instid0(SALU_CYCLE_1)
	s_and_b32 s8, s8, exec_lo
	s_and_not1_saveexec_b32 s0, s16
	s_cbranch_execz .LBB183_485
.LBB183_509:
	s_or_b32 s8, s8, exec_lo
	s_trap 2
	s_or_b32 exec_lo, exec_lo, s0
	s_and_saveexec_b32 s0, s8
	s_cbranch_execnz .LBB183_486
	s_branch .LBB183_487
.LBB183_510:
	v_mov_b64_e32 v[14:15], v[0:1]
	v_mov_b32_e32 v7, 0
	s_mov_b32 s21, 0
                                        ; implicit-def: $sgpr22
                                        ; implicit-def: $vgpr12_vgpr13
	s_branch .LBB183_512
.LBB183_511:                            ;   in Loop: Header=BB183_512 Depth=1
	s_or_b32 exec_lo, exec_lo, s24
	s_xor_b32 s0, s23, -1
	s_and_b32 s1, exec_lo, s1
	s_wait_loadcnt 0x0
	v_mov_b64_e32 v[4:5], v[10:11]
	v_mov_b64_e32 v[14:15], v[8:9]
	s_or_b32 s21, s1, s21
	s_and_not1_b32 s1, s22, exec_lo
	s_and_b32 s0, s0, exec_lo
	s_delay_alu instid0(SALU_CYCLE_1)
	s_or_b32 s22, s1, s0
	s_and_not1_b32 exec_lo, exec_lo, s21
	s_cbranch_execz .LBB183_526
.LBB183_512:                            ; =>This Inner Loop Header: Depth=1
	s_delay_alu instid0(VALU_DEP_2) | instskip(SKIP_2) | instid1(VALU_DEP_2)
	v_add_nc_u64_e32 v[8:9], s[34:35], v[14:15]
	v_mov_b64_e32 v[10:11], 0
	s_mov_b32 s1, exec_lo
	v_cmpx_gt_u64_e64 s[36:37], v[8:9]
	s_cbranch_execz .LBB183_514
; %bb.513:                              ;   in Loop: Header=BB183_512 Depth=1
	v_mul_u64_e32 v[10:11], s[30:31], v[8:9]
	s_delay_alu instid0(VALU_DEP_1)
	v_lshl_add_u64 v[10:11], v[10:11], 3, s[28:29]
	global_load_b64 v[10:11], v[10:11], off
.LBB183_514:                            ;   in Loop: Header=BB183_512 Depth=1
	s_wait_xcnt 0x0
	s_or_b32 exec_lo, exec_lo, s1
	s_mov_b32 s23, 0
	s_mov_b32 s1, exec_lo
	v_cmpx_gt_u64_e64 s[36:37], v[14:15]
	s_cbranch_execz .LBB183_516
; %bb.515:                              ;   in Loop: Header=BB183_512 Depth=1
	s_wait_loadcnt 0x0
	v_cmp_o_f64_e64 s0, v[4:5], v[4:5]
	v_ashrrev_i32_e32 v6, 31, v5
	s_delay_alu instid0(VALU_DEP_1) | instskip(NEXT) | instid1(VALU_DEP_1)
	v_or_b32_e32 v17, 0x80000000, v6
	v_xor_b32_e32 v17, v17, v5
	s_delay_alu instid0(VALU_DEP_1) | instskip(NEXT) | instid1(VALU_DEP_1)
	v_dual_cndmask_b32 v21, -1, v17, s0 :: v_dual_bitop2_b32 v6, v6, v4 bitop3:0x14
	v_cndmask_b32_e64 v20, -1, v6, s0
	s_delay_alu instid0(VALU_DEP_1) | instskip(NEXT) | instid1(VALU_DEP_1)
	v_cmp_gt_u64_e64 s0, v[20:21], v[2:3]
	v_cndmask_b32_e64 v6, 0, 1, s0
	v_cmp_lt_u64_e64 s0, v[20:21], v[2:3]
	s_delay_alu instid0(VALU_DEP_1) | instskip(NEXT) | instid1(VALU_DEP_1)
	v_cndmask_b32_e64 v17, 0, 1, s0
	v_cndmask_b32_e64 v6, v17, v6, s4
	s_delay_alu instid0(VALU_DEP_1) | instskip(NEXT) | instid1(VALU_DEP_1)
	v_and_b32_e32 v6, 1, v6
	v_cmp_eq_u32_e64 s0, 1, v6
	s_and_b32 s23, s0, exec_lo
.LBB183_516:                            ;   in Loop: Header=BB183_512 Depth=1
	s_or_b32 exec_lo, exec_lo, s1
	v_cndmask_b32_e64 v6, 0, 1, s23
	s_delay_alu instid0(VALU_DEP_1) | instskip(SKIP_2) | instid1(SALU_CYCLE_1)
	v_cmp_ne_u32_e64 s0, 0, v6
	s_cmp_lg_u32 s0, 0
	s_cselect_b32 s1, -1, 0
	s_and_b32 s1, s2, s1
	s_delay_alu instid0(SALU_CYCLE_1)
	s_and_saveexec_b32 s24, s1
	s_cbranch_execz .LBB183_520
; %bb.517:                              ;   in Loop: Header=BB183_512 Depth=1
	s_mov_b32 s27, exec_lo
	s_bcnt1_i32_b32 s25, s0
	v_mbcnt_lo_u32_b32 v17, s27, 0
	s_mov_b32 s26, exec_lo
                                        ; implicit-def: $vgpr12_vgpr13
	s_delay_alu instid0(VALU_DEP_1)
	v_cmpx_eq_u32_e32 0, v17
	s_cbranch_execz .LBB183_519
; %bb.518:                              ;   in Loop: Header=BB183_512 Depth=1
	s_bcnt1_i32_b32 s1, s27
	s_delay_alu instid0(SALU_CYCLE_1) | instskip(NEXT) | instid1(SALU_CYCLE_1)
	s_mul_i32 s1, s25, s1
	v_mov_b32_e32 v6, s1
	s_wait_dscnt 0x0
	ds_add_rtn_u64 v[12:13], v7, v[6:7] offset:5136
.LBB183_519:                            ;   in Loop: Header=BB183_512 Depth=1
	s_or_b32 exec_lo, exec_lo, s26
	s_wait_dscnt 0x0
	v_readfirstlane_b32 s27, v13
	v_readfirstlane_b32 s26, v12
	s_delay_alu instid0(VALU_DEP_1)
	v_mad_nc_u64_u32 v[12:13], s25, v17, s[26:27]
.LBB183_520:                            ;   in Loop: Header=BB183_512 Depth=1
	s_or_b32 exec_lo, exec_lo, s24
	s_wait_dscnt 0x1
	ds_bpermute_b32 v12, v7, v12
	s_wait_dscnt 0x1
	ds_bpermute_b32 v13, v7, v13
	s_mov_b32 s1, -1
	s_mov_b32 s25, -1
	s_and_saveexec_b32 s24, s23
	s_cbranch_execz .LBB183_524
; %bb.521:                              ;   in Loop: Header=BB183_512 Depth=1
	v_and_b32_e32 v6, s0, v16
	s_mov_b32 s23, 0
	s_mov_b32 s25, exec_lo
	s_delay_alu instid0(VALU_DEP_1) | instskip(SKIP_1) | instid1(VALU_DEP_1)
	v_bcnt_u32_b32 v6, v6, 0
	s_wait_dscnt 0x0
	v_add_nc_u64_e32 v[20:21], v[12:13], v[6:7]
	s_delay_alu instid0(VALU_DEP_1)
	v_cmpx_gt_u64_e64 s[38:39], v[20:21]
	s_cbranch_execz .LBB183_523
; %bb.522:                              ;   in Loop: Header=BB183_512 Depth=1
	v_mul_u64_e32 v[22:23], s[6:7], v[20:21]
	v_mul_u64_e32 v[20:21], s[8:9], v[20:21]
	s_mov_b32 s23, exec_lo
	s_delay_alu instid0(VALU_DEP_2) | instskip(NEXT) | instid1(VALU_DEP_2)
	v_lshl_add_u64 v[22:23], v[22:23], 3, s[12:13]
	v_lshl_add_u64 v[20:21], v[20:21], 3, s[14:15]
	s_wait_loadcnt 0x0
	global_store_b64 v[22:23], v[4:5], off
	global_store_b64 v[20:21], v[14:15], off
.LBB183_523:                            ;   in Loop: Header=BB183_512 Depth=1
	s_wait_xcnt 0x0
	s_or_b32 exec_lo, exec_lo, s25
	s_delay_alu instid0(SALU_CYCLE_1)
	s_or_not1_b32 s25, s23, exec_lo
.LBB183_524:                            ;   in Loop: Header=BB183_512 Depth=1
	s_or_b32 exec_lo, exec_lo, s24
	s_mov_b32 s23, -1
	s_and_saveexec_b32 s24, s25
	s_cbranch_execz .LBB183_511
; %bb.525:                              ;   in Loop: Header=BB183_512 Depth=1
	v_cmp_le_u64_e64 s0, s[10:11], v[8:9]
	s_xor_b32 s23, exec_lo, -1
	s_or_not1_b32 s1, s0, exec_lo
	s_branch .LBB183_511
.LBB183_526:
	s_or_b32 exec_lo, exec_lo, s21
	s_delay_alu instid0(SALU_CYCLE_1)
	s_mov_b32 s1, exec_lo
	s_or_not1_b32 s21, s22, exec_lo
	s_or_b32 exec_lo, exec_lo, s20
	s_and_saveexec_b32 s4, s21
	s_cbranch_execz .LBB183_501
.LBB183_527:
	v_mov_b64_e32 v[10:11], 0
	s_wait_storecnt 0x0
	s_wait_loadcnt_dscnt 0x0
	s_barrier_signal -1
	s_barrier_wait -1
	s_and_saveexec_b32 s0, s3
	s_cbranch_execz .LBB183_529
; %bb.528:
	global_load_b64 v[10:11], v[18:19], off
.LBB183_529:
	s_wait_xcnt 0x0
	s_or_b32 exec_lo, exec_lo, s0
	s_mov_b32 s0, 0
	s_and_saveexec_b32 s3, vcc_lo
	s_cbranch_execz .LBB183_551
; %bb.530:
	v_mov_b32_e32 v5, 0
	s_mov_b32 s5, 0
                                        ; implicit-def: $sgpr20
                                        ; implicit-def: $vgpr12_vgpr13
	s_branch .LBB183_533
.LBB183_531:                            ;   in Loop: Header=BB183_533 Depth=1
	s_or_b32 exec_lo, exec_lo, s21
	s_delay_alu instid0(SALU_CYCLE_1)
	s_or_not1_b32 s23, s23, exec_lo
	s_or_not1_b32 s22, s22, exec_lo
.LBB183_532:                            ;   in Loop: Header=BB183_533 Depth=1
	s_or_b32 exec_lo, exec_lo, s0
	s_xor_b32 s0, s23, -1
	s_and_b32 s21, exec_lo, s22
	v_mov_b64_e32 v[0:1], v[6:7]
	s_wait_loadcnt 0x0
	v_mov_b64_e32 v[10:11], v[8:9]
	s_or_b32 s5, s21, s5
	s_and_not1_b32 s20, s20, exec_lo
	s_and_b32 s0, s0, exec_lo
	s_delay_alu instid0(SALU_CYCLE_1)
	s_or_b32 s20, s20, s0
	s_and_not1_b32 exec_lo, exec_lo, s5
	s_cbranch_execz .LBB183_549
.LBB183_533:                            ; =>This Inner Loop Header: Depth=1
	v_add_nc_u64_e32 v[6:7], s[34:35], v[0:1]
	v_mov_b64_e32 v[8:9], 0
	s_mov_b32 s0, exec_lo
	s_delay_alu instid0(VALU_DEP_2)
	v_cmpx_gt_u64_e64 s[36:37], v[6:7]
	s_cbranch_execz .LBB183_535
; %bb.534:                              ;   in Loop: Header=BB183_533 Depth=1
	v_mul_u64_e32 v[8:9], s[30:31], v[6:7]
	s_delay_alu instid0(VALU_DEP_1)
	v_lshl_add_u64 v[8:9], v[8:9], 3, s[28:29]
	global_load_b64 v[8:9], v[8:9], off
.LBB183_535:                            ;   in Loop: Header=BB183_533 Depth=1
	s_wait_xcnt 0x0
	s_or_b32 exec_lo, exec_lo, s0
	s_mov_b32 s21, 0
	s_mov_b32 s0, exec_lo
	v_cmpx_gt_u64_e64 s[36:37], v[0:1]
	s_cbranch_execz .LBB183_537
; %bb.536:                              ;   in Loop: Header=BB183_533 Depth=1
	s_wait_loadcnt 0x0
	v_cmp_o_f64_e32 vcc_lo, v[10:11], v[10:11]
	v_ashrrev_i32_e32 v4, 31, v11
	s_delay_alu instid0(VALU_DEP_1) | instskip(NEXT) | instid1(VALU_DEP_1)
	v_or_b32_e32 v14, 0x80000000, v4
	v_xor_b32_e32 v14, v14, v11
	v_xor_b32_e32 v4, v4, v10
	s_delay_alu instid0(VALU_DEP_1) | instskip(NEXT) | instid1(VALU_DEP_1)
	v_dual_cndmask_b32 v15, -1, v14 :: v_dual_cndmask_b32 v14, -1, v4
	v_cmp_eq_u64_e32 vcc_lo, v[14:15], v[2:3]
	s_and_b32 s21, vcc_lo, exec_lo
.LBB183_537:                            ;   in Loop: Header=BB183_533 Depth=1
	s_or_b32 exec_lo, exec_lo, s0
	v_cndmask_b32_e64 v4, 0, 1, s21
	s_delay_alu instid0(VALU_DEP_1) | instskip(SKIP_2) | instid1(SALU_CYCLE_1)
	v_cmp_ne_u32_e32 vcc_lo, 0, v4
	s_cmp_lg_u32 vcc_lo, 0
	s_cselect_b32 s0, -1, 0
	s_and_b32 s0, s2, s0
	s_delay_alu instid0(SALU_CYCLE_1)
	s_and_saveexec_b32 s22, s0
	s_cbranch_execz .LBB183_541
; %bb.538:                              ;   in Loop: Header=BB183_533 Depth=1
	s_mov_b32 s25, exec_lo
	s_bcnt1_i32_b32 s23, vcc_lo
	v_mbcnt_lo_u32_b32 v14, s25, 0
	s_mov_b32 s24, exec_lo
                                        ; implicit-def: $vgpr12_vgpr13
	s_delay_alu instid0(VALU_DEP_1)
	v_cmpx_eq_u32_e32 0, v14
; %bb.539:                              ;   in Loop: Header=BB183_533 Depth=1
	s_bcnt1_i32_b32 s0, s25
	s_delay_alu instid0(SALU_CYCLE_1) | instskip(NEXT) | instid1(SALU_CYCLE_1)
	s_mul_i32 s0, s23, s0
	v_mov_b32_e32 v4, s0
	ds_add_rtn_u64 v[12:13], v5, v[4:5] offset:5136
; %bb.540:                              ;   in Loop: Header=BB183_533 Depth=1
	s_or_b32 exec_lo, exec_lo, s24
	s_wait_dscnt 0x0
	v_readfirstlane_b32 s25, v13
	v_readfirstlane_b32 s24, v12
	s_delay_alu instid0(VALU_DEP_1)
	v_mad_nc_u64_u32 v[12:13], s23, v14, s[24:25]
.LBB183_541:                            ;   in Loop: Header=BB183_533 Depth=1
	s_or_b32 exec_lo, exec_lo, s22
	ds_bpermute_b32 v12, v5, v12
	ds_bpermute_b32 v13, v5, v13
	s_cmp_eq_u32 vcc_lo, 0
	s_mov_b32 s22, -1
	s_cselect_b32 s23, -1, 0
	s_wait_dscnt 0x0
	v_cmp_gt_u64_e64 s0, s[38:39], v[12:13]
	s_or_b32 s24, s23, s0
	s_mov_b32 s23, -1
	s_and_saveexec_b32 s0, s24
	s_cbranch_execz .LBB183_532
; %bb.542:                              ;   in Loop: Header=BB183_533 Depth=1
	v_and_b32_e32 v4, vcc_lo, v16
	v_sub_nc_u64_e32 v[14:15], s[38:39], v[12:13]
	s_mov_b32 s24, -1
	s_delay_alu instid0(VALU_DEP_2) | instskip(NEXT) | instid1(VALU_DEP_1)
	v_bcnt_u32_b32 v4, v4, 0
	v_bcnt_u32_b32 v4, 0, v4
	s_delay_alu instid0(VALU_DEP_1) | instskip(SKIP_1) | instid1(SALU_CYCLE_1)
	v_cmp_gt_u64_e32 vcc_lo, v[14:15], v[4:5]
	s_and_b32 s25, s21, vcc_lo
	s_and_saveexec_b32 s21, s25
	s_cbranch_execz .LBB183_546
; %bb.543:                              ;   in Loop: Header=BB183_533 Depth=1
	v_add_nc_u64_e32 v[14:15], v[12:13], v[4:5]
	s_mov_b32 s24, 0
	s_mov_b32 s23, exec_lo
	s_delay_alu instid0(VALU_DEP_1)
	v_cmpx_gt_u64_e64 s[38:39], v[14:15]
	s_cbranch_execz .LBB183_545
; %bb.544:                              ;   in Loop: Header=BB183_533 Depth=1
	v_mul_u64_e32 v[18:19], s[6:7], v[14:15]
	v_mul_u64_e32 v[14:15], s[8:9], v[14:15]
	s_mov_b32 s24, exec_lo
	s_delay_alu instid0(VALU_DEP_2) | instskip(NEXT) | instid1(VALU_DEP_2)
	v_lshl_add_u64 v[18:19], v[18:19], 3, s[12:13]
	v_lshl_add_u64 v[14:15], v[14:15], 3, s[14:15]
	s_wait_loadcnt 0x0
	global_store_b64 v[18:19], v[10:11], off
	global_store_b64 v[14:15], v[0:1], off
.LBB183_545:                            ;   in Loop: Header=BB183_533 Depth=1
	s_wait_xcnt 0x0
	s_or_b32 exec_lo, exec_lo, s23
	s_delay_alu instid0(SALU_CYCLE_1)
	s_xor_b32 s23, exec_lo, -1
	s_or_not1_b32 s24, s24, exec_lo
.LBB183_546:                            ;   in Loop: Header=BB183_533 Depth=1
	s_or_b32 exec_lo, exec_lo, s21
	s_and_saveexec_b32 s21, s24
	s_cbranch_execz .LBB183_531
; %bb.547:                              ;   in Loop: Header=BB183_533 Depth=1
	v_cmp_le_u64_e32 vcc_lo, s[10:11], v[6:7]
	s_or_b32 s23, s23, exec_lo
	s_or_not1_b32 s22, vcc_lo, exec_lo
	s_branch .LBB183_531
.LBB183_548:
	s_or_b32 s8, s8, exec_lo
	s_trap 2
	s_branch .LBB183_508
.LBB183_549:
	s_or_b32 exec_lo, exec_lo, s5
	s_mov_b32 s0, 0
	s_and_saveexec_b32 s2, s20
	s_delay_alu instid0(SALU_CYCLE_1)
	s_xor_b32 s2, exec_lo, s2
	s_cbranch_execnz .LBB183_555
.LBB183_550:
	s_or_b32 exec_lo, exec_lo, s2
	s_delay_alu instid0(SALU_CYCLE_1)
	s_and_b32 s0, s0, exec_lo
.LBB183_551:
	s_or_b32 exec_lo, exec_lo, s3
	s_delay_alu instid0(SALU_CYCLE_1) | instskip(SKIP_3) | instid1(SALU_CYCLE_1)
	s_and_b32 s5, s0, exec_lo
	s_and_not1_b32 s1, s1, exec_lo
	s_or_b32 exec_lo, exec_lo, s4
	s_and_saveexec_b32 s0, s1
	s_xor_b32 s0, exec_lo, s0
	s_cbranch_execz .LBB183_502
.LBB183_552:
	s_or_b32 s5, s5, exec_lo
	s_trap 2
	s_branch .LBB183_502
.LBB183_553:
	s_or_b32 s8, s8, exec_lo
	s_trap 2
	s_branch .LBB183_506
.LBB183_554:
	s_or_b32 s8, s8, exec_lo
	s_trap 2
	s_branch .LBB183_504
.LBB183_555:
	s_mov_b32 s0, exec_lo
	s_trap 2
	s_branch .LBB183_550
	.section	.rodata,"a",@progbits
	.p2align	6, 0x0
	.amdhsa_kernel _ZN2at6native6sbtopk10gatherTopKIdmLi2ELb0EEEvNS_4cuda6detail10TensorInfoIKT_T0_EES8_S8_bS8_S8_NS5_IS6_S8_EES8_NS5_IlS8_EES8_PS6_
		.amdhsa_group_segment_fixed_size 5152
		.amdhsa_private_segment_fixed_size 0
		.amdhsa_kernarg_size 1568
		.amdhsa_user_sgpr_count 2
		.amdhsa_user_sgpr_dispatch_ptr 0
		.amdhsa_user_sgpr_queue_ptr 0
		.amdhsa_user_sgpr_kernarg_segment_ptr 1
		.amdhsa_user_sgpr_dispatch_id 0
		.amdhsa_user_sgpr_kernarg_preload_length 0
		.amdhsa_user_sgpr_kernarg_preload_offset 0
		.amdhsa_user_sgpr_private_segment_size 0
		.amdhsa_wavefront_size32 1
		.amdhsa_uses_dynamic_stack 0
		.amdhsa_enable_private_segment 0
		.amdhsa_system_sgpr_workgroup_id_x 1
		.amdhsa_system_sgpr_workgroup_id_y 1
		.amdhsa_system_sgpr_workgroup_id_z 1
		.amdhsa_system_sgpr_workgroup_info 0
		.amdhsa_system_vgpr_workitem_id 0
		.amdhsa_next_free_vgpr 57
		.amdhsa_next_free_sgpr 105
		.amdhsa_named_barrier_count 0
		.amdhsa_reserve_vcc 1
		.amdhsa_float_round_mode_32 0
		.amdhsa_float_round_mode_16_64 0
		.amdhsa_float_denorm_mode_32 3
		.amdhsa_float_denorm_mode_16_64 3
		.amdhsa_fp16_overflow 0
		.amdhsa_memory_ordered 1
		.amdhsa_forward_progress 1
		.amdhsa_inst_pref_size 203
		.amdhsa_round_robin_scheduling 0
		.amdhsa_exception_fp_ieee_invalid_op 0
		.amdhsa_exception_fp_denorm_src 0
		.amdhsa_exception_fp_ieee_div_zero 0
		.amdhsa_exception_fp_ieee_overflow 0
		.amdhsa_exception_fp_ieee_underflow 0
		.amdhsa_exception_fp_ieee_inexact 0
		.amdhsa_exception_int_div_zero 0
	.end_amdhsa_kernel
	.section	.text._ZN2at6native6sbtopk10gatherTopKIdmLi2ELb0EEEvNS_4cuda6detail10TensorInfoIKT_T0_EES8_S8_bS8_S8_NS5_IS6_S8_EES8_NS5_IlS8_EES8_PS6_,"axG",@progbits,_ZN2at6native6sbtopk10gatherTopKIdmLi2ELb0EEEvNS_4cuda6detail10TensorInfoIKT_T0_EES8_S8_bS8_S8_NS5_IS6_S8_EES8_NS5_IlS8_EES8_PS6_,comdat
.Lfunc_end183:
	.size	_ZN2at6native6sbtopk10gatherTopKIdmLi2ELb0EEEvNS_4cuda6detail10TensorInfoIKT_T0_EES8_S8_bS8_S8_NS5_IS6_S8_EES8_NS5_IlS8_EES8_PS6_, .Lfunc_end183-_ZN2at6native6sbtopk10gatherTopKIdmLi2ELb0EEEvNS_4cuda6detail10TensorInfoIKT_T0_EES8_S8_bS8_S8_NS5_IS6_S8_EES8_NS5_IlS8_EES8_PS6_
                                        ; -- End function
	.set _ZN2at6native6sbtopk10gatherTopKIdmLi2ELb0EEEvNS_4cuda6detail10TensorInfoIKT_T0_EES8_S8_bS8_S8_NS5_IS6_S8_EES8_NS5_IlS8_EES8_PS6_.num_vgpr, 57
	.set _ZN2at6native6sbtopk10gatherTopKIdmLi2ELb0EEEvNS_4cuda6detail10TensorInfoIKT_T0_EES8_S8_bS8_S8_NS5_IS6_S8_EES8_NS5_IlS8_EES8_PS6_.num_agpr, 0
	.set _ZN2at6native6sbtopk10gatherTopKIdmLi2ELb0EEEvNS_4cuda6detail10TensorInfoIKT_T0_EES8_S8_bS8_S8_NS5_IS6_S8_EES8_NS5_IlS8_EES8_PS6_.numbered_sgpr, 105
	.set _ZN2at6native6sbtopk10gatherTopKIdmLi2ELb0EEEvNS_4cuda6detail10TensorInfoIKT_T0_EES8_S8_bS8_S8_NS5_IS6_S8_EES8_NS5_IlS8_EES8_PS6_.num_named_barrier, 0
	.set _ZN2at6native6sbtopk10gatherTopKIdmLi2ELb0EEEvNS_4cuda6detail10TensorInfoIKT_T0_EES8_S8_bS8_S8_NS5_IS6_S8_EES8_NS5_IlS8_EES8_PS6_.private_seg_size, 0
	.set _ZN2at6native6sbtopk10gatherTopKIdmLi2ELb0EEEvNS_4cuda6detail10TensorInfoIKT_T0_EES8_S8_bS8_S8_NS5_IS6_S8_EES8_NS5_IlS8_EES8_PS6_.uses_vcc, 1
	.set _ZN2at6native6sbtopk10gatherTopKIdmLi2ELb0EEEvNS_4cuda6detail10TensorInfoIKT_T0_EES8_S8_bS8_S8_NS5_IS6_S8_EES8_NS5_IlS8_EES8_PS6_.uses_flat_scratch, 0
	.set _ZN2at6native6sbtopk10gatherTopKIdmLi2ELb0EEEvNS_4cuda6detail10TensorInfoIKT_T0_EES8_S8_bS8_S8_NS5_IS6_S8_EES8_NS5_IlS8_EES8_PS6_.has_dyn_sized_stack, 0
	.set _ZN2at6native6sbtopk10gatherTopKIdmLi2ELb0EEEvNS_4cuda6detail10TensorInfoIKT_T0_EES8_S8_bS8_S8_NS5_IS6_S8_EES8_NS5_IlS8_EES8_PS6_.has_recursion, 0
	.set _ZN2at6native6sbtopk10gatherTopKIdmLi2ELb0EEEvNS_4cuda6detail10TensorInfoIKT_T0_EES8_S8_bS8_S8_NS5_IS6_S8_EES8_NS5_IlS8_EES8_PS6_.has_indirect_call, 0
	.section	.AMDGPU.csdata,"",@progbits
; Kernel info:
; codeLenInByte = 25876
; TotalNumSgprs: 107
; NumVgprs: 57
; ScratchSize: 0
; MemoryBound: 0
; FloatMode: 240
; IeeeMode: 1
; LDSByteSize: 5152 bytes/workgroup (compile time only)
; SGPRBlocks: 0
; VGPRBlocks: 3
; NumSGPRsForWavesPerEU: 107
; NumVGPRsForWavesPerEU: 57
; NamedBarCnt: 0
; Occupancy: 16
; WaveLimiterHint : 1
; COMPUTE_PGM_RSRC2:SCRATCH_EN: 0
; COMPUTE_PGM_RSRC2:USER_SGPR: 2
; COMPUTE_PGM_RSRC2:TRAP_HANDLER: 0
; COMPUTE_PGM_RSRC2:TGID_X_EN: 1
; COMPUTE_PGM_RSRC2:TGID_Y_EN: 1
; COMPUTE_PGM_RSRC2:TGID_Z_EN: 1
; COMPUTE_PGM_RSRC2:TIDIG_COMP_CNT: 0
	.section	.text._ZN2at6native6mbtopk23computeBlockDigitCountsIdmmLi3EEEvNS_4cuda6detail10TensorInfoIKT_T0_EEjPjjS8_iijT1_PSB_Ps,"axG",@progbits,_ZN2at6native6mbtopk23computeBlockDigitCountsIdmmLi3EEEvNS_4cuda6detail10TensorInfoIKT_T0_EEjPjjS8_iijT1_PSB_Ps,comdat
	.protected	_ZN2at6native6mbtopk23computeBlockDigitCountsIdmmLi3EEEvNS_4cuda6detail10TensorInfoIKT_T0_EEjPjjS8_iijT1_PSB_Ps ; -- Begin function _ZN2at6native6mbtopk23computeBlockDigitCountsIdmmLi3EEEvNS_4cuda6detail10TensorInfoIKT_T0_EEjPjjS8_iijT1_PSB_Ps
	.globl	_ZN2at6native6mbtopk23computeBlockDigitCountsIdmmLi3EEEvNS_4cuda6detail10TensorInfoIKT_T0_EEjPjjS8_iijT1_PSB_Ps
	.p2align	8
	.type	_ZN2at6native6mbtopk23computeBlockDigitCountsIdmmLi3EEEvNS_4cuda6detail10TensorInfoIKT_T0_EEjPjjS8_iijT1_PSB_Ps,@function
_ZN2at6native6mbtopk23computeBlockDigitCountsIdmmLi3EEEvNS_4cuda6detail10TensorInfoIKT_T0_EEjPjjS8_iijT1_PSB_Ps: ; @_ZN2at6native6mbtopk23computeBlockDigitCountsIdmmLi3EEEvNS_4cuda6detail10TensorInfoIKT_T0_EEjPjjS8_iijT1_PSB_Ps
; %bb.0:
	s_load_b96 s[12:14], s[0:1], 0x1c0
	s_bfe_u32 s2, ttmp6, 0x40010
	s_and_b32 s4, ttmp7, 0xffff
	s_add_co_i32 s5, s2, 1
	s_bfe_u32 s6, ttmp6, 0x40004
	s_mul_i32 s5, s4, s5
	s_load_b64 s[2:3], s[0:1], 0x1e8
	s_add_co_i32 s6, s6, s5
	s_bfe_u32 s7, ttmp6, 0x4000c
	s_bfe_u32 s9, ttmp6, 0x40014
	s_add_co_i32 s7, s7, 1
	s_and_b32 s8, ttmp6, 15
	s_mul_i32 s7, ttmp9, s7
	s_add_co_i32 s9, s9, 1
	s_add_co_i32 s8, s8, s7
	s_getreg_b32 s10, hwreg(HW_REG_IB_STS2, 6, 4)
	s_mov_b32 s17, 0
	s_wait_kmcnt 0x0
	s_cvt_f32_u32 s5, s14
	s_delay_alu instid0(SALU_CYCLE_3) | instskip(SKIP_1) | instid1(SALU_CYCLE_1)
	v_rcp_iflag_f32_e32 v1, s5
	s_lshr_b32 s5, ttmp7, 16
	s_mul_i32 s7, s5, s9
	s_bfe_u32 s9, ttmp6, 0x40008
	s_delay_alu instid0(SALU_CYCLE_1) | instskip(SKIP_1) | instid1(TRANS32_DEP_1)
	s_add_co_i32 s9, s9, s7
	v_nop
	v_readfirstlane_b32 s11, v1
	s_cmp_eq_u32 s10, 0
	s_cselect_b32 s5, s5, s9
	s_load_b32 s9, s[0:1], 0x1b0
	s_mul_f32 s7, s11, 0x4f7ffffe
	s_mul_i32 s3, s3, s5
	s_cselect_b32 s5, ttmp9, s8
	s_cselect_b32 s4, s4, s6
	s_cvt_u32_f32 s7, s7
	s_sub_co_i32 s6, 0, s14
	s_add_co_i32 s3, s3, s4
	s_delay_alu instid0(SALU_CYCLE_1) | instskip(SKIP_3) | instid1(SALU_CYCLE_1)
	s_mul_i32 s26, s3, s2
	s_mul_i32 s6, s6, s7
	s_add_co_i32 s26, s26, s5
	s_mul_hi_u32 s2, s7, s6
	s_add_co_i32 s7, s7, s2
	s_delay_alu instid0(SALU_CYCLE_1) | instskip(NEXT) | instid1(SALU_CYCLE_1)
	s_mul_hi_u32 s2, s26, s7
	s_mul_i32 s3, s2, s14
	s_add_co_i32 s4, s2, 1
	s_sub_co_i32 s3, s26, s3
	s_delay_alu instid0(SALU_CYCLE_1)
	s_sub_co_i32 s5, s3, s14
	s_cmp_ge_u32 s3, s14
	s_cselect_b32 s2, s4, s2
	s_cselect_b32 s3, s5, s3
	s_add_co_i32 s4, s2, 1
	s_cmp_ge_u32 s3, s14
	s_cselect_b32 s16, s4, s2
	s_wait_kmcnt 0x0
	s_cmp_ge_u32 s16, s9
	s_cbranch_scc1 .LBB184_25
; %bb.1:
	s_load_b128 s[8:11], s[0:1], 0x10
	s_mov_b64 s[20:21], 0
	s_mov_b64 s[22:23], 0
	s_wait_kmcnt 0x0
	v_cmp_lt_u64_e64 s2, s[16:17], s[10:11]
	s_and_b32 vcc_lo, exec_lo, s2
	s_cbranch_vccnz .LBB184_3
; %bb.2:
	v_cvt_f32_u32_e32 v1, s10
	s_sub_co_i32 s3, 0, s10
	s_mov_b32 s23, 0
	s_delay_alu instid0(VALU_DEP_1) | instskip(SKIP_1) | instid1(TRANS32_DEP_1)
	v_rcp_iflag_f32_e32 v1, v1
	v_nop
	v_mul_f32_e32 v1, 0x4f7ffffe, v1
	s_delay_alu instid0(VALU_DEP_1) | instskip(NEXT) | instid1(VALU_DEP_1)
	v_cvt_u32_f32_e32 v1, v1
	v_readfirstlane_b32 s2, v1
	s_mul_i32 s3, s3, s2
	s_delay_alu instid0(SALU_CYCLE_1) | instskip(NEXT) | instid1(SALU_CYCLE_1)
	s_mul_hi_u32 s3, s2, s3
	s_add_co_i32 s2, s2, s3
	s_delay_alu instid0(SALU_CYCLE_1) | instskip(NEXT) | instid1(SALU_CYCLE_1)
	s_mul_hi_u32 s2, s16, s2
	s_mul_i32 s3, s2, s10
	s_add_co_i32 s4, s2, 1
	s_sub_co_i32 s3, s16, s3
	s_delay_alu instid0(SALU_CYCLE_1)
	s_sub_co_i32 s5, s3, s10
	s_cmp_ge_u32 s3, s10
	s_cselect_b32 s2, s4, s2
	s_cselect_b32 s3, s5, s3
	s_add_co_i32 s4, s2, 1
	s_cmp_ge_u32 s3, s10
	s_cselect_b32 s22, s4, s2
.LBB184_3:
	s_clause 0x1
	s_load_b128 s[4:7], s[0:1], 0x1d0
	s_load_b64 s[2:3], s[0:1], 0x1e0
	v_cmp_lt_u64_e64 s15, s[22:23], s[8:9]
	s_and_b32 vcc_lo, exec_lo, s15
	s_cbranch_vccnz .LBB184_5
; %bb.4:
	v_cvt_f32_u32_e32 v1, s8
	s_sub_co_i32 s18, 0, s8
	s_mov_b32 s21, 0
	s_delay_alu instid0(VALU_DEP_1) | instskip(SKIP_1) | instid1(TRANS32_DEP_1)
	v_rcp_iflag_f32_e32 v1, v1
	v_nop
	v_mul_f32_e32 v1, 0x4f7ffffe, v1
	s_delay_alu instid0(VALU_DEP_1) | instskip(NEXT) | instid1(VALU_DEP_1)
	v_cvt_u32_f32_e32 v1, v1
	v_readfirstlane_b32 s15, v1
	s_mul_i32 s18, s18, s15
	s_delay_alu instid0(SALU_CYCLE_1) | instskip(NEXT) | instid1(SALU_CYCLE_1)
	s_mul_hi_u32 s18, s15, s18
	s_add_co_i32 s15, s15, s18
	s_delay_alu instid0(SALU_CYCLE_1) | instskip(NEXT) | instid1(SALU_CYCLE_1)
	s_mul_hi_u32 s15, s22, s15
	s_mul_i32 s18, s15, s8
	s_add_co_i32 s19, s15, 1
	s_sub_co_i32 s18, s22, s18
	s_delay_alu instid0(SALU_CYCLE_1)
	s_sub_co_i32 s20, s18, s8
	s_cmp_ge_u32 s18, s8
	s_cselect_b32 s15, s19, s15
	s_cselect_b32 s18, s20, s18
	s_add_co_i32 s19, s15, 1
	s_cmp_ge_u32 s18, s8
	s_cselect_b32 s20, s19, s15
.LBB184_5:
	v_cmp_gt_u32_e32 vcc_lo, 0x100, v0
	v_lshlrev_b32_e32 v1, 2, v0
	s_and_saveexec_b32 s15, vcc_lo
; %bb.6:
	v_mov_b32_e32 v2, 0
	ds_store_b32 v1, v2
; %bb.7:
	s_or_b32 exec_lo, exec_lo, s15
	s_load_b32 s27, s[0:1], 0x1a0
	s_mul_i32 s15, s16, s14
	s_mov_b32 s25, 0
	s_sub_co_i32 s15, s26, s15
	s_wait_dscnt 0x0
	s_mul_i32 s18, s13, s15
	s_add_co_i32 s15, s15, 1
	s_lshl_b32 s28, s18, 8
	s_barrier_signal -1
	s_barrier_wait -1
	s_wait_kmcnt 0x0
	s_sub_co_i32 s24, s27, s28
	s_delay_alu instid0(SALU_CYCLE_1) | instskip(NEXT) | instid1(SALU_CYCLE_1)
	s_add_nc_u64 s[18:19], s[24:25], 0xff
	s_lshr_b64 s[18:19], s[18:19], 8
	s_cmp_lt_u32 s15, s14
	s_cselect_b32 s13, s13, s18
	s_delay_alu instid0(SALU_CYCLE_1)
	s_cmp_lt_i32 s13, 1
	s_cbranch_scc1 .LBB184_23
; %bb.8:
	s_clause 0x2
	s_load_b64 s[30:31], s[0:1], 0xe0
	s_load_b128 s[36:39], s[0:1], 0xd0
	s_load_b64 s[34:35], s[0:1], 0x0
	s_load_b64 s[14:15], s[6:7], s16 offset:0x0 scale_offset
	s_load_b64 s[18:19], s[0:1], 0x1b8
	s_wait_xcnt 0x0
	s_mul_u64 s[6:7], s[20:21], s[8:9]
	s_mul_u64 s[0:1], s[22:23], s[10:11]
	s_sub_nc_u64 s[6:7], s[22:23], s[6:7]
	s_sub_nc_u64 s[0:1], s[16:17], s[0:1]
	v_add_nc_u32_e32 v6, s28, v0
	s_wait_kmcnt 0x0
	s_mul_u64 s[0:1], s[0:1], s[30:31]
	s_mul_u64 s[8:9], s[20:21], s[36:37]
	;; [unrolled: 1-line block ×3, first 2 shown]
	s_lshl_b64 s[8:9], s[8:9], 3
	s_lshl_b64 s[6:7], s[6:7], 3
	s_add_nc_u64 s[8:9], s[34:35], s[8:9]
	s_lshl_b64 s[10:11], s[0:1], 3
	s_add_nc_u64 s[6:7], s[8:9], s[6:7]
	s_and_b32 s1, s12, 0xff
	s_cmp_eq_u32 s13, 1
	s_add_nc_u64 s[6:7], s[6:7], s[10:11]
	s_cbranch_scc1 .LBB184_18
; %bb.9:
	v_dual_mov_b32 v3, 0 :: v_dual_mov_b32 v7, 1
	v_mov_b32_e32 v2, v6
	s_and_b32 s8, s13, 0x7ffffffe
	s_mov_b32 s9, 0
	s_branch .LBB184_11
.LBB184_10:                             ;   in Loop: Header=BB184_11 Depth=1
	s_or_b32 exec_lo, exec_lo, s10
	v_add_nc_u32_e32 v2, 0x200, v2
	s_add_co_i32 s9, s9, 2
	s_delay_alu instid0(SALU_CYCLE_1)
	s_cmp_eq_u32 s8, s9
	s_cbranch_scc1 .LBB184_17
.LBB184_11:                             ; =>This Inner Loop Header: Depth=1
	s_mov_b32 s10, exec_lo
	v_cmpx_gt_u32_e64 s27, v2
	s_cbranch_execz .LBB184_14
; %bb.12:                               ;   in Loop: Header=BB184_11 Depth=1
	v_mul_u64_e32 v[4:5], s[18:19], v[2:3]
	s_delay_alu instid0(VALU_DEP_1) | instskip(SKIP_4) | instid1(VALU_DEP_1)
	v_lshl_add_u64 v[4:5], v[4:5], 3, s[6:7]
	global_load_b64 v[4:5], v[4:5], off
	s_wait_loadcnt 0x0
	v_cmp_o_f64_e64 s0, v[4:5], v[4:5]
	v_ashrrev_i32_e32 v8, 31, v5
	v_or_b32_e32 v9, 0x80000000, v8
	s_delay_alu instid0(VALU_DEP_1) | instskip(SKIP_1) | instid1(VALU_DEP_1)
	v_xor_b32_e32 v9, v9, v5
	s_wait_xcnt 0x0
	v_dual_cndmask_b32 v5, -1, v9, s0 :: v_dual_bitop2_b32 v4, v8, v4 bitop3:0x14
	s_delay_alu instid0(VALU_DEP_1) | instskip(NEXT) | instid1(VALU_DEP_1)
	v_dual_cndmask_b32 v4, -1, v4, s0 :: v_dual_bitop2_b32 v8, s15, v5 bitop3:0x14
	v_xor_b32_e32 v10, s14, v4
	s_delay_alu instid0(VALU_DEP_2) | instskip(NEXT) | instid1(VALU_DEP_2)
	v_and_b32_e32 v9, s5, v8
	v_and_b32_e32 v8, s4, v10
	s_delay_alu instid0(VALU_DEP_1)
	v_cmp_eq_u64_e64 s0, 0, v[8:9]
	s_and_b32 exec_lo, exec_lo, s0
	s_cbranch_execz .LBB184_14
; %bb.13:                               ;   in Loop: Header=BB184_11 Depth=1
	v_lshrrev_b64 v[4:5], s1, v[4:5]
	s_delay_alu instid0(VALU_DEP_1) | instskip(NEXT) | instid1(VALU_DEP_1)
	v_and_b32_e32 v4, 0xff, v4
	v_lshlrev_b32_e32 v4, 2, v4
	ds_add_u32 v4, v7
.LBB184_14:                             ;   in Loop: Header=BB184_11 Depth=1
	s_or_b32 exec_lo, exec_lo, s10
	v_add_nc_u32_e32 v4, 0x100, v2
	s_mov_b32 s10, exec_lo
	s_delay_alu instid0(VALU_DEP_1)
	v_cmpx_gt_u32_e64 s27, v4
	s_cbranch_execz .LBB184_10
; %bb.15:                               ;   in Loop: Header=BB184_11 Depth=1
	v_mov_b32_e32 v5, v3
	s_delay_alu instid0(VALU_DEP_1) | instskip(NEXT) | instid1(VALU_DEP_1)
	v_mul_u64_e32 v[4:5], s[18:19], v[4:5]
	v_lshl_add_u64 v[4:5], v[4:5], 3, s[6:7]
	global_load_b64 v[4:5], v[4:5], off
	s_wait_loadcnt 0x0
	v_cmp_o_f64_e64 s0, v[4:5], v[4:5]
	v_ashrrev_i32_e32 v8, 31, v5
	s_delay_alu instid0(VALU_DEP_1) | instskip(NEXT) | instid1(VALU_DEP_1)
	v_or_b32_e32 v9, 0x80000000, v8
	v_xor_b32_e32 v9, v9, v5
	s_delay_alu instid0(VALU_DEP_1) | instskip(NEXT) | instid1(VALU_DEP_1)
	v_dual_cndmask_b32 v5, -1, v9, s0 :: v_dual_bitop2_b32 v4, v8, v4 bitop3:0x14
	v_dual_cndmask_b32 v4, -1, v4, s0 :: v_dual_bitop2_b32 v8, s15, v5 bitop3:0x14
	s_delay_alu instid0(VALU_DEP_1) | instskip(NEXT) | instid1(VALU_DEP_2)
	v_xor_b32_e32 v10, s14, v4
	v_and_b32_e32 v9, s5, v8
	s_delay_alu instid0(VALU_DEP_2) | instskip(NEXT) | instid1(VALU_DEP_1)
	v_and_b32_e32 v8, s4, v10
	v_cmp_eq_u64_e64 s0, 0, v[8:9]
	s_and_b32 exec_lo, exec_lo, s0
	s_cbranch_execz .LBB184_10
; %bb.16:                               ;   in Loop: Header=BB184_11 Depth=1
	v_lshrrev_b64 v[4:5], s1, v[4:5]
	s_delay_alu instid0(VALU_DEP_1) | instskip(NEXT) | instid1(VALU_DEP_1)
	v_and_b32_e32 v4, 0xff, v4
	v_lshlrev_b32_e32 v4, 2, v4
	ds_add_u32 v4, v7
	s_branch .LBB184_10
.LBB184_17:
	s_lshl_b32 s25, s8, 8
.LBB184_18:
	s_bitcmp0_b32 s13, 0
	s_cbranch_scc1 .LBB184_23
; %bb.19:
	v_add_nc_u32_e32 v2, s25, v6
	s_mov_b32 s8, exec_lo
	s_delay_alu instid0(VALU_DEP_1)
	v_cmpx_gt_u32_e64 s27, v2
	s_cbranch_execz .LBB184_22
; %bb.20:
	v_mov_b32_e32 v3, 0
	s_delay_alu instid0(VALU_DEP_1) | instskip(NEXT) | instid1(VALU_DEP_1)
	v_mul_u64_e32 v[2:3], s[18:19], v[2:3]
	v_lshl_add_u64 v[2:3], v[2:3], 3, s[6:7]
	global_load_b64 v[2:3], v[2:3], off
	s_wait_loadcnt 0x0
	v_cmp_o_f64_e64 s0, v[2:3], v[2:3]
	v_ashrrev_i32_e32 v4, 31, v3
	s_delay_alu instid0(VALU_DEP_1) | instskip(NEXT) | instid1(VALU_DEP_1)
	v_or_b32_e32 v5, 0x80000000, v4
	v_xor_b32_e32 v5, v5, v3
	s_delay_alu instid0(VALU_DEP_1) | instskip(NEXT) | instid1(VALU_DEP_1)
	v_dual_cndmask_b32 v3, -1, v5, s0 :: v_dual_bitop2_b32 v2, v4, v2 bitop3:0x14
	v_dual_cndmask_b32 v2, -1, v2, s0 :: v_dual_bitop2_b32 v4, s15, v3 bitop3:0x14
	s_delay_alu instid0(VALU_DEP_1) | instskip(NEXT) | instid1(VALU_DEP_2)
	v_xor_b32_e32 v6, s14, v2
	v_and_b32_e32 v5, s5, v4
	s_delay_alu instid0(VALU_DEP_2) | instskip(NEXT) | instid1(VALU_DEP_1)
	v_and_b32_e32 v4, s4, v6
	v_cmp_eq_u64_e64 s0, 0, v[4:5]
	s_and_b32 exec_lo, exec_lo, s0
	s_cbranch_execz .LBB184_22
; %bb.21:
	v_lshrrev_b64 v[2:3], s1, v[2:3]
	v_mov_b32_e32 v3, 1
	s_delay_alu instid0(VALU_DEP_2) | instskip(NEXT) | instid1(VALU_DEP_1)
	v_and_b32_e32 v2, 0xff, v2
	v_lshlrev_b32_e32 v2, 2, v2
	ds_add_u32 v2, v3
.LBB184_22:
	s_or_b32 exec_lo, exec_lo, s8
.LBB184_23:
	s_wait_dscnt 0x0
	s_barrier_signal -1
	s_barrier_wait -1
	s_and_saveexec_b32 s0, vcc_lo
	s_cbranch_execz .LBB184_25
; %bb.24:
	ds_load_b32 v1, v1
	v_lshl_or_b32 v0, s26, 8, v0
	s_wait_dscnt 0x0
	global_store_b16 v0, v1, s[2:3] scale_offset
.LBB184_25:
	s_endpgm
	.section	.rodata,"a",@progbits
	.p2align	6, 0x0
	.amdhsa_kernel _ZN2at6native6mbtopk23computeBlockDigitCountsIdmmLi3EEEvNS_4cuda6detail10TensorInfoIKT_T0_EEjPjjS8_iijT1_PSB_Ps
		.amdhsa_group_segment_fixed_size 1024
		.amdhsa_private_segment_fixed_size 0
		.amdhsa_kernarg_size 744
		.amdhsa_user_sgpr_count 2
		.amdhsa_user_sgpr_dispatch_ptr 0
		.amdhsa_user_sgpr_queue_ptr 0
		.amdhsa_user_sgpr_kernarg_segment_ptr 1
		.amdhsa_user_sgpr_dispatch_id 0
		.amdhsa_user_sgpr_kernarg_preload_length 0
		.amdhsa_user_sgpr_kernarg_preload_offset 0
		.amdhsa_user_sgpr_private_segment_size 0
		.amdhsa_wavefront_size32 1
		.amdhsa_uses_dynamic_stack 0
		.amdhsa_enable_private_segment 0
		.amdhsa_system_sgpr_workgroup_id_x 1
		.amdhsa_system_sgpr_workgroup_id_y 1
		.amdhsa_system_sgpr_workgroup_id_z 1
		.amdhsa_system_sgpr_workgroup_info 0
		.amdhsa_system_vgpr_workitem_id 0
		.amdhsa_next_free_vgpr 11
		.amdhsa_next_free_sgpr 40
		.amdhsa_named_barrier_count 0
		.amdhsa_reserve_vcc 1
		.amdhsa_float_round_mode_32 0
		.amdhsa_float_round_mode_16_64 0
		.amdhsa_float_denorm_mode_32 3
		.amdhsa_float_denorm_mode_16_64 3
		.amdhsa_fp16_overflow 0
		.amdhsa_memory_ordered 1
		.amdhsa_forward_progress 1
		.amdhsa_inst_pref_size 12
		.amdhsa_round_robin_scheduling 0
		.amdhsa_exception_fp_ieee_invalid_op 0
		.amdhsa_exception_fp_denorm_src 0
		.amdhsa_exception_fp_ieee_div_zero 0
		.amdhsa_exception_fp_ieee_overflow 0
		.amdhsa_exception_fp_ieee_underflow 0
		.amdhsa_exception_fp_ieee_inexact 0
		.amdhsa_exception_int_div_zero 0
	.end_amdhsa_kernel
	.section	.text._ZN2at6native6mbtopk23computeBlockDigitCountsIdmmLi3EEEvNS_4cuda6detail10TensorInfoIKT_T0_EEjPjjS8_iijT1_PSB_Ps,"axG",@progbits,_ZN2at6native6mbtopk23computeBlockDigitCountsIdmmLi3EEEvNS_4cuda6detail10TensorInfoIKT_T0_EEjPjjS8_iijT1_PSB_Ps,comdat
.Lfunc_end184:
	.size	_ZN2at6native6mbtopk23computeBlockDigitCountsIdmmLi3EEEvNS_4cuda6detail10TensorInfoIKT_T0_EEjPjjS8_iijT1_PSB_Ps, .Lfunc_end184-_ZN2at6native6mbtopk23computeBlockDigitCountsIdmmLi3EEEvNS_4cuda6detail10TensorInfoIKT_T0_EEjPjjS8_iijT1_PSB_Ps
                                        ; -- End function
	.set _ZN2at6native6mbtopk23computeBlockDigitCountsIdmmLi3EEEvNS_4cuda6detail10TensorInfoIKT_T0_EEjPjjS8_iijT1_PSB_Ps.num_vgpr, 11
	.set _ZN2at6native6mbtopk23computeBlockDigitCountsIdmmLi3EEEvNS_4cuda6detail10TensorInfoIKT_T0_EEjPjjS8_iijT1_PSB_Ps.num_agpr, 0
	.set _ZN2at6native6mbtopk23computeBlockDigitCountsIdmmLi3EEEvNS_4cuda6detail10TensorInfoIKT_T0_EEjPjjS8_iijT1_PSB_Ps.numbered_sgpr, 40
	.set _ZN2at6native6mbtopk23computeBlockDigitCountsIdmmLi3EEEvNS_4cuda6detail10TensorInfoIKT_T0_EEjPjjS8_iijT1_PSB_Ps.num_named_barrier, 0
	.set _ZN2at6native6mbtopk23computeBlockDigitCountsIdmmLi3EEEvNS_4cuda6detail10TensorInfoIKT_T0_EEjPjjS8_iijT1_PSB_Ps.private_seg_size, 0
	.set _ZN2at6native6mbtopk23computeBlockDigitCountsIdmmLi3EEEvNS_4cuda6detail10TensorInfoIKT_T0_EEjPjjS8_iijT1_PSB_Ps.uses_vcc, 1
	.set _ZN2at6native6mbtopk23computeBlockDigitCountsIdmmLi3EEEvNS_4cuda6detail10TensorInfoIKT_T0_EEjPjjS8_iijT1_PSB_Ps.uses_flat_scratch, 0
	.set _ZN2at6native6mbtopk23computeBlockDigitCountsIdmmLi3EEEvNS_4cuda6detail10TensorInfoIKT_T0_EEjPjjS8_iijT1_PSB_Ps.has_dyn_sized_stack, 0
	.set _ZN2at6native6mbtopk23computeBlockDigitCountsIdmmLi3EEEvNS_4cuda6detail10TensorInfoIKT_T0_EEjPjjS8_iijT1_PSB_Ps.has_recursion, 0
	.set _ZN2at6native6mbtopk23computeBlockDigitCountsIdmmLi3EEEvNS_4cuda6detail10TensorInfoIKT_T0_EEjPjjS8_iijT1_PSB_Ps.has_indirect_call, 0
	.section	.AMDGPU.csdata,"",@progbits
; Kernel info:
; codeLenInByte = 1512
; TotalNumSgprs: 42
; NumVgprs: 11
; ScratchSize: 0
; MemoryBound: 0
; FloatMode: 240
; IeeeMode: 1
; LDSByteSize: 1024 bytes/workgroup (compile time only)
; SGPRBlocks: 0
; VGPRBlocks: 0
; NumSGPRsForWavesPerEU: 42
; NumVGPRsForWavesPerEU: 11
; NamedBarCnt: 0
; Occupancy: 16
; WaveLimiterHint : 1
; COMPUTE_PGM_RSRC2:SCRATCH_EN: 0
; COMPUTE_PGM_RSRC2:USER_SGPR: 2
; COMPUTE_PGM_RSRC2:TRAP_HANDLER: 0
; COMPUTE_PGM_RSRC2:TGID_X_EN: 1
; COMPUTE_PGM_RSRC2:TGID_Y_EN: 1
; COMPUTE_PGM_RSRC2:TGID_Z_EN: 1
; COMPUTE_PGM_RSRC2:TIDIG_COMP_CNT: 0
	.section	.text._ZN2at6native6mbtopk10gatherTopKIdmLi3EEEvNS_4cuda6detail10TensorInfoIKT_T0_EES8_S8_bjS8_NS5_IS6_S8_EES8_NS5_IlS8_EES8_jjPS6_PjSD_j,"axG",@progbits,_ZN2at6native6mbtopk10gatherTopKIdmLi3EEEvNS_4cuda6detail10TensorInfoIKT_T0_EES8_S8_bjS8_NS5_IS6_S8_EES8_NS5_IlS8_EES8_jjPS6_PjSD_j,comdat
	.protected	_ZN2at6native6mbtopk10gatherTopKIdmLi3EEEvNS_4cuda6detail10TensorInfoIKT_T0_EES8_S8_bjS8_NS5_IS6_S8_EES8_NS5_IlS8_EES8_jjPS6_PjSD_j ; -- Begin function _ZN2at6native6mbtopk10gatherTopKIdmLi3EEEvNS_4cuda6detail10TensorInfoIKT_T0_EES8_S8_bjS8_NS5_IS6_S8_EES8_NS5_IlS8_EES8_jjPS6_PjSD_j
	.globl	_ZN2at6native6mbtopk10gatherTopKIdmLi3EEEvNS_4cuda6detail10TensorInfoIKT_T0_EES8_S8_bjS8_NS5_IS6_S8_EES8_NS5_IlS8_EES8_jjPS6_PjSD_j
	.p2align	8
	.type	_ZN2at6native6mbtopk10gatherTopKIdmLi3EEEvNS_4cuda6detail10TensorInfoIKT_T0_EES8_S8_bjS8_NS5_IS6_S8_EES8_NS5_IlS8_EES8_jjPS6_PjSD_j,@function
_ZN2at6native6mbtopk10gatherTopKIdmLi3EEEvNS_4cuda6detail10TensorInfoIKT_T0_EES8_S8_bjS8_NS5_IS6_S8_EES8_NS5_IlS8_EES8_jjPS6_PjSD_j: ; @_ZN2at6native6mbtopk10gatherTopKIdmLi3EEEvNS_4cuda6detail10TensorInfoIKT_T0_EES8_S8_bjS8_NS5_IS6_S8_EES8_NS5_IlS8_EES8_jjPS6_PjSD_j
; %bb.0:
	s_bfe_u32 s2, ttmp6, 0x40010
	s_and_b32 s4, ttmp7, 0xffff
	s_add_co_i32 s5, s2, 1
	s_clause 0x1
	s_load_b32 s6, s[0:1], 0x530
	s_load_b64 s[2:3], s[0:1], 0x538
	s_bfe_u32 s8, ttmp6, 0x4000c
	s_mul_i32 s5, s4, s5
	s_bfe_u32 s7, ttmp6, 0x40004
	s_add_co_i32 s8, s8, 1
	s_bfe_u32 s9, ttmp6, 0x40014
	s_add_co_i32 s7, s7, s5
	s_and_b32 s5, ttmp6, 15
	s_mul_i32 s8, ttmp9, s8
	s_lshr_b32 s10, ttmp7, 16
	s_add_co_i32 s9, s9, 1
	s_add_co_i32 s5, s5, s8
	s_mul_i32 s8, s10, s9
	s_bfe_u32 s9, ttmp6, 0x40008
	s_getreg_b32 s11, hwreg(HW_REG_IB_STS2, 6, 4)
	s_add_co_i32 s9, s9, s8
	s_cmp_eq_u32 s11, 0
	s_cselect_b32 s8, s10, s9
	s_cselect_b32 s4, s4, s7
	s_wait_kmcnt 0x0
	s_mul_i32 s3, s3, s8
	s_cselect_b32 s5, ttmp9, s5
	s_add_co_i32 s3, s3, s4
	s_delay_alu instid0(SALU_CYCLE_1) | instskip(NEXT) | instid1(SALU_CYCLE_1)
	s_mul_i32 s2, s3, s2
	s_add_co_i32 s2, s2, s5
	s_delay_alu instid0(SALU_CYCLE_1)
	s_cmp_ge_u32 s2, s6
	s_cbranch_scc1 .LBB185_54
; %bb.1:
	s_load_b64 s[34:35], s[0:1], 0x510
	s_wait_kmcnt 0x0
	s_cvt_f32_u32 s3, s35
	s_sub_co_i32 s4, 0, s35
	s_lshl_b32 s33, s34, 8
	s_delay_alu instid0(SALU_CYCLE_1) | instskip(SKIP_1) | instid1(TRANS32_DEP_1)
	v_rcp_iflag_f32_e32 v1, s3
	v_nop
	v_readfirstlane_b32 s3, v1
	s_mul_f32 s3, s3, 0x4f7ffffe
	s_delay_alu instid0(SALU_CYCLE_3) | instskip(NEXT) | instid1(SALU_CYCLE_3)
	s_cvt_u32_f32 s3, s3
	s_mul_i32 s4, s4, s3
	s_delay_alu instid0(SALU_CYCLE_1) | instskip(NEXT) | instid1(SALU_CYCLE_1)
	s_mul_hi_u32 s4, s3, s4
	s_add_co_i32 s3, s3, s4
	s_clause 0x1
	s_load_b128 s[4:7], s[0:1], 0x1a0
	s_load_b128 s[8:11], s[0:1], 0x10
	s_mul_hi_u32 s3, s2, s3
	s_delay_alu instid0(SALU_CYCLE_1) | instskip(SKIP_2) | instid1(SALU_CYCLE_1)
	s_mul_i32 s12, s3, s35
	s_add_co_i32 s13, s3, 1
	s_sub_co_i32 s12, s2, s12
	s_sub_co_i32 s14, s12, s35
	s_cmp_ge_u32 s12, s35
	s_cselect_b32 s3, s13, s3
	s_cselect_b32 s12, s14, s12
	s_add_co_i32 s13, s3, 1
	s_cmp_ge_u32 s12, s35
	s_cselect_b32 s44, s13, s3
	s_delay_alu instid0(SALU_CYCLE_1) | instskip(NEXT) | instid1(SALU_CYCLE_1)
	s_mul_i32 s50, s44, s35
	s_sub_co_i32 s74, s2, s50
	s_delay_alu instid0(SALU_CYCLE_1) | instskip(NEXT) | instid1(SALU_CYCLE_1)
	s_add_co_i32 s2, s74, 1
	s_cmp_lt_u32 s2, s35
	s_cbranch_scc1 .LBB185_3
; %bb.2:
	s_mul_i32 s2, s74, s33
	s_mov_b32 s3, 0
	s_wait_kmcnt 0x0
	s_sub_nc_u64 s[12:13], s[4:5], s[2:3]
	s_delay_alu instid0(SALU_CYCLE_1) | instskip(NEXT) | instid1(SALU_CYCLE_1)
	s_add_nc_u64 s[12:13], s[12:13], 0xff
	s_ashr_i32 s2, s13, 31
	s_delay_alu instid0(SALU_CYCLE_1) | instskip(NEXT) | instid1(SALU_CYCLE_1)
	s_lshr_b32 s2, s2, 24
	s_add_nc_u64 s[2:3], s[12:13], s[2:3]
	s_delay_alu instid0(SALU_CYCLE_1) | instskip(NEXT) | instid1(SALU_CYCLE_1)
	s_lshr_b64 s[2:3], s[2:3], 8
	s_mov_b32 s34, s2
.LBB185_3:
	s_mov_b32 s45, 0
	s_mov_b64 s[46:47], 0
	s_wait_kmcnt 0x0
	v_cmp_lt_u64_e64 s2, s[44:45], s[10:11]
	s_mov_b64 s[48:49], 0
	s_and_b32 vcc_lo, exec_lo, s2
	s_cbranch_vccnz .LBB185_5
; %bb.4:
	v_cvt_f32_u32_e32 v1, s10
	s_sub_co_i32 s3, 0, s10
	s_mov_b32 s49, s45
	s_delay_alu instid0(VALU_DEP_1) | instskip(SKIP_1) | instid1(TRANS32_DEP_1)
	v_rcp_iflag_f32_e32 v1, v1
	v_nop
	v_mul_f32_e32 v1, 0x4f7ffffe, v1
	s_delay_alu instid0(VALU_DEP_1) | instskip(NEXT) | instid1(VALU_DEP_1)
	v_cvt_u32_f32_e32 v1, v1
	v_readfirstlane_b32 s2, v1
	s_mul_i32 s3, s3, s2
	s_delay_alu instid0(SALU_CYCLE_1) | instskip(NEXT) | instid1(SALU_CYCLE_1)
	s_mul_hi_u32 s3, s2, s3
	s_add_co_i32 s2, s2, s3
	s_delay_alu instid0(SALU_CYCLE_1) | instskip(NEXT) | instid1(SALU_CYCLE_1)
	s_mul_hi_u32 s2, s44, s2
	s_mul_i32 s3, s2, s10
	s_add_co_i32 s12, s2, 1
	s_sub_co_i32 s3, s44, s3
	s_delay_alu instid0(SALU_CYCLE_1)
	s_sub_co_i32 s13, s3, s10
	s_cmp_ge_u32 s3, s10
	s_cselect_b32 s2, s12, s2
	s_cselect_b32 s3, s13, s3
	s_add_co_i32 s12, s2, 1
	s_cmp_ge_u32 s3, s10
	s_cselect_b32 s48, s12, s2
.LBB185_5:
	s_load_b128 s[20:23], s[0:1], 0x1d0
	v_cmp_lt_u64_e64 s2, s[48:49], s[8:9]
	s_and_b32 vcc_lo, exec_lo, s2
	s_cbranch_vccnz .LBB185_7
; %bb.6:
	v_cvt_f32_u32_e32 v1, s8
	s_sub_co_i32 s3, 0, s8
	s_mov_b32 s47, 0
	s_delay_alu instid0(VALU_DEP_1) | instskip(SKIP_1) | instid1(TRANS32_DEP_1)
	v_rcp_iflag_f32_e32 v1, v1
	v_nop
	v_mul_f32_e32 v1, 0x4f7ffffe, v1
	s_delay_alu instid0(VALU_DEP_1) | instskip(NEXT) | instid1(VALU_DEP_1)
	v_cvt_u32_f32_e32 v1, v1
	v_readfirstlane_b32 s2, v1
	s_mul_i32 s3, s3, s2
	s_delay_alu instid0(SALU_CYCLE_1) | instskip(NEXT) | instid1(SALU_CYCLE_1)
	s_mul_hi_u32 s3, s2, s3
	s_add_co_i32 s2, s2, s3
	s_delay_alu instid0(SALU_CYCLE_1) | instskip(NEXT) | instid1(SALU_CYCLE_1)
	s_mul_hi_u32 s2, s48, s2
	s_mul_i32 s3, s2, s8
	s_add_co_i32 s12, s2, 1
	s_sub_co_i32 s3, s48, s3
	s_delay_alu instid0(SALU_CYCLE_1)
	s_sub_co_i32 s13, s3, s8
	s_cmp_ge_u32 s3, s8
	s_cselect_b32 s2, s12, s2
	s_cselect_b32 s3, s13, s3
	s_add_co_i32 s12, s2, 1
	s_cmp_ge_u32 s3, s8
	s_cselect_b32 s46, s12, s2
.LBB185_7:
	s_wait_kmcnt 0x0
	v_cmp_lt_u64_e64 s2, s[44:45], s[22:23]
	s_mov_b64 s[54:55], 0
	s_mov_b64 s[52:53], 0
	s_and_b32 vcc_lo, exec_lo, s2
	s_cbranch_vccnz .LBB185_9
; %bb.8:
	v_cvt_f32_u32_e32 v1, s22
	s_sub_co_i32 s3, 0, s22
	s_mov_b32 s53, 0
	s_delay_alu instid0(VALU_DEP_1) | instskip(SKIP_1) | instid1(TRANS32_DEP_1)
	v_rcp_iflag_f32_e32 v1, v1
	v_nop
	v_mul_f32_e32 v1, 0x4f7ffffe, v1
	s_delay_alu instid0(VALU_DEP_1) | instskip(NEXT) | instid1(VALU_DEP_1)
	v_cvt_u32_f32_e32 v1, v1
	v_readfirstlane_b32 s2, v1
	s_mul_i32 s3, s3, s2
	s_delay_alu instid0(SALU_CYCLE_1) | instskip(NEXT) | instid1(SALU_CYCLE_1)
	s_mul_hi_u32 s3, s2, s3
	s_add_co_i32 s2, s2, s3
	s_delay_alu instid0(SALU_CYCLE_1) | instskip(NEXT) | instid1(SALU_CYCLE_1)
	s_mul_hi_u32 s2, s44, s2
	s_mul_i32 s3, s2, s22
	s_add_co_i32 s12, s2, 1
	s_sub_co_i32 s3, s44, s3
	s_delay_alu instid0(SALU_CYCLE_1)
	s_sub_co_i32 s13, s3, s22
	s_cmp_ge_u32 s3, s22
	s_cselect_b32 s2, s12, s2
	s_cselect_b32 s3, s13, s3
	s_add_co_i32 s12, s2, 1
	s_cmp_ge_u32 s3, s22
	s_cselect_b32 s52, s12, s2
.LBB185_9:
	s_load_b128 s[24:27], s[0:1], 0x378
	v_cmp_lt_u64_e64 s2, s[52:53], s[20:21]
	s_and_b32 vcc_lo, exec_lo, s2
	s_cbranch_vccnz .LBB185_11
; %bb.10:
	v_cvt_f32_u32_e32 v1, s20
	s_sub_co_i32 s3, 0, s20
	s_mov_b32 s55, 0
	s_delay_alu instid0(VALU_DEP_1) | instskip(SKIP_1) | instid1(TRANS32_DEP_1)
	v_rcp_iflag_f32_e32 v1, v1
	v_nop
	v_mul_f32_e32 v1, 0x4f7ffffe, v1
	s_delay_alu instid0(VALU_DEP_1) | instskip(NEXT) | instid1(VALU_DEP_1)
	v_cvt_u32_f32_e32 v1, v1
	v_readfirstlane_b32 s2, v1
	s_mul_i32 s3, s3, s2
	s_delay_alu instid0(SALU_CYCLE_1) | instskip(NEXT) | instid1(SALU_CYCLE_1)
	s_mul_hi_u32 s3, s2, s3
	s_add_co_i32 s2, s2, s3
	s_delay_alu instid0(SALU_CYCLE_1) | instskip(NEXT) | instid1(SALU_CYCLE_1)
	s_mul_hi_u32 s2, s52, s2
	s_mul_i32 s3, s2, s20
	s_add_co_i32 s12, s2, 1
	s_sub_co_i32 s3, s52, s3
	s_delay_alu instid0(SALU_CYCLE_1)
	s_sub_co_i32 s13, s3, s20
	s_cmp_ge_u32 s3, s20
	s_cselect_b32 s2, s12, s2
	s_cselect_b32 s3, s13, s3
	s_add_co_i32 s12, s2, 1
	s_cmp_ge_u32 s3, s20
	s_cselect_b32 s54, s12, s2
.LBB185_11:
	s_wait_kmcnt 0x0
	v_cmp_lt_u64_e64 s2, s[44:45], s[26:27]
	s_mov_b64 s[56:57], 0
	s_mov_b64 s[58:59], 0
	s_and_b32 vcc_lo, exec_lo, s2
	s_cbranch_vccnz .LBB185_13
; %bb.12:
	v_cvt_f32_u32_e32 v1, s26
	s_sub_co_i32 s3, 0, s26
	s_mov_b32 s59, 0
	s_delay_alu instid0(VALU_DEP_1) | instskip(SKIP_1) | instid1(TRANS32_DEP_1)
	v_rcp_iflag_f32_e32 v1, v1
	v_nop
	v_mul_f32_e32 v1, 0x4f7ffffe, v1
	s_delay_alu instid0(VALU_DEP_1) | instskip(NEXT) | instid1(VALU_DEP_1)
	v_cvt_u32_f32_e32 v1, v1
	v_readfirstlane_b32 s2, v1
	s_mul_i32 s3, s3, s2
	s_delay_alu instid0(SALU_CYCLE_1) | instskip(NEXT) | instid1(SALU_CYCLE_1)
	s_mul_hi_u32 s3, s2, s3
	s_add_co_i32 s2, s2, s3
	s_delay_alu instid0(SALU_CYCLE_1) | instskip(NEXT) | instid1(SALU_CYCLE_1)
	s_mul_hi_u32 s2, s44, s2
	s_mul_i32 s3, s2, s26
	s_add_co_i32 s12, s2, 1
	s_sub_co_i32 s3, s44, s3
	s_delay_alu instid0(SALU_CYCLE_1)
	s_sub_co_i32 s13, s3, s26
	s_cmp_ge_u32 s3, s26
	s_cselect_b32 s2, s12, s2
	s_cselect_b32 s3, s13, s3
	s_add_co_i32 s12, s2, 1
	s_cmp_ge_u32 s3, s26
	s_cselect_b32 s58, s12, s2
.LBB185_13:
	s_clause 0x5
	s_load_b64 s[60:61], s[0:1], 0xe0
	s_load_b128 s[36:39], s[0:1], 0xd0
	s_load_b64 s[64:65], s[0:1], 0x2a0
	s_load_b128 s[40:43], s[0:1], 0x290
	;; [unrolled: 2-line block ×3, first 2 shown]
	v_cmp_lt_u64_e64 s2, s[58:59], s[24:25]
	s_and_b32 vcc_lo, exec_lo, s2
	s_cbranch_vccnz .LBB185_15
; %bb.14:
	v_cvt_f32_u32_e32 v1, s24
	s_sub_co_i32 s3, 0, s24
	s_mov_b32 s57, 0
	s_delay_alu instid0(VALU_DEP_1) | instskip(SKIP_1) | instid1(TRANS32_DEP_1)
	v_rcp_iflag_f32_e32 v1, v1
	v_nop
	v_mul_f32_e32 v1, 0x4f7ffffe, v1
	s_delay_alu instid0(VALU_DEP_1) | instskip(NEXT) | instid1(VALU_DEP_1)
	v_cvt_u32_f32_e32 v1, v1
	v_readfirstlane_b32 s2, v1
	s_mul_i32 s3, s3, s2
	s_delay_alu instid0(SALU_CYCLE_1) | instskip(NEXT) | instid1(SALU_CYCLE_1)
	s_mul_hi_u32 s3, s2, s3
	s_add_co_i32 s2, s2, s3
	s_delay_alu instid0(SALU_CYCLE_1) | instskip(NEXT) | instid1(SALU_CYCLE_1)
	s_mul_hi_u32 s2, s58, s2
	s_mul_i32 s3, s2, s24
	s_add_co_i32 s12, s2, 1
	s_sub_co_i32 s3, s58, s3
	s_delay_alu instid0(SALU_CYCLE_1)
	s_sub_co_i32 s13, s3, s24
	s_cmp_ge_u32 s3, s24
	s_cselect_b32 s2, s12, s2
	s_cselect_b32 s3, s13, s3
	s_add_co_i32 s12, s2, 1
	s_cmp_ge_u32 s3, s24
	s_cselect_b32 s56, s12, s2
.LBB185_15:
	s_load_b128 s[12:15], s[0:1], 0x518
	s_lshl_b64 s[2:3], s[44:45], 3
	s_mov_b32 s51, 0
	s_wait_kmcnt 0x0
	s_add_nc_u64 s[2:3], s[12:13], s[2:3]
	s_load_b64 s[62:63], s[2:3], 0x0
	s_wait_xcnt 0x0
	v_cmp_ne_u32_e64 s2, 0, v0
	v_cmp_eq_u32_e64 s3, 0, v0
	s_and_saveexec_b32 s75, s3
	s_cbranch_execz .LBB185_31
; %bb.16:
	s_load_b64 s[68:69], s[0:1], 0x528
	s_lshl_b64 s[70:71], s[50:51], 2
	s_cmp_lt_u32 s35, 4
	s_cbranch_scc1 .LBB185_28
; %bb.17:
	s_mov_b64 s[12:13], 0
	s_mov_b32 s50, 0
.LBB185_18:                             ; =>This Inner Loop Header: Depth=1
	s_add_nc_u64 s[72:73], s[14:15], s[70:71]
	s_cmp_ge_u32 s50, s74
	s_load_b128 s[16:19], s[72:73], 0x0
	s_wait_kmcnt 0x0
	s_add_nc_u64 s[72:73], s[68:69], s[70:71]
	s_cbranch_scc0 .LBB185_25
; %bb.19:                               ;   in Loop: Header=BB185_18 Depth=1
	s_add_co_i32 s76, s50, 1
	s_delay_alu instid0(SALU_CYCLE_1)
	s_cmp_ge_u32 s76, s74
	s_cbranch_scc0 .LBB185_26
.LBB185_20:                             ;   in Loop: Header=BB185_18 Depth=1
	s_add_co_i32 s76, s76, 1
	s_delay_alu instid0(SALU_CYCLE_1)
	s_cmp_ge_u32 s76, s74
	s_cbranch_scc0 .LBB185_27
.LBB185_21:                             ;   in Loop: Header=BB185_18 Depth=1
	s_add_co_i32 s76, s76, 1
	s_delay_alu instid0(SALU_CYCLE_1)
	s_cmp_ge_u32 s76, s74
	s_cbranch_scc1 .LBB185_23
.LBB185_22:                             ;   in Loop: Header=BB185_18 Depth=1
	s_load_b32 s72, s[72:73], 0xc
	s_add_co_i32 s13, s19, s13
	s_wait_kmcnt 0x0
	s_add_co_i32 s12, s72, s12
.LBB185_23:                             ;   in Loop: Header=BB185_18 Depth=1
	s_add_co_i32 s16, s16, s51
	s_add_nc_u64 s[14:15], s[14:15], 16
	s_add_co_i32 s16, s16, s17
	s_add_co_i32 s17, s76, 4
	;; [unrolled: 1-line block ×3, first 2 shown]
	s_add_nc_u64 s[68:69], s[68:69], 16
	s_add_co_i32 s51, s16, s19
	s_add_co_i32 s16, s76, 1
	s_cmp_ge_u32 s17, s35
	s_cbranch_scc1 .LBB185_29
; %bb.24:                               ;   in Loop: Header=BB185_18 Depth=1
	s_mov_b32 s50, s16
	s_branch .LBB185_18
.LBB185_25:                             ;   in Loop: Header=BB185_18 Depth=1
	s_load_b32 s76, s[72:73], 0x0
	s_add_co_i32 s13, s16, s13
	s_wait_kmcnt 0x0
	s_add_co_i32 s12, s76, s12
	s_add_co_i32 s76, s50, 1
	s_delay_alu instid0(SALU_CYCLE_1)
	s_cmp_ge_u32 s76, s74
	s_cbranch_scc1 .LBB185_20
.LBB185_26:                             ;   in Loop: Header=BB185_18 Depth=1
	s_load_b32 s77, s[72:73], 0x4
	s_add_co_i32 s13, s17, s13
	s_wait_kmcnt 0x0
	s_add_co_i32 s12, s77, s12
	s_add_co_i32 s76, s76, 1
	s_delay_alu instid0(SALU_CYCLE_1)
	s_cmp_ge_u32 s76, s74
	s_cbranch_scc1 .LBB185_21
.LBB185_27:                             ;   in Loop: Header=BB185_18 Depth=1
	s_load_b32 s77, s[72:73], 0x8
	s_add_co_i32 s13, s18, s13
	s_wait_kmcnt 0x0
	s_add_co_i32 s12, s77, s12
	s_add_co_i32 s76, s76, 1
	s_delay_alu instid0(SALU_CYCLE_1)
	s_cmp_ge_u32 s76, s74
	s_cbranch_scc0 .LBB185_22
	s_branch .LBB185_23
.LBB185_28:
	s_mov_b64 s[12:13], 0
	s_add_nc_u64 s[14:15], s[14:15], s[70:71]
	s_wait_kmcnt 0x0
	s_add_nc_u64 s[16:17], s[68:69], s[70:71]
	s_mov_b32 s18, 0
	s_delay_alu instid0(SALU_CYCLE_1)
	s_cmp_ge_u32 s18, s35
	s_cbranch_scc0 .LBB185_52
	s_branch .LBB185_30
.LBB185_29:
	s_add_co_i32 s18, s50, 4
	s_add_nc_u64 s[16:17], s[68:69], s[70:71]
	s_add_nc_u64 s[14:15], s[14:15], s[70:71]
	s_cmp_ge_u32 s18, s35
	s_cbranch_scc0 .LBB185_52
.LBB185_30:
	v_dual_mov_b32 v2, s12 :: v_dual_mov_b32 v3, s51
	v_dual_mov_b32 v4, s13 :: v_dual_mov_b32 v1, 0
	ds_store_b96 v1, v[2:4] offset:1056
.LBB185_31:
	s_or_b32 exec_lo, exec_lo, s75
	s_clause 0x2
	s_load_b128 s[12:15], s[0:1], 0x360
	s_load_b128 s[16:19], s[0:1], 0x1b8
	s_load_b64 s[50:51], s[0:1], 0x0
	s_cmp_eq_u32 s34, 0
	s_wait_dscnt 0x0
	s_barrier_signal -1
	s_barrier_wait -1
	s_cbranch_scc1 .LBB185_54
; %bb.32:
	s_wait_kmcnt 0x0
	v_cmp_o_f64_e64 s35, s[62:63], s[62:63]
	s_mul_u64 s[8:9], s[46:47], s[8:9]
	s_mul_u64 s[36:37], s[46:47], s[36:37]
	s_sub_nc_u64 s[8:9], s[48:49], s[8:9]
	s_mul_u64 s[24:25], s[56:57], s[24:25]
	s_mul_u64 s[20:21], s[54:55], s[20:21]
	s_mul_u64 s[8:9], s[8:9], s[38:39]
	s_mul_u64 s[10:11], s[48:49], s[10:11]
	s_sub_nc_u64 s[24:25], s[58:59], s[24:25]
	s_lshl_b64 s[36:37], s[36:37], 3
	s_sub_nc_u64 s[20:21], s[52:53], s[20:21]
	s_mul_u64 s[40:41], s[54:55], s[40:41]
	s_mul_u64 s[22:23], s[52:53], s[22:23]
	s_sub_nc_u64 s[10:11], s[44:45], s[10:11]
	s_mul_u64 s[24:25], s[24:25], s[30:31]
	s_add_nc_u64 s[30:31], s[50:51], s[36:37]
	s_lshl_b64 s[8:9], s[8:9], 3
	v_dual_mov_b32 v7, 0 :: v_dual_lshrrev_b32 v1, 3, v0
	s_mul_u64 s[20:21], s[20:21], s[42:43]
	s_sub_nc_u64 s[22:23], s[44:45], s[22:23]
	s_mul_u64 s[10:11], s[10:11], s[60:61]
	s_add_nc_u64 s[8:9], s[30:31], s[8:9]
	s_lshl_b64 s[30:31], s[40:41], 3
	s_mul_u64 s[22:23], s[22:23], s[64:65]
	s_lshl_b64 s[10:11], s[10:11], 3
	s_add_nc_u64 s[18:19], s[18:19], s[30:31]
	s_lshl_b64 s[20:21], s[20:21], 3
	ds_load_b96 v[2:4], v7 offset:1056
	s_mul_u64 s[28:29], s[56:57], s[28:29]
	s_add_nc_u64 s[8:9], s[8:9], s[10:11]
	s_add_nc_u64 s[10:11], s[18:19], s[20:21]
	s_lshl_b64 s[18:19], s[22:23], 3
	s_mul_u64 s[26:27], s[58:59], s[26:27]
	s_lshl_b64 s[20:21], s[28:29], 3
	s_add_nc_u64 s[10:11], s[10:11], s[18:19]
	s_ashr_i32 s18, s63, 31
	s_sub_nc_u64 s[26:27], s[44:45], s[26:27]
	s_add_nc_u64 s[14:15], s[14:15], s[20:21]
	s_lshl_b64 s[20:21], s[24:25], 3
	s_mov_b32 s19, s18
	s_mul_u64 s[26:27], s[26:27], s[66:67]
	s_add_nc_u64 s[20:21], s[14:15], s[20:21]
	s_or_b64 s[14:15], s[18:19], 0x8000000000000000
	s_load_b32 s24, s[0:1], 0x1b0
	s_lshl_b64 s[22:23], s[26:27], 3
	s_xor_b64 s[14:15], s[14:15], s[62:63]
	v_dual_add_nc_u32 v8, -1, v0 :: v_dual_bitop2_b32 v1, 28, v1 bitop3:0x40
	s_and_b32 s18, s35, exec_lo
	s_load_b64 s[18:19], s[0:1], 0x508
	s_wait_dscnt 0x0
	s_delay_alu instid0(VALU_DEP_1)
	v_dual_add_nc_u32 v2, v2, v3 :: v_dual_lshrrev_b32 v6, 3, v8
	v_lshl_add_u32 v5, v0, 2, v1
	v_and_b32_e32 v1, 0xfc, v0
	v_mbcnt_lo_u32_b32 v10, -1, 0
	v_lshlrev_b32_e32 v9, 5, v0
	v_and_b32_e32 v3, 0x1ffffffc, v6
	v_mad_u32 v6, s74, s33, v0
	s_wait_xcnt 0x0
	v_cmp_gt_u32_e64 s0, 32, v0
	v_dual_add_nc_u32 v12, v1, v9 :: v_dual_bitop2_b32 v13, 15, v10 bitop3:0x40
	v_add_nc_u32_e32 v15, -1, v10
	v_lshl_add_u32 v11, v8, 2, v3
	v_bfe_i32 v14, v10, 4, 1
	s_cselect_b32 s15, s15, -1
	s_cselect_b32 s14, s14, -1
	s_wait_kmcnt 0x0
	s_bitcmp1_b32 s24, 0
	s_add_nc_u64 s[20:21], s[20:21], s[22:23]
	s_cselect_b32 s1, -1, 0
                                        ; implicit-def: $vgpr0_vgpr1
	s_branch .LBB185_35
.LBB185_33:                             ;   in Loop: Header=BB185_35 Depth=1
	s_wait_xcnt 0x0
	s_or_b32 exec_lo, exec_lo, s22
	v_add_nc_u32_e32 v2, v3, v2
.LBB185_34:                             ;   in Loop: Header=BB185_35 Depth=1
	v_add_nc_u32_e32 v4, v16, v4
	v_add_nc_u32_e32 v6, 0x100, v6
	s_add_co_i32 s34, s34, -1
	s_delay_alu instid0(SALU_CYCLE_1)
	s_cmp_lg_u32 s34, 0
	s_cbranch_scc0 .LBB185_54
.LBB185_35:                             ; =>This Inner Loop Header: Depth=1
	v_dual_mov_b32 v3, v7 :: v_dual_mov_b32 v8, v7
	s_mov_b32 s22, exec_lo
	v_cmpx_gt_u64_e64 s[4:5], v[6:7]
	s_cbranch_execz .LBB185_37
; %bb.36:                               ;   in Loop: Header=BB185_35 Depth=1
	v_mul_u64_e32 v[0:1], s[16:17], v[6:7]
	s_delay_alu instid0(VALU_DEP_1) | instskip(SKIP_4) | instid1(VALU_DEP_1)
	v_lshl_add_u64 v[0:1], v[0:1], 3, s[8:9]
	global_load_b64 v[0:1], v[0:1], off
	s_wait_loadcnt 0x0
	v_cmp_o_f64_e32 vcc_lo, v[0:1], v[0:1]
	v_ashrrev_i32_e32 v3, 31, v1
	v_or_b32_e32 v8, 0x80000000, v3
	s_delay_alu instid0(VALU_DEP_1) | instskip(SKIP_1) | instid1(VALU_DEP_1)
	v_xor_b32_e32 v8, v8, v1
	v_xor_b32_e32 v3, v3, v0
	v_dual_cndmask_b32 v9, -1, v8 :: v_dual_cndmask_b32 v8, -1, v3
	s_delay_alu instid0(VALU_DEP_1) | instskip(SKIP_4) | instid1(VALU_DEP_2)
	v_cmp_lt_u64_e32 vcc_lo, s[14:15], v[8:9]
	v_cndmask_b32_e64 v3, 0, 1, vcc_lo
	v_cmp_gt_u64_e32 vcc_lo, s[14:15], v[8:9]
	v_cndmask_b32_e64 v16, 0, 1, vcc_lo
	v_cmp_eq_u64_e32 vcc_lo, s[14:15], v[8:9]
	v_cndmask_b32_e64 v3, v16, v3, s1
	v_cndmask_b32_e64 v8, 0, 1, vcc_lo
	s_delay_alu instid0(VALU_DEP_2)
	v_and_b32_e32 v3, 1, v3
.LBB185_37:                             ;   in Loop: Header=BB185_35 Depth=1
	s_wait_xcnt 0x0
	s_or_b32 exec_lo, exec_lo, s22
	ds_store_b32 v5, v3
	s_wait_dscnt 0x0
	s_barrier_signal -1
	s_barrier_wait -1
	s_and_saveexec_b32 s22, s0
	s_cbranch_execz .LBB185_39
; %bb.38:                               ;   in Loop: Header=BB185_35 Depth=1
	ds_load_2addr_b32 v[16:17], v12 offset1:1
	ds_load_2addr_b32 v[18:19], v12 offset0:2 offset1:3
	ds_load_2addr_b32 v[20:21], v12 offset0:4 offset1:5
	;; [unrolled: 1-line block ×3, first 2 shown]
	v_cmp_ne_u32_e32 vcc_lo, 0, v13
	; wave barrier
	s_wait_dscnt 0x3
	v_add_nc_u32_e32 v9, v17, v16
	s_wait_dscnt 0x2
	s_delay_alu instid0(VALU_DEP_1) | instskip(SKIP_1) | instid1(VALU_DEP_1)
	v_add3_u32 v9, v9, v18, v19
	s_wait_dscnt 0x1
	v_add3_u32 v9, v9, v20, v21
	s_wait_dscnt 0x0
	s_delay_alu instid0(VALU_DEP_1) | instskip(NEXT) | instid1(VALU_DEP_1)
	v_add3_u32 v9, v9, v22, v23
	v_mov_b32_dpp v17, v9 row_shr:1 row_mask:0xf bank_mask:0xf
	s_delay_alu instid0(VALU_DEP_1) | instskip(SKIP_1) | instid1(VALU_DEP_2)
	v_cndmask_b32_e32 v17, 0, v17, vcc_lo
	v_cmp_lt_u32_e32 vcc_lo, 1, v13
	v_add_nc_u32_e32 v9, v17, v9
	s_delay_alu instid0(VALU_DEP_1) | instskip(NEXT) | instid1(VALU_DEP_1)
	v_mov_b32_dpp v17, v9 row_shr:2 row_mask:0xf bank_mask:0xf
	v_cndmask_b32_e32 v17, 0, v17, vcc_lo
	v_cmp_lt_u32_e32 vcc_lo, 3, v13
	s_delay_alu instid0(VALU_DEP_2) | instskip(NEXT) | instid1(VALU_DEP_1)
	v_add_nc_u32_e32 v9, v9, v17
	v_mov_b32_dpp v17, v9 row_shr:4 row_mask:0xf bank_mask:0xf
	s_delay_alu instid0(VALU_DEP_1) | instskip(SKIP_1) | instid1(VALU_DEP_2)
	v_cndmask_b32_e32 v17, 0, v17, vcc_lo
	v_cmp_lt_u32_e32 vcc_lo, 7, v13
	v_add_nc_u32_e32 v9, v9, v17
	s_delay_alu instid0(VALU_DEP_1) | instskip(NEXT) | instid1(VALU_DEP_1)
	v_mov_b32_dpp v17, v9 row_shr:8 row_mask:0xf bank_mask:0xf
	v_cndmask_b32_e32 v17, 0, v17, vcc_lo
	v_cmp_gt_i32_e32 vcc_lo, 0, v15
	s_delay_alu instid0(VALU_DEP_2) | instskip(SKIP_3) | instid1(VALU_DEP_1)
	v_dual_cndmask_b32 v18, v15, v10 :: v_dual_add_nc_u32 v9, v9, v17
	ds_swizzle_b32 v17, v9 offset:swizzle(BROADCAST,32,15)
	s_wait_dscnt 0x0
	v_dual_lshlrev_b32 v18, 2, v18 :: v_dual_bitop2_b32 v17, v14, v17 bitop3:0x40
	v_add_nc_u32_e32 v9, v9, v17
	ds_bpermute_b32 v9, v18, v9
	s_wait_dscnt 0x0
	v_add_nc_u32_e32 v9, v9, v16
	s_delay_alu instid0(VALU_DEP_1)
	v_cndmask_b32_e64 v9, v9, v3, s3
	ds_store_b32 v12, v9
	; wave barrier
	ds_load_2addr_b32 v[16:17], v12 offset0:1 offset1:2
	ds_load_2addr_b32 v[18:19], v12 offset0:3 offset1:4
	;; [unrolled: 1-line block ×3, first 2 shown]
	ds_load_b32 v22, v12 offset:28
	s_wait_dscnt 0x3
	v_add_nc_u32_e32 v9, v16, v9
	s_delay_alu instid0(VALU_DEP_1) | instskip(SKIP_1) | instid1(VALU_DEP_1)
	v_add_nc_u32_e32 v16, v17, v9
	s_wait_dscnt 0x2
	v_add_nc_u32_e32 v17, v18, v16
	s_delay_alu instid0(VALU_DEP_1) | instskip(SKIP_1) | instid1(VALU_DEP_1)
	v_add_nc_u32_e32 v18, v19, v17
	;; [unrolled: 4-line block ×3, first 2 shown]
	s_wait_dscnt 0x0
	v_add_nc_u32_e32 v21, v22, v20
	ds_store_2addr_b32 v12, v9, v16 offset0:1 offset1:2
	ds_store_2addr_b32 v12, v17, v18 offset0:3 offset1:4
	;; [unrolled: 1-line block ×3, first 2 shown]
	ds_store_b32 v12, v21 offset:28
.LBB185_39:                             ;   in Loop: Header=BB185_35 Depth=1
	s_or_b32 exec_lo, exec_lo, s22
	v_mov_b32_e32 v9, 0
	s_wait_dscnt 0x0
	s_barrier_signal -1
	s_barrier_wait -1
	s_and_saveexec_b32 s22, s2
; %bb.40:                               ;   in Loop: Header=BB185_35 Depth=1
	ds_load_b32 v9, v11
; %bb.41:                               ;   in Loop: Header=BB185_35 Depth=1
	s_or_b32 exec_lo, exec_lo, s22
	ds_load_b32 v16, v7 offset:1048
	s_mov_b32 s22, exec_lo
	s_wait_dscnt 0x0
	s_barrier_signal -1
	s_barrier_wait -1
	v_cmpx_ne_u32_e32 0, v3
	s_cbranch_execz .LBB185_43
; %bb.42:                               ;   in Loop: Header=BB185_35 Depth=1
	v_dual_mov_b32 v19, v7 :: v_dual_add_nc_u32 v18, v9, v4
	s_delay_alu instid0(VALU_DEP_1) | instskip(SKIP_1) | instid1(VALU_DEP_2)
	v_mul_u64_e32 v[20:21], s[12:13], v[18:19]
	v_mul_u64_e32 v[18:19], s[18:19], v[18:19]
	v_lshl_add_u64 v[20:21], v[20:21], 3, s[10:11]
	s_delay_alu instid0(VALU_DEP_2)
	v_lshl_add_u64 v[18:19], v[18:19], 3, s[20:21]
	global_store_b64 v[20:21], v[0:1], off
	global_store_b64 v[18:19], v[6:7], off
.LBB185_43:                             ;   in Loop: Header=BB185_35 Depth=1
	s_wait_xcnt 0x0
	s_or_b32 exec_lo, exec_lo, s22
	v_mov_b32_e32 v3, v7
	s_delay_alu instid0(VALU_DEP_1)
	v_cmp_le_u64_e32 vcc_lo, s[6:7], v[2:3]
	s_cbranch_vccnz .LBB185_34
; %bb.44:                               ;   in Loop: Header=BB185_35 Depth=1
	ds_store_b32 v5, v8
	s_wait_storecnt_dscnt 0x0
	s_barrier_signal -1
	s_barrier_wait -1
	s_and_saveexec_b32 s22, s0
	s_cbranch_execz .LBB185_46
; %bb.45:                               ;   in Loop: Header=BB185_35 Depth=1
	ds_load_2addr_b32 v[18:19], v12 offset1:1
	ds_load_2addr_b32 v[20:21], v12 offset0:2 offset1:3
	ds_load_2addr_b32 v[22:23], v12 offset0:4 offset1:5
	;; [unrolled: 1-line block ×3, first 2 shown]
	v_cmp_ne_u32_e32 vcc_lo, 0, v13
	; wave barrier
	s_wait_dscnt 0x3
	v_add_nc_u32_e32 v3, v19, v18
	s_wait_dscnt 0x2
	s_delay_alu instid0(VALU_DEP_1) | instskip(SKIP_1) | instid1(VALU_DEP_1)
	v_add3_u32 v3, v3, v20, v21
	s_wait_dscnt 0x1
	v_add3_u32 v3, v3, v22, v23
	s_wait_dscnt 0x0
	s_delay_alu instid0(VALU_DEP_1) | instskip(NEXT) | instid1(VALU_DEP_1)
	v_add3_u32 v3, v3, v24, v25
	v_mov_b32_dpp v9, v3 row_shr:1 row_mask:0xf bank_mask:0xf
	s_delay_alu instid0(VALU_DEP_1) | instskip(SKIP_1) | instid1(VALU_DEP_2)
	v_cndmask_b32_e32 v9, 0, v9, vcc_lo
	v_cmp_lt_u32_e32 vcc_lo, 1, v13
	v_add_nc_u32_e32 v3, v9, v3
	s_delay_alu instid0(VALU_DEP_1) | instskip(NEXT) | instid1(VALU_DEP_1)
	v_mov_b32_dpp v9, v3 row_shr:2 row_mask:0xf bank_mask:0xf
	v_cndmask_b32_e32 v9, 0, v9, vcc_lo
	v_cmp_lt_u32_e32 vcc_lo, 3, v13
	s_delay_alu instid0(VALU_DEP_2) | instskip(NEXT) | instid1(VALU_DEP_1)
	v_add_nc_u32_e32 v3, v3, v9
	v_mov_b32_dpp v9, v3 row_shr:4 row_mask:0xf bank_mask:0xf
	s_delay_alu instid0(VALU_DEP_1) | instskip(SKIP_1) | instid1(VALU_DEP_2)
	v_cndmask_b32_e32 v9, 0, v9, vcc_lo
	v_cmp_lt_u32_e32 vcc_lo, 7, v13
	v_add_nc_u32_e32 v3, v3, v9
	s_delay_alu instid0(VALU_DEP_1) | instskip(NEXT) | instid1(VALU_DEP_1)
	v_mov_b32_dpp v9, v3 row_shr:8 row_mask:0xf bank_mask:0xf
	v_cndmask_b32_e32 v9, 0, v9, vcc_lo
	v_cmp_gt_i32_e32 vcc_lo, 0, v15
	s_delay_alu instid0(VALU_DEP_2)
	v_add_nc_u32_e32 v3, v3, v9
	v_cndmask_b32_e32 v17, v15, v10, vcc_lo
	ds_swizzle_b32 v9, v3 offset:swizzle(BROADCAST,32,15)
	v_lshlrev_b32_e32 v17, 2, v17
	s_wait_dscnt 0x0
	v_and_b32_e32 v9, v14, v9
	s_delay_alu instid0(VALU_DEP_1) | instskip(SKIP_3) | instid1(VALU_DEP_1)
	v_add_nc_u32_e32 v3, v3, v9
	ds_bpermute_b32 v3, v17, v3
	s_wait_dscnt 0x0
	v_add_nc_u32_e32 v3, v3, v18
	v_cndmask_b32_e64 v3, v3, v8, s3
	ds_store_b32 v12, v3
	; wave barrier
	ds_load_2addr_b32 v[18:19], v12 offset0:1 offset1:2
	ds_load_2addr_b32 v[20:21], v12 offset0:3 offset1:4
	ds_load_2addr_b32 v[22:23], v12 offset0:5 offset1:6
	ds_load_b32 v9, v12 offset:28
	s_wait_dscnt 0x3
	v_add_nc_u32_e32 v3, v18, v3
	s_delay_alu instid0(VALU_DEP_1) | instskip(SKIP_1) | instid1(VALU_DEP_1)
	v_add_nc_u32_e32 v17, v19, v3
	s_wait_dscnt 0x2
	v_add_nc_u32_e32 v18, v20, v17
	s_delay_alu instid0(VALU_DEP_1) | instskip(SKIP_1) | instid1(VALU_DEP_1)
	v_add_nc_u32_e32 v19, v21, v18
	;; [unrolled: 4-line block ×3, first 2 shown]
	s_wait_dscnt 0x0
	v_add_nc_u32_e32 v9, v9, v21
	ds_store_2addr_b32 v12, v3, v17 offset0:1 offset1:2
	ds_store_2addr_b32 v12, v18, v19 offset0:3 offset1:4
	ds_store_2addr_b32 v12, v20, v21 offset0:5 offset1:6
	ds_store_b32 v12, v9 offset:28
.LBB185_46:                             ;   in Loop: Header=BB185_35 Depth=1
	s_or_b32 exec_lo, exec_lo, s22
	v_mov_b32_e32 v9, 0
	s_wait_dscnt 0x0
	s_barrier_signal -1
	s_barrier_wait -1
	s_and_saveexec_b32 s22, s2
; %bb.47:                               ;   in Loop: Header=BB185_35 Depth=1
	ds_load_b32 v9, v11
; %bb.48:                               ;   in Loop: Header=BB185_35 Depth=1
	s_or_b32 exec_lo, exec_lo, s22
	ds_load_b32 v3, v7 offset:1048
	s_mov_b32 s22, exec_lo
	s_wait_dscnt 0x0
	s_barrier_signal -1
	s_barrier_wait -1
	v_cmpx_ne_u32_e32 0, v8
	s_cbranch_execz .LBB185_33
; %bb.49:                               ;   in Loop: Header=BB185_35 Depth=1
	v_dual_mov_b32 v9, v7 :: v_dual_add_nc_u32 v8, v9, v2
	s_delay_alu instid0(VALU_DEP_1)
	v_cmp_gt_u64_e32 vcc_lo, s[6:7], v[8:9]
	s_and_b32 exec_lo, exec_lo, vcc_lo
	s_cbranch_execz .LBB185_33
; %bb.50:                               ;   in Loop: Header=BB185_35 Depth=1
	v_mul_u64_e32 v[18:19], s[12:13], v[8:9]
	v_mul_u64_e32 v[8:9], s[18:19], v[8:9]
	s_delay_alu instid0(VALU_DEP_2) | instskip(NEXT) | instid1(VALU_DEP_2)
	v_lshl_add_u64 v[18:19], v[18:19], 3, s[10:11]
	v_lshl_add_u64 v[8:9], v[8:9], 3, s[20:21]
	global_store_b64 v[18:19], v[0:1], off
	global_store_b64 v[8:9], v[6:7], off
	s_branch .LBB185_33
.LBB185_51:                             ;   in Loop: Header=BB185_52 Depth=1
	s_add_co_i32 s18, s18, 1
	s_wait_kmcnt 0x0
	s_add_co_i32 s51, s19, s51
	s_add_nc_u64 s[14:15], s[14:15], 4
	s_cmp_lt_u32 s18, s35
	s_add_nc_u64 s[16:17], s[16:17], 4
	s_cbranch_scc0 .LBB185_30
.LBB185_52:                             ; =>This Inner Loop Header: Depth=1
	s_load_b32 s19, s[14:15], 0x0
	s_cmp_ge_u32 s18, s74
	s_cbranch_scc1 .LBB185_51
; %bb.53:                               ;   in Loop: Header=BB185_52 Depth=1
	s_load_b32 s50, s[16:17], 0x0
	s_wait_kmcnt 0x0
	s_add_co_i32 s13, s19, s13
	s_add_co_i32 s12, s50, s12
	s_branch .LBB185_51
.LBB185_54:
	s_endpgm
	.section	.rodata,"a",@progbits
	.p2align	6, 0x0
	.amdhsa_kernel _ZN2at6native6mbtopk10gatherTopKIdmLi3EEEvNS_4cuda6detail10TensorInfoIKT_T0_EES8_S8_bjS8_NS5_IS6_S8_EES8_NS5_IlS8_EES8_jjPS6_PjSD_j
		.amdhsa_group_segment_fixed_size 1068
		.amdhsa_private_segment_fixed_size 0
		.amdhsa_kernarg_size 1592
		.amdhsa_user_sgpr_count 2
		.amdhsa_user_sgpr_dispatch_ptr 0
		.amdhsa_user_sgpr_queue_ptr 0
		.amdhsa_user_sgpr_kernarg_segment_ptr 1
		.amdhsa_user_sgpr_dispatch_id 0
		.amdhsa_user_sgpr_kernarg_preload_length 0
		.amdhsa_user_sgpr_kernarg_preload_offset 0
		.amdhsa_user_sgpr_private_segment_size 0
		.amdhsa_wavefront_size32 1
		.amdhsa_uses_dynamic_stack 0
		.amdhsa_enable_private_segment 0
		.amdhsa_system_sgpr_workgroup_id_x 1
		.amdhsa_system_sgpr_workgroup_id_y 1
		.amdhsa_system_sgpr_workgroup_id_z 1
		.amdhsa_system_sgpr_workgroup_info 0
		.amdhsa_system_vgpr_workitem_id 0
		.amdhsa_next_free_vgpr 26
		.amdhsa_next_free_sgpr 78
		.amdhsa_named_barrier_count 0
		.amdhsa_reserve_vcc 1
		.amdhsa_float_round_mode_32 0
		.amdhsa_float_round_mode_16_64 0
		.amdhsa_float_denorm_mode_32 3
		.amdhsa_float_denorm_mode_16_64 3
		.amdhsa_fp16_overflow 0
		.amdhsa_memory_ordered 1
		.amdhsa_forward_progress 1
		.amdhsa_inst_pref_size 28
		.amdhsa_round_robin_scheduling 0
		.amdhsa_exception_fp_ieee_invalid_op 0
		.amdhsa_exception_fp_denorm_src 0
		.amdhsa_exception_fp_ieee_div_zero 0
		.amdhsa_exception_fp_ieee_overflow 0
		.amdhsa_exception_fp_ieee_underflow 0
		.amdhsa_exception_fp_ieee_inexact 0
		.amdhsa_exception_int_div_zero 0
	.end_amdhsa_kernel
	.section	.text._ZN2at6native6mbtopk10gatherTopKIdmLi3EEEvNS_4cuda6detail10TensorInfoIKT_T0_EES8_S8_bjS8_NS5_IS6_S8_EES8_NS5_IlS8_EES8_jjPS6_PjSD_j,"axG",@progbits,_ZN2at6native6mbtopk10gatherTopKIdmLi3EEEvNS_4cuda6detail10TensorInfoIKT_T0_EES8_S8_bjS8_NS5_IS6_S8_EES8_NS5_IlS8_EES8_jjPS6_PjSD_j,comdat
.Lfunc_end185:
	.size	_ZN2at6native6mbtopk10gatherTopKIdmLi3EEEvNS_4cuda6detail10TensorInfoIKT_T0_EES8_S8_bjS8_NS5_IS6_S8_EES8_NS5_IlS8_EES8_jjPS6_PjSD_j, .Lfunc_end185-_ZN2at6native6mbtopk10gatherTopKIdmLi3EEEvNS_4cuda6detail10TensorInfoIKT_T0_EES8_S8_bjS8_NS5_IS6_S8_EES8_NS5_IlS8_EES8_jjPS6_PjSD_j
                                        ; -- End function
	.set _ZN2at6native6mbtopk10gatherTopKIdmLi3EEEvNS_4cuda6detail10TensorInfoIKT_T0_EES8_S8_bjS8_NS5_IS6_S8_EES8_NS5_IlS8_EES8_jjPS6_PjSD_j.num_vgpr, 26
	.set _ZN2at6native6mbtopk10gatherTopKIdmLi3EEEvNS_4cuda6detail10TensorInfoIKT_T0_EES8_S8_bjS8_NS5_IS6_S8_EES8_NS5_IlS8_EES8_jjPS6_PjSD_j.num_agpr, 0
	.set _ZN2at6native6mbtopk10gatherTopKIdmLi3EEEvNS_4cuda6detail10TensorInfoIKT_T0_EES8_S8_bjS8_NS5_IS6_S8_EES8_NS5_IlS8_EES8_jjPS6_PjSD_j.numbered_sgpr, 78
	.set _ZN2at6native6mbtopk10gatherTopKIdmLi3EEEvNS_4cuda6detail10TensorInfoIKT_T0_EES8_S8_bjS8_NS5_IS6_S8_EES8_NS5_IlS8_EES8_jjPS6_PjSD_j.num_named_barrier, 0
	.set _ZN2at6native6mbtopk10gatherTopKIdmLi3EEEvNS_4cuda6detail10TensorInfoIKT_T0_EES8_S8_bjS8_NS5_IS6_S8_EES8_NS5_IlS8_EES8_jjPS6_PjSD_j.private_seg_size, 0
	.set _ZN2at6native6mbtopk10gatherTopKIdmLi3EEEvNS_4cuda6detail10TensorInfoIKT_T0_EES8_S8_bjS8_NS5_IS6_S8_EES8_NS5_IlS8_EES8_jjPS6_PjSD_j.uses_vcc, 1
	.set _ZN2at6native6mbtopk10gatherTopKIdmLi3EEEvNS_4cuda6detail10TensorInfoIKT_T0_EES8_S8_bjS8_NS5_IS6_S8_EES8_NS5_IlS8_EES8_jjPS6_PjSD_j.uses_flat_scratch, 0
	.set _ZN2at6native6mbtopk10gatherTopKIdmLi3EEEvNS_4cuda6detail10TensorInfoIKT_T0_EES8_S8_bjS8_NS5_IS6_S8_EES8_NS5_IlS8_EES8_jjPS6_PjSD_j.has_dyn_sized_stack, 0
	.set _ZN2at6native6mbtopk10gatherTopKIdmLi3EEEvNS_4cuda6detail10TensorInfoIKT_T0_EES8_S8_bjS8_NS5_IS6_S8_EES8_NS5_IlS8_EES8_jjPS6_PjSD_j.has_recursion, 0
	.set _ZN2at6native6mbtopk10gatherTopKIdmLi3EEEvNS_4cuda6detail10TensorInfoIKT_T0_EES8_S8_bjS8_NS5_IS6_S8_EES8_NS5_IlS8_EES8_jjPS6_PjSD_j.has_indirect_call, 0
	.section	.AMDGPU.csdata,"",@progbits
; Kernel info:
; codeLenInByte = 3504
; TotalNumSgprs: 80
; NumVgprs: 26
; ScratchSize: 0
; MemoryBound: 0
; FloatMode: 240
; IeeeMode: 1
; LDSByteSize: 1068 bytes/workgroup (compile time only)
; SGPRBlocks: 0
; VGPRBlocks: 1
; NumSGPRsForWavesPerEU: 80
; NumVGPRsForWavesPerEU: 26
; NamedBarCnt: 0
; Occupancy: 16
; WaveLimiterHint : 1
; COMPUTE_PGM_RSRC2:SCRATCH_EN: 0
; COMPUTE_PGM_RSRC2:USER_SGPR: 2
; COMPUTE_PGM_RSRC2:TRAP_HANDLER: 0
; COMPUTE_PGM_RSRC2:TGID_X_EN: 1
; COMPUTE_PGM_RSRC2:TGID_Y_EN: 1
; COMPUTE_PGM_RSRC2:TGID_Z_EN: 1
; COMPUTE_PGM_RSRC2:TIDIG_COMP_CNT: 0
	.section	.text._ZN2at6native6sbtopk10gatherTopKIdmLi3ELb0EEEvNS_4cuda6detail10TensorInfoIKT_T0_EES8_S8_bS8_S8_NS5_IS6_S8_EES8_NS5_IlS8_EES8_PS6_,"axG",@progbits,_ZN2at6native6sbtopk10gatherTopKIdmLi3ELb0EEEvNS_4cuda6detail10TensorInfoIKT_T0_EES8_S8_bS8_S8_NS5_IS6_S8_EES8_NS5_IlS8_EES8_PS6_,comdat
	.protected	_ZN2at6native6sbtopk10gatherTopKIdmLi3ELb0EEEvNS_4cuda6detail10TensorInfoIKT_T0_EES8_S8_bS8_S8_NS5_IS6_S8_EES8_NS5_IlS8_EES8_PS6_ ; -- Begin function _ZN2at6native6sbtopk10gatherTopKIdmLi3ELb0EEEvNS_4cuda6detail10TensorInfoIKT_T0_EES8_S8_bS8_S8_NS5_IS6_S8_EES8_NS5_IlS8_EES8_PS6_
	.globl	_ZN2at6native6sbtopk10gatherTopKIdmLi3ELb0EEEvNS_4cuda6detail10TensorInfoIKT_T0_EES8_S8_bS8_S8_NS5_IS6_S8_EES8_NS5_IlS8_EES8_PS6_
	.p2align	8
	.type	_ZN2at6native6sbtopk10gatherTopKIdmLi3ELb0EEEvNS_4cuda6detail10TensorInfoIKT_T0_EES8_S8_bS8_S8_NS5_IS6_S8_EES8_NS5_IlS8_EES8_PS6_,@function
_ZN2at6native6sbtopk10gatherTopKIdmLi3ELb0EEEvNS_4cuda6detail10TensorInfoIKT_T0_EES8_S8_bS8_S8_NS5_IS6_S8_EES8_NS5_IlS8_EES8_PS6_: ; @_ZN2at6native6sbtopk10gatherTopKIdmLi3ELb0EEEvNS_4cuda6detail10TensorInfoIKT_T0_EES8_S8_bS8_S8_NS5_IS6_S8_EES8_NS5_IlS8_EES8_PS6_
; %bb.0:
	s_clause 0x1
	s_load_b128 s[28:31], s[0:1], 0x1b8
	s_load_b64 s[16:17], s[0:1], 0x520
	s_bfe_u32 s2, ttmp6, 0x40010
	s_and_b32 s3, ttmp7, 0xffff
	s_add_co_i32 s2, s2, 1
	s_bfe_u32 s5, ttmp6, 0x4000c
	s_mul_i32 s2, s3, s2
	s_bfe_u32 s4, ttmp6, 0x40004
	s_add_co_i32 s5, s5, 1
	s_bfe_u32 s6, ttmp6, 0x40014
	s_add_co_i32 s4, s4, s2
	s_and_b32 s2, ttmp6, 15
	s_mul_i32 s5, ttmp9, s5
	s_lshr_b32 s7, ttmp7, 16
	s_add_co_i32 s6, s6, 1
	s_add_co_i32 s2, s2, s5
	s_mul_i32 s5, s7, s6
	s_bfe_u32 s6, ttmp6, 0x40008
	s_getreg_b32 s8, hwreg(HW_REG_IB_STS2, 6, 4)
	s_add_co_i32 s6, s6, s5
	s_cmp_eq_u32 s8, 0
	s_mov_b32 s57, 0
	s_cselect_b32 s5, s7, s6
	s_cselect_b32 s3, s3, s4
	s_wait_kmcnt 0x0
	s_mul_i32 s5, s17, s5
	s_cselect_b32 s17, ttmp9, s2
	s_add_co_i32 s2, s5, s3
	s_delay_alu instid0(SALU_CYCLE_1) | instskip(NEXT) | instid1(SALU_CYCLE_1)
	s_mul_i32 s2, s2, s16
	s_add_co_i32 s56, s2, s17
	s_delay_alu instid0(SALU_CYCLE_1)
	v_cmp_le_u64_e64 s2, s[28:29], s[56:57]
	s_and_b32 vcc_lo, exec_lo, s2
	s_cbranch_vccnz .LBB186_495
; %bb.1:
	s_load_b128 s[8:11], s[0:1], 0x10
	s_mov_b64 s[6:7], 0
	s_wait_kmcnt 0x0
	v_cmp_lt_u64_e64 s2, s[56:57], s[10:11]
	s_and_b32 vcc_lo, exec_lo, s2
	s_mov_b64 s[2:3], 0
	s_cbranch_vccnz .LBB186_3
; %bb.2:
	v_cvt_f32_u32_e32 v1, s10
	s_sub_co_i32 s3, 0, s10
	s_delay_alu instid0(VALU_DEP_1) | instskip(SKIP_1) | instid1(TRANS32_DEP_1)
	v_rcp_iflag_f32_e32 v1, v1
	v_nop
	v_mul_f32_e32 v1, 0x4f7ffffe, v1
	s_delay_alu instid0(VALU_DEP_1) | instskip(NEXT) | instid1(VALU_DEP_1)
	v_cvt_u32_f32_e32 v1, v1
	v_readfirstlane_b32 s2, v1
	s_mul_i32 s3, s3, s2
	s_delay_alu instid0(SALU_CYCLE_1) | instskip(NEXT) | instid1(SALU_CYCLE_1)
	s_mul_hi_u32 s3, s2, s3
	s_add_co_i32 s2, s2, s3
	s_delay_alu instid0(SALU_CYCLE_1) | instskip(NEXT) | instid1(SALU_CYCLE_1)
	s_mul_hi_u32 s2, s56, s2
	s_mul_i32 s3, s2, s10
	s_add_co_i32 s4, s2, 1
	s_sub_co_i32 s3, s56, s3
	s_delay_alu instid0(SALU_CYCLE_1)
	s_sub_co_i32 s5, s3, s10
	s_cmp_ge_u32 s3, s10
	s_cselect_b32 s2, s4, s2
	s_cselect_b32 s3, s5, s3
	s_add_co_i32 s4, s2, 1
	s_cmp_ge_u32 s3, s10
	s_mov_b32 s3, 0
	s_cselect_b32 s2, s4, s2
.LBB186_3:
	s_load_b128 s[20:23], s[0:1], 0x1d8
	v_cmp_lt_u64_e64 s4, s[2:3], s[8:9]
	s_and_b32 vcc_lo, exec_lo, s4
	s_cbranch_vccnz .LBB186_5
; %bb.4:
	v_cvt_f32_u32_e32 v1, s8
	s_sub_co_i32 s5, 0, s8
	s_delay_alu instid0(VALU_DEP_1) | instskip(SKIP_1) | instid1(TRANS32_DEP_1)
	v_rcp_iflag_f32_e32 v1, v1
	v_nop
	v_mul_f32_e32 v1, 0x4f7ffffe, v1
	s_delay_alu instid0(VALU_DEP_1) | instskip(NEXT) | instid1(VALU_DEP_1)
	v_cvt_u32_f32_e32 v1, v1
	v_readfirstlane_b32 s4, v1
	s_mul_i32 s5, s5, s4
	s_delay_alu instid0(SALU_CYCLE_1) | instskip(NEXT) | instid1(SALU_CYCLE_1)
	s_mul_hi_u32 s5, s4, s5
	s_add_co_i32 s4, s4, s5
	s_delay_alu instid0(SALU_CYCLE_1) | instskip(NEXT) | instid1(SALU_CYCLE_1)
	s_mul_hi_u32 s4, s2, s4
	s_mul_i32 s5, s4, s8
	s_add_co_i32 s6, s4, 1
	s_sub_co_i32 s5, s2, s5
	s_delay_alu instid0(SALU_CYCLE_1)
	s_sub_co_i32 s7, s5, s8
	s_cmp_ge_u32 s5, s8
	s_cselect_b32 s4, s6, s4
	s_cselect_b32 s5, s7, s5
	s_add_co_i32 s6, s4, 1
	s_cmp_ge_u32 s5, s8
	s_mov_b32 s7, 0
	s_cselect_b32 s6, s6, s4
.LBB186_5:
	s_wait_kmcnt 0x0
	v_cmp_lt_u64_e64 s4, s[56:57], s[22:23]
	s_mov_b64 s[68:69], 0
	s_mov_b64 s[58:59], 0
	s_and_b32 vcc_lo, exec_lo, s4
	s_cbranch_vccnz .LBB186_7
; %bb.6:
	v_cvt_f32_u32_e32 v1, s22
	s_sub_co_i32 s5, 0, s22
	s_mov_b32 s59, 0
	s_delay_alu instid0(VALU_DEP_1) | instskip(SKIP_1) | instid1(TRANS32_DEP_1)
	v_rcp_iflag_f32_e32 v1, v1
	v_nop
	v_mul_f32_e32 v1, 0x4f7ffffe, v1
	s_delay_alu instid0(VALU_DEP_1) | instskip(NEXT) | instid1(VALU_DEP_1)
	v_cvt_u32_f32_e32 v1, v1
	v_readfirstlane_b32 s4, v1
	s_mul_i32 s5, s5, s4
	s_delay_alu instid0(SALU_CYCLE_1) | instskip(NEXT) | instid1(SALU_CYCLE_1)
	s_mul_hi_u32 s5, s4, s5
	s_add_co_i32 s4, s4, s5
	s_delay_alu instid0(SALU_CYCLE_1) | instskip(NEXT) | instid1(SALU_CYCLE_1)
	s_mul_hi_u32 s4, s56, s4
	s_mul_i32 s5, s4, s22
	s_add_co_i32 s12, s4, 1
	s_sub_co_i32 s5, s56, s5
	s_delay_alu instid0(SALU_CYCLE_1)
	s_sub_co_i32 s13, s5, s22
	s_cmp_ge_u32 s5, s22
	s_cselect_b32 s4, s12, s4
	s_cselect_b32 s5, s13, s5
	s_add_co_i32 s12, s4, 1
	s_cmp_ge_u32 s5, s22
	s_cselect_b32 s58, s12, s4
.LBB186_7:
	s_load_b128 s[24:27], s[0:1], 0x380
	v_cmp_lt_u64_e64 s4, s[58:59], s[20:21]
	s_and_b32 vcc_lo, exec_lo, s4
	s_cbranch_vccnz .LBB186_9
; %bb.8:
	v_cvt_f32_u32_e32 v1, s20
	s_sub_co_i32 s5, 0, s20
	s_mov_b32 s69, 0
	s_delay_alu instid0(VALU_DEP_1) | instskip(SKIP_1) | instid1(TRANS32_DEP_1)
	v_rcp_iflag_f32_e32 v1, v1
	v_nop
	v_mul_f32_e32 v1, 0x4f7ffffe, v1
	s_delay_alu instid0(VALU_DEP_1) | instskip(NEXT) | instid1(VALU_DEP_1)
	v_cvt_u32_f32_e32 v1, v1
	v_readfirstlane_b32 s4, v1
	s_mul_i32 s5, s5, s4
	s_delay_alu instid0(SALU_CYCLE_1) | instskip(NEXT) | instid1(SALU_CYCLE_1)
	s_mul_hi_u32 s5, s4, s5
	s_add_co_i32 s4, s4, s5
	s_delay_alu instid0(SALU_CYCLE_1) | instskip(NEXT) | instid1(SALU_CYCLE_1)
	s_mul_hi_u32 s4, s58, s4
	s_mul_i32 s5, s4, s20
	s_add_co_i32 s12, s4, 1
	s_sub_co_i32 s5, s58, s5
	s_delay_alu instid0(SALU_CYCLE_1)
	s_sub_co_i32 s13, s5, s20
	s_cmp_ge_u32 s5, s20
	s_cselect_b32 s4, s12, s4
	s_cselect_b32 s5, s13, s5
	s_add_co_i32 s12, s4, 1
	s_cmp_ge_u32 s5, s20
	s_cselect_b32 s68, s12, s4
.LBB186_9:
	s_clause 0x1
	s_load_b64 s[18:19], s[0:1], 0xe0
	s_load_b128 s[12:15], s[0:1], 0xd0
	s_wait_kmcnt 0x0
	v_cmp_lt_u64_e64 s4, s[56:57], s[26:27]
	s_mov_b64 s[22:23], 0
	s_mov_b64 s[62:63], 0
	s_and_b32 vcc_lo, exec_lo, s4
	s_cbranch_vccnz .LBB186_11
; %bb.10:
	v_cvt_f32_u32_e32 v1, s26
	s_sub_co_i32 s5, 0, s26
	s_mov_b32 s63, 0
	s_delay_alu instid0(VALU_DEP_1) | instskip(SKIP_1) | instid1(TRANS32_DEP_1)
	v_rcp_iflag_f32_e32 v1, v1
	v_nop
	v_mul_f32_e32 v1, 0x4f7ffffe, v1
	s_delay_alu instid0(VALU_DEP_1) | instskip(NEXT) | instid1(VALU_DEP_1)
	v_cvt_u32_f32_e32 v1, v1
	v_readfirstlane_b32 s4, v1
	s_mul_i32 s5, s5, s4
	s_delay_alu instid0(SALU_CYCLE_1) | instskip(NEXT) | instid1(SALU_CYCLE_1)
	s_mul_hi_u32 s5, s4, s5
	s_add_co_i32 s4, s4, s5
	s_delay_alu instid0(SALU_CYCLE_1) | instskip(NEXT) | instid1(SALU_CYCLE_1)
	s_mul_hi_u32 s4, s56, s4
	s_mul_i32 s5, s4, s26
	s_add_co_i32 s20, s4, 1
	s_sub_co_i32 s5, s56, s5
	s_delay_alu instid0(SALU_CYCLE_1)
	s_sub_co_i32 s21, s5, s26
	s_cmp_ge_u32 s5, s26
	s_cselect_b32 s4, s20, s4
	s_cselect_b32 s5, s21, s5
	s_add_co_i32 s20, s4, 1
	s_cmp_ge_u32 s5, s26
	s_cselect_b32 s62, s20, s4
.LBB186_11:
	s_clause 0x1
	s_load_b64 s[44:45], s[0:1], 0x450
	s_load_b64 s[4:5], s[0:1], 0x2a8
                                        ; implicit-def: $vgpr56 : SGPR spill to VGPR lane
	s_wait_kmcnt 0x0
	v_writelane_b32 v56, s4, 0
	v_writelane_b32 v56, s5, 1
	v_cmp_lt_u64_e64 s4, s[62:63], s[24:25]
	s_and_b32 vcc_lo, exec_lo, s4
	s_cbranch_vccnz .LBB186_13
; %bb.12:
	v_cvt_f32_u32_e32 v1, s24
	s_sub_co_i32 s5, 0, s24
	s_mov_b32 s23, 0
	s_delay_alu instid0(VALU_DEP_1) | instskip(SKIP_1) | instid1(TRANS32_DEP_1)
	v_rcp_iflag_f32_e32 v1, v1
	v_nop
	v_mul_f32_e32 v1, 0x4f7ffffe, v1
	s_delay_alu instid0(VALU_DEP_1) | instskip(NEXT) | instid1(VALU_DEP_1)
	v_cvt_u32_f32_e32 v1, v1
	v_readfirstlane_b32 s4, v1
	s_mul_i32 s5, s5, s4
	s_delay_alu instid0(SALU_CYCLE_1) | instskip(NEXT) | instid1(SALU_CYCLE_1)
	s_mul_hi_u32 s5, s4, s5
	s_add_co_i32 s4, s4, s5
	s_delay_alu instid0(SALU_CYCLE_1) | instskip(NEXT) | instid1(SALU_CYCLE_1)
	s_mul_hi_u32 s4, s62, s4
	s_mul_i32 s5, s4, s24
	s_add_co_i32 s20, s4, 1
	s_sub_co_i32 s5, s62, s5
	s_delay_alu instid0(SALU_CYCLE_1)
	s_sub_co_i32 s21, s5, s24
	s_cmp_ge_u32 s5, s24
	s_cselect_b32 s4, s20, s4
	s_cselect_b32 s5, s21, s5
	s_add_co_i32 s20, s4, 1
	s_cmp_ge_u32 s5, s24
	s_cselect_b32 s22, s20, s4
.LBB186_13:
	s_delay_alu instid0(SALU_CYCLE_1)
	v_writelane_b32 v56, s22, 2
	v_cmp_eq_u32_e64 s5, 0, v0
	s_add_nc_u64 s[20:21], s[0:1], 0x520
	s_mov_b32 s27, 0
	v_writelane_b32 v56, s23, 3
	s_clause 0x1
	s_load_b64 s[22:23], s[0:1], 0x0
	s_load_b128 s[36:39], s[0:1], 0x1a0
	s_and_saveexec_b32 s4, s5
	s_cbranch_execz .LBB186_15
; %bb.14:
	s_wait_kmcnt 0x0
	v_dual_mov_b32 v2, 0 :: v_dual_mov_b32 v4, s36
	s_delay_alu instid0(VALU_DEP_1)
	v_dual_mov_b32 v5, s37 :: v_dual_mov_b32 v3, v2
	ds_store_b32 v2, v2 offset:5144
	ds_store_b128 v2, v[2:5] offset:5120
.LBB186_15:
	s_or_b32 exec_lo, exec_lo, s4
	s_mul_u64 s[8:9], s[6:7], s[8:9]
	s_mul_u64 s[12:13], s[6:7], s[12:13]
	s_load_b64 s[6:7], s[0:1], 0x370
	v_dual_mov_b32 v21, 0 :: v_dual_lshlrev_b32 v22, 2, v0
	s_wait_dscnt 0x0
	s_barrier_signal -1
	s_barrier_wait -1
	s_delay_alu instid0(VALU_DEP_1) | instskip(SKIP_2) | instid1(VALU_DEP_1)
	v_dual_mov_b32 v1, v21 :: v_dual_lshlrev_b32 v38, 3, v0
	s_load_b32 s24, s[20:21], 0xc
	s_mul_u64 s[10:11], s[2:3], s[10:11]
	v_mul_u64_e32 v[2:3], s[30:31], v[0:1]
	v_mbcnt_lo_u32_b32 v17, -1, 0
	s_sub_nc_u64 s[2:3], s[2:3], s[8:9]
	s_sub_nc_u64 s[8:9], s[56:57], s[10:11]
	s_lshl_b64 s[10:11], s[12:13], 3
	s_mul_u64 s[12:13], s[2:3], s[14:15]
	s_mul_u64 s[8:9], s[8:9], s[18:19]
	v_cmp_gt_u32_e32 vcc_lo, 32, v0
	s_lshl_b64 s[12:13], s[12:13], 3
	s_wait_kmcnt 0x0
	v_writelane_b32 v56, s6, 4
	s_lshl_b64 s[8:9], s[8:9], 3
	v_lshlrev_b64_e64 v[4:5], v17, -1
	s_load_b32 s4, s[0:1], 0x1b0
	s_add_nc_u64 s[10:11], s[22:23], s[10:11]
	v_writelane_b32 v56, s7, 5
	s_load_b64 s[6:7], s[0:1], 0x1c8
	s_add_nc_u64 s[10:11], s[10:11], s[12:13]
	v_cmp_lt_u64_e64 s33, 0x180, s[36:37]
	s_add_nc_u64 s[28:29], s[10:11], s[8:9]
	v_cmp_gt_u64_e64 s3, s[36:37], v[0:1]
	v_mov_b64_e32 v[26:27], 0
	v_mov_b64_e32 v[6:7], 0
	;; [unrolled: 1-line block ×5, first 2 shown]
	s_mov_b32 s35, s27
	v_cmp_eq_u32_e64 s2, 0, v17
	v_dual_mov_b32 v23, v21 :: v_dual_lshlrev_b32 v41, 5, v0
	v_add_nc_u32_e32 v39, 0xc00, v38
	v_not_b32_e32 v16, v4
	v_lshl_or_b32 v42, v17, 3, 0xc00
	s_wait_kmcnt 0x0
	s_bitcmp1_b32 s4, 0
	v_lshl_add_u64 v[18:19], v[2:3], 3, s[28:29]
	s_cselect_b32 s46, -1, 0
	v_writelane_b32 v56, s6, 6
	s_and_b32 s34, s24, 0xffff
	s_bfe_u32 s4, s24, 0xb0005
	s_xor_b32 s97, s46, -1
	v_mov_b32_e32 v3, 0x3ff00000
	v_writelane_b32 v56, s7, 7
	v_cmp_gt_i32_e64 s7, 4, v17
	v_cmp_gt_u32_e64 s6, 2, v0
	s_add_nc_u64 s[74:75], s[34:35], -1
	s_mov_b32 s104, 62
	s_add_nc_u64 s[76:77], s[74:75], s[36:37]
	s_and_b32 s96, vcc_lo, s7
	s_cmp_gt_u32 s34, 31
	s_mov_b32 s64, 0x4f800000
	s_cselect_b32 s98, -1, 0
	s_cmp_lt_u32 s17, s16
	s_mov_b32 vcc_hi, 0
	s_cselect_b32 s26, 12, 18
	s_add_co_i32 s7, s4, -1
	s_bfe_u32 s99, s34, 0x30005
	s_and_b32 s7, s7, 0xffff
	s_add_nc_u64 s[78:79], s[20:21], s[26:27]
	s_cmp_gt_u32 s7, 6
	s_movk_i32 s7, 0x3e0
	s_cselect_b32 s100, -1, 0
	s_and_b32 s101, s4, 0x7f8
	v_and_or_b32 v40, v0, s7, 0xc00
	s_cmp_lg_u32 s99, 0
	s_mov_b32 s66, 0
	s_cselect_b32 s102, -1, 0
	s_lshl_b32 s103, s34, 3
	s_and_b64 s[80:81], s[36:37], 0xffffffff00000000
                                        ; implicit-def: $sgpr65
                                        ; implicit-def: $sgpr71
                                        ; implicit-def: $sgpr70
                                        ; implicit-def: $sgpr72
                                        ; implicit-def: $sgpr67
                                        ; implicit-def: $sgpr50
                                        ; implicit-def: $sgpr51
                                        ; implicit-def: $sgpr73
                                        ; implicit-def: $sgpr49
                                        ; implicit-def: $sgpr48
	s_branch .LBB186_18
.LBB186_16:                             ;   in Loop: Header=BB186_18 Depth=1
	s_or_b32 exec_lo, exec_lo, s9
	v_mov_b64_e32 v[30:31], v[32:33]
	s_and_not1_b32 s9, s48, exec_lo
	s_and_b32 s8, s8, exec_lo
	s_and_not1_b32 s49, s49, exec_lo
	s_or_b32 s48, s9, s8
	s_and_not1_b32 s73, s73, exec_lo
	s_and_not1_b32 s51, s51, exec_lo
	;; [unrolled: 1-line block ×3, first 2 shown]
	s_or_not1_b32 s7, s7, exec_lo
.LBB186_17:                             ;   in Loop: Header=BB186_18 Depth=1
	s_or_b32 exec_lo, exec_lo, s4
	s_delay_alu instid0(SALU_CYCLE_1) | instskip(NEXT) | instid1(SALU_CYCLE_1)
	s_and_b32 s4, exec_lo, s7
	s_or_b32 vcc_hi, s4, vcc_hi
	s_and_not1_b32 s4, s67, exec_lo
	s_and_b32 s7, s48, exec_lo
	s_and_not1_b32 s8, s72, exec_lo
	s_or_b32 s67, s4, s7
	s_and_b32 s4, s49, exec_lo
	s_and_not1_b32 s7, s70, exec_lo
	s_and_b32 s9, s73, exec_lo
	s_or_b32 s72, s8, s4
	s_or_b32 s70, s7, s9
	s_and_not1_b32 s4, s71, exec_lo
	s_and_b32 s7, s51, exec_lo
	s_and_not1_b32 s8, s65, exec_lo
	s_and_b32 s9, s50, exec_lo
	s_or_b32 s71, s4, s7
	s_or_b32 s65, s8, s9
	s_and_not1_b32 exec_lo, exec_lo, vcc_hi
	s_cbranch_execz .LBB186_491
.LBB186_18:                             ; =>This Loop Header: Depth=1
                                        ;     Child Loop BB186_24 Depth 2
                                        ;     Child Loop BB186_37 Depth 2
	;; [unrolled: 1-line block ×24, first 2 shown]
	ds_load_b128 v[8:11], v21 offset:5120
	s_wait_dscnt 0x0
	v_readfirstlane_b32 s83, v9
	v_readfirstlane_b32 s82, v8
	s_cmp_lg_u64 s[82:83], 0
	s_cbranch_scc1 .LBB186_45
; %bb.19:                               ;   in Loop: Header=BB186_18 Depth=1
	s_and_b32 vcc_lo, exec_lo, s33
	s_cbranch_vccz .LBB186_32
; %bb.20:                               ;   in Loop: Header=BB186_18 Depth=1
	v_cmp_gt_u64_e32 vcc_lo, 0x181, v[10:11]
	s_mov_b32 s9, 0
	s_mov_b32 s4, 0
	s_cbranch_vccz .LBB186_33
; %bb.21:                               ;   in Loop: Header=BB186_18 Depth=1
	s_and_saveexec_b32 s10, s3
	s_cbranch_execz .LBB186_100
; %bb.22:                               ;   in Loop: Header=BB186_18 Depth=1
	global_load_u16 v2, v21, s[78:79]
	global_load_b64 v[4:5], v[18:19], off
	v_mov_b64_e32 v[8:9], v[0:1]
	s_mov_b32 s11, 0
	s_wait_loadcnt 0x1
	v_and_b32_e32 v20, 0xffff, v2
	s_branch .LBB186_24
.LBB186_23:                             ;   in Loop: Header=BB186_24 Depth=2
	s_or_b32 exec_lo, exec_lo, s4
	v_mov_b64_e32 v[4:5], v[10:11]
	s_and_not1_b32 exec_lo, exec_lo, s11
	s_cbranch_execz .LBB186_100
.LBB186_24:                             ;   Parent Loop BB186_18 Depth=1
                                        ; =>  This Inner Loop Header: Depth=2
	s_delay_alu instid0(VALU_DEP_1) | instskip(SKIP_2) | instid1(VALU_DEP_2)
	v_add_nc_u64_e32 v[8:9], v[8:9], v[20:21]
	v_mov_b64_e32 v[10:11], 0
	s_mov_b32 s4, exec_lo
	v_cmp_le_u64_e32 vcc_lo, s[36:37], v[8:9]
	s_wait_xcnt 0x0
	v_cmpx_gt_u64_e64 s[36:37], v[8:9]
	s_cbranch_execz .LBB186_26
; %bb.25:                               ;   in Loop: Header=BB186_24 Depth=2
	v_mul_u64_e32 v[10:11], s[30:31], v[8:9]
	s_delay_alu instid0(VALU_DEP_1)
	v_lshl_add_u64 v[10:11], v[10:11], 3, s[28:29]
	global_load_b64 v[10:11], v[10:11], off
.LBB186_26:                             ;   in Loop: Header=BB186_24 Depth=2
	s_wait_xcnt 0x0
	s_or_b32 exec_lo, exec_lo, s4
	s_wait_loadcnt 0x0
	v_cmp_o_f64_e64 s7, v[4:5], v[4:5]
	s_wait_dscnt 0x0
	v_ashrrev_i32_e32 v2, 31, v5
	s_delay_alu instid0(VALU_DEP_1) | instskip(NEXT) | instid1(VALU_DEP_1)
	v_or_b32_e32 v12, 0x80000000, v2
	v_xor_b32_e32 v12, v12, v5
	v_xor_b32_e32 v2, v2, v4
	s_delay_alu instid0(VALU_DEP_1) | instskip(NEXT) | instid1(VALU_DEP_1)
	v_dual_cndmask_b32 v12, -1, v12, s7 :: v_dual_cndmask_b32 v2, -1, v2, s7
	v_and_b32_e32 v13, v12, v29
	s_delay_alu instid0(VALU_DEP_2) | instskip(NEXT) | instid1(VALU_DEP_1)
	v_dual_mov_b32 v2, 0 :: v_dual_bitop2_b32 v12, v2, v28 bitop3:0x40
	v_cmp_eq_u64_e64 s7, v[12:13], v[24:25]
	s_cmp_lg_u32 s7, 0
	s_cselect_b32 s4, -1, 0
	s_delay_alu instid0(SALU_CYCLE_1) | instskip(NEXT) | instid1(SALU_CYCLE_1)
	s_and_b32 s8, s2, s4
	s_and_saveexec_b32 s4, s8
	s_cbranch_execz .LBB186_30
; %bb.27:                               ;   in Loop: Header=BB186_24 Depth=2
	s_mov_b32 s14, exec_lo
	s_bcnt1_i32_b32 s12, s7
	v_mbcnt_lo_u32_b32 v2, s14, 0
	s_mov_b32 s13, exec_lo
                                        ; implicit-def: $vgpr12
	s_delay_alu instid0(VALU_DEP_1)
	v_cmpx_eq_u32_e32 0, v2
; %bb.28:                               ;   in Loop: Header=BB186_24 Depth=2
	s_bcnt1_i32_b32 s8, s14
	s_delay_alu instid0(SALU_CYCLE_1) | instskip(NEXT) | instid1(SALU_CYCLE_1)
	s_mul_i32 s8, s12, s8
	v_mov_b32_e32 v12, s8
	ds_add_rtn_u32 v12, v21, v12 offset:5144
; %bb.29:                               ;   in Loop: Header=BB186_24 Depth=2
	s_or_b32 exec_lo, exec_lo, s13
	s_wait_dscnt 0x0
	v_readfirstlane_b32 s8, v12
	s_delay_alu instid0(VALU_DEP_1)
	v_mad_u32_u24 v2, s12, v2, s8
.LBB186_30:                             ;   in Loop: Header=BB186_24 Depth=2
	s_or_b32 exec_lo, exec_lo, s4
	ds_bpermute_b32 v2, v21, v2
	s_and_b32 s4, exec_lo, vcc_lo
	s_delay_alu instid0(SALU_CYCLE_1)
	s_or_b32 s11, s4, s11
	s_and_saveexec_b32 s4, s7
	s_cbranch_execz .LBB186_23
; %bb.31:                               ;   in Loop: Header=BB186_24 Depth=2
	v_and_b32_e32 v12, s7, v16
	s_delay_alu instid0(VALU_DEP_1) | instskip(NEXT) | instid1(VALU_DEP_1)
	v_bcnt_u32_b32 v12, v12, 0
	v_lshlrev_b32_e32 v12, 3, v12
	s_wait_dscnt 0x0
	s_delay_alu instid0(VALU_DEP_1)
	v_lshl_add_u32 v2, v2, 3, v12
	ds_store_b64 v2, v[4:5]
	s_branch .LBB186_23
.LBB186_32:                             ;   in Loop: Header=BB186_18 Depth=1
	s_mov_b32 s9, -1
	s_mov_b32 s4, 0
.LBB186_33:                             ;   in Loop: Header=BB186_18 Depth=1
	s_and_b32 vcc_lo, exec_lo, s9
	s_cbranch_vccz .LBB186_43
.LBB186_34:                             ;   in Loop: Header=BB186_18 Depth=1
	s_and_saveexec_b32 s4, s3
	s_cbranch_execz .LBB186_40
; %bb.35:                               ;   in Loop: Header=BB186_18 Depth=1
	global_load_u16 v2, v21, s[78:79]
	global_load_b64 v[4:5], v[18:19], off
	s_mov_b32 s7, exec_lo
	s_wait_loadcnt 0x1
	v_and_b32_e32 v8, 0xffff, v2
	v_mov_b32_e32 v2, v0
	s_delay_alu instid0(VALU_DEP_2) | instskip(SKIP_1) | instid1(VALU_DEP_1)
	v_add_nc_u32_e32 v20, v8, v0
	s_wait_xcnt 0x0
	v_cmpx_gt_u64_e64 s[36:37], v[20:21]
	s_cbranch_execz .LBB186_39
; %bb.36:                               ;   in Loop: Header=BB186_18 Depth=1
	v_mov_b64_e32 v[10:11], v[20:21]
	v_mov_b64_e32 v[14:15], v[0:1]
	v_mov_b32_e32 v9, v21
	s_mov_b32 s8, 0
.LBB186_37:                             ;   Parent Loop BB186_18 Depth=1
                                        ; =>  This Inner Loop Header: Depth=2
	s_delay_alu instid0(VALU_DEP_3) | instskip(NEXT) | instid1(VALU_DEP_3)
	v_mov_b64_e32 v[32:33], v[10:11]
	v_lshlrev_b32_e32 v2, 3, v14
	s_wait_loadcnt 0x0
	ds_store_b64 v2, v[4:5]
	v_mul_u64_e32 v[10:11], s[30:31], v[32:33]
	v_mov_b64_e32 v[14:15], v[32:33]
	s_delay_alu instid0(VALU_DEP_2) | instskip(SKIP_3) | instid1(VALU_DEP_1)
	v_lshl_add_u64 v[10:11], v[10:11], 3, s[28:29]
	global_load_b64 v[12:13], v[10:11], off
	s_wait_xcnt 0x0
	v_add_nc_u64_e32 v[10:11], v[32:33], v[8:9]
	v_cmp_le_u64_e32 vcc_lo, s[36:37], v[10:11]
	s_or_b32 s8, vcc_lo, s8
	s_wait_loadcnt 0x0
	v_mov_b64_e32 v[4:5], v[12:13]
	s_and_not1_b32 exec_lo, exec_lo, s8
	s_cbranch_execnz .LBB186_37
; %bb.38:                               ;   in Loop: Header=BB186_18 Depth=1
	s_or_b32 exec_lo, exec_lo, s8
	v_mov_b64_e32 v[4:5], v[12:13]
	v_sub_nc_u32_e32 v2, v10, v8
.LBB186_39:                             ;   in Loop: Header=BB186_18 Depth=1
	s_or_b32 exec_lo, exec_lo, s7
	s_delay_alu instid0(VALU_DEP_1)
	v_lshlrev_b32_e32 v2, 3, v2
	s_wait_loadcnt 0x0
	ds_store_b64 v2, v[4:5]
.LBB186_40:                             ;   in Loop: Header=BB186_18 Depth=1
	s_or_b32 exec_lo, exec_lo, s4
	s_wait_dscnt 0x0
	s_barrier_signal -1
	s_barrier_wait -1
	s_and_saveexec_b32 s4, s5
; %bb.41:                               ;   in Loop: Header=BB186_18 Depth=1
	v_mov_b64_e32 v[4:5], s[36:37]
	ds_store_b64 v21, v[4:5] offset:5120
; %bb.42:                               ;   in Loop: Header=BB186_18 Depth=1
	s_or_b32 exec_lo, exec_lo, s4
	s_mov_b32 s4, -1
	s_wait_dscnt 0x0
	s_barrier_signal -1
	s_barrier_wait -1
.LBB186_43:                             ;   in Loop: Header=BB186_18 Depth=1
	s_and_b32 vcc_lo, exec_lo, s4
	s_mov_b64 s[82:83], 0
	s_cbranch_vccz .LBB186_45
; %bb.44:                               ;   in Loop: Header=BB186_18 Depth=1
	ds_load_b64 v[4:5], v21 offset:5120
	s_wait_dscnt 0x0
	v_readfirstlane_b32 s82, v4
	v_readfirstlane_b32 s83, v5
.LBB186_45:                             ;   in Loop: Header=BB186_18 Depth=1
	s_delay_alu instid0(VALU_DEP_2)
	s_cmp_lt_i32 s82, 1
	s_mov_b32 s4, -1
                                        ; implicit-def: $vgpr8_vgpr9
                                        ; implicit-def: $vgpr12_vgpr13
	s_cbranch_scc1 .LBB186_55
; %bb.46:                               ;   in Loop: Header=BB186_18 Depth=1
	s_and_b32 vcc_lo, exec_lo, s4
	s_cbranch_vccnz .LBB186_69
.LBB186_47:                             ;   in Loop: Header=BB186_18 Depth=1
	s_lshl_b32 s7, s66, 7
	s_and_saveexec_b32 s4, s2
	s_cbranch_execz .LBB186_49
.LBB186_48:                             ;   in Loop: Header=BB186_18 Depth=1
	v_lshl_add_u32 v2, s7, 3, v40
	ds_store_b128 v2, v[8:11]
	ds_store_b128 v2, v[12:15] offset:16
.LBB186_49:                             ;   in Loop: Header=BB186_18 Depth=1
	s_or_b32 exec_lo, exec_lo, s4
	s_wait_dscnt 0x0
	s_barrier_signal -1
	s_barrier_wait -1
	s_and_saveexec_b32 s8, s96
	s_cbranch_execz .LBB186_83
; %bb.50:                               ;   in Loop: Header=BB186_18 Depth=1
	v_mov_b64_e32 v[4:5], 0
	s_and_not1_b32 vcc_lo, exec_lo, s98
	s_cbranch_vccnz .LBB186_82
; %bb.51:                               ;   in Loop: Header=BB186_18 Depth=1
	v_mov_b64_e32 v[4:5], 0
	s_and_not1_b32 vcc_lo, exec_lo, s100
	s_cbranch_vccnz .LBB186_79
; %bb.52:                               ;   in Loop: Header=BB186_18 Depth=1
	v_lshl_add_u32 v2, s66, 10, v42
	s_mov_b32 s4, 0
.LBB186_53:                             ;   Parent Loop BB186_18 Depth=1
                                        ; =>  This Inner Loop Header: Depth=2
	ds_load_2addr_b64 v[8:11], v2 offset1:4
	ds_load_2addr_b64 v[12:15], v2 offset0:8 offset1:12
	s_add_co_i32 s4, s4, 8
	s_delay_alu instid0(SALU_CYCLE_1) | instskip(SKIP_2) | instid1(VALU_DEP_1)
	s_cmp_eq_u32 s101, s4
	s_wait_dscnt 0x1
	v_add_nc_u64_e32 v[4:5], v[8:9], v[4:5]
	v_add_nc_u64_e32 v[4:5], v[10:11], v[4:5]
	ds_load_2addr_b64 v[8:11], v2 offset0:16 offset1:20
	s_wait_dscnt 0x1
	v_add_nc_u64_e32 v[4:5], v[12:13], v[4:5]
	s_delay_alu instid0(VALU_DEP_1) | instskip(SKIP_4) | instid1(VALU_DEP_1)
	v_add_nc_u64_e32 v[4:5], v[14:15], v[4:5]
	ds_load_2addr_b64 v[12:15], v2 offset0:24 offset1:28
	v_add_nc_u32_e32 v2, 0x100, v2
	s_wait_dscnt 0x1
	v_add_nc_u64_e32 v[4:5], v[8:9], v[4:5]
	v_add_nc_u64_e32 v[4:5], v[10:11], v[4:5]
	s_wait_dscnt 0x0
	s_delay_alu instid0(VALU_DEP_1) | instskip(NEXT) | instid1(VALU_DEP_1)
	v_add_nc_u64_e32 v[4:5], v[12:13], v[4:5]
	v_add_nc_u64_e32 v[4:5], v[14:15], v[4:5]
	s_cbranch_scc0 .LBB186_53
; %bb.54:                               ;   in Loop: Header=BB186_18 Depth=1
	s_mov_b32 s4, s101
	s_and_not1_b32 vcc_lo, exec_lo, s102
	s_cbranch_vccz .LBB186_80
	s_branch .LBB186_82
.LBB186_55:                             ;   in Loop: Header=BB186_18 Depth=1
	global_load_u16 v2, v21, s[78:79]
	s_mov_b32 s21, s27
	s_wait_loadcnt 0x0
	v_readfirstlane_b32 s4, v2
	s_and_b32 s4, 0xffff, s4
	s_delay_alu instid0(SALU_CYCLE_1)
	s_lshl_b32 s20, s4, 2
	s_cmp_lg_u64 s[80:81], 0
	s_cbranch_scc0 .LBB186_78
; %bb.56:                               ;   in Loop: Header=BB186_18 Depth=1
	s_cvt_f32_u32 s4, s20
	s_sub_nc_u64 s[10:11], 0, s[20:21]
	s_delay_alu instid0(SALU_CYCLE_2) | instskip(NEXT) | instid1(SALU_CYCLE_3)
	s_fmamk_f32 s4, s64, 0x0, s4
	v_s_rcp_f32 s4, s4
	s_delay_alu instid0(TRANS32_DEP_1) | instskip(NEXT) | instid1(SALU_CYCLE_3)
	s_mul_f32 s4, s4, 0x5f7ffffc
	s_mul_f32 s7, s4, 0x2f800000
	s_delay_alu instid0(SALU_CYCLE_3) | instskip(NEXT) | instid1(SALU_CYCLE_3)
	s_trunc_f32 s7, s7
	s_fmamk_f32 s4, s7, 0xcf800000, s4
	s_cvt_u32_f32 s9, s7
	s_delay_alu instid0(SALU_CYCLE_2) | instskip(NEXT) | instid1(SALU_CYCLE_3)
	s_cvt_u32_f32 s8, s4
	s_mul_u64 s[12:13], s[10:11], s[8:9]
	s_delay_alu instid0(SALU_CYCLE_1)
	s_mul_hi_u32 s15, s8, s13
	s_mul_i32 s14, s8, s13
	s_mul_hi_u32 s26, s8, s12
	s_mul_i32 s7, s9, s12
	s_add_nc_u64 s[14:15], s[26:27], s[14:15]
	s_mul_hi_u32 s4, s9, s12
	s_mul_hi_u32 s16, s9, s13
	s_add_co_u32 s7, s14, s7
	s_add_co_ci_u32 s26, s15, s4
	s_mul_i32 s12, s9, s13
	s_add_co_ci_u32 s13, s16, 0
	s_delay_alu instid0(SALU_CYCLE_1) | instskip(NEXT) | instid1(SALU_CYCLE_1)
	s_add_nc_u64 s[12:13], s[26:27], s[12:13]
	s_add_co_u32 s8, s8, s12
	s_cselect_b32 s4, -1, 0
	s_delay_alu instid0(SALU_CYCLE_1) | instskip(SKIP_1) | instid1(SALU_CYCLE_1)
	s_cmp_lg_u32 s4, 0
	s_add_co_ci_u32 s9, s9, s13
	s_mul_u64 s[10:11], s[10:11], s[8:9]
	s_delay_alu instid0(SALU_CYCLE_1)
	s_mul_hi_u32 s13, s8, s11
	s_mul_i32 s12, s8, s11
	s_mul_hi_u32 s26, s8, s10
	s_mul_i32 s7, s9, s10
	s_add_nc_u64 s[12:13], s[26:27], s[12:13]
	s_mul_hi_u32 s4, s9, s10
	s_mul_hi_u32 s14, s9, s11
	s_add_co_u32 s7, s12, s7
	s_add_co_ci_u32 s26, s13, s4
	s_mul_i32 s10, s9, s11
	s_add_co_ci_u32 s11, s14, 0
	s_delay_alu instid0(SALU_CYCLE_1) | instskip(NEXT) | instid1(SALU_CYCLE_1)
	s_add_nc_u64 s[10:11], s[26:27], s[10:11]
	s_add_co_u32 s4, s8, s10
	s_cselect_b32 s7, -1, 0
	s_mul_hi_u32 s26, s36, s4
	s_cmp_lg_u32 s7, 0
	s_mul_hi_u32 s7, s37, s4
	s_add_co_ci_u32 s10, s9, s11
	s_mul_i32 s4, s37, s4
	s_mul_hi_u32 s9, s36, s10
	s_mul_i32 s8, s36, s10
	s_mul_hi_u32 s11, s37, s10
	s_add_nc_u64 s[8:9], s[26:27], s[8:9]
	s_mul_i32 s10, s37, s10
	s_add_co_u32 s4, s8, s4
	s_add_co_ci_u32 s26, s9, s7
	s_add_co_ci_u32 s11, s11, 0
	s_delay_alu instid0(SALU_CYCLE_1) | instskip(NEXT) | instid1(SALU_CYCLE_1)
	s_add_nc_u64 s[8:9], s[26:27], s[10:11]
	s_and_b64 s[10:11], s[8:9], 0xffffffff00000000
	s_delay_alu instid0(SALU_CYCLE_1) | instskip(NEXT) | instid1(SALU_CYCLE_1)
	s_or_b32 s10, s10, s8
	s_mul_u64 s[8:9], s[20:21], s[10:11]
	s_delay_alu instid0(SALU_CYCLE_1) | instskip(SKIP_1) | instid1(SALU_CYCLE_1)
	s_sub_co_u32 s4, s36, s8
	s_cselect_b32 s7, -1, 0
	s_cmp_lg_u32 s7, 0
	s_sub_co_ci_u32 s7, s37, s9
	s_sub_co_u32 s8, s4, s20
	s_cselect_b32 s9, -1, 0
	s_delay_alu instid0(SALU_CYCLE_1) | instskip(SKIP_3) | instid1(SALU_CYCLE_1)
	s_cmp_lg_u32 s9, 0
	s_sub_co_ci_u32 s9, s7, 0
	s_sub_co_u32 s10, s8, s20
	s_cselect_b32 s11, -1, 0
	s_cmp_lg_u32 s11, 0
	s_sub_co_ci_u32 s11, s9, 0
	s_cmp_ge_u32 s8, s20
	s_cselect_b32 s12, -1, 0
	s_cmp_eq_u32 s9, 0
	s_cselect_b32 s12, s12, -1
	s_delay_alu instid0(SALU_CYCLE_1)
	s_cmp_lg_u32 s12, 0
	s_cselect_b32 s9, s11, s9
	s_cselect_b32 s8, s10, s8
	s_cmp_ge_u32 s4, s20
	s_cselect_b32 s10, -1, 0
	s_cmp_eq_u32 s7, 0
	s_cselect_b32 s10, s10, -1
	s_delay_alu instid0(SALU_CYCLE_1)
	s_cmp_lg_u32 s10, 0
	s_cselect_b32 s9, s9, s7
	s_cselect_b32 s8, s8, s4
	s_cbranch_execnz .LBB186_58
.LBB186_57:                             ;   in Loop: Header=BB186_18 Depth=1
	v_cvt_f32_u32_e32 v4, s20
	s_sub_co_i32 s7, 0, s20
	s_delay_alu instid0(VALU_DEP_1) | instskip(SKIP_1) | instid1(TRANS32_DEP_1)
	v_rcp_iflag_f32_e32 v4, v4
	v_nop
	v_mul_f32_e32 v4, 0x4f7ffffe, v4
	s_delay_alu instid0(VALU_DEP_1) | instskip(NEXT) | instid1(VALU_DEP_1)
	v_cvt_u32_f32_e32 v4, v4
	v_readfirstlane_b32 s4, v4
	s_mul_i32 s7, s7, s4
	s_delay_alu instid0(SALU_CYCLE_1) | instskip(NEXT) | instid1(SALU_CYCLE_1)
	s_mul_hi_u32 s7, s4, s7
	s_add_co_i32 s4, s4, s7
	s_delay_alu instid0(SALU_CYCLE_1) | instskip(NEXT) | instid1(SALU_CYCLE_1)
	s_mul_hi_u32 s4, s36, s4
	s_mul_i32 s4, s4, s20
	s_delay_alu instid0(SALU_CYCLE_1) | instskip(NEXT) | instid1(SALU_CYCLE_1)
	s_sub_co_i32 s4, s36, s4
	s_sub_co_i32 s7, s4, s20
	s_cmp_ge_u32 s4, s20
	s_cselect_b32 s4, s7, s4
	s_delay_alu instid0(SALU_CYCLE_1) | instskip(SKIP_2) | instid1(SALU_CYCLE_1)
	s_sub_co_i32 s7, s4, s20
	s_cmp_ge_u32 s4, s20
	s_cselect_b32 s26, s7, s4
	s_mov_b64 s[8:9], s[26:27]
.LBB186_58:                             ;   in Loop: Header=BB186_18 Depth=1
	v_mov_b64_e32 v[8:9], 0
	v_mov_b64_e32 v[10:11], 0
	;; [unrolled: 1-line block ×4, first 2 shown]
	s_sub_nc_u64 s[22:23], s[36:37], s[8:9]
	s_mov_b32 s19, exec_lo
	v_cmpx_gt_u64_e64 s[22:23], v[22:23]
	s_cbranch_execz .LBB186_62
; %bb.59:                               ;   in Loop: Header=BB186_18 Depth=1
	v_mov_b64_e32 v[4:5], v[22:23]
	s_mov_b64 s[24:25], 0
	s_mov_b32 s52, 0
	s_mov_b64 s[84:85], 0
	s_mov_b64 s[86:87], 0
	;; [unrolled: 1-line block ×3, first 2 shown]
.LBB186_60:                             ;   Parent Loop BB186_18 Depth=1
                                        ; =>  This Inner Loop Header: Depth=2
	s_delay_alu instid0(VALU_DEP_1) | instskip(SKIP_3) | instid1(VALU_DEP_1)
	v_mul_u64_e32 v[8:9], s[30:31], v[4:5]
	s_lshl_b64 s[8:9], s[30:31], 3
	v_dual_mov_b32 v35, v21 :: v_dual_mov_b32 v37, v21
	v_add_nc_u64_e32 v[4:5], s[20:21], v[4:5]
	v_cmp_le_u64_e32 vcc_lo, s[22:23], v[4:5]
	s_delay_alu instid0(VALU_DEP_4) | instskip(NEXT) | instid1(VALU_DEP_1)
	v_lshl_add_u64 v[8:9], v[8:9], 3, s[28:29]
	v_add_nc_u64_e32 v[10:11], s[8:9], v[8:9]
	global_load_b64 v[14:15], v[8:9], off
	v_mov_b32_e32 v33, v21
	s_wait_xcnt 0x0
	v_add_nc_u64_e32 v[8:9], s[8:9], v[10:11]
	s_clause 0x1
	global_load_b64 v[12:13], v[10:11], off
	global_load_b64 v[10:11], v[8:9], off
	s_wait_xcnt 0x0
	v_add_nc_u64_e32 v[8:9], s[8:9], v[8:9]
	global_load_b64 v[8:9], v[8:9], off
	s_wait_loadcnt 0x3
	v_cmp_o_f64_e64 s7, v[14:15], v[14:15]
	v_ashrrev_i32_e32 v20, 31, v15
	s_delay_alu instid0(VALU_DEP_1)
	v_or_b32_e32 v32, 0x80000000, v20
	s_wait_loadcnt 0x2
	v_dual_ashrrev_i32 v20, 31, v13 :: v_dual_bitop2_b32 v14, v20, v14 bitop3:0x14
	v_cmp_o_f64_e64 s8, v[12:13], v[12:13]
	s_wait_loadcnt 0x1
	v_cmp_o_f64_e64 s9, v[10:11], v[10:11]
	v_xor_b32_e32 v15, v32, v15
	v_or_b32_e32 v32, 0x80000000, v20
	v_dual_ashrrev_i32 v20, 31, v11 :: v_dual_bitop2_b32 v12, v20, v12 bitop3:0x14
	s_wait_loadcnt 0x0
	v_cmp_o_f64_e64 s10, v[8:9], v[8:9]
	s_delay_alu instid0(VALU_DEP_3) | instskip(NEXT) | instid1(VALU_DEP_3)
	v_xor_b32_e32 v13, v32, v13
	v_or_b32_e32 v32, 0x80000000, v20
	v_dual_ashrrev_i32 v10, 31, v9 :: v_dual_bitop2_b32 v34, v20, v10 bitop3:0x14
	s_delay_alu instid0(VALU_DEP_2) | instskip(NEXT) | instid1(VALU_DEP_2)
	v_xor_b32_e32 v32, v32, v11
	v_or_b32_e32 v11, 0x80000000, v10
	s_delay_alu instid0(VALU_DEP_1) | instskip(SKIP_1) | instid1(VALU_DEP_2)
	v_dual_cndmask_b32 v9, -1, v15, s7 :: v_dual_bitop2_b32 v43, v11, v9 bitop3:0x14
	v_dual_cndmask_b32 v13, -1, v13, s8 :: v_dual_bitop2_b32 v36, v10, v8 bitop3:0x14
	;; [unrolled: 1-line block ×3, first 2 shown]
	v_cndmask_b32_e64 v12, -1, v12, s8
	s_delay_alu instid0(VALU_DEP_2) | instskip(SKIP_1) | instid1(VALU_DEP_2)
	v_and_b32_e32 v10, v8, v28
	v_lshrrev_b64 v[8:9], s104, v[8:9]
	v_cmp_eq_u64_e64 s7, v[10:11], v[24:25]
	v_and_b32_e32 v11, v13, v29
	v_and_b32_e32 v10, v12, v28
	s_delay_alu instid0(VALU_DEP_4) | instskip(SKIP_2) | instid1(VALU_DEP_4)
	v_and_b32_e32 v20, 3, v8
	v_lshrrev_b64 v[8:9], s104, v[12:13]
	v_dual_cndmask_b32 v13, -1, v32, s9 :: v_dual_cndmask_b32 v12, -1, v34, s9
	v_cmp_eq_u64_e64 s8, v[10:11], v[24:25]
	s_delay_alu instid0(VALU_DEP_4)
	v_cmp_eq_u64_e64 s9, 0, v[20:21]
	v_cmp_eq_u64_e64 s11, 1, v[20:21]
	;; [unrolled: 1-line block ×4, first 2 shown]
	v_and_b32_e32 v34, 3, v8
	v_lshrrev_b64 v[8:9], s104, v[12:13]
	v_and_b32_e32 v11, v13, v29
	v_dual_cndmask_b32 v13, -1, v43, s10 :: v_dual_bitop2_b32 v10, v12, v28 bitop3:0x40
	v_cndmask_b32_e64 v12, -1, v36, s10
	v_cmp_eq_u64_e64 s14, 0, v[34:35]
	s_and_b32 s4, s7, s9
	v_cmp_eq_u64_e64 s9, 1, v[34:35]
	s_and_b32 s15, s7, s11
	s_and_b32 s16, s7, s12
	;; [unrolled: 1-line block ×3, first 2 shown]
	v_and_b32_e32 v36, 3, v8
	v_lshrrev_b64 v[8:9], s104, v[12:13]
	v_cmp_eq_u64_e64 s11, 2, v[34:35]
	v_cndmask_b32_e64 v14, 0, 1, s4
	v_cndmask_b32_e64 v20, 0, 1, s16
	;; [unrolled: 1-line block ×3, first 2 shown]
	v_cmp_eq_u64_e64 s10, v[10:11], v[24:25]
	v_cmp_eq_u64_e64 s12, 3, v[34:35]
	v_and_b32_e32 v11, v13, v29
	v_and_b32_e32 v10, v12, v28
	v_cmp_eq_u64_e64 s18, 0, v[36:37]
	s_and_b32 s4, s8, s14
	v_cndmask_b32_e64 v15, 0, 1, s15
	v_cmp_ne_u32_e64 s7, 0, v14
	v_cmp_ne_u32_e64 s15, 0, v20
	;; [unrolled: 1-line block ×3, first 2 shown]
	v_cmp_eq_u64_e64 s14, 1, v[36:37]
	s_and_b32 s26, s8, s9
	v_cndmask_b32_e64 v9, 0, 1, s4
	v_and_b32_e32 v32, 3, v8
	v_cmp_eq_u64_e64 s17, v[10:11], v[24:25]
	v_cmp_eq_u64_e64 s9, 2, v[36:37]
	s_and_b32 s40, s8, s11
	v_cndmask_b32_e64 v10, 0, 1, s26
	s_and_b32 s8, s8, s12
	v_cndmask_b32_e64 v11, 0, 1, s40
	v_cmp_eq_u64_e64 s11, 3, v[36:37]
	s_bcnt1_i32_b32 s4, s7
	s_bcnt1_i32_b32 s40, s15
	v_cmp_ne_u32_e64 s7, 0, v9
	v_cmp_eq_u64_e64 s15, 0, v[32:33]
	s_and_b32 s18, s10, s18
	v_cmp_ne_u32_e64 s13, 0, v15
	v_cndmask_b32_e64 v12, 0, 1, s8
	s_bcnt1_i32_b32 s41, s16
	v_cmp_ne_u32_e64 s8, 0, v10
	v_cmp_eq_u64_e64 s16, 1, v[32:33]
	s_and_b32 s42, s10, s14
	v_cndmask_b32_e64 v8, 0, 1, s18
	v_cmp_ne_u32_e64 s12, 0, v11
	v_cmp_eq_u64_e64 s14, 2, v[32:33]
	s_and_b32 s43, s10, s9
	v_cndmask_b32_e64 v9, 0, 1, s42
	s_bcnt1_i32_b32 s7, s7
	s_bcnt1_i32_b32 s26, s13
	v_cmp_ne_u32_e64 s13, 0, v12
	v_cmp_eq_u64_e64 s9, 3, v[32:33]
	v_cndmask_b32_e64 v10, 0, 1, s43
	s_and_b32 s10, s10, s11
	s_bcnt1_i32_b32 s8, s8
	s_add_co_i32 s4, s7, s4
	v_cmp_ne_u32_e64 s7, 0, v8
	s_and_b32 s15, s17, s15
	v_cndmask_b32_e64 v11, 0, 1, s10
	s_bcnt1_i32_b32 s10, s12
	s_add_co_i32 s12, s8, s26
	v_cmp_ne_u32_e64 s8, 0, v9
	s_and_b32 s16, s17, s16
	v_cndmask_b32_e64 v8, 0, 1, s15
	;; [unrolled: 5-line block ×3, first 2 shown]
	s_bcnt1_i32_b32 s7, s7
	s_and_b32 s9, s17, s9
	v_cndmask_b32_e64 v10, 0, 1, s14
	s_bcnt1_i32_b32 s8, s8
	s_add_co_i32 s4, s4, s7
	v_cmp_ne_u32_e64 s7, 0, v8
	s_add_co_i32 s18, s11, s41
	v_cmp_ne_u32_e64 s11, 0, v11
	v_cndmask_b32_e64 v11, 0, 1, s9
	s_bcnt1_i32_b32 s9, s10
	s_add_co_i32 s12, s12, s8
	v_cmp_ne_u32_e64 s8, 0, v9
	s_add_co_i32 s13, s13, s9
	v_cmp_ne_u32_e64 s9, 0, v10
	s_bcnt1_i32_b32 s7, s7
	v_cmp_ne_u32_e64 s10, 0, v11
	s_bcnt1_i32_b32 s8, s8
	s_add_co_i32 s26, s4, s7
	s_bcnt1_i32_b32 s11, s11
	s_bcnt1_i32_b32 s9, s9
	s_add_nc_u64 s[88:89], s[88:89], s[26:27]
	s_add_co_i32 s26, s12, s8
	s_add_co_i32 s11, s18, s11
	s_bcnt1_i32_b32 s10, s10
	s_add_nc_u64 s[86:87], s[86:87], s[26:27]
	s_add_co_i32 s26, s13, s9
	v_mov_b64_e32 v[8:9], s[88:89]
	s_add_nc_u64 s[84:85], s[84:85], s[26:27]
	s_add_co_i32 s26, s11, s10
	v_mov_b64_e32 v[10:11], s[86:87]
	s_add_nc_u64 s[24:25], s[24:25], s[26:27]
	v_mov_b64_e32 v[12:13], s[84:85]
	v_mov_b64_e32 v[14:15], s[24:25]
	s_or_b32 s52, vcc_lo, s52
	s_delay_alu instid0(SALU_CYCLE_1)
	s_and_not1_b32 exec_lo, exec_lo, s52
	s_cbranch_execnz .LBB186_60
; %bb.61:                               ;   in Loop: Header=BB186_18 Depth=1
	s_or_b32 exec_lo, exec_lo, s52
.LBB186_62:                             ;   in Loop: Header=BB186_18 Depth=1
	s_delay_alu instid0(SALU_CYCLE_1) | instskip(SKIP_4) | instid1(VALU_DEP_3)
	s_or_b32 exec_lo, exec_lo, s19
	v_add_nc_u64_e32 v[32:33], s[22:23], v[0:1]
	v_and_b32_e32 v4, 0xffff, v2
	v_mov_b32_e32 v5, v21
	s_mov_b32 s10, exec_lo
	v_cmpx_gt_u64_e64 s[36:37], v[32:33]
	s_cbranch_execz .LBB186_68
; %bb.63:                               ;   in Loop: Header=BB186_18 Depth=1
	v_mul_u64_e32 v[34:35], s[30:31], v[32:33]
	s_mov_b32 s11, 0
	s_delay_alu instid0(VALU_DEP_1)
	v_lshl_add_u64 v[34:35], v[34:35], 3, s[28:29]
	global_load_b64 v[36:37], v[34:35], off
	s_branch .LBB186_65
.LBB186_64:                             ;   in Loop: Header=BB186_65 Depth=2
	s_wait_xcnt 0x0
	s_or_b32 exec_lo, exec_lo, s4
	s_wait_loadcnt 0x0
	v_cmp_o_f64_e64 s7, v[36:37], v[36:37]
	v_ashrrev_i32_e32 v2, 31, v37
	s_and_b32 s4, exec_lo, vcc_lo
	s_delay_alu instid0(SALU_CYCLE_1) | instskip(NEXT) | instid1(VALU_DEP_1)
	s_or_b32 s11, s4, s11
	v_or_b32_e32 v20, 0x80000000, v2
	s_delay_alu instid0(VALU_DEP_1) | instskip(SKIP_1) | instid1(VALU_DEP_1)
	v_xor_b32_e32 v20, v20, v37
	v_xor_b32_e32 v2, v2, v36
	v_dual_cndmask_b32 v37, -1, v20, s7 :: v_dual_cndmask_b32 v36, -1, v2, s7
	s_delay_alu instid0(VALU_DEP_1) | instskip(SKIP_2) | instid1(VALU_DEP_1)
	v_lshrrev_b64 v[44:45], s104, v[36:37]
	v_and_b32_e32 v37, v37, v29
	v_and_b32_e32 v36, v36, v28
	v_cmp_eq_u64_e64 s7, v[36:37], v[24:25]
	s_delay_alu instid0(VALU_DEP_4) | instskip(SKIP_1) | instid1(VALU_DEP_2)
	v_and_b32_e32 v20, 3, v44
	v_mov_b64_e32 v[36:37], v[34:35]
	v_cmp_eq_u64_e64 s8, 0, v[20:21]
	v_cmp_eq_u64_e32 vcc_lo, 1, v[20:21]
	v_cmp_eq_u64_e64 s9, 2, v[20:21]
	s_and_b32 s4, s7, s8
	v_cmp_eq_u64_e64 s8, 3, v[20:21]
	v_cndmask_b32_e64 v2, 0, 1, s4
	s_and_b32 s4, s7, vcc_lo
	s_delay_alu instid0(SALU_CYCLE_1) | instskip(SKIP_1) | instid1(VALU_DEP_2)
	v_cndmask_b32_e64 v20, 0, 1, s4
	s_and_b32 s4, s7, s9
	v_cmp_ne_u32_e32 vcc_lo, 0, v2
	v_cndmask_b32_e64 v2, 0, 1, s4
	s_and_b32 s4, s7, s8
	v_cmp_ne_u32_e64 s9, 0, v20
	v_cndmask_b32_e64 v20, 0, 1, s4
	s_bcnt1_i32_b32 s26, vcc_lo
	v_cmp_ne_u32_e32 vcc_lo, 0, v2
	v_add_nc_u64_e32 v[8:9], s[26:27], v[8:9]
	s_bcnt1_i32_b32 s26, s9
	v_cmp_ne_u32_e64 s7, 0, v20
	v_add_nc_u64_e32 v[10:11], s[26:27], v[10:11]
	s_bcnt1_i32_b32 s26, vcc_lo
	s_delay_alu instid0(SALU_CYCLE_1) | instskip(SKIP_1) | instid1(SALU_CYCLE_1)
	v_add_nc_u64_e32 v[12:13], s[26:27], v[12:13]
	s_bcnt1_i32_b32 s26, s7
	v_add_nc_u64_e32 v[14:15], s[26:27], v[14:15]
	s_and_not1_b32 exec_lo, exec_lo, s11
	s_cbranch_execz .LBB186_67
.LBB186_65:                             ;   Parent Loop BB186_18 Depth=1
                                        ; =>  This Inner Loop Header: Depth=2
	v_add_nc_u64_e32 v[32:33], v[32:33], v[4:5]
	s_wait_xcnt 0x0
	v_mov_b64_e32 v[34:35], 0
	s_mov_b32 s4, exec_lo
	s_delay_alu instid0(VALU_DEP_2)
	v_cmp_le_u64_e32 vcc_lo, s[36:37], v[32:33]
	v_cmpx_gt_u64_e64 s[36:37], v[32:33]
	s_cbranch_execz .LBB186_64
; %bb.66:                               ;   in Loop: Header=BB186_65 Depth=2
	v_mul_u64_e32 v[34:35], s[30:31], v[32:33]
	s_delay_alu instid0(VALU_DEP_1)
	v_lshl_add_u64 v[34:35], v[34:35], 3, s[28:29]
	global_load_b64 v[34:35], v[34:35], off
	s_branch .LBB186_64
.LBB186_67:                             ;   in Loop: Header=BB186_18 Depth=1
	s_or_b32 exec_lo, exec_lo, s11
.LBB186_68:                             ;   in Loop: Header=BB186_18 Depth=1
	s_delay_alu instid0(SALU_CYCLE_1)
	s_or_b32 exec_lo, exec_lo, s10
	s_branch .LBB186_47
.LBB186_69:                             ;   in Loop: Header=BB186_18 Depth=1
	global_load_u16 v2, v21, s[78:79]
	v_mov_b32_e32 v5, v21
	s_mov_b32 s87, s27
	v_mov_b64_e32 v[10:11], 0
	v_mov_b64_e32 v[12:13], 0
	;; [unrolled: 1-line block ×3, first 2 shown]
	s_mov_b32 s53, exec_lo
	s_wait_loadcnt 0x0
	v_readfirstlane_b32 s4, v2
	s_and_b32 s52, 0xffff, s4
	s_delay_alu instid0(SALU_CYCLE_1) | instskip(NEXT) | instid1(SALU_CYCLE_1)
	s_lshl_b32 s84, s52, 2
	s_cvt_f32_u32 s4, s84
	s_sub_co_i32 s7, 0, s84
	s_delay_alu instid0(SALU_CYCLE_2) | instskip(SKIP_1) | instid1(TRANS32_DEP_1)
	v_rcp_iflag_f32_e32 v4, s4
	v_nop
	v_readfirstlane_b32 s4, v4
	v_and_b32_e32 v4, 0xffff, v2
	s_mul_f32 s4, s4, 0x4f7ffffe
	s_delay_alu instid0(SALU_CYCLE_3) | instskip(NEXT) | instid1(SALU_CYCLE_3)
	s_cvt_u32_f32 s4, s4
	s_mul_i32 s7, s7, s4
	s_delay_alu instid0(SALU_CYCLE_1) | instskip(NEXT) | instid1(SALU_CYCLE_1)
	s_mul_hi_u32 s7, s4, s7
	s_add_co_i32 s4, s4, s7
	s_delay_alu instid0(SALU_CYCLE_1) | instskip(NEXT) | instid1(SALU_CYCLE_1)
	s_mul_hi_u32 s4, s82, s4
	s_mul_i32 s7, s4, s84
	s_add_co_i32 s8, s4, 1
	s_sub_co_i32 s7, s82, s7
	s_delay_alu instid0(SALU_CYCLE_1)
	s_sub_co_i32 s9, s7, s84
	s_cmp_ge_u32 s7, s84
	s_cselect_b32 s4, s8, s4
	s_cselect_b32 s7, s9, s7
	s_add_co_i32 s8, s4, 1
	s_cmp_ge_u32 s7, s84
	s_cselect_b32 s86, s8, s4
	s_delay_alu instid0(SALU_CYCLE_1) | instskip(NEXT) | instid1(VALU_DEP_1)
	v_mul_u64_e32 v[8:9], s[86:87], v[4:5]
	v_lshlrev_b64_e32 v[32:33], 2, v[8:9]
	v_mov_b64_e32 v[8:9], 0
	s_delay_alu instid0(VALU_DEP_2)
	v_cmpx_gt_u64_e64 v[32:33], v[22:23]
	s_cbranch_execz .LBB186_73
; %bb.70:                               ;   in Loop: Header=BB186_18 Depth=1
	v_mov_b64_e32 v[34:35], v[22:23]
	v_mov_b32_e32 v2, v41
	s_mov_b32 s85, s27
	s_lshl_b32 s54, s52, 5
	s_mov_b64 s[88:89], 0
	s_mov_b32 s55, 0
	s_mov_b64 s[90:91], 0
	s_mov_b64 s[92:93], 0
	;; [unrolled: 1-line block ×3, first 2 shown]
.LBB186_71:                             ;   Parent Loop BB186_18 Depth=1
                                        ; =>  This Inner Loop Header: Depth=2
	ds_load_b128 v[12:15], v2
	ds_load_b128 v[8:11], v2 offset:16
	v_dual_mov_b32 v37, v21 :: v_dual_mov_b32 v45, v21
	v_dual_mov_b32 v47, v21 :: v_dual_add_nc_u32 v2, s54, v2
	v_add_nc_u64_e32 v[34:35], s[84:85], v[34:35]
	s_delay_alu instid0(VALU_DEP_1)
	v_cmp_ge_u64_e32 vcc_lo, v[34:35], v[32:33]
	s_wait_dscnt 0x1
	v_cmp_o_f64_e64 s7, v[12:13], v[12:13]
	v_cmp_o_f64_e64 s8, v[14:15], v[14:15]
	s_wait_dscnt 0x0
	v_cmp_o_f64_e64 s9, v[8:9], v[8:9]
	v_cmp_o_f64_e64 s10, v[10:11], v[10:11]
	v_dual_ashrrev_i32 v20, 31, v13 :: v_dual_ashrrev_i32 v36, 31, v15
	v_dual_ashrrev_i32 v43, 31, v9 :: v_dual_ashrrev_i32 v44, 31, v11
	s_delay_alu instid0(VALU_DEP_2) | instskip(SKIP_1) | instid1(VALU_DEP_4)
	v_or_b32_e32 v46, 0x80000000, v20
	v_xor_b32_e32 v12, v20, v12
	v_or_b32_e32 v20, 0x80000000, v36
	v_xor_b32_e32 v14, v36, v14
	;; [unrolled: 2-line block ×3, first 2 shown]
	v_or_b32_e32 v8, 0x80000000, v44
	s_delay_alu instid0(VALU_DEP_1) | instskip(SKIP_3) | instid1(VALU_DEP_2)
	v_xor_b32_e32 v8, v8, v11
	v_xor_b32_e32 v44, v44, v10
	;; [unrolled: 1-line block ×4, first 2 shown]
	v_dual_cndmask_b32 v9, -1, v10, s7 :: v_dual_bitop2_b32 v15, v36, v9 bitop3:0x14
	s_delay_alu instid0(VALU_DEP_1)
	v_dual_cndmask_b32 v11, -1, v13, s8 :: v_dual_cndmask_b32 v13, -1, v15, s9
	v_cndmask_b32_e64 v15, -1, v8, s10
	v_dual_cndmask_b32 v8, -1, v12, s7 :: v_dual_cndmask_b32 v10, -1, v14, s8
	v_dual_cndmask_b32 v12, -1, v43, s9 :: v_dual_cndmask_b32 v14, -1, v44, s10
	v_and_b32_e32 v49, v9, v29
	v_and_b32_e32 v51, v11, v29
	s_delay_alu instid0(VALU_DEP_4)
	v_and_b32_e32 v48, v8, v28
	v_and_b32_e32 v50, v10, v28
	v_lshrrev_b64 v[8:9], s104, v[8:9]
	v_lshrrev_b64 v[10:11], s104, v[10:11]
	v_and_b32_e32 v53, v13, v29
	v_and_b32_e32 v55, v15, v29
	;; [unrolled: 1-line block ×4, first 2 shown]
	v_lshrrev_b64 v[12:13], s104, v[12:13]
	v_lshrrev_b64 v[14:15], s104, v[14:15]
	v_and_b32_e32 v20, 3, v8
	v_and_b32_e32 v36, 3, v10
	v_cmp_eq_u64_e64 s7, v[48:49], v[24:25]
	v_cmp_eq_u64_e64 s8, v[50:51], v[24:25]
	;; [unrolled: 1-line block ×3, first 2 shown]
	v_and_b32_e32 v44, 3, v12
	v_and_b32_e32 v46, 3, v14
	v_cmp_eq_u64_e64 s11, 0, v[20:21]
	v_cmp_eq_u64_e64 s12, 0, v[36:37]
	;; [unrolled: 1-line block ×17, first 2 shown]
	s_and_b32 s4, s7, s11
	s_and_b32 s11, s8, s12
	s_and_b32 s12, s9, s13
	s_and_b32 s13, s10, s14
	s_and_b32 s14, s7, s15
	s_and_b32 s15, s8, s16
	v_cndmask_b32_e64 v8, 0, 1, s4
	v_cndmask_b32_e64 v9, 0, 1, s11
	s_and_b32 s16, s9, s17
	s_and_b32 s17, s10, s18
	;; [unrolled: 1-line block ×4, first 2 shown]
	v_cndmask_b32_e64 v10, 0, 1, s12
	v_cndmask_b32_e64 v11, 0, 1, s13
	;; [unrolled: 1-line block ×4, first 2 shown]
	s_and_b32 s7, s7, s23
	s_and_b32 s8, s8, s24
	;; [unrolled: 1-line block ×4, first 2 shown]
	v_cndmask_b32_e64 v14, 0, 1, s16
	v_cndmask_b32_e64 v15, 0, 1, s17
	;; [unrolled: 1-line block ×4, first 2 shown]
	s_and_b32 s9, s9, s25
	s_and_b32 s10, s10, s26
	v_cndmask_b32_e64 v44, 0, 1, s7
	v_cndmask_b32_e64 v45, 0, 1, s8
	v_cmp_ne_u32_e64 s7, 0, v8
	v_cmp_ne_u32_e64 s8, 0, v9
	v_cndmask_b32_e64 v37, 0, 1, s20
	v_cndmask_b32_e64 v43, 0, 1, s21
	v_cndmask_b32_e64 v46, 0, 1, s9
	v_cndmask_b32_e64 v47, 0, 1, s10
	v_cmp_ne_u32_e64 s9, 0, v10
	v_cmp_ne_u32_e64 s10, 0, v11
	;; [unrolled: 1-line block ×8, first 2 shown]
	s_bcnt1_i32_b32 s4, s7
	s_bcnt1_i32_b32 s7, s8
	v_cmp_ne_u32_e64 s17, 0, v37
	v_cmp_ne_u32_e64 s18, 0, v43
	;; [unrolled: 1-line block ×4, first 2 shown]
	s_bcnt1_i32_b32 s8, s9
	s_bcnt1_i32_b32 s9, s10
	;; [unrolled: 1-line block ×4, first 2 shown]
	s_add_co_i32 s4, s7, s4
	v_cmp_ne_u32_e64 s21, 0, v46
	s_bcnt1_i32_b32 s12, s13
	s_bcnt1_i32_b32 s13, s14
	s_bcnt1_i32_b32 s14, s15
	s_bcnt1_i32_b32 s15, s16
	s_add_co_i32 s7, s11, s10
	s_add_co_i32 s4, s4, s8
	v_cmp_ne_u32_e64 s22, 0, v47
	s_bcnt1_i32_b32 s16, s17
	s_bcnt1_i32_b32 s17, s18
	;; [unrolled: 1-line block ×4, first 2 shown]
	s_add_co_i32 s10, s15, s14
	s_add_co_i32 s7, s7, s12
	;; [unrolled: 1-line block ×3, first 2 shown]
	s_bcnt1_i32_b32 s20, s21
	s_add_co_i32 s11, s19, s18
	s_add_co_i32 s8, s10, s16
	s_add_nc_u64 s[94:95], s[94:95], s[26:27]
	s_add_co_i32 s26, s7, s13
	s_bcnt1_i32_b32 s21, s22
	s_add_co_i32 s10, s11, s20
	s_add_nc_u64 s[92:93], s[92:93], s[26:27]
	s_add_co_i32 s26, s8, s17
	v_mov_b64_e32 v[8:9], s[94:95]
	s_add_nc_u64 s[90:91], s[90:91], s[26:27]
	s_add_co_i32 s26, s10, s21
	v_mov_b64_e32 v[10:11], s[92:93]
	s_add_nc_u64 s[88:89], s[88:89], s[26:27]
	v_mov_b64_e32 v[12:13], s[90:91]
	v_mov_b64_e32 v[14:15], s[88:89]
	s_or_b32 s55, vcc_lo, s55
	s_delay_alu instid0(SALU_CYCLE_1)
	s_and_not1_b32 exec_lo, exec_lo, s55
	s_cbranch_execnz .LBB186_71
; %bb.72:                               ;   in Loop: Header=BB186_18 Depth=1
	s_or_b32 exec_lo, exec_lo, s55
.LBB186_73:                             ;   in Loop: Header=BB186_18 Depth=1
	s_delay_alu instid0(SALU_CYCLE_1) | instskip(SKIP_3) | instid1(VALU_DEP_1)
	s_or_b32 exec_lo, exec_lo, s53
	v_add_nc_u64_e32 v[32:33], v[32:33], v[0:1]
	s_and_b64 s[12:13], s[82:83], 0x7fffffff
	s_mov_b32 s14, exec_lo
	v_cmpx_gt_u64_e64 s[12:13], v[32:33]
	s_cbranch_execz .LBB186_77
; %bb.74:                               ;   in Loop: Header=BB186_18 Depth=1
	s_mul_i32 s4, s86, s52
	s_lshl_b32 s16, s52, 3
	v_lshl_add_u32 v2, s4, 5, v38
	s_mov_b32 s15, 0
.LBB186_75:                             ;   Parent Loop BB186_18 Depth=1
                                        ; =>  This Inner Loop Header: Depth=2
	ds_load_b64 v[34:35], v2
	v_add_nc_u64_e32 v[32:33], v[32:33], v[4:5]
	v_add_nc_u32_e32 v2, s16, v2
	s_delay_alu instid0(VALU_DEP_2) | instskip(SKIP_3) | instid1(VALU_DEP_1)
	v_cmp_le_u64_e64 s7, s[12:13], v[32:33]
	s_wait_dscnt 0x0
	v_cmp_o_f64_e32 vcc_lo, v[34:35], v[34:35]
	v_ashrrev_i32_e32 v20, 31, v35
	v_or_b32_e32 v36, 0x80000000, v20
	s_delay_alu instid0(VALU_DEP_1) | instskip(NEXT) | instid1(VALU_DEP_1)
	v_xor_b32_e32 v36, v36, v35
	v_dual_cndmask_b32 v35, -1, v36, vcc_lo :: v_dual_bitop2_b32 v20, v20, v34 bitop3:0x14
	s_delay_alu instid0(VALU_DEP_1) | instskip(NEXT) | instid1(VALU_DEP_1)
	v_dual_cndmask_b32 v34, -1, v20, vcc_lo :: v_dual_bitop2_b32 v37, v35, v29 bitop3:0x40
	v_lshrrev_b64 v[44:45], s104, v[34:35]
	v_and_b32_e32 v36, v34, v28
	s_delay_alu instid0(VALU_DEP_1) | instskip(NEXT) | instid1(VALU_DEP_3)
	v_cmp_eq_u64_e32 vcc_lo, v[36:37], v[24:25]
	v_and_b32_e32 v20, 3, v44
	s_delay_alu instid0(VALU_DEP_1) | instskip(SKIP_4) | instid1(SALU_CYCLE_1)
	v_cmp_eq_u64_e64 s8, 0, v[20:21]
	v_cmp_eq_u64_e64 s9, 1, v[20:21]
	;; [unrolled: 1-line block ×4, first 2 shown]
	s_and_b32 s4, vcc_lo, s8
	v_cndmask_b32_e64 v20, 0, 1, s4
	s_and_b32 s4, vcc_lo, s9
	s_delay_alu instid0(SALU_CYCLE_1) | instskip(SKIP_1) | instid1(SALU_CYCLE_1)
	v_cndmask_b32_e64 v34, 0, 1, s4
	s_and_b32 s4, vcc_lo, s10
	v_cndmask_b32_e64 v35, 0, 1, s4
	s_and_b32 s4, vcc_lo, s11
	v_cmp_ne_u32_e32 vcc_lo, 0, v20
	v_cndmask_b32_e64 v36, 0, 1, s4
	v_cmp_ne_u32_e64 s8, 0, v34
	v_cmp_ne_u32_e64 s9, 0, v35
	s_bcnt1_i32_b32 s26, vcc_lo
	v_cmp_ne_u32_e64 s10, 0, v36
	v_add_nc_u64_e32 v[8:9], s[26:27], v[8:9]
	s_bcnt1_i32_b32 s26, s8
	s_delay_alu instid0(SALU_CYCLE_1) | instskip(SKIP_1) | instid1(SALU_CYCLE_1)
	v_add_nc_u64_e32 v[10:11], s[26:27], v[10:11]
	s_bcnt1_i32_b32 s26, s9
	v_add_nc_u64_e32 v[12:13], s[26:27], v[12:13]
	s_bcnt1_i32_b32 s26, s10
	s_or_b32 s15, s7, s15
	v_add_nc_u64_e32 v[14:15], s[26:27], v[14:15]
	s_and_not1_b32 exec_lo, exec_lo, s15
	s_cbranch_execnz .LBB186_75
; %bb.76:                               ;   in Loop: Header=BB186_18 Depth=1
	s_or_b32 exec_lo, exec_lo, s15
.LBB186_77:                             ;   in Loop: Header=BB186_18 Depth=1
	s_delay_alu instid0(SALU_CYCLE_1)
	s_or_b32 exec_lo, exec_lo, s14
	s_lshl_b32 s7, s66, 7
	s_and_saveexec_b32 s4, s2
	s_cbranch_execnz .LBB186_48
	s_branch .LBB186_49
.LBB186_78:                             ;   in Loop: Header=BB186_18 Depth=1
                                        ; implicit-def: $sgpr8_sgpr9
	s_branch .LBB186_57
.LBB186_79:                             ;   in Loop: Header=BB186_18 Depth=1
	s_mov_b32 s4, 0
	s_and_not1_b32 vcc_lo, exec_lo, s102
	s_cbranch_vccnz .LBB186_82
.LBB186_80:                             ;   in Loop: Header=BB186_18 Depth=1
	s_lshl_b32 s9, s66, 10
	s_lshl_b32 s4, s4, 5
	s_delay_alu instid0(SALU_CYCLE_1)
	v_add3_u32 v2, s9, s4, v42
	s_mov_b32 s4, s99
.LBB186_81:                             ;   Parent Loop BB186_18 Depth=1
                                        ; =>  This Inner Loop Header: Depth=2
	ds_load_b64 v[8:9], v2
	v_add_nc_u32_e32 v2, 32, v2
	s_add_co_i32 s4, s4, -1
	s_delay_alu instid0(SALU_CYCLE_1)
	s_cmp_lg_u32 s4, 0
	s_wait_dscnt 0x0
	v_add_nc_u64_e32 v[4:5], v[8:9], v[4:5]
	s_cbranch_scc1 .LBB186_81
.LBB186_82:                             ;   in Loop: Header=BB186_18 Depth=1
	v_add_lshl_u32 v2, s7, v17, 3
	ds_store_b64 v2, v[4:5] offset:3072
.LBB186_83:                             ;   in Loop: Header=BB186_18 Depth=1
	s_or_b32 exec_lo, exec_lo, s8
	s_lshl_b32 s4, s7, 3
	s_wait_dscnt 0x0
	v_mov_b32_e32 v2, s4
	s_barrier_signal -1
	s_barrier_wait -1
	v_cmp_eq_u64_e64 s7, 1, v[30:31]
	ds_load_b128 v[8:11], v2 offset:3072
	ds_load_b128 v[12:15], v2 offset:3088
	s_lshl_b64 s[12:13], 3, s104
	s_mov_b32 s87, -1
	s_not_b64 s[14:15], s[12:13]
	s_mov_b32 s82, 0
	s_and_not1_b32 vcc_lo, exec_lo, s97
	s_mov_b32 s84, 0
	s_mov_b32 s83, 0
                                        ; implicit-def: $sgpr85
                                        ; implicit-def: $sgpr86
                                        ; implicit-def: $vgpr32_vgpr33
                                        ; implicit-def: $vgpr20
	s_wait_dscnt 0x1
	v_readfirstlane_b32 s11, v9
	v_readfirstlane_b32 s10, v8
	;; [unrolled: 1-line block ×4, first 2 shown]
	s_wait_dscnt 0x0
	v_readfirstlane_b32 s19, v13
	v_readfirstlane_b32 s18, v12
	;; [unrolled: 1-line block ×4, first 2 shown]
                                        ; implicit-def: $vgpr14_vgpr15
                                        ; implicit-def: $vgpr12_vgpr13
                                        ; implicit-def: $vgpr10_vgpr11
	s_cbranch_vccnz .LBB186_286
; %bb.84:                               ;   in Loop: Header=BB186_18 Depth=1
	v_mov_b64_e32 v[14:15], v[24:25]
	v_mov_b64_e32 v[12:13], v[28:29]
	;; [unrolled: 1-line block ×3, first 2 shown]
	s_cmp_eq_u64 s[10:11], 1
                                        ; implicit-def: $sgpr86
                                        ; implicit-def: $sgpr85
	s_cselect_b32 s4, -1, 0
	s_delay_alu instid0(SALU_CYCLE_1)
	s_and_b32 s89, s4, s7
	s_mov_b32 s4, -1
	s_and_saveexec_b32 s52, s89
	s_cbranch_execz .LBB186_121
; %bb.85:                               ;   in Loop: Header=BB186_18 Depth=1
	ds_load_b64 v[4:5], v21 offset:5120
	s_wait_dscnt 0x0
	s_barrier_signal -1
	s_barrier_wait -1
	v_readfirstlane_b32 s8, v4
	v_readfirstlane_b32 s9, v5
	s_and_saveexec_b32 s4, s6
; %bb.86:                               ;   in Loop: Header=BB186_18 Depth=1
	ds_store_b64 v39, v[26:27]
; %bb.87:                               ;   in Loop: Header=BB186_18 Depth=1
	s_or_b32 exec_lo, exec_lo, s4
	v_and_b32_e32 v15, s15, v25
	v_and_b32_e32 v14, s14, v24
	v_or_b32_e32 v13, s13, v29
	v_or_b32_e32 v12, s12, v28
	s_mov_b32 s85, -1
	s_mov_b32 s86, 0
	s_cmp_eq_u64 s[8:9], 0
	s_mov_b32 s24, 0
	s_mov_b32 s25, -1
	s_wait_dscnt 0x0
	s_barrier_signal -1
	s_barrier_wait -1
                                        ; implicit-def: $vgpr10_vgpr11
	s_cbranch_scc1 .LBB186_105
; %bb.88:                               ;   in Loop: Header=BB186_18 Depth=1
	s_add_nc_u64 s[22:23], s[8:9], s[74:75]
	s_delay_alu instid0(SALU_CYCLE_1) | instskip(NEXT) | instid1(SALU_CYCLE_1)
	s_and_b64 s[24:25], s[22:23], 0xffffffff00000000
	s_cmp_lg_u64 s[24:25], 0
	s_cbranch_scc0 .LBB186_148
; %bb.89:                               ;   in Loop: Header=BB186_18 Depth=1
	s_cvt_f32_u32 s4, s34
	s_sub_nc_u64 s[40:41], 0, s[34:35]
	s_delay_alu instid0(SALU_CYCLE_2) | instskip(NEXT) | instid1(SALU_CYCLE_3)
	s_fmamk_f32 s4, s64, 0x0, s4
	v_s_rcp_f32 s4, s4
	s_delay_alu instid0(TRANS32_DEP_1) | instskip(NEXT) | instid1(SALU_CYCLE_3)
	s_mul_f32 s4, s4, 0x5f7ffffc
	s_mul_f32 s24, s4, 0x2f800000
	s_delay_alu instid0(SALU_CYCLE_3) | instskip(NEXT) | instid1(SALU_CYCLE_3)
	s_trunc_f32 s24, s24
	s_fmamk_f32 s4, s24, 0xcf800000, s4
	s_cvt_u32_f32 s25, s24
	s_delay_alu instid0(SALU_CYCLE_2) | instskip(NEXT) | instid1(SALU_CYCLE_3)
	s_cvt_u32_f32 s24, s4
	s_mul_u64 s[42:43], s[40:41], s[24:25]
	s_delay_alu instid0(SALU_CYCLE_1)
	s_mul_hi_u32 s55, s24, s43
	s_mul_i32 s54, s24, s43
	s_mul_hi_u32 s26, s24, s42
	s_mul_i32 s53, s25, s42
	s_add_nc_u64 s[54:55], s[26:27], s[54:55]
	s_mul_hi_u32 s4, s25, s42
	s_mul_hi_u32 s60, s25, s43
	s_add_co_u32 s26, s54, s53
	s_add_co_ci_u32 s26, s55, s4
	s_mul_i32 s42, s25, s43
	s_add_co_ci_u32 s43, s60, 0
	s_delay_alu instid0(SALU_CYCLE_1) | instskip(NEXT) | instid1(SALU_CYCLE_1)
	s_add_nc_u64 s[42:43], s[26:27], s[42:43]
	s_add_co_u32 s24, s24, s42
	s_cselect_b32 s4, -1, 0
	s_delay_alu instid0(SALU_CYCLE_1) | instskip(SKIP_1) | instid1(SALU_CYCLE_1)
	s_cmp_lg_u32 s4, 0
	s_add_co_ci_u32 s25, s25, s43
	s_mul_u64 s[40:41], s[40:41], s[24:25]
	s_delay_alu instid0(SALU_CYCLE_1)
	s_mul_hi_u32 s43, s24, s41
	s_mul_i32 s42, s24, s41
	s_mul_hi_u32 s26, s24, s40
	s_mul_i32 s53, s25, s40
	s_add_nc_u64 s[42:43], s[26:27], s[42:43]
	s_mul_hi_u32 s4, s25, s40
	s_mul_hi_u32 s54, s25, s41
	s_add_co_u32 s26, s42, s53
	s_add_co_ci_u32 s26, s43, s4
	s_mul_i32 s40, s25, s41
	s_add_co_ci_u32 s41, s54, 0
	s_delay_alu instid0(SALU_CYCLE_1) | instskip(NEXT) | instid1(SALU_CYCLE_1)
	s_add_nc_u64 s[40:41], s[26:27], s[40:41]
	s_add_co_u32 s4, s24, s40
	s_cselect_b32 s24, -1, 0
	s_mul_hi_u32 s26, s22, s4
	s_cmp_lg_u32 s24, 0
	s_mul_hi_u32 s42, s23, s4
	s_add_co_ci_u32 s40, s25, s41
	s_mul_i32 s4, s23, s4
	s_mul_hi_u32 s25, s22, s40
	s_mul_i32 s24, s22, s40
	s_mul_hi_u32 s41, s23, s40
	s_add_nc_u64 s[24:25], s[26:27], s[24:25]
	s_mul_i32 s40, s23, s40
	s_add_co_u32 s4, s24, s4
	s_add_co_ci_u32 s26, s25, s42
	s_add_co_ci_u32 s41, s41, 0
	s_delay_alu instid0(SALU_CYCLE_1) | instskip(NEXT) | instid1(SALU_CYCLE_1)
	s_add_nc_u64 s[24:25], s[26:27], s[40:41]
	s_and_b64 s[40:41], s[24:25], 0xffffffff00000000
	s_delay_alu instid0(SALU_CYCLE_1) | instskip(NEXT) | instid1(SALU_CYCLE_1)
	s_or_b32 s40, s40, s24
	s_mul_u64 s[24:25], s[34:35], s[40:41]
	s_delay_alu instid0(SALU_CYCLE_1) | instskip(SKIP_1) | instid1(SALU_CYCLE_1)
	s_sub_co_u32 s4, s22, s24
	s_cselect_b32 s24, -1, 0
	s_cmp_lg_u32 s24, 0
	s_sub_co_ci_u32 s24, s23, s25
	s_sub_co_u32 s25, s4, s34
	s_cselect_b32 s26, -1, 0
	s_delay_alu instid0(SALU_CYCLE_1) | instskip(SKIP_3) | instid1(SALU_CYCLE_1)
	s_cmp_lg_u32 s26, 0
	s_sub_co_ci_u32 s26, s24, 0
	s_sub_co_u32 s40, s25, s34
	s_cselect_b32 s41, -1, 0
	s_cmp_lg_u32 s41, 0
	s_sub_co_ci_u32 s41, s26, 0
	s_cmp_ge_u32 s25, s34
	s_cselect_b32 s42, -1, 0
	s_cmp_eq_u32 s26, 0
	s_cselect_b32 s42, s42, -1
	s_delay_alu instid0(SALU_CYCLE_1)
	s_cmp_lg_u32 s42, 0
	s_cselect_b32 s26, s41, s26
	s_cselect_b32 s40, s40, s25
	s_cmp_ge_u32 s4, s34
	s_cselect_b32 s25, -1, 0
	s_cmp_eq_u32 s24, 0
	s_cselect_b32 s25, s25, -1
	s_delay_alu instid0(SALU_CYCLE_1)
	s_cmp_lg_u32 s25, 0
	s_cselect_b32 s25, s26, s24
	s_cselect_b32 s24, s40, s4
	s_cbranch_execnz .LBB186_91
.LBB186_90:                             ;   in Loop: Header=BB186_18 Depth=1
	v_cvt_f32_u32_e32 v2, s34
	s_sub_co_i32 s24, 0, s34
	s_delay_alu instid0(VALU_DEP_1) | instskip(SKIP_1) | instid1(TRANS32_DEP_1)
	v_rcp_iflag_f32_e32 v2, v2
	v_nop
	v_mul_f32_e32 v2, 0x4f7ffffe, v2
	s_delay_alu instid0(VALU_DEP_1) | instskip(NEXT) | instid1(VALU_DEP_1)
	v_cvt_u32_f32_e32 v2, v2
	v_readfirstlane_b32 s4, v2
	s_mul_i32 s24, s24, s4
	s_delay_alu instid0(SALU_CYCLE_1) | instskip(NEXT) | instid1(SALU_CYCLE_1)
	s_mul_hi_u32 s24, s4, s24
	s_add_co_i32 s4, s4, s24
	s_delay_alu instid0(SALU_CYCLE_1) | instskip(NEXT) | instid1(SALU_CYCLE_1)
	s_mul_hi_u32 s4, s22, s4
	s_mul_i32 s4, s4, s34
	s_delay_alu instid0(SALU_CYCLE_1) | instskip(NEXT) | instid1(SALU_CYCLE_1)
	s_sub_co_i32 s4, s22, s4
	s_sub_co_i32 s24, s4, s34
	s_cmp_ge_u32 s4, s34
	s_cselect_b32 s4, s24, s4
	s_delay_alu instid0(SALU_CYCLE_1) | instskip(SKIP_2) | instid1(SALU_CYCLE_1)
	s_sub_co_i32 s24, s4, s34
	s_cmp_ge_u32 s4, s34
	s_cselect_b32 s26, s24, s4
	s_mov_b64 s[24:25], s[26:27]
.LBB186_91:                             ;   in Loop: Header=BB186_18 Depth=1
	s_delay_alu instid0(SALU_CYCLE_1)
	s_sub_nc_u64 s[22:23], s[22:23], s[24:25]
	s_mov_b32 s25, 0
	s_mov_b32 s24, 0
	s_mov_b32 s26, exec_lo
                                        ; implicit-def: $vgpr10_vgpr11
	v_cmpx_gt_u64_e64 s[22:23], v[0:1]
	s_cbranch_execz .LBB186_104
; %bb.92:                               ;   in Loop: Header=BB186_18 Depth=1
	v_mov_b64_e32 v[32:33], v[0:1]
	v_mov_b32_e32 v20, v38
                                        ; implicit-def: $sgpr4
	s_branch .LBB186_96
.LBB186_93:                             ;   in Loop: Header=BB186_96 Depth=2
	s_or_b32 exec_lo, exec_lo, s53
	s_wait_dscnt 0x0
	s_barrier_signal -1
	s_barrier_wait -1
	ds_load_b128 v[8:11], v21 offset:3072
	s_wait_dscnt 0x0
	s_barrier_signal -1
	s_barrier_wait -1
	v_cmp_neq_f64_e32 vcc_lo, 0, v[8:9]
	s_cbranch_vccnz .LBB186_99
; %bb.94:                               ;   in Loop: Header=BB186_96 Depth=2
	v_add_nc_u64_e32 v[32:33], s[34:35], v[32:33]
	v_add_nc_u32_e32 v20, s103, v20
	s_mov_b32 s53, 0
	s_delay_alu instid0(VALU_DEP_2)
	v_cmp_le_u64_e32 vcc_lo, s[22:23], v[32:33]
	s_or_not1_b32 s54, vcc_lo, exec_lo
.LBB186_95:                             ;   in Loop: Header=BB186_96 Depth=2
	s_delay_alu instid0(SALU_CYCLE_1) | instskip(NEXT) | instid1(SALU_CYCLE_1)
	s_and_b32 s40, exec_lo, s54
	s_or_b32 s24, s40, s24
	s_and_not1_b32 s4, s4, exec_lo
	s_and_b32 s40, s53, exec_lo
	s_delay_alu instid0(SALU_CYCLE_1)
	s_or_b32 s4, s4, s40
	s_and_not1_b32 exec_lo, exec_lo, s24
	s_cbranch_execz .LBB186_103
.LBB186_96:                             ;   Parent Loop BB186_18 Depth=1
                                        ; =>  This Inner Loop Header: Depth=2
	s_mov_b32 s53, exec_lo
	s_delay_alu instid0(VALU_DEP_2)
	v_cmpx_gt_u64_e64 s[8:9], v[32:33]
	s_cbranch_execz .LBB186_93
; %bb.97:                               ;   in Loop: Header=BB186_96 Depth=2
	ds_load_b64 v[4:5], v20
	s_wait_dscnt 0x0
	v_cmp_o_f64_e32 vcc_lo, v[4:5], v[4:5]
	v_ashrrev_i32_e32 v2, 31, v5
	s_delay_alu instid0(VALU_DEP_1) | instskip(NEXT) | instid1(VALU_DEP_1)
	v_or_b32_e32 v8, 0x80000000, v2
	v_xor_b32_e32 v8, v8, v5
	v_xor_b32_e32 v2, v2, v4
	s_delay_alu instid0(VALU_DEP_1) | instskip(NEXT) | instid1(VALU_DEP_1)
	v_dual_cndmask_b32 v8, -1, v8, vcc_lo :: v_dual_cndmask_b32 v2, -1, v2, vcc_lo
	v_and_b32_e32 v9, v8, v13
	s_delay_alu instid0(VALU_DEP_2) | instskip(NEXT) | instid1(VALU_DEP_1)
	v_and_b32_e32 v8, v2, v12
	v_cmp_eq_u64_e32 vcc_lo, v[8:9], v[14:15]
	s_and_b32 exec_lo, exec_lo, vcc_lo
	s_cbranch_execz .LBB186_93
; %bb.98:                               ;   in Loop: Header=BB186_96 Depth=2
	v_mov_b32_e32 v2, v21
	ds_store_b128 v21, v[2:5] offset:3072
	s_branch .LBB186_93
.LBB186_99:                             ;   in Loop: Header=BB186_96 Depth=2
	s_mov_b32 s54, -1
	s_mov_b32 s53, -1
                                        ; implicit-def: $vgpr32_vgpr33
                                        ; implicit-def: $vgpr20
	s_branch .LBB186_95
.LBB186_100:                            ;   in Loop: Header=BB186_18 Depth=1
	s_or_b32 exec_lo, exec_lo, s10
	s_wait_dscnt 0x0
	s_barrier_signal -1
	s_barrier_wait -1
	s_and_saveexec_b32 s4, s5
	s_cbranch_execz .LBB186_102
; %bb.101:                              ;   in Loop: Header=BB186_18 Depth=1
	ds_load_b32 v4, v21 offset:5144
	s_wait_dscnt 0x0
	v_ashrrev_i32_e32 v5, 31, v4
	ds_store_b64 v21, v[4:5] offset:5120
.LBB186_102:                            ;   in Loop: Header=BB186_18 Depth=1
	s_or_b32 exec_lo, exec_lo, s4
	s_wait_dscnt 0x0
	s_barrier_signal -1
	s_mov_b32 s4, -1
	s_barrier_wait -1
	s_and_b32 vcc_lo, exec_lo, s9
	s_cbranch_vccnz .LBB186_34
	s_branch .LBB186_43
.LBB186_103:                            ;   in Loop: Header=BB186_18 Depth=1
	s_or_b32 exec_lo, exec_lo, s24
	s_delay_alu instid0(SALU_CYCLE_1)
	s_and_b32 s24, s4, exec_lo
.LBB186_104:                            ;   in Loop: Header=BB186_18 Depth=1
	s_or_b32 exec_lo, exec_lo, s26
.LBB186_105:                            ;   in Loop: Header=BB186_18 Depth=1
	s_delay_alu instid0(SALU_CYCLE_1)
	s_and_b32 vcc_lo, exec_lo, s25
	s_cbranch_vccz .LBB186_120
; %bb.106:                              ;   in Loop: Header=BB186_18 Depth=1
	s_and_b64 s[8:9], s[76:77], 0xffffffff00000000
	s_delay_alu instid0(SALU_CYCLE_1)
	s_cmp_lg_u64 s[8:9], 0
	s_cbranch_scc0 .LBB186_149
; %bb.107:                              ;   in Loop: Header=BB186_18 Depth=1
	s_cvt_f32_u32 s4, s34
	s_sub_nc_u64 s[22:23], 0, s[34:35]
	s_delay_alu instid0(SALU_CYCLE_2) | instskip(NEXT) | instid1(SALU_CYCLE_3)
	s_fmamk_f32 s4, s64, 0x0, s4
	v_s_rcp_f32 s4, s4
	s_delay_alu instid0(TRANS32_DEP_1) | instskip(NEXT) | instid1(SALU_CYCLE_3)
	s_mul_f32 s4, s4, 0x5f7ffffc
	s_mul_f32 s8, s4, 0x2f800000
	s_delay_alu instid0(SALU_CYCLE_3) | instskip(NEXT) | instid1(SALU_CYCLE_3)
	s_trunc_f32 s8, s8
	s_fmamk_f32 s4, s8, 0xcf800000, s4
	s_cvt_u32_f32 s9, s8
	s_delay_alu instid0(SALU_CYCLE_2) | instskip(NEXT) | instid1(SALU_CYCLE_3)
	s_cvt_u32_f32 s8, s4
	s_mul_u64 s[40:41], s[22:23], s[8:9]
	s_delay_alu instid0(SALU_CYCLE_1)
	s_mul_hi_u32 s43, s8, s41
	s_mul_i32 s42, s8, s41
	s_mul_hi_u32 s26, s8, s40
	s_mul_i32 s25, s9, s40
	s_add_nc_u64 s[42:43], s[26:27], s[42:43]
	s_mul_hi_u32 s4, s9, s40
	s_mul_hi_u32 s53, s9, s41
	s_add_co_u32 s25, s42, s25
	s_add_co_ci_u32 s26, s43, s4
	s_mul_i32 s40, s9, s41
	s_add_co_ci_u32 s41, s53, 0
	s_delay_alu instid0(SALU_CYCLE_1) | instskip(NEXT) | instid1(SALU_CYCLE_1)
	s_add_nc_u64 s[40:41], s[26:27], s[40:41]
	s_add_co_u32 s8, s8, s40
	s_cselect_b32 s4, -1, 0
	s_delay_alu instid0(SALU_CYCLE_1) | instskip(SKIP_1) | instid1(SALU_CYCLE_1)
	s_cmp_lg_u32 s4, 0
	s_add_co_ci_u32 s9, s9, s41
	s_mul_u64 s[22:23], s[22:23], s[8:9]
	s_delay_alu instid0(SALU_CYCLE_1)
	s_mul_hi_u32 s41, s8, s23
	s_mul_i32 s40, s8, s23
	s_mul_hi_u32 s26, s8, s22
	s_mul_i32 s25, s9, s22
	s_add_nc_u64 s[40:41], s[26:27], s[40:41]
	s_mul_hi_u32 s4, s9, s22
	s_mul_hi_u32 s42, s9, s23
	s_mul_i32 s22, s9, s23
	s_add_co_u32 s23, s40, s25
	s_add_co_ci_u32 s26, s41, s4
	s_add_co_ci_u32 s23, s42, 0
	s_delay_alu instid0(SALU_CYCLE_1) | instskip(NEXT) | instid1(SALU_CYCLE_1)
	s_add_nc_u64 s[22:23], s[26:27], s[22:23]
	s_add_co_u32 s4, s8, s22
	s_cselect_b32 s8, -1, 0
	s_mul_hi_u32 s26, s76, s4
	s_cmp_lg_u32 s8, 0
	s_mul_hi_u32 s25, s77, s4
	s_add_co_ci_u32 s22, s9, s23
	s_mul_i32 s4, s77, s4
	s_mul_hi_u32 s9, s76, s22
	s_mul_i32 s8, s76, s22
	s_mul_hi_u32 s23, s77, s22
	s_add_nc_u64 s[8:9], s[26:27], s[8:9]
	s_mul_i32 s22, s77, s22
	s_add_co_u32 s4, s8, s4
	s_add_co_ci_u32 s26, s9, s25
	s_add_co_ci_u32 s23, s23, 0
	s_delay_alu instid0(SALU_CYCLE_1) | instskip(NEXT) | instid1(SALU_CYCLE_1)
	s_add_nc_u64 s[8:9], s[26:27], s[22:23]
	s_and_b64 s[22:23], s[8:9], 0xffffffff00000000
	s_delay_alu instid0(SALU_CYCLE_1) | instskip(NEXT) | instid1(SALU_CYCLE_1)
	s_or_b32 s22, s22, s8
	s_mul_u64 s[8:9], s[34:35], s[22:23]
	s_delay_alu instid0(SALU_CYCLE_1) | instskip(SKIP_1) | instid1(SALU_CYCLE_1)
	s_sub_co_u32 s4, s76, s8
	s_cselect_b32 s8, -1, 0
	s_cmp_lg_u32 s8, 0
	s_sub_co_ci_u32 s8, s77, s9
	s_sub_co_u32 s9, s4, s34
	s_cselect_b32 s22, -1, 0
	s_delay_alu instid0(SALU_CYCLE_1) | instskip(SKIP_3) | instid1(SALU_CYCLE_1)
	s_cmp_lg_u32 s22, 0
	s_sub_co_ci_u32 s22, s8, 0
	s_sub_co_u32 s23, s9, s34
	s_cselect_b32 s25, -1, 0
	s_cmp_lg_u32 s25, 0
	s_sub_co_ci_u32 s25, s22, 0
	s_cmp_ge_u32 s9, s34
	s_cselect_b32 s26, -1, 0
	s_cmp_eq_u32 s22, 0
	s_cselect_b32 s26, s26, -1
	s_delay_alu instid0(SALU_CYCLE_1)
	s_cmp_lg_u32 s26, 0
	s_cselect_b32 s22, s25, s22
	s_cselect_b32 s23, s23, s9
	s_cmp_ge_u32 s4, s34
	s_cselect_b32 s9, -1, 0
	s_cmp_eq_u32 s8, 0
	s_cselect_b32 s9, s9, -1
	s_delay_alu instid0(SALU_CYCLE_1)
	s_cmp_lg_u32 s9, 0
	s_cselect_b32 s9, s22, s8
	s_cselect_b32 s8, s23, s4
	s_cbranch_execnz .LBB186_109
.LBB186_108:                            ;   in Loop: Header=BB186_18 Depth=1
	v_cvt_f32_u32_e32 v2, s34
	s_sub_co_i32 s8, 0, s34
	s_delay_alu instid0(VALU_DEP_1) | instskip(SKIP_1) | instid1(TRANS32_DEP_1)
	v_rcp_iflag_f32_e32 v2, v2
	v_nop
	v_mul_f32_e32 v2, 0x4f7ffffe, v2
	s_delay_alu instid0(VALU_DEP_1) | instskip(NEXT) | instid1(VALU_DEP_1)
	v_cvt_u32_f32_e32 v2, v2
	v_readfirstlane_b32 s4, v2
	s_mul_i32 s8, s8, s4
	s_delay_alu instid0(SALU_CYCLE_1) | instskip(NEXT) | instid1(SALU_CYCLE_1)
	s_mul_hi_u32 s8, s4, s8
	s_add_co_i32 s4, s4, s8
	s_delay_alu instid0(SALU_CYCLE_1) | instskip(NEXT) | instid1(SALU_CYCLE_1)
	s_mul_hi_u32 s4, s76, s4
	s_mul_i32 s4, s4, s34
	s_delay_alu instid0(SALU_CYCLE_1) | instskip(NEXT) | instid1(SALU_CYCLE_1)
	s_sub_co_i32 s4, s76, s4
	s_sub_co_i32 s8, s4, s34
	s_cmp_ge_u32 s4, s34
	s_cselect_b32 s4, s8, s4
	s_delay_alu instid0(SALU_CYCLE_1) | instskip(SKIP_2) | instid1(SALU_CYCLE_1)
	s_sub_co_i32 s8, s4, s34
	s_cmp_ge_u32 s4, s34
	s_cselect_b32 s26, s8, s4
	s_mov_b64 s[8:9], s[26:27]
.LBB186_109:                            ;   in Loop: Header=BB186_18 Depth=1
	s_delay_alu instid0(SALU_CYCLE_1)
	s_sub_nc_u64 s[8:9], s[76:77], s[8:9]
	s_mov_b32 s22, exec_lo
                                        ; implicit-def: $vgpr10_vgpr11
	v_cmpx_gt_u64_e64 s[8:9], v[0:1]
	s_cbranch_execz .LBB186_119
; %bb.110:                              ;   in Loop: Header=BB186_18 Depth=1
	v_mov_b64_e32 v[32:33], v[0:1]
	s_mov_b32 s23, 0
                                        ; implicit-def: $sgpr4
	s_branch .LBB186_114
.LBB186_111:                            ;   in Loop: Header=BB186_114 Depth=2
	s_or_b32 exec_lo, exec_lo, s25
	s_wait_dscnt 0x0
	s_barrier_signal -1
	s_barrier_wait -1
	ds_load_b128 v[8:11], v21 offset:3072
	s_wait_dscnt 0x0
	s_barrier_signal -1
	s_barrier_wait -1
	v_cmp_neq_f64_e32 vcc_lo, 0, v[8:9]
	s_cbranch_vccnz .LBB186_117
; %bb.112:                              ;   in Loop: Header=BB186_114 Depth=2
	v_add_nc_u64_e32 v[32:33], s[34:35], v[32:33]
	s_mov_b32 s25, 0
	s_delay_alu instid0(VALU_DEP_1)
	v_cmp_le_u64_e32 vcc_lo, s[8:9], v[32:33]
	s_or_not1_b32 s26, vcc_lo, exec_lo
.LBB186_113:                            ;   in Loop: Header=BB186_114 Depth=2
	s_delay_alu instid0(SALU_CYCLE_1) | instskip(NEXT) | instid1(SALU_CYCLE_1)
	s_and_b32 s26, exec_lo, s26
	s_or_b32 s23, s26, s23
	s_and_not1_b32 s4, s4, exec_lo
	s_and_b32 s25, s25, exec_lo
	s_delay_alu instid0(SALU_CYCLE_1)
	s_or_b32 s4, s4, s25
	s_and_not1_b32 exec_lo, exec_lo, s23
	s_cbranch_execz .LBB186_118
.LBB186_114:                            ;   Parent Loop BB186_18 Depth=1
                                        ; =>  This Inner Loop Header: Depth=2
	s_mov_b32 s25, exec_lo
	s_delay_alu instid0(VALU_DEP_1)
	v_cmpx_gt_u64_e64 s[36:37], v[32:33]
	s_cbranch_execz .LBB186_111
; %bb.115:                              ;   in Loop: Header=BB186_114 Depth=2
	v_mul_u64_e32 v[4:5], s[30:31], v[32:33]
	s_delay_alu instid0(VALU_DEP_1) | instskip(SKIP_4) | instid1(VALU_DEP_1)
	v_lshl_add_u64 v[4:5], v[4:5], 3, s[28:29]
	global_load_b64 v[4:5], v[4:5], off
	s_wait_loadcnt 0x0
	v_cmp_o_f64_e32 vcc_lo, v[4:5], v[4:5]
	v_ashrrev_i32_e32 v2, 31, v5
	v_or_b32_e32 v8, 0x80000000, v2
	s_delay_alu instid0(VALU_DEP_1) | instskip(SKIP_1) | instid1(VALU_DEP_1)
	v_xor_b32_e32 v8, v8, v5
	v_xor_b32_e32 v2, v2, v4
	v_dual_cndmask_b32 v8, -1, v8, vcc_lo :: v_dual_cndmask_b32 v2, -1, v2, vcc_lo
	s_delay_alu instid0(VALU_DEP_1) | instskip(NEXT) | instid1(VALU_DEP_2)
	v_and_b32_e32 v9, v8, v13
	v_and_b32_e32 v8, v2, v12
	s_delay_alu instid0(VALU_DEP_1)
	v_cmp_eq_u64_e32 vcc_lo, v[8:9], v[14:15]
	s_and_b32 exec_lo, exec_lo, vcc_lo
	s_cbranch_execz .LBB186_111
; %bb.116:                              ;   in Loop: Header=BB186_114 Depth=2
	v_mov_b32_e32 v2, v21
	ds_store_b128 v21, v[2:5] offset:3072
	s_branch .LBB186_111
.LBB186_117:                            ;   in Loop: Header=BB186_114 Depth=2
	s_mov_b32 s26, -1
	s_mov_b32 s25, -1
                                        ; implicit-def: $vgpr32_vgpr33
	s_branch .LBB186_113
.LBB186_118:                            ;   in Loop: Header=BB186_18 Depth=1
	s_or_b32 exec_lo, exec_lo, s23
	s_delay_alu instid0(SALU_CYCLE_1) | instskip(SKIP_1) | instid1(SALU_CYCLE_1)
	s_and_not1_b32 s8, s24, exec_lo
	s_and_b32 s4, s4, exec_lo
	s_or_b32 s24, s8, s4
.LBB186_119:                            ;   in Loop: Header=BB186_18 Depth=1
	s_or_b32 exec_lo, exec_lo, s22
	s_mov_b32 s85, 0
	s_mov_b32 s86, -1
.LBB186_120:                            ;   in Loop: Header=BB186_18 Depth=1
	s_or_not1_b32 s4, s24, exec_lo
.LBB186_121:                            ;   in Loop: Header=BB186_18 Depth=1
	s_or_b32 exec_lo, exec_lo, s52
	s_mov_b32 s87, 0
	s_mov_b32 s84, 0
	s_mov_b32 s83, 0
                                        ; implicit-def: $vgpr32_vgpr33
                                        ; implicit-def: $vgpr20
	s_and_saveexec_b32 s88, s4
	s_cbranch_execz .LBB186_285
; %bb.122:                              ;   in Loop: Header=BB186_18 Depth=1
	v_mov_b64_e32 v[32:33], 1
	v_mov_b32_e32 v20, 1
	s_xor_b32 s4, s89, -1
	s_mov_b32 s9, 0
	s_and_saveexec_b32 s8, s4
	s_cbranch_execz .LBB186_131
; %bb.123:                              ;   in Loop: Header=BB186_18 Depth=1
	s_mov_b32 s4, exec_lo
	v_cmpx_ge_u64_e64 s[10:11], v[30:31]
	s_xor_b32 s4, exec_lo, s4
	s_cbranch_execz .LBB186_128
; %bb.124:                              ;   in Loop: Header=BB186_18 Depth=1
	ds_load_b64 v[4:5], v21 offset:5120
	v_and_b32_e32 v15, s15, v15
	v_and_b32_e32 v14, s14, v14
	v_or_b32_e32 v13, s13, v13
	v_or_b32_e32 v12, s12, v12
	s_wait_dscnt 0x0
	v_cmp_ne_u64_e32 vcc_lo, 0, v[4:5]
	s_cbranch_vccnz .LBB186_128
; %bb.125:                              ;   in Loop: Header=BB186_18 Depth=1
	s_and_saveexec_b32 s9, s5
; %bb.126:                              ;   in Loop: Header=BB186_18 Depth=1
	v_mov_b64_e32 v[4:5], s[10:11]
	ds_store_b64 v21, v[4:5] offset:5128
; %bb.127:                              ;   in Loop: Header=BB186_18 Depth=1
	s_or_b32 exec_lo, exec_lo, s9
	s_wait_dscnt 0x0
	s_barrier_signal -1
	s_barrier_wait -1
.LBB186_128:                            ;   in Loop: Header=BB186_18 Depth=1
	s_or_saveexec_b32 s4, s4
	v_mov_b64_e32 v[32:33], v[30:31]
	v_mov_b32_e32 v20, 8
	s_mov_b32 s9, 0
	s_xor_b32 exec_lo, exec_lo, s4
; %bb.129:                              ;   in Loop: Header=BB186_18 Depth=1
	v_sub_nc_u64_e64 v[32:33], v[30:31], s[10:11]
	v_mov_b32_e32 v20, 0
	s_mov_b32 s9, exec_lo
; %bb.130:                              ;   in Loop: Header=BB186_18 Depth=1
	s_or_b32 exec_lo, exec_lo, s4
	s_delay_alu instid0(SALU_CYCLE_1)
	s_and_b32 s9, s9, exec_lo
.LBB186_131:                            ;   in Loop: Header=BB186_18 Depth=1
	s_or_b32 exec_lo, exec_lo, s8
	s_mov_b32 s4, -1
                                        ; implicit-def: $sgpr84
                                        ; implicit-def: $sgpr89
	s_and_saveexec_b32 s8, s9
	s_delay_alu instid0(SALU_CYCLE_1)
	s_xor_b32 s83, exec_lo, s8
	s_cbranch_execz .LBB186_282
; %bb.132:                              ;   in Loop: Header=BB186_18 Depth=1
	v_cmp_eq_u64_e32 vcc_lo, 1, v[32:33]
	s_cmp_eq_u64 s[16:17], 1
                                        ; implicit-def: $sgpr89
                                        ; implicit-def: $sgpr84
	s_cselect_b32 s4, -1, 0
	s_delay_alu instid0(SALU_CYCLE_1)
	s_and_b32 s91, s4, vcc_lo
	s_mov_b32 s4, -1
	s_and_saveexec_b32 s52, s91
	s_cbranch_execz .LBB186_168
; %bb.133:                              ;   in Loop: Header=BB186_18 Depth=1
	ds_load_b64 v[4:5], v21 offset:5120
	s_wait_dscnt 0x0
	s_barrier_signal -1
	s_barrier_wait -1
	v_readfirstlane_b32 s8, v4
	v_readfirstlane_b32 s9, v5
	s_and_saveexec_b32 s4, s6
; %bb.134:                              ;   in Loop: Header=BB186_18 Depth=1
	ds_store_b64 v39, v[26:27]
; %bb.135:                              ;   in Loop: Header=BB186_18 Depth=1
	s_or_b32 exec_lo, exec_lo, s4
	v_and_b32_e32 v2, s15, v15
	v_and_b32_e32 v4, s14, v14
	s_lshl_b64 s[22:23], 1, s104
	v_or_b32_e32 v13, s13, v13
	v_or_b32_e32 v12, s12, v12
	;; [unrolled: 1-line block ×4, first 2 shown]
	s_mov_b32 s84, -1
	s_mov_b32 s89, 0
	s_cmp_eq_u64 s[8:9], 0
	s_mov_b32 s24, 0
	s_mov_b32 s25, -1
	s_wait_dscnt 0x0
	s_barrier_signal -1
	s_barrier_wait -1
                                        ; implicit-def: $vgpr10_vgpr11
	s_cbranch_scc1 .LBB186_152
; %bb.136:                              ;   in Loop: Header=BB186_18 Depth=1
	s_add_nc_u64 s[22:23], s[8:9], s[74:75]
	s_delay_alu instid0(SALU_CYCLE_1) | instskip(NEXT) | instid1(SALU_CYCLE_1)
	s_and_b64 s[24:25], s[22:23], 0xffffffff00000000
	s_cmp_lg_u64 s[24:25], 0
	s_cbranch_scc0 .LBB186_195
; %bb.137:                              ;   in Loop: Header=BB186_18 Depth=1
	s_cvt_f32_u32 s4, s34
	s_sub_nc_u64 s[54:55], 0, s[34:35]
	s_delay_alu instid0(SALU_CYCLE_2) | instskip(NEXT) | instid1(SALU_CYCLE_3)
	s_fmamk_f32 s4, s64, 0x0, s4
	v_s_rcp_f32 s4, s4
	s_delay_alu instid0(TRANS32_DEP_1) | instskip(NEXT) | instid1(SALU_CYCLE_3)
	s_mul_f32 s4, s4, 0x5f7ffffc
	s_mul_f32 s24, s4, 0x2f800000
	s_delay_alu instid0(SALU_CYCLE_3) | instskip(NEXT) | instid1(SALU_CYCLE_3)
	s_trunc_f32 s24, s24
	s_fmamk_f32 s4, s24, 0xcf800000, s4
	s_cvt_u32_f32 s25, s24
	s_delay_alu instid0(SALU_CYCLE_2) | instskip(NEXT) | instid1(SALU_CYCLE_3)
	s_cvt_u32_f32 s24, s4
	s_mul_u64 s[60:61], s[54:55], s[24:25]
	s_delay_alu instid0(SALU_CYCLE_1)
	s_mul_hi_u32 s93, s24, s61
	s_mul_i32 s92, s24, s61
	s_mul_hi_u32 s26, s24, s60
	s_mul_i32 s40, s25, s60
	s_add_nc_u64 s[92:93], s[26:27], s[92:93]
	s_mul_hi_u32 s4, s25, s60
	s_mul_hi_u32 s41, s25, s61
	s_add_co_u32 s26, s92, s40
	s_add_co_ci_u32 s26, s93, s4
	s_mul_i32 s60, s25, s61
	s_add_co_ci_u32 s61, s41, 0
	s_delay_alu instid0(SALU_CYCLE_1) | instskip(NEXT) | instid1(SALU_CYCLE_1)
	s_add_nc_u64 s[60:61], s[26:27], s[60:61]
	s_add_co_u32 s24, s24, s60
	s_cselect_b32 s4, -1, 0
	s_delay_alu instid0(SALU_CYCLE_1) | instskip(SKIP_1) | instid1(SALU_CYCLE_1)
	s_cmp_lg_u32 s4, 0
	s_add_co_ci_u32 s25, s25, s61
	s_mul_u64 s[54:55], s[54:55], s[24:25]
	s_delay_alu instid0(SALU_CYCLE_1)
	s_mul_hi_u32 s61, s24, s55
	s_mul_i32 s60, s24, s55
	s_mul_hi_u32 s26, s24, s54
	s_mul_i32 s40, s25, s54
	s_add_nc_u64 s[60:61], s[26:27], s[60:61]
	s_mul_hi_u32 s4, s25, s54
	s_mul_hi_u32 s41, s25, s55
	s_add_co_u32 s26, s60, s40
	s_add_co_ci_u32 s26, s61, s4
	s_mul_i32 s54, s25, s55
	s_add_co_ci_u32 s55, s41, 0
	s_delay_alu instid0(SALU_CYCLE_1) | instskip(NEXT) | instid1(SALU_CYCLE_1)
	s_add_nc_u64 s[54:55], s[26:27], s[54:55]
	s_add_co_u32 s4, s24, s54
	s_cselect_b32 s24, -1, 0
	s_mul_hi_u32 s26, s22, s4
	s_cmp_lg_u32 s24, 0
	s_mul_hi_u32 s40, s23, s4
	s_add_co_ci_u32 s41, s25, s55
	s_mul_i32 s4, s23, s4
	s_mul_hi_u32 s25, s22, s41
	s_mul_i32 s24, s22, s41
	s_mul_hi_u32 s42, s23, s41
	s_add_nc_u64 s[24:25], s[26:27], s[24:25]
	s_mul_i32 s54, s23, s41
	s_add_co_u32 s4, s24, s4
	s_add_co_ci_u32 s26, s25, s40
	s_add_co_ci_u32 s55, s42, 0
	s_delay_alu instid0(SALU_CYCLE_1) | instskip(NEXT) | instid1(SALU_CYCLE_1)
	s_add_nc_u64 s[24:25], s[26:27], s[54:55]
	s_and_b64 s[54:55], s[24:25], 0xffffffff00000000
	s_delay_alu instid0(SALU_CYCLE_1) | instskip(NEXT) | instid1(SALU_CYCLE_1)
	s_or_b32 s54, s54, s24
	s_mul_u64 s[24:25], s[34:35], s[54:55]
	s_delay_alu instid0(SALU_CYCLE_1) | instskip(SKIP_1) | instid1(SALU_CYCLE_1)
	s_sub_co_u32 s4, s22, s24
	s_cselect_b32 s24, -1, 0
	s_cmp_lg_u32 s24, 0
	s_sub_co_ci_u32 s24, s23, s25
	s_sub_co_u32 s25, s4, s34
	s_cselect_b32 s26, -1, 0
	s_delay_alu instid0(SALU_CYCLE_1) | instskip(SKIP_3) | instid1(SALU_CYCLE_1)
	s_cmp_lg_u32 s26, 0
	s_sub_co_ci_u32 s26, s24, 0
	s_sub_co_u32 s40, s25, s34
	s_cselect_b32 s41, -1, 0
	s_cmp_lg_u32 s41, 0
	s_sub_co_ci_u32 s41, s26, 0
	s_cmp_ge_u32 s25, s34
	s_cselect_b32 s42, -1, 0
	s_cmp_eq_u32 s26, 0
	s_cselect_b32 s42, s42, -1
	s_delay_alu instid0(SALU_CYCLE_1)
	s_cmp_lg_u32 s42, 0
	s_cselect_b32 s26, s41, s26
	s_cselect_b32 s40, s40, s25
	s_cmp_ge_u32 s4, s34
	s_cselect_b32 s25, -1, 0
	s_cmp_eq_u32 s24, 0
	s_cselect_b32 s25, s25, -1
	s_delay_alu instid0(SALU_CYCLE_1)
	s_cmp_lg_u32 s25, 0
	s_cselect_b32 s25, s26, s24
	s_cselect_b32 s24, s40, s4
	s_cbranch_execnz .LBB186_139
.LBB186_138:                            ;   in Loop: Header=BB186_18 Depth=1
	v_cvt_f32_u32_e32 v2, s34
	s_sub_co_i32 s24, 0, s34
	s_delay_alu instid0(VALU_DEP_1) | instskip(SKIP_1) | instid1(TRANS32_DEP_1)
	v_rcp_iflag_f32_e32 v2, v2
	v_nop
	v_mul_f32_e32 v2, 0x4f7ffffe, v2
	s_delay_alu instid0(VALU_DEP_1) | instskip(NEXT) | instid1(VALU_DEP_1)
	v_cvt_u32_f32_e32 v2, v2
	v_readfirstlane_b32 s4, v2
	s_mul_i32 s24, s24, s4
	s_delay_alu instid0(SALU_CYCLE_1) | instskip(NEXT) | instid1(SALU_CYCLE_1)
	s_mul_hi_u32 s24, s4, s24
	s_add_co_i32 s4, s4, s24
	s_delay_alu instid0(SALU_CYCLE_1) | instskip(NEXT) | instid1(SALU_CYCLE_1)
	s_mul_hi_u32 s4, s22, s4
	s_mul_i32 s4, s4, s34
	s_delay_alu instid0(SALU_CYCLE_1) | instskip(NEXT) | instid1(SALU_CYCLE_1)
	s_sub_co_i32 s4, s22, s4
	s_sub_co_i32 s24, s4, s34
	s_cmp_ge_u32 s4, s34
	s_cselect_b32 s4, s24, s4
	s_delay_alu instid0(SALU_CYCLE_1) | instskip(SKIP_2) | instid1(SALU_CYCLE_1)
	s_sub_co_i32 s24, s4, s34
	s_cmp_ge_u32 s4, s34
	s_cselect_b32 s26, s24, s4
	s_mov_b64 s[24:25], s[26:27]
.LBB186_139:                            ;   in Loop: Header=BB186_18 Depth=1
	s_delay_alu instid0(SALU_CYCLE_1)
	s_sub_nc_u64 s[22:23], s[22:23], s[24:25]
	s_mov_b32 s25, 0
	s_mov_b32 s24, 0
	s_mov_b32 s26, exec_lo
                                        ; implicit-def: $vgpr10_vgpr11
	v_cmpx_gt_u64_e64 s[22:23], v[0:1]
	s_cbranch_execz .LBB186_151
; %bb.140:                              ;   in Loop: Header=BB186_18 Depth=1
	v_mov_b64_e32 v[34:35], v[0:1]
	v_mov_b32_e32 v36, v38
                                        ; implicit-def: $sgpr53
	s_branch .LBB186_144
.LBB186_141:                            ;   in Loop: Header=BB186_144 Depth=2
	s_or_b32 exec_lo, exec_lo, s4
	s_wait_dscnt 0x0
	s_barrier_signal -1
	s_barrier_wait -1
	ds_load_b128 v[8:11], v21 offset:3072
	s_wait_dscnt 0x0
	s_barrier_signal -1
	s_barrier_wait -1
	v_cmp_neq_f64_e32 vcc_lo, 0, v[8:9]
	s_cbranch_vccnz .LBB186_147
; %bb.142:                              ;   in Loop: Header=BB186_144 Depth=2
	v_add_nc_u64_e32 v[34:35], s[34:35], v[34:35]
	v_add_nc_u32_e32 v36, s103, v36
	s_mov_b32 s4, 0
	s_delay_alu instid0(VALU_DEP_2)
	v_cmp_le_u64_e32 vcc_lo, s[22:23], v[34:35]
	s_or_not1_b32 s54, vcc_lo, exec_lo
.LBB186_143:                            ;   in Loop: Header=BB186_144 Depth=2
	s_delay_alu instid0(SALU_CYCLE_1) | instskip(NEXT) | instid1(SALU_CYCLE_1)
	s_and_b32 s40, exec_lo, s54
	s_or_b32 s24, s40, s24
	s_and_not1_b32 s40, s53, exec_lo
	s_and_b32 s4, s4, exec_lo
	s_delay_alu instid0(SALU_CYCLE_1)
	s_or_b32 s53, s40, s4
	s_and_not1_b32 exec_lo, exec_lo, s24
	s_cbranch_execz .LBB186_150
.LBB186_144:                            ;   Parent Loop BB186_18 Depth=1
                                        ; =>  This Inner Loop Header: Depth=2
	s_mov_b32 s4, exec_lo
	s_delay_alu instid0(VALU_DEP_2)
	v_cmpx_gt_u64_e64 s[8:9], v[34:35]
	s_cbranch_execz .LBB186_141
; %bb.145:                              ;   in Loop: Header=BB186_144 Depth=2
	ds_load_b64 v[4:5], v36
	s_wait_dscnt 0x0
	v_cmp_o_f64_e32 vcc_lo, v[4:5], v[4:5]
	v_ashrrev_i32_e32 v2, 31, v5
	s_delay_alu instid0(VALU_DEP_1) | instskip(NEXT) | instid1(VALU_DEP_1)
	v_or_b32_e32 v8, 0x80000000, v2
	v_xor_b32_e32 v8, v8, v5
	v_xor_b32_e32 v2, v2, v4
	s_delay_alu instid0(VALU_DEP_1) | instskip(NEXT) | instid1(VALU_DEP_1)
	v_dual_cndmask_b32 v8, -1, v8, vcc_lo :: v_dual_cndmask_b32 v2, -1, v2, vcc_lo
	v_and_b32_e32 v9, v8, v13
	s_delay_alu instid0(VALU_DEP_2) | instskip(NEXT) | instid1(VALU_DEP_1)
	v_and_b32_e32 v8, v2, v12
	v_cmp_eq_u64_e32 vcc_lo, v[8:9], v[14:15]
	s_and_b32 exec_lo, exec_lo, vcc_lo
	s_cbranch_execz .LBB186_141
; %bb.146:                              ;   in Loop: Header=BB186_144 Depth=2
	v_mov_b32_e32 v2, v21
	ds_store_b128 v21, v[2:5] offset:3072
	s_branch .LBB186_141
.LBB186_147:                            ;   in Loop: Header=BB186_144 Depth=2
	s_mov_b32 s54, -1
	s_mov_b32 s4, -1
                                        ; implicit-def: $vgpr34_vgpr35
                                        ; implicit-def: $vgpr36
	s_branch .LBB186_143
.LBB186_148:                            ;   in Loop: Header=BB186_18 Depth=1
                                        ; implicit-def: $sgpr24_sgpr25
	s_branch .LBB186_90
.LBB186_149:                            ;   in Loop: Header=BB186_18 Depth=1
                                        ; implicit-def: $sgpr8_sgpr9
	s_branch .LBB186_108
.LBB186_150:                            ;   in Loop: Header=BB186_18 Depth=1
	s_or_b32 exec_lo, exec_lo, s24
	s_delay_alu instid0(SALU_CYCLE_1)
	s_and_b32 s24, s53, exec_lo
.LBB186_151:                            ;   in Loop: Header=BB186_18 Depth=1
	s_or_b32 exec_lo, exec_lo, s26
.LBB186_152:                            ;   in Loop: Header=BB186_18 Depth=1
	s_delay_alu instid0(SALU_CYCLE_1)
	s_and_b32 vcc_lo, exec_lo, s25
	s_cbranch_vccz .LBB186_167
; %bb.153:                              ;   in Loop: Header=BB186_18 Depth=1
	s_and_b64 s[8:9], s[76:77], 0xffffffff00000000
	s_delay_alu instid0(SALU_CYCLE_1)
	s_cmp_lg_u64 s[8:9], 0
	s_cbranch_scc0 .LBB186_196
; %bb.154:                              ;   in Loop: Header=BB186_18 Depth=1
	s_cvt_f32_u32 s4, s34
	s_sub_nc_u64 s[22:23], 0, s[34:35]
	s_delay_alu instid0(SALU_CYCLE_2) | instskip(NEXT) | instid1(SALU_CYCLE_3)
	s_fmamk_f32 s4, s64, 0x0, s4
	v_s_rcp_f32 s4, s4
	s_delay_alu instid0(TRANS32_DEP_1) | instskip(NEXT) | instid1(SALU_CYCLE_3)
	s_mul_f32 s4, s4, 0x5f7ffffc
	s_mul_f32 s8, s4, 0x2f800000
	s_delay_alu instid0(SALU_CYCLE_3) | instskip(NEXT) | instid1(SALU_CYCLE_3)
	s_trunc_f32 s8, s8
	s_fmamk_f32 s4, s8, 0xcf800000, s4
	s_cvt_u32_f32 s9, s8
	s_delay_alu instid0(SALU_CYCLE_2) | instskip(NEXT) | instid1(SALU_CYCLE_3)
	s_cvt_u32_f32 s8, s4
	s_mul_u64 s[54:55], s[22:23], s[8:9]
	s_delay_alu instid0(SALU_CYCLE_1)
	s_mul_hi_u32 s61, s8, s55
	s_mul_i32 s60, s8, s55
	s_mul_hi_u32 s26, s8, s54
	s_mul_i32 s25, s9, s54
	s_add_nc_u64 s[60:61], s[26:27], s[60:61]
	s_mul_hi_u32 s4, s9, s54
	s_mul_hi_u32 s40, s9, s55
	s_add_co_u32 s25, s60, s25
	s_add_co_ci_u32 s26, s61, s4
	s_mul_i32 s54, s9, s55
	s_add_co_ci_u32 s55, s40, 0
	s_delay_alu instid0(SALU_CYCLE_1) | instskip(NEXT) | instid1(SALU_CYCLE_1)
	s_add_nc_u64 s[54:55], s[26:27], s[54:55]
	s_add_co_u32 s8, s8, s54
	s_cselect_b32 s4, -1, 0
	s_delay_alu instid0(SALU_CYCLE_1) | instskip(SKIP_1) | instid1(SALU_CYCLE_1)
	s_cmp_lg_u32 s4, 0
	s_add_co_ci_u32 s9, s9, s55
	s_mul_u64 s[22:23], s[22:23], s[8:9]
	s_delay_alu instid0(SALU_CYCLE_1)
	s_mul_hi_u32 s55, s8, s23
	s_mul_i32 s54, s8, s23
	s_mul_hi_u32 s26, s8, s22
	s_mul_i32 s25, s9, s22
	s_add_nc_u64 s[54:55], s[26:27], s[54:55]
	s_mul_hi_u32 s4, s9, s22
	s_mul_hi_u32 s40, s9, s23
	s_mul_i32 s22, s9, s23
	s_add_co_u32 s23, s54, s25
	s_add_co_ci_u32 s26, s55, s4
	s_add_co_ci_u32 s23, s40, 0
	s_delay_alu instid0(SALU_CYCLE_1) | instskip(NEXT) | instid1(SALU_CYCLE_1)
	s_add_nc_u64 s[22:23], s[26:27], s[22:23]
	s_add_co_u32 s4, s8, s22
	s_cselect_b32 s8, -1, 0
	s_mul_hi_u32 s26, s76, s4
	s_cmp_lg_u32 s8, 0
	s_mul_hi_u32 s25, s77, s4
	s_add_co_ci_u32 s22, s9, s23
	s_mul_i32 s4, s77, s4
	s_mul_hi_u32 s9, s76, s22
	s_mul_i32 s8, s76, s22
	s_mul_hi_u32 s23, s77, s22
	s_add_nc_u64 s[8:9], s[26:27], s[8:9]
	s_mul_i32 s22, s77, s22
	s_add_co_u32 s4, s8, s4
	s_add_co_ci_u32 s26, s9, s25
	s_add_co_ci_u32 s23, s23, 0
	s_delay_alu instid0(SALU_CYCLE_1) | instskip(NEXT) | instid1(SALU_CYCLE_1)
	s_add_nc_u64 s[8:9], s[26:27], s[22:23]
	s_and_b64 s[22:23], s[8:9], 0xffffffff00000000
	s_delay_alu instid0(SALU_CYCLE_1) | instskip(NEXT) | instid1(SALU_CYCLE_1)
	s_or_b32 s22, s22, s8
	s_mul_u64 s[8:9], s[34:35], s[22:23]
	s_delay_alu instid0(SALU_CYCLE_1) | instskip(SKIP_1) | instid1(SALU_CYCLE_1)
	s_sub_co_u32 s4, s76, s8
	s_cselect_b32 s8, -1, 0
	s_cmp_lg_u32 s8, 0
	s_sub_co_ci_u32 s8, s77, s9
	s_sub_co_u32 s9, s4, s34
	s_cselect_b32 s22, -1, 0
	s_delay_alu instid0(SALU_CYCLE_1) | instskip(SKIP_3) | instid1(SALU_CYCLE_1)
	s_cmp_lg_u32 s22, 0
	s_sub_co_ci_u32 s22, s8, 0
	s_sub_co_u32 s23, s9, s34
	s_cselect_b32 s25, -1, 0
	s_cmp_lg_u32 s25, 0
	s_sub_co_ci_u32 s25, s22, 0
	s_cmp_ge_u32 s9, s34
	s_cselect_b32 s26, -1, 0
	s_cmp_eq_u32 s22, 0
	s_cselect_b32 s26, s26, -1
	s_delay_alu instid0(SALU_CYCLE_1)
	s_cmp_lg_u32 s26, 0
	s_cselect_b32 s22, s25, s22
	s_cselect_b32 s23, s23, s9
	s_cmp_ge_u32 s4, s34
	s_cselect_b32 s9, -1, 0
	s_cmp_eq_u32 s8, 0
	s_cselect_b32 s9, s9, -1
	s_delay_alu instid0(SALU_CYCLE_1)
	s_cmp_lg_u32 s9, 0
	s_cselect_b32 s9, s22, s8
	s_cselect_b32 s8, s23, s4
	s_cbranch_execnz .LBB186_156
.LBB186_155:                            ;   in Loop: Header=BB186_18 Depth=1
	v_cvt_f32_u32_e32 v2, s34
	s_sub_co_i32 s8, 0, s34
	s_delay_alu instid0(VALU_DEP_1) | instskip(SKIP_1) | instid1(TRANS32_DEP_1)
	v_rcp_iflag_f32_e32 v2, v2
	v_nop
	v_mul_f32_e32 v2, 0x4f7ffffe, v2
	s_delay_alu instid0(VALU_DEP_1) | instskip(NEXT) | instid1(VALU_DEP_1)
	v_cvt_u32_f32_e32 v2, v2
	v_readfirstlane_b32 s4, v2
	s_mul_i32 s8, s8, s4
	s_delay_alu instid0(SALU_CYCLE_1) | instskip(NEXT) | instid1(SALU_CYCLE_1)
	s_mul_hi_u32 s8, s4, s8
	s_add_co_i32 s4, s4, s8
	s_delay_alu instid0(SALU_CYCLE_1) | instskip(NEXT) | instid1(SALU_CYCLE_1)
	s_mul_hi_u32 s4, s76, s4
	s_mul_i32 s4, s4, s34
	s_delay_alu instid0(SALU_CYCLE_1) | instskip(NEXT) | instid1(SALU_CYCLE_1)
	s_sub_co_i32 s4, s76, s4
	s_sub_co_i32 s8, s4, s34
	s_cmp_ge_u32 s4, s34
	s_cselect_b32 s4, s8, s4
	s_delay_alu instid0(SALU_CYCLE_1) | instskip(SKIP_2) | instid1(SALU_CYCLE_1)
	s_sub_co_i32 s8, s4, s34
	s_cmp_ge_u32 s4, s34
	s_cselect_b32 s26, s8, s4
	s_mov_b64 s[8:9], s[26:27]
.LBB186_156:                            ;   in Loop: Header=BB186_18 Depth=1
	s_delay_alu instid0(SALU_CYCLE_1)
	s_sub_nc_u64 s[8:9], s[76:77], s[8:9]
	s_mov_b32 s22, exec_lo
                                        ; implicit-def: $vgpr10_vgpr11
	v_cmpx_gt_u64_e64 s[8:9], v[0:1]
	s_cbranch_execz .LBB186_166
; %bb.157:                              ;   in Loop: Header=BB186_18 Depth=1
	v_mov_b64_e32 v[34:35], v[0:1]
	s_mov_b32 s4, 0
                                        ; implicit-def: $sgpr23
	s_branch .LBB186_161
.LBB186_158:                            ;   in Loop: Header=BB186_161 Depth=2
	s_or_b32 exec_lo, exec_lo, s25
	s_wait_dscnt 0x0
	s_barrier_signal -1
	s_barrier_wait -1
	ds_load_b128 v[8:11], v21 offset:3072
	s_wait_dscnt 0x0
	s_barrier_signal -1
	s_barrier_wait -1
	v_cmp_eq_f64_e32 vcc_lo, 0, v[8:9]
	s_cbranch_vccz .LBB186_164
; %bb.159:                              ;   in Loop: Header=BB186_161 Depth=2
	v_add_nc_u64_e32 v[34:35], s[34:35], v[34:35]
	s_mov_b32 s25, 0
	s_delay_alu instid0(VALU_DEP_1)
	v_cmp_le_u64_e32 vcc_lo, s[8:9], v[34:35]
	s_or_not1_b32 s26, vcc_lo, exec_lo
.LBB186_160:                            ;   in Loop: Header=BB186_161 Depth=2
	s_delay_alu instid0(SALU_CYCLE_1) | instskip(NEXT) | instid1(SALU_CYCLE_1)
	s_and_b32 s26, exec_lo, s26
	s_or_b32 s4, s26, s4
	s_and_not1_b32 s23, s23, exec_lo
	s_and_b32 s25, s25, exec_lo
	s_delay_alu instid0(SALU_CYCLE_1)
	s_or_b32 s23, s23, s25
	s_and_not1_b32 exec_lo, exec_lo, s4
	s_cbranch_execz .LBB186_165
.LBB186_161:                            ;   Parent Loop BB186_18 Depth=1
                                        ; =>  This Inner Loop Header: Depth=2
	s_mov_b32 s25, exec_lo
	s_delay_alu instid0(VALU_DEP_1)
	v_cmpx_gt_u64_e64 s[36:37], v[34:35]
	s_cbranch_execz .LBB186_158
; %bb.162:                              ;   in Loop: Header=BB186_161 Depth=2
	v_mul_u64_e32 v[4:5], s[30:31], v[34:35]
	s_delay_alu instid0(VALU_DEP_1) | instskip(SKIP_4) | instid1(VALU_DEP_1)
	v_lshl_add_u64 v[4:5], v[4:5], 3, s[28:29]
	global_load_b64 v[4:5], v[4:5], off
	s_wait_loadcnt 0x0
	v_cmp_o_f64_e32 vcc_lo, v[4:5], v[4:5]
	v_ashrrev_i32_e32 v2, 31, v5
	v_or_b32_e32 v8, 0x80000000, v2
	s_delay_alu instid0(VALU_DEP_1) | instskip(SKIP_1) | instid1(VALU_DEP_1)
	v_xor_b32_e32 v8, v8, v5
	v_xor_b32_e32 v2, v2, v4
	v_dual_cndmask_b32 v8, -1, v8, vcc_lo :: v_dual_cndmask_b32 v2, -1, v2, vcc_lo
	s_delay_alu instid0(VALU_DEP_1) | instskip(NEXT) | instid1(VALU_DEP_2)
	v_and_b32_e32 v9, v8, v13
	v_and_b32_e32 v8, v2, v12
	s_delay_alu instid0(VALU_DEP_1)
	v_cmp_eq_u64_e32 vcc_lo, v[8:9], v[14:15]
	s_and_b32 exec_lo, exec_lo, vcc_lo
	s_cbranch_execz .LBB186_158
; %bb.163:                              ;   in Loop: Header=BB186_161 Depth=2
	v_mov_b32_e32 v2, v21
	ds_store_b128 v21, v[2:5] offset:3072
	s_branch .LBB186_158
.LBB186_164:                            ;   in Loop: Header=BB186_161 Depth=2
	s_mov_b32 s26, -1
	s_mov_b32 s25, -1
                                        ; implicit-def: $vgpr34_vgpr35
	s_branch .LBB186_160
.LBB186_165:                            ;   in Loop: Header=BB186_18 Depth=1
	s_or_b32 exec_lo, exec_lo, s4
	s_delay_alu instid0(SALU_CYCLE_1) | instskip(SKIP_1) | instid1(SALU_CYCLE_1)
	s_and_not1_b32 s4, s24, exec_lo
	s_and_b32 s8, s23, exec_lo
	s_or_b32 s24, s4, s8
.LBB186_166:                            ;   in Loop: Header=BB186_18 Depth=1
	s_or_b32 exec_lo, exec_lo, s22
	s_mov_b32 s84, 0
	s_mov_b32 s89, -1
.LBB186_167:                            ;   in Loop: Header=BB186_18 Depth=1
	s_or_not1_b32 s4, s24, exec_lo
.LBB186_168:                            ;   in Loop: Header=BB186_18 Depth=1
	s_or_b32 exec_lo, exec_lo, s52
	s_mov_b32 s8, 0
	s_and_saveexec_b32 s90, s4
	s_cbranch_execz .LBB186_281
; %bb.169:                              ;   in Loop: Header=BB186_18 Depth=1
	v_mov_b64_e32 v[34:35], 1
	v_mov_b32_e32 v20, 1
	s_xor_b32 s4, s91, -1
	s_mov_b32 s9, 0
	s_and_saveexec_b32 s8, s4
	s_cbranch_execz .LBB186_178
; %bb.170:                              ;   in Loop: Header=BB186_18 Depth=1
	s_mov_b32 s4, exec_lo
	v_cmpx_ge_u64_e64 s[16:17], v[32:33]
	s_xor_b32 s4, exec_lo, s4
	s_cbranch_execz .LBB186_175
; %bb.171:                              ;   in Loop: Header=BB186_18 Depth=1
	ds_load_b64 v[4:5], v21 offset:5120
	v_and_b32_e32 v2, s15, v15
	v_and_b32_e32 v8, s14, v14
	s_lshl_b64 s[22:23], 1, s104
	v_or_b32_e32 v13, s13, v13
	v_or_b32_e32 v12, s12, v12
	;; [unrolled: 1-line block ×4, first 2 shown]
	s_wait_dscnt 0x0
	v_cmp_ne_u64_e32 vcc_lo, 0, v[4:5]
	s_cbranch_vccnz .LBB186_175
; %bb.172:                              ;   in Loop: Header=BB186_18 Depth=1
	s_and_saveexec_b32 s9, s5
; %bb.173:                              ;   in Loop: Header=BB186_18 Depth=1
	v_mov_b64_e32 v[4:5], s[16:17]
	ds_store_b64 v21, v[4:5] offset:5128
; %bb.174:                              ;   in Loop: Header=BB186_18 Depth=1
	s_or_b32 exec_lo, exec_lo, s9
	s_wait_dscnt 0x0
	s_barrier_signal -1
	s_barrier_wait -1
.LBB186_175:                            ;   in Loop: Header=BB186_18 Depth=1
	s_or_saveexec_b32 s4, s4
	v_mov_b32_e32 v20, 8
	s_mov_b32 s9, 0
	s_xor_b32 exec_lo, exec_lo, s4
; %bb.176:                              ;   in Loop: Header=BB186_18 Depth=1
	v_sub_nc_u64_e64 v[32:33], v[32:33], s[16:17]
	v_mov_b32_e32 v20, 0
	s_mov_b32 s9, exec_lo
; %bb.177:                              ;   in Loop: Header=BB186_18 Depth=1
	s_or_b32 exec_lo, exec_lo, s4
	s_delay_alu instid0(VALU_DEP_2)
	v_mov_b64_e32 v[34:35], v[32:33]
	s_and_b32 s9, s9, exec_lo
.LBB186_178:                            ;   in Loop: Header=BB186_18 Depth=1
	s_or_b32 exec_lo, exec_lo, s8
	s_mov_b32 s4, -1
                                        ; implicit-def: $sgpr92
                                        ; implicit-def: $sgpr93
	s_and_saveexec_b32 s91, s9
	s_cbranch_execz .LBB186_280
; %bb.179:                              ;   in Loop: Header=BB186_18 Depth=1
	s_delay_alu instid0(VALU_DEP_1) | instskip(SKIP_2) | instid1(SALU_CYCLE_1)
	v_cmp_eq_u64_e32 vcc_lo, 1, v[34:35]
	s_cmp_eq_u64 s[18:19], 1
                                        ; implicit-def: $sgpr93
                                        ; implicit-def: $sgpr92
	s_cselect_b32 s4, -1, 0
	s_and_b32 s95, s4, vcc_lo
	s_mov_b32 s4, -1
	s_and_saveexec_b32 s52, s95
	s_cbranch_execz .LBB186_215
; %bb.180:                              ;   in Loop: Header=BB186_18 Depth=1
	ds_load_b64 v[4:5], v21 offset:5120
	s_wait_dscnt 0x0
	s_barrier_signal -1
	s_barrier_wait -1
	v_readfirstlane_b32 s8, v4
	v_readfirstlane_b32 s9, v5
	s_and_saveexec_b32 s4, s6
; %bb.181:                              ;   in Loop: Header=BB186_18 Depth=1
	ds_store_b64 v39, v[26:27]
; %bb.182:                              ;   in Loop: Header=BB186_18 Depth=1
	s_or_b32 exec_lo, exec_lo, s4
	v_and_b32_e32 v2, s15, v15
	v_and_b32_e32 v4, s14, v14
	s_lshl_b64 s[22:23], 2, s104
	v_or_b32_e32 v13, s13, v13
	v_or_b32_e32 v12, s12, v12
	;; [unrolled: 1-line block ×4, first 2 shown]
	s_mov_b32 s92, -1
	s_mov_b32 s93, 0
	s_cmp_eq_u64 s[8:9], 0
	s_mov_b32 s24, 0
	s_mov_b32 s25, -1
	s_wait_dscnt 0x0
	s_barrier_signal -1
	s_barrier_wait -1
                                        ; implicit-def: $vgpr10_vgpr11
	s_cbranch_scc1 .LBB186_199
; %bb.183:                              ;   in Loop: Header=BB186_18 Depth=1
	s_add_nc_u64 s[22:23], s[8:9], s[74:75]
	s_mov_b32 s43, s46
	s_and_b64 s[24:25], s[22:23], 0xffffffff00000000
	s_mov_b64 s[46:47], s[44:45]
	s_mov_b64 s[44:45], s[68:69]
	s_cmp_lg_u64 s[24:25], 0
	s_cbranch_scc0 .LBB186_232
; %bb.184:                              ;   in Loop: Header=BB186_18 Depth=1
	s_cvt_f32_u32 s4, s34
	s_sub_nc_u64 s[54:55], 0, s[34:35]
	s_delay_alu instid0(SALU_CYCLE_2) | instskip(NEXT) | instid1(SALU_CYCLE_3)
	s_fmamk_f32 s4, s64, 0x0, s4
	v_s_rcp_f32 s4, s4
	s_delay_alu instid0(TRANS32_DEP_1) | instskip(NEXT) | instid1(SALU_CYCLE_3)
	s_mul_f32 s4, s4, 0x5f7ffffc
	s_mul_f32 s24, s4, 0x2f800000
	s_delay_alu instid0(SALU_CYCLE_3) | instskip(NEXT) | instid1(SALU_CYCLE_3)
	s_trunc_f32 s24, s24
	s_fmamk_f32 s4, s24, 0xcf800000, s4
	s_cvt_u32_f32 s25, s24
	s_delay_alu instid0(SALU_CYCLE_2) | instskip(NEXT) | instid1(SALU_CYCLE_3)
	s_cvt_u32_f32 s24, s4
	s_mul_u64 s[60:61], s[54:55], s[24:25]
	s_delay_alu instid0(SALU_CYCLE_1)
	s_mul_hi_u32 s69, s24, s61
	s_mul_i32 s68, s24, s61
	s_mul_hi_u32 s26, s24, s60
	s_mul_i32 s40, s25, s60
	s_add_nc_u64 s[68:69], s[26:27], s[68:69]
	s_mul_hi_u32 s4, s25, s60
	s_mul_hi_u32 s41, s25, s61
	s_add_co_u32 s26, s68, s40
	s_add_co_ci_u32 s26, s69, s4
	s_mul_i32 s60, s25, s61
	s_add_co_ci_u32 s61, s41, 0
	s_delay_alu instid0(SALU_CYCLE_1) | instskip(NEXT) | instid1(SALU_CYCLE_1)
	s_add_nc_u64 s[60:61], s[26:27], s[60:61]
	s_add_co_u32 s24, s24, s60
	s_cselect_b32 s4, -1, 0
	s_delay_alu instid0(SALU_CYCLE_1) | instskip(SKIP_1) | instid1(SALU_CYCLE_1)
	s_cmp_lg_u32 s4, 0
	s_add_co_ci_u32 s25, s25, s61
	s_mul_u64 s[54:55], s[54:55], s[24:25]
	s_delay_alu instid0(SALU_CYCLE_1)
	s_mul_hi_u32 s61, s24, s55
	s_mul_i32 s60, s24, s55
	s_mul_hi_u32 s26, s24, s54
	s_mul_i32 s40, s25, s54
	s_add_nc_u64 s[60:61], s[26:27], s[60:61]
	s_mul_hi_u32 s4, s25, s54
	s_mul_hi_u32 s41, s25, s55
	s_add_co_u32 s26, s60, s40
	s_add_co_ci_u32 s26, s61, s4
	s_mul_i32 s54, s25, s55
	s_add_co_ci_u32 s55, s41, 0
	s_delay_alu instid0(SALU_CYCLE_1) | instskip(NEXT) | instid1(SALU_CYCLE_1)
	s_add_nc_u64 s[54:55], s[26:27], s[54:55]
	s_add_co_u32 s4, s24, s54
	s_cselect_b32 s24, -1, 0
	s_mul_hi_u32 s26, s22, s4
	s_cmp_lg_u32 s24, 0
	s_mul_hi_u32 s40, s23, s4
	s_add_co_ci_u32 s41, s25, s55
	s_mul_i32 s4, s23, s4
	s_mul_hi_u32 s25, s22, s41
	s_mul_i32 s24, s22, s41
	s_mul_hi_u32 s42, s23, s41
	s_add_nc_u64 s[24:25], s[26:27], s[24:25]
	s_mul_i32 s54, s23, s41
	s_add_co_u32 s4, s24, s4
	s_add_co_ci_u32 s26, s25, s40
	s_add_co_ci_u32 s55, s42, 0
	s_delay_alu instid0(SALU_CYCLE_1) | instskip(NEXT) | instid1(SALU_CYCLE_1)
	s_add_nc_u64 s[24:25], s[26:27], s[54:55]
	s_and_b64 s[54:55], s[24:25], 0xffffffff00000000
	s_delay_alu instid0(SALU_CYCLE_1) | instskip(NEXT) | instid1(SALU_CYCLE_1)
	s_or_b32 s54, s54, s24
	s_mul_u64 s[24:25], s[34:35], s[54:55]
	s_delay_alu instid0(SALU_CYCLE_1) | instskip(SKIP_1) | instid1(SALU_CYCLE_1)
	s_sub_co_u32 s4, s22, s24
	s_cselect_b32 s24, -1, 0
	s_cmp_lg_u32 s24, 0
	s_sub_co_ci_u32 s24, s23, s25
	s_sub_co_u32 s25, s4, s34
	s_cselect_b32 s26, -1, 0
	s_delay_alu instid0(SALU_CYCLE_1) | instskip(SKIP_3) | instid1(SALU_CYCLE_1)
	s_cmp_lg_u32 s26, 0
	s_sub_co_ci_u32 s26, s24, 0
	s_sub_co_u32 s40, s25, s34
	s_cselect_b32 s41, -1, 0
	s_cmp_lg_u32 s41, 0
	s_sub_co_ci_u32 s41, s26, 0
	s_cmp_ge_u32 s25, s34
	s_cselect_b32 s42, -1, 0
	s_cmp_eq_u32 s26, 0
	s_cselect_b32 s42, s42, -1
	s_delay_alu instid0(SALU_CYCLE_1)
	s_cmp_lg_u32 s42, 0
	s_cselect_b32 s26, s41, s26
	s_cselect_b32 s40, s40, s25
	s_cmp_ge_u32 s4, s34
	s_cselect_b32 s25, -1, 0
	s_cmp_eq_u32 s24, 0
	s_cselect_b32 s25, s25, -1
	s_delay_alu instid0(SALU_CYCLE_1)
	s_cmp_lg_u32 s25, 0
	s_cselect_b32 s25, s26, s24
	s_cselect_b32 s24, s40, s4
	s_cbranch_execnz .LBB186_186
.LBB186_185:                            ;   in Loop: Header=BB186_18 Depth=1
	v_cvt_f32_u32_e32 v2, s34
	s_sub_co_i32 s24, 0, s34
	s_delay_alu instid0(VALU_DEP_1) | instskip(SKIP_1) | instid1(TRANS32_DEP_1)
	v_rcp_iflag_f32_e32 v2, v2
	v_nop
	v_mul_f32_e32 v2, 0x4f7ffffe, v2
	s_delay_alu instid0(VALU_DEP_1) | instskip(NEXT) | instid1(VALU_DEP_1)
	v_cvt_u32_f32_e32 v2, v2
	v_readfirstlane_b32 s4, v2
	s_mul_i32 s24, s24, s4
	s_delay_alu instid0(SALU_CYCLE_1) | instskip(NEXT) | instid1(SALU_CYCLE_1)
	s_mul_hi_u32 s24, s4, s24
	s_add_co_i32 s4, s4, s24
	s_delay_alu instid0(SALU_CYCLE_1) | instskip(NEXT) | instid1(SALU_CYCLE_1)
	s_mul_hi_u32 s4, s22, s4
	s_mul_i32 s4, s4, s34
	s_delay_alu instid0(SALU_CYCLE_1) | instskip(NEXT) | instid1(SALU_CYCLE_1)
	s_sub_co_i32 s4, s22, s4
	s_sub_co_i32 s24, s4, s34
	s_cmp_ge_u32 s4, s34
	s_cselect_b32 s4, s24, s4
	s_delay_alu instid0(SALU_CYCLE_1) | instskip(SKIP_2) | instid1(SALU_CYCLE_1)
	s_sub_co_i32 s24, s4, s34
	s_cmp_ge_u32 s4, s34
	s_cselect_b32 s26, s24, s4
	s_mov_b64 s[24:25], s[26:27]
.LBB186_186:                            ;   in Loop: Header=BB186_18 Depth=1
	s_delay_alu instid0(SALU_CYCLE_1)
	s_sub_nc_u64 s[22:23], s[22:23], s[24:25]
	s_mov_b32 s25, 0
	s_mov_b32 s24, 0
	s_mov_b32 s26, exec_lo
                                        ; implicit-def: $vgpr10_vgpr11
	v_cmpx_gt_u64_e64 s[22:23], v[0:1]
	s_mov_b64 s[68:69], s[44:45]
	s_mov_b64 s[44:45], s[46:47]
	s_mov_b32 s46, s43
	s_cbranch_execz .LBB186_198
; %bb.187:                              ;   in Loop: Header=BB186_18 Depth=1
	v_mov_b64_e32 v[32:33], v[0:1]
	v_mov_b32_e32 v36, v38
                                        ; implicit-def: $sgpr53
	s_branch .LBB186_191
.LBB186_188:                            ;   in Loop: Header=BB186_191 Depth=2
	s_or_b32 exec_lo, exec_lo, s4
	s_wait_dscnt 0x0
	s_barrier_signal -1
	s_barrier_wait -1
	ds_load_b128 v[8:11], v21 offset:3072
	s_wait_dscnt 0x0
	s_barrier_signal -1
	s_barrier_wait -1
	v_cmp_neq_f64_e32 vcc_lo, 0, v[8:9]
	s_cbranch_vccnz .LBB186_194
; %bb.189:                              ;   in Loop: Header=BB186_191 Depth=2
	v_add_nc_u64_e32 v[32:33], s[34:35], v[32:33]
	v_add_nc_u32_e32 v36, s103, v36
	s_mov_b32 s4, 0
	s_delay_alu instid0(VALU_DEP_2)
	v_cmp_le_u64_e32 vcc_lo, s[22:23], v[32:33]
	s_or_not1_b32 s54, vcc_lo, exec_lo
.LBB186_190:                            ;   in Loop: Header=BB186_191 Depth=2
	s_delay_alu instid0(SALU_CYCLE_1) | instskip(NEXT) | instid1(SALU_CYCLE_1)
	s_and_b32 s40, exec_lo, s54
	s_or_b32 s24, s40, s24
	s_and_not1_b32 s40, s53, exec_lo
	s_and_b32 s4, s4, exec_lo
	s_delay_alu instid0(SALU_CYCLE_1)
	s_or_b32 s53, s40, s4
	s_and_not1_b32 exec_lo, exec_lo, s24
	s_cbranch_execz .LBB186_197
.LBB186_191:                            ;   Parent Loop BB186_18 Depth=1
                                        ; =>  This Inner Loop Header: Depth=2
	s_mov_b32 s4, exec_lo
	s_delay_alu instid0(VALU_DEP_2)
	v_cmpx_gt_u64_e64 s[8:9], v[32:33]
	s_cbranch_execz .LBB186_188
; %bb.192:                              ;   in Loop: Header=BB186_191 Depth=2
	ds_load_b64 v[4:5], v36
	s_wait_dscnt 0x0
	v_cmp_o_f64_e32 vcc_lo, v[4:5], v[4:5]
	v_ashrrev_i32_e32 v2, 31, v5
	s_delay_alu instid0(VALU_DEP_1) | instskip(NEXT) | instid1(VALU_DEP_1)
	v_or_b32_e32 v8, 0x80000000, v2
	v_xor_b32_e32 v8, v8, v5
	v_xor_b32_e32 v2, v2, v4
	s_delay_alu instid0(VALU_DEP_1) | instskip(NEXT) | instid1(VALU_DEP_1)
	v_dual_cndmask_b32 v8, -1, v8, vcc_lo :: v_dual_cndmask_b32 v2, -1, v2, vcc_lo
	v_and_b32_e32 v9, v8, v13
	s_delay_alu instid0(VALU_DEP_2) | instskip(NEXT) | instid1(VALU_DEP_1)
	v_and_b32_e32 v8, v2, v12
	v_cmp_eq_u64_e32 vcc_lo, v[8:9], v[14:15]
	s_and_b32 exec_lo, exec_lo, vcc_lo
	s_cbranch_execz .LBB186_188
; %bb.193:                              ;   in Loop: Header=BB186_191 Depth=2
	v_mov_b32_e32 v2, v21
	ds_store_b128 v21, v[2:5] offset:3072
	s_branch .LBB186_188
.LBB186_194:                            ;   in Loop: Header=BB186_191 Depth=2
	s_mov_b32 s54, -1
	s_mov_b32 s4, -1
                                        ; implicit-def: $vgpr32_vgpr33
                                        ; implicit-def: $vgpr36
	s_branch .LBB186_190
.LBB186_195:                            ;   in Loop: Header=BB186_18 Depth=1
                                        ; implicit-def: $sgpr24_sgpr25
	s_branch .LBB186_138
.LBB186_196:                            ;   in Loop: Header=BB186_18 Depth=1
                                        ; implicit-def: $sgpr8_sgpr9
	s_branch .LBB186_155
.LBB186_197:                            ;   in Loop: Header=BB186_18 Depth=1
	s_or_b32 exec_lo, exec_lo, s24
	s_delay_alu instid0(SALU_CYCLE_1)
	s_and_b32 s24, s53, exec_lo
.LBB186_198:                            ;   in Loop: Header=BB186_18 Depth=1
	s_or_b32 exec_lo, exec_lo, s26
.LBB186_199:                            ;   in Loop: Header=BB186_18 Depth=1
	s_delay_alu instid0(SALU_CYCLE_1)
	s_and_b32 vcc_lo, exec_lo, s25
	s_cbranch_vccz .LBB186_214
; %bb.200:                              ;   in Loop: Header=BB186_18 Depth=1
	s_and_b64 s[8:9], s[76:77], 0xffffffff00000000
	s_delay_alu instid0(SALU_CYCLE_1)
	s_cmp_lg_u64 s[8:9], 0
	s_cbranch_scc0 .LBB186_233
; %bb.201:                              ;   in Loop: Header=BB186_18 Depth=1
	s_cvt_f32_u32 s4, s34
	s_sub_nc_u64 s[22:23], 0, s[34:35]
	s_delay_alu instid0(SALU_CYCLE_2) | instskip(NEXT) | instid1(SALU_CYCLE_3)
	s_fmamk_f32 s4, s64, 0x0, s4
	v_s_rcp_f32 s4, s4
	s_delay_alu instid0(TRANS32_DEP_1) | instskip(NEXT) | instid1(SALU_CYCLE_3)
	s_mul_f32 s4, s4, 0x5f7ffffc
	s_mul_f32 s8, s4, 0x2f800000
	s_delay_alu instid0(SALU_CYCLE_3) | instskip(NEXT) | instid1(SALU_CYCLE_3)
	s_trunc_f32 s8, s8
	s_fmamk_f32 s4, s8, 0xcf800000, s4
	s_cvt_u32_f32 s9, s8
	s_delay_alu instid0(SALU_CYCLE_2) | instskip(NEXT) | instid1(SALU_CYCLE_3)
	s_cvt_u32_f32 s8, s4
	s_mul_u64 s[54:55], s[22:23], s[8:9]
	s_delay_alu instid0(SALU_CYCLE_1)
	s_mul_hi_u32 s61, s8, s55
	s_mul_i32 s60, s8, s55
	s_mul_hi_u32 s26, s8, s54
	s_mul_i32 s25, s9, s54
	s_add_nc_u64 s[60:61], s[26:27], s[60:61]
	s_mul_hi_u32 s4, s9, s54
	s_mul_hi_u32 s40, s9, s55
	s_add_co_u32 s25, s60, s25
	s_add_co_ci_u32 s26, s61, s4
	s_mul_i32 s54, s9, s55
	s_add_co_ci_u32 s55, s40, 0
	s_delay_alu instid0(SALU_CYCLE_1) | instskip(NEXT) | instid1(SALU_CYCLE_1)
	s_add_nc_u64 s[54:55], s[26:27], s[54:55]
	s_add_co_u32 s8, s8, s54
	s_cselect_b32 s4, -1, 0
	s_delay_alu instid0(SALU_CYCLE_1) | instskip(SKIP_1) | instid1(SALU_CYCLE_1)
	s_cmp_lg_u32 s4, 0
	s_add_co_ci_u32 s9, s9, s55
	s_mul_u64 s[22:23], s[22:23], s[8:9]
	s_delay_alu instid0(SALU_CYCLE_1)
	s_mul_hi_u32 s55, s8, s23
	s_mul_i32 s54, s8, s23
	s_mul_hi_u32 s26, s8, s22
	s_mul_i32 s25, s9, s22
	s_add_nc_u64 s[54:55], s[26:27], s[54:55]
	s_mul_hi_u32 s4, s9, s22
	s_mul_hi_u32 s40, s9, s23
	s_mul_i32 s22, s9, s23
	s_add_co_u32 s23, s54, s25
	s_add_co_ci_u32 s26, s55, s4
	s_add_co_ci_u32 s23, s40, 0
	s_delay_alu instid0(SALU_CYCLE_1) | instskip(NEXT) | instid1(SALU_CYCLE_1)
	s_add_nc_u64 s[22:23], s[26:27], s[22:23]
	s_add_co_u32 s4, s8, s22
	s_cselect_b32 s8, -1, 0
	s_mul_hi_u32 s26, s76, s4
	s_cmp_lg_u32 s8, 0
	s_mul_hi_u32 s25, s77, s4
	s_add_co_ci_u32 s22, s9, s23
	s_mul_i32 s4, s77, s4
	s_mul_hi_u32 s9, s76, s22
	s_mul_i32 s8, s76, s22
	s_mul_hi_u32 s23, s77, s22
	s_add_nc_u64 s[8:9], s[26:27], s[8:9]
	s_mul_i32 s22, s77, s22
	s_add_co_u32 s4, s8, s4
	s_add_co_ci_u32 s26, s9, s25
	s_add_co_ci_u32 s23, s23, 0
	s_delay_alu instid0(SALU_CYCLE_1) | instskip(NEXT) | instid1(SALU_CYCLE_1)
	s_add_nc_u64 s[8:9], s[26:27], s[22:23]
	s_and_b64 s[22:23], s[8:9], 0xffffffff00000000
	s_delay_alu instid0(SALU_CYCLE_1) | instskip(NEXT) | instid1(SALU_CYCLE_1)
	s_or_b32 s22, s22, s8
	s_mul_u64 s[8:9], s[34:35], s[22:23]
	s_delay_alu instid0(SALU_CYCLE_1) | instskip(SKIP_1) | instid1(SALU_CYCLE_1)
	s_sub_co_u32 s4, s76, s8
	s_cselect_b32 s8, -1, 0
	s_cmp_lg_u32 s8, 0
	s_sub_co_ci_u32 s8, s77, s9
	s_sub_co_u32 s9, s4, s34
	s_cselect_b32 s22, -1, 0
	s_delay_alu instid0(SALU_CYCLE_1) | instskip(SKIP_3) | instid1(SALU_CYCLE_1)
	s_cmp_lg_u32 s22, 0
	s_sub_co_ci_u32 s22, s8, 0
	s_sub_co_u32 s23, s9, s34
	s_cselect_b32 s25, -1, 0
	s_cmp_lg_u32 s25, 0
	s_sub_co_ci_u32 s25, s22, 0
	s_cmp_ge_u32 s9, s34
	s_cselect_b32 s26, -1, 0
	s_cmp_eq_u32 s22, 0
	s_cselect_b32 s26, s26, -1
	s_delay_alu instid0(SALU_CYCLE_1)
	s_cmp_lg_u32 s26, 0
	s_cselect_b32 s22, s25, s22
	s_cselect_b32 s23, s23, s9
	s_cmp_ge_u32 s4, s34
	s_cselect_b32 s9, -1, 0
	s_cmp_eq_u32 s8, 0
	s_cselect_b32 s9, s9, -1
	s_delay_alu instid0(SALU_CYCLE_1)
	s_cmp_lg_u32 s9, 0
	s_cselect_b32 s9, s22, s8
	s_cselect_b32 s8, s23, s4
	s_cbranch_execnz .LBB186_203
.LBB186_202:                            ;   in Loop: Header=BB186_18 Depth=1
	v_cvt_f32_u32_e32 v2, s34
	s_sub_co_i32 s8, 0, s34
	s_delay_alu instid0(VALU_DEP_1) | instskip(SKIP_1) | instid1(TRANS32_DEP_1)
	v_rcp_iflag_f32_e32 v2, v2
	v_nop
	v_mul_f32_e32 v2, 0x4f7ffffe, v2
	s_delay_alu instid0(VALU_DEP_1) | instskip(NEXT) | instid1(VALU_DEP_1)
	v_cvt_u32_f32_e32 v2, v2
	v_readfirstlane_b32 s4, v2
	s_mul_i32 s8, s8, s4
	s_delay_alu instid0(SALU_CYCLE_1) | instskip(NEXT) | instid1(SALU_CYCLE_1)
	s_mul_hi_u32 s8, s4, s8
	s_add_co_i32 s4, s4, s8
	s_delay_alu instid0(SALU_CYCLE_1) | instskip(NEXT) | instid1(SALU_CYCLE_1)
	s_mul_hi_u32 s4, s76, s4
	s_mul_i32 s4, s4, s34
	s_delay_alu instid0(SALU_CYCLE_1) | instskip(NEXT) | instid1(SALU_CYCLE_1)
	s_sub_co_i32 s4, s76, s4
	s_sub_co_i32 s8, s4, s34
	s_cmp_ge_u32 s4, s34
	s_cselect_b32 s4, s8, s4
	s_delay_alu instid0(SALU_CYCLE_1) | instskip(SKIP_2) | instid1(SALU_CYCLE_1)
	s_sub_co_i32 s8, s4, s34
	s_cmp_ge_u32 s4, s34
	s_cselect_b32 s26, s8, s4
	s_mov_b64 s[8:9], s[26:27]
.LBB186_203:                            ;   in Loop: Header=BB186_18 Depth=1
	s_delay_alu instid0(SALU_CYCLE_1)
	s_sub_nc_u64 s[8:9], s[76:77], s[8:9]
	s_mov_b32 s22, exec_lo
                                        ; implicit-def: $vgpr10_vgpr11
	v_cmpx_gt_u64_e64 s[8:9], v[0:1]
	s_cbranch_execz .LBB186_213
; %bb.204:                              ;   in Loop: Header=BB186_18 Depth=1
	v_mov_b64_e32 v[32:33], v[0:1]
	s_mov_b32 s4, 0
                                        ; implicit-def: $sgpr23
	s_branch .LBB186_208
.LBB186_205:                            ;   in Loop: Header=BB186_208 Depth=2
	s_or_b32 exec_lo, exec_lo, s25
	s_wait_dscnt 0x0
	s_barrier_signal -1
	s_barrier_wait -1
	ds_load_b128 v[8:11], v21 offset:3072
	s_wait_dscnt 0x0
	s_barrier_signal -1
	s_barrier_wait -1
	v_cmp_eq_f64_e32 vcc_lo, 0, v[8:9]
	s_cbranch_vccz .LBB186_211
; %bb.206:                              ;   in Loop: Header=BB186_208 Depth=2
	v_add_nc_u64_e32 v[32:33], s[34:35], v[32:33]
	s_mov_b32 s25, 0
	s_delay_alu instid0(VALU_DEP_1)
	v_cmp_le_u64_e32 vcc_lo, s[8:9], v[32:33]
	s_or_not1_b32 s26, vcc_lo, exec_lo
.LBB186_207:                            ;   in Loop: Header=BB186_208 Depth=2
	s_delay_alu instid0(SALU_CYCLE_1) | instskip(NEXT) | instid1(SALU_CYCLE_1)
	s_and_b32 s26, exec_lo, s26
	s_or_b32 s4, s26, s4
	s_and_not1_b32 s23, s23, exec_lo
	s_and_b32 s25, s25, exec_lo
	s_delay_alu instid0(SALU_CYCLE_1)
	s_or_b32 s23, s23, s25
	s_and_not1_b32 exec_lo, exec_lo, s4
	s_cbranch_execz .LBB186_212
.LBB186_208:                            ;   Parent Loop BB186_18 Depth=1
                                        ; =>  This Inner Loop Header: Depth=2
	s_mov_b32 s25, exec_lo
	s_delay_alu instid0(VALU_DEP_1)
	v_cmpx_gt_u64_e64 s[36:37], v[32:33]
	s_cbranch_execz .LBB186_205
; %bb.209:                              ;   in Loop: Header=BB186_208 Depth=2
	v_mul_u64_e32 v[4:5], s[30:31], v[32:33]
	s_delay_alu instid0(VALU_DEP_1) | instskip(SKIP_4) | instid1(VALU_DEP_1)
	v_lshl_add_u64 v[4:5], v[4:5], 3, s[28:29]
	global_load_b64 v[4:5], v[4:5], off
	s_wait_loadcnt 0x0
	v_cmp_o_f64_e32 vcc_lo, v[4:5], v[4:5]
	v_ashrrev_i32_e32 v2, 31, v5
	v_or_b32_e32 v8, 0x80000000, v2
	s_delay_alu instid0(VALU_DEP_1) | instskip(SKIP_1) | instid1(VALU_DEP_1)
	v_xor_b32_e32 v8, v8, v5
	v_xor_b32_e32 v2, v2, v4
	v_dual_cndmask_b32 v8, -1, v8, vcc_lo :: v_dual_cndmask_b32 v2, -1, v2, vcc_lo
	s_delay_alu instid0(VALU_DEP_1) | instskip(NEXT) | instid1(VALU_DEP_2)
	v_and_b32_e32 v9, v8, v13
	v_and_b32_e32 v8, v2, v12
	s_delay_alu instid0(VALU_DEP_1)
	v_cmp_eq_u64_e32 vcc_lo, v[8:9], v[14:15]
	s_and_b32 exec_lo, exec_lo, vcc_lo
	s_cbranch_execz .LBB186_205
; %bb.210:                              ;   in Loop: Header=BB186_208 Depth=2
	v_mov_b32_e32 v2, v21
	ds_store_b128 v21, v[2:5] offset:3072
	s_branch .LBB186_205
.LBB186_211:                            ;   in Loop: Header=BB186_208 Depth=2
	s_mov_b32 s26, -1
	s_mov_b32 s25, -1
                                        ; implicit-def: $vgpr32_vgpr33
	s_branch .LBB186_207
.LBB186_212:                            ;   in Loop: Header=BB186_18 Depth=1
	s_or_b32 exec_lo, exec_lo, s4
	s_delay_alu instid0(SALU_CYCLE_1) | instskip(SKIP_1) | instid1(SALU_CYCLE_1)
	s_and_not1_b32 s4, s24, exec_lo
	s_and_b32 s8, s23, exec_lo
	s_or_b32 s24, s4, s8
.LBB186_213:                            ;   in Loop: Header=BB186_18 Depth=1
	s_or_b32 exec_lo, exec_lo, s22
	s_mov_b32 s92, 0
	s_mov_b32 s93, -1
.LBB186_214:                            ;   in Loop: Header=BB186_18 Depth=1
	s_or_not1_b32 s4, s24, exec_lo
.LBB186_215:                            ;   in Loop: Header=BB186_18 Depth=1
	s_or_b32 exec_lo, exec_lo, s52
	s_mov_b32 s8, 0
	s_and_saveexec_b32 s94, s4
	s_cbranch_execz .LBB186_279
; %bb.216:                              ;   in Loop: Header=BB186_18 Depth=1
	v_mov_b64_e32 v[32:33], 1
	v_mov_b32_e32 v20, 1
	s_xor_b32 s4, s95, -1
	s_mov_b32 s9, 0
	s_and_saveexec_b32 s8, s4
	s_cbranch_execz .LBB186_225
; %bb.217:                              ;   in Loop: Header=BB186_18 Depth=1
	s_mov_b32 s4, exec_lo
	v_cmpx_ge_u64_e64 s[18:19], v[34:35]
	s_xor_b32 s4, exec_lo, s4
	s_cbranch_execz .LBB186_222
; %bb.218:                              ;   in Loop: Header=BB186_18 Depth=1
	ds_load_b64 v[4:5], v21 offset:5120
	v_and_b32_e32 v2, s15, v15
	v_and_b32_e32 v8, s14, v14
	s_lshl_b64 s[22:23], 2, s104
	v_or_b32_e32 v13, s13, v13
	v_or_b32_e32 v12, s12, v12
	;; [unrolled: 1-line block ×4, first 2 shown]
	s_wait_dscnt 0x0
	v_cmp_ne_u64_e32 vcc_lo, 0, v[4:5]
	s_cbranch_vccnz .LBB186_222
; %bb.219:                              ;   in Loop: Header=BB186_18 Depth=1
	s_and_saveexec_b32 s9, s5
; %bb.220:                              ;   in Loop: Header=BB186_18 Depth=1
	v_mov_b64_e32 v[4:5], s[18:19]
	ds_store_b64 v21, v[4:5] offset:5128
; %bb.221:                              ;   in Loop: Header=BB186_18 Depth=1
	s_or_b32 exec_lo, exec_lo, s9
	s_wait_dscnt 0x0
	s_barrier_signal -1
	s_barrier_wait -1
.LBB186_222:                            ;   in Loop: Header=BB186_18 Depth=1
	s_or_saveexec_b32 s4, s4
	v_mov_b32_e32 v20, 8
	s_mov_b32 s9, 0
	s_xor_b32 exec_lo, exec_lo, s4
; %bb.223:                              ;   in Loop: Header=BB186_18 Depth=1
	v_sub_nc_u64_e64 v[34:35], v[34:35], s[18:19]
	v_mov_b32_e32 v20, 0
	s_mov_b32 s9, exec_lo
; %bb.224:                              ;   in Loop: Header=BB186_18 Depth=1
	s_or_b32 exec_lo, exec_lo, s4
	s_delay_alu instid0(VALU_DEP_2)
	v_mov_b64_e32 v[32:33], v[34:35]
	s_and_b32 s9, s9, exec_lo
.LBB186_225:                            ;   in Loop: Header=BB186_18 Depth=1
	s_or_b32 exec_lo, exec_lo, s8
	s_mov_b32 s4, -1
                                        ; implicit-def: $sgpr55
                                        ; implicit-def: $sgpr54
	s_and_saveexec_b32 s95, s9
	s_cbranch_execz .LBB186_278
; %bb.226:                              ;   in Loop: Header=BB186_18 Depth=1
	s_delay_alu instid0(VALU_DEP_1) | instskip(SKIP_2) | instid1(SALU_CYCLE_1)
	v_cmp_eq_u64_e32 vcc_lo, 1, v[32:33]
	s_cmp_eq_u64 s[20:21], 1
                                        ; implicit-def: $sgpr55
                                        ; implicit-def: $sgpr54
	s_cselect_b32 s4, -1, 0
	s_and_b32 s52, s4, vcc_lo
	s_mov_b32 s4, -1
	s_and_saveexec_b32 s53, s52
	s_cbranch_execz .LBB186_266
; %bb.227:                              ;   in Loop: Header=BB186_18 Depth=1
	ds_load_b64 v[4:5], v21 offset:5120
	s_wait_dscnt 0x0
	s_barrier_signal -1
	s_barrier_wait -1
	v_readfirstlane_b32 s8, v4
	v_readfirstlane_b32 s9, v5
	s_and_saveexec_b32 s4, s6
; %bb.228:                              ;   in Loop: Header=BB186_18 Depth=1
	ds_store_b64 v39, v[26:27]
; %bb.229:                              ;   in Loop: Header=BB186_18 Depth=1
	s_or_b32 exec_lo, exec_lo, s4
	v_or_b32_e32 v15, s13, v15
	v_or_b32_e32 v14, s12, v14
	;; [unrolled: 1-line block ×4, first 2 shown]
	s_mov_b32 s54, -1
	s_mov_b32 s55, 0
	s_cmp_eq_u64 s[8:9], 0
	s_mov_b32 s24, 0
	s_mov_b32 s25, -1
	s_wait_dscnt 0x0
	s_barrier_signal -1
	s_barrier_wait -1
                                        ; implicit-def: $vgpr10_vgpr11
	s_cbranch_scc1 .LBB186_248
; %bb.230:                              ;   in Loop: Header=BB186_18 Depth=1
	v_writelane_b32 v56, s62, 8
	s_add_nc_u64 s[22:23], s[8:9], s[74:75]
	s_delay_alu instid0(SALU_CYCLE_1) | instskip(NEXT) | instid1(SALU_CYCLE_1)
	s_and_b64 s[24:25], s[22:23], 0xffffffff00000000
	s_cmp_lg_u64 s[24:25], 0
	v_writelane_b32 v56, s63, 9
	s_mov_b64 s[62:63], s[58:59]
	s_mov_b32 s58, s46
	s_mov_b64 s[46:47], s[44:45]
	s_mov_b64 s[44:45], s[68:69]
	s_cbranch_scc0 .LBB186_234
; %bb.231:                              ;   in Loop: Header=BB186_18 Depth=1
	s_cvt_f32_u32 s4, s34
	s_sub_nc_u64 s[60:61], 0, s[34:35]
	s_delay_alu instid0(SALU_CYCLE_2) | instskip(NEXT) | instid1(SALU_CYCLE_3)
	s_fmamk_f32 s4, s64, 0x0, s4
	v_s_rcp_f32 s4, s4
	s_delay_alu instid0(TRANS32_DEP_1) | instskip(NEXT) | instid1(SALU_CYCLE_3)
	s_mul_f32 s4, s4, 0x5f7ffffc
	s_mul_f32 s24, s4, 0x2f800000
	s_delay_alu instid0(SALU_CYCLE_3) | instskip(NEXT) | instid1(SALU_CYCLE_3)
	s_trunc_f32 s24, s24
	s_fmamk_f32 s4, s24, 0xcf800000, s4
	s_cvt_u32_f32 s25, s24
	s_delay_alu instid0(SALU_CYCLE_2) | instskip(NEXT) | instid1(SALU_CYCLE_3)
	s_cvt_u32_f32 s24, s4
	s_mul_u64 s[68:69], s[60:61], s[24:25]
	s_delay_alu instid0(SALU_CYCLE_1)
	s_mul_hi_u32 s41, s24, s69
	s_mul_i32 s40, s24, s69
	s_mul_hi_u32 s26, s24, s68
	s_mul_i32 s43, s25, s68
	s_add_nc_u64 s[40:41], s[26:27], s[40:41]
	s_mul_hi_u32 s4, s25, s68
	s_mul_hi_u32 s68, s25, s69
	s_add_co_u32 s26, s40, s43
	s_add_co_ci_u32 s26, s41, s4
	s_mul_i32 s42, s25, s69
	s_add_co_ci_u32 s43, s68, 0
	s_delay_alu instid0(SALU_CYCLE_1) | instskip(NEXT) | instid1(SALU_CYCLE_1)
	s_add_nc_u64 s[40:41], s[26:27], s[42:43]
	s_add_co_u32 s24, s24, s40
	s_cselect_b32 s4, -1, 0
	s_delay_alu instid0(SALU_CYCLE_1) | instskip(SKIP_1) | instid1(SALU_CYCLE_1)
	s_cmp_lg_u32 s4, 0
	s_add_co_ci_u32 s25, s25, s41
	s_mul_u64 s[40:41], s[60:61], s[24:25]
	s_delay_alu instid0(SALU_CYCLE_1)
	s_mul_hi_u32 s43, s24, s41
	s_mul_i32 s42, s24, s41
	s_mul_hi_u32 s26, s24, s40
	s_mul_i32 s60, s25, s40
	s_add_nc_u64 s[42:43], s[26:27], s[42:43]
	s_mul_hi_u32 s4, s25, s40
	s_mul_hi_u32 s61, s25, s41
	s_add_co_u32 s26, s42, s60
	s_add_co_ci_u32 s26, s43, s4
	s_mul_i32 s40, s25, s41
	s_add_co_ci_u32 s41, s61, 0
	s_delay_alu instid0(SALU_CYCLE_1) | instskip(NEXT) | instid1(SALU_CYCLE_1)
	s_add_nc_u64 s[40:41], s[26:27], s[40:41]
	s_add_co_u32 s4, s24, s40
	s_cselect_b32 s24, -1, 0
	s_mul_hi_u32 s26, s22, s4
	s_cmp_lg_u32 s24, 0
	s_mul_hi_u32 s42, s23, s4
	s_add_co_ci_u32 s40, s25, s41
	s_mul_i32 s4, s23, s4
	s_mul_hi_u32 s25, s22, s40
	s_mul_i32 s24, s22, s40
	s_mul_hi_u32 s41, s23, s40
	s_add_nc_u64 s[24:25], s[26:27], s[24:25]
	s_mul_i32 s40, s23, s40
	s_add_co_u32 s4, s24, s4
	s_add_co_ci_u32 s26, s25, s42
	s_add_co_ci_u32 s41, s41, 0
	s_delay_alu instid0(SALU_CYCLE_1) | instskip(NEXT) | instid1(SALU_CYCLE_1)
	s_add_nc_u64 s[24:25], s[26:27], s[40:41]
	s_and_b64 s[40:41], s[24:25], 0xffffffff00000000
	s_delay_alu instid0(SALU_CYCLE_1) | instskip(NEXT) | instid1(SALU_CYCLE_1)
	s_or_b32 s40, s40, s24
	s_mul_u64 s[24:25], s[34:35], s[40:41]
	s_delay_alu instid0(SALU_CYCLE_1) | instskip(SKIP_1) | instid1(SALU_CYCLE_1)
	s_sub_co_u32 s4, s22, s24
	s_cselect_b32 s24, -1, 0
	s_cmp_lg_u32 s24, 0
	s_sub_co_ci_u32 s24, s23, s25
	s_sub_co_u32 s25, s4, s34
	s_cselect_b32 s26, -1, 0
	s_delay_alu instid0(SALU_CYCLE_1) | instskip(SKIP_3) | instid1(SALU_CYCLE_1)
	s_cmp_lg_u32 s26, 0
	s_sub_co_ci_u32 s26, s24, 0
	s_sub_co_u32 s40, s25, s34
	s_cselect_b32 s41, -1, 0
	s_cmp_lg_u32 s41, 0
	s_sub_co_ci_u32 s41, s26, 0
	s_cmp_ge_u32 s25, s34
	s_cselect_b32 s42, -1, 0
	s_cmp_eq_u32 s26, 0
	s_cselect_b32 s42, s42, -1
	s_delay_alu instid0(SALU_CYCLE_1)
	s_cmp_lg_u32 s42, 0
	s_cselect_b32 s26, s41, s26
	s_cselect_b32 s40, s40, s25
	s_cmp_ge_u32 s4, s34
	s_cselect_b32 s25, -1, 0
	s_cmp_eq_u32 s24, 0
	s_cselect_b32 s25, s25, -1
	s_delay_alu instid0(SALU_CYCLE_1)
	s_cmp_lg_u32 s25, 0
	s_cselect_b32 s25, s26, s24
	s_cselect_b32 s24, s40, s4
	s_mov_b32 s4, 0
	s_branch .LBB186_235
.LBB186_232:                            ;   in Loop: Header=BB186_18 Depth=1
                                        ; implicit-def: $sgpr24_sgpr25
	s_branch .LBB186_185
.LBB186_233:                            ;   in Loop: Header=BB186_18 Depth=1
                                        ; implicit-def: $sgpr8_sgpr9
	s_branch .LBB186_202
.LBB186_234:                            ;   in Loop: Header=BB186_18 Depth=1
	s_mov_b32 s4, -1
                                        ; implicit-def: $sgpr24_sgpr25
.LBB186_235:                            ;   in Loop: Header=BB186_18 Depth=1
	s_delay_alu instid0(SALU_CYCLE_1)
	s_and_not1_b32 vcc_lo, exec_lo, s4
	s_cbranch_vccnz .LBB186_237
; %bb.236:                              ;   in Loop: Header=BB186_18 Depth=1
	v_cvt_f32_u32_e32 v2, s34
	s_sub_co_i32 s24, 0, s34
	s_delay_alu instid0(VALU_DEP_1) | instskip(SKIP_1) | instid1(TRANS32_DEP_1)
	v_rcp_iflag_f32_e32 v2, v2
	v_nop
	v_mul_f32_e32 v2, 0x4f7ffffe, v2
	s_delay_alu instid0(VALU_DEP_1) | instskip(NEXT) | instid1(VALU_DEP_1)
	v_cvt_u32_f32_e32 v2, v2
	v_readfirstlane_b32 s4, v2
	s_mul_i32 s24, s24, s4
	s_delay_alu instid0(SALU_CYCLE_1) | instskip(NEXT) | instid1(SALU_CYCLE_1)
	s_mul_hi_u32 s24, s4, s24
	s_add_co_i32 s4, s4, s24
	s_delay_alu instid0(SALU_CYCLE_1) | instskip(NEXT) | instid1(SALU_CYCLE_1)
	s_mul_hi_u32 s4, s22, s4
	s_mul_i32 s4, s4, s34
	s_delay_alu instid0(SALU_CYCLE_1) | instskip(NEXT) | instid1(SALU_CYCLE_1)
	s_sub_co_i32 s4, s22, s4
	s_sub_co_i32 s24, s4, s34
	s_cmp_ge_u32 s4, s34
	s_cselect_b32 s4, s24, s4
	s_delay_alu instid0(SALU_CYCLE_1) | instskip(SKIP_2) | instid1(SALU_CYCLE_1)
	s_sub_co_i32 s24, s4, s34
	s_cmp_ge_u32 s4, s34
	s_cselect_b32 s26, s24, s4
	s_mov_b64 s[24:25], s[26:27]
.LBB186_237:                            ;   in Loop: Header=BB186_18 Depth=1
	s_delay_alu instid0(SALU_CYCLE_1)
	s_sub_nc_u64 s[22:23], s[22:23], s[24:25]
	s_mov_b32 s25, 0
	s_mov_b32 s24, 0
	s_mov_b32 s26, exec_lo
                                        ; implicit-def: $vgpr10_vgpr11
	v_cmpx_gt_u64_e64 s[22:23], v[0:1]
	s_mov_b64 s[68:69], s[44:45]
	s_mov_b64 s[44:45], s[46:47]
	s_mov_b32 s46, s58
	s_mov_b64 s[58:59], s[62:63]
	v_readlane_b32 s62, v56, 8
	v_readlane_b32 s63, v56, 9
	s_cbranch_execz .LBB186_247
; %bb.238:                              ;   in Loop: Header=BB186_18 Depth=1
	v_mov_b64_e32 v[34:35], v[0:1]
	v_mov_b32_e32 v36, v38
                                        ; implicit-def: $sgpr4
	s_branch .LBB186_242
.LBB186_239:                            ;   in Loop: Header=BB186_242 Depth=2
	s_or_b32 exec_lo, exec_lo, s60
	s_wait_dscnt 0x0
	s_barrier_signal -1
	s_barrier_wait -1
	ds_load_b128 v[8:11], v21 offset:3072
	s_wait_dscnt 0x0
	s_barrier_signal -1
	s_barrier_wait -1
	v_cmp_neq_f64_e32 vcc_lo, 0, v[8:9]
	s_cbranch_vccnz .LBB186_245
; %bb.240:                              ;   in Loop: Header=BB186_242 Depth=2
	v_add_nc_u64_e32 v[34:35], s[34:35], v[34:35]
	v_add_nc_u32_e32 v36, s103, v36
	s_mov_b32 s60, 0
	s_delay_alu instid0(VALU_DEP_2)
	v_cmp_le_u64_e32 vcc_lo, s[22:23], v[34:35]
	s_or_not1_b32 s61, vcc_lo, exec_lo
.LBB186_241:                            ;   in Loop: Header=BB186_242 Depth=2
	s_delay_alu instid0(SALU_CYCLE_1) | instskip(NEXT) | instid1(SALU_CYCLE_1)
	s_and_b32 s40, exec_lo, s61
	s_or_b32 s24, s40, s24
	s_and_not1_b32 s4, s4, exec_lo
	s_and_b32 s40, s60, exec_lo
	s_delay_alu instid0(SALU_CYCLE_1)
	s_or_b32 s4, s4, s40
	s_and_not1_b32 exec_lo, exec_lo, s24
	s_cbranch_execz .LBB186_246
.LBB186_242:                            ;   Parent Loop BB186_18 Depth=1
                                        ; =>  This Inner Loop Header: Depth=2
	s_mov_b32 s60, exec_lo
	s_delay_alu instid0(VALU_DEP_2)
	v_cmpx_gt_u64_e64 s[8:9], v[34:35]
	s_cbranch_execz .LBB186_239
; %bb.243:                              ;   in Loop: Header=BB186_242 Depth=2
	ds_load_b64 v[4:5], v36
	s_wait_dscnt 0x0
	v_cmp_o_f64_e32 vcc_lo, v[4:5], v[4:5]
	v_ashrrev_i32_e32 v2, 31, v5
	s_delay_alu instid0(VALU_DEP_1) | instskip(NEXT) | instid1(VALU_DEP_1)
	v_or_b32_e32 v8, 0x80000000, v2
	v_xor_b32_e32 v8, v8, v5
	v_xor_b32_e32 v2, v2, v4
	s_delay_alu instid0(VALU_DEP_1) | instskip(NEXT) | instid1(VALU_DEP_1)
	v_dual_cndmask_b32 v8, -1, v8, vcc_lo :: v_dual_cndmask_b32 v2, -1, v2, vcc_lo
	v_and_b32_e32 v9, v8, v13
	s_delay_alu instid0(VALU_DEP_2) | instskip(NEXT) | instid1(VALU_DEP_1)
	v_and_b32_e32 v8, v2, v12
	v_cmp_eq_u64_e32 vcc_lo, v[8:9], v[14:15]
	s_and_b32 exec_lo, exec_lo, vcc_lo
	s_cbranch_execz .LBB186_239
; %bb.244:                              ;   in Loop: Header=BB186_242 Depth=2
	v_mov_b32_e32 v2, v21
	ds_store_b128 v21, v[2:5] offset:3072
	s_branch .LBB186_239
.LBB186_245:                            ;   in Loop: Header=BB186_242 Depth=2
	s_mov_b32 s61, -1
	s_mov_b32 s60, -1
                                        ; implicit-def: $vgpr34_vgpr35
                                        ; implicit-def: $vgpr36
	s_branch .LBB186_241
.LBB186_246:                            ;   in Loop: Header=BB186_18 Depth=1
	s_or_b32 exec_lo, exec_lo, s24
	s_delay_alu instid0(SALU_CYCLE_1)
	s_and_b32 s24, s4, exec_lo
.LBB186_247:                            ;   in Loop: Header=BB186_18 Depth=1
	s_or_b32 exec_lo, exec_lo, s26
.LBB186_248:                            ;   in Loop: Header=BB186_18 Depth=1
	s_delay_alu instid0(SALU_CYCLE_1)
	s_and_b32 vcc_lo, exec_lo, s25
	s_cbranch_vccz .LBB186_265
; %bb.249:                              ;   in Loop: Header=BB186_18 Depth=1
	s_and_b64 s[8:9], s[76:77], 0xffffffff00000000
	s_delay_alu instid0(SALU_CYCLE_1)
	s_cmp_lg_u64 s[8:9], 0
	s_cbranch_scc0 .LBB186_251
; %bb.250:                              ;   in Loop: Header=BB186_18 Depth=1
	s_cvt_f32_u32 s4, s34
	s_sub_nc_u64 s[22:23], 0, s[34:35]
	s_delay_alu instid0(SALU_CYCLE_2) | instskip(NEXT) | instid1(SALU_CYCLE_3)
	s_fmamk_f32 s4, s64, 0x0, s4
	v_s_rcp_f32 s4, s4
	s_delay_alu instid0(TRANS32_DEP_1) | instskip(NEXT) | instid1(SALU_CYCLE_3)
	s_mul_f32 s4, s4, 0x5f7ffffc
	s_mul_f32 s8, s4, 0x2f800000
	s_delay_alu instid0(SALU_CYCLE_3) | instskip(NEXT) | instid1(SALU_CYCLE_3)
	s_trunc_f32 s8, s8
	s_fmamk_f32 s4, s8, 0xcf800000, s4
	s_cvt_u32_f32 s9, s8
	s_delay_alu instid0(SALU_CYCLE_2) | instskip(NEXT) | instid1(SALU_CYCLE_3)
	s_cvt_u32_f32 s8, s4
	s_mul_u64 s[40:41], s[22:23], s[8:9]
	s_delay_alu instid0(SALU_CYCLE_1)
	s_mul_hi_u32 s43, s8, s41
	s_mul_i32 s42, s8, s41
	s_mul_hi_u32 s26, s8, s40
	s_mul_i32 s25, s9, s40
	s_add_nc_u64 s[42:43], s[26:27], s[42:43]
	s_mul_hi_u32 s4, s9, s40
	s_mul_hi_u32 s54, s9, s41
	s_add_co_u32 s25, s42, s25
	s_add_co_ci_u32 s26, s43, s4
	s_mul_i32 s40, s9, s41
	s_add_co_ci_u32 s41, s54, 0
	s_delay_alu instid0(SALU_CYCLE_1) | instskip(NEXT) | instid1(SALU_CYCLE_1)
	s_add_nc_u64 s[40:41], s[26:27], s[40:41]
	s_add_co_u32 s8, s8, s40
	s_cselect_b32 s4, -1, 0
	s_delay_alu instid0(SALU_CYCLE_1) | instskip(SKIP_1) | instid1(SALU_CYCLE_1)
	s_cmp_lg_u32 s4, 0
	s_add_co_ci_u32 s9, s9, s41
	s_mul_u64 s[22:23], s[22:23], s[8:9]
	s_delay_alu instid0(SALU_CYCLE_1)
	s_mul_hi_u32 s41, s8, s23
	s_mul_i32 s40, s8, s23
	s_mul_hi_u32 s26, s8, s22
	s_mul_i32 s25, s9, s22
	s_add_nc_u64 s[40:41], s[26:27], s[40:41]
	s_mul_hi_u32 s4, s9, s22
	s_mul_hi_u32 s42, s9, s23
	s_mul_i32 s22, s9, s23
	s_add_co_u32 s23, s40, s25
	s_add_co_ci_u32 s26, s41, s4
	s_add_co_ci_u32 s23, s42, 0
	s_delay_alu instid0(SALU_CYCLE_1) | instskip(NEXT) | instid1(SALU_CYCLE_1)
	s_add_nc_u64 s[22:23], s[26:27], s[22:23]
	s_add_co_u32 s4, s8, s22
	s_cselect_b32 s8, -1, 0
	s_mul_hi_u32 s26, s76, s4
	s_cmp_lg_u32 s8, 0
	s_mul_hi_u32 s25, s77, s4
	s_add_co_ci_u32 s22, s9, s23
	s_mul_i32 s4, s77, s4
	s_mul_hi_u32 s9, s76, s22
	s_mul_i32 s8, s76, s22
	s_mul_hi_u32 s23, s77, s22
	s_add_nc_u64 s[8:9], s[26:27], s[8:9]
	s_mul_i32 s22, s77, s22
	s_add_co_u32 s4, s8, s4
	s_add_co_ci_u32 s26, s9, s25
	s_add_co_ci_u32 s23, s23, 0
	s_delay_alu instid0(SALU_CYCLE_1) | instskip(NEXT) | instid1(SALU_CYCLE_1)
	s_add_nc_u64 s[8:9], s[26:27], s[22:23]
	s_and_b64 s[22:23], s[8:9], 0xffffffff00000000
	s_delay_alu instid0(SALU_CYCLE_1) | instskip(NEXT) | instid1(SALU_CYCLE_1)
	s_or_b32 s22, s22, s8
	s_mul_u64 s[8:9], s[34:35], s[22:23]
	s_delay_alu instid0(SALU_CYCLE_1) | instskip(SKIP_1) | instid1(SALU_CYCLE_1)
	s_sub_co_u32 s4, s76, s8
	s_cselect_b32 s8, -1, 0
	s_cmp_lg_u32 s8, 0
	s_sub_co_ci_u32 s8, s77, s9
	s_sub_co_u32 s9, s4, s34
	s_cselect_b32 s22, -1, 0
	s_delay_alu instid0(SALU_CYCLE_1) | instskip(SKIP_3) | instid1(SALU_CYCLE_1)
	s_cmp_lg_u32 s22, 0
	s_sub_co_ci_u32 s22, s8, 0
	s_sub_co_u32 s23, s9, s34
	s_cselect_b32 s25, -1, 0
	s_cmp_lg_u32 s25, 0
	s_sub_co_ci_u32 s25, s22, 0
	s_cmp_ge_u32 s9, s34
	s_cselect_b32 s26, -1, 0
	s_cmp_eq_u32 s22, 0
	s_cselect_b32 s26, s26, -1
	s_delay_alu instid0(SALU_CYCLE_1)
	s_cmp_lg_u32 s26, 0
	s_cselect_b32 s22, s25, s22
	s_cselect_b32 s23, s23, s9
	s_cmp_ge_u32 s4, s34
	s_cselect_b32 s9, -1, 0
	s_cmp_eq_u32 s8, 0
	s_cselect_b32 s9, s9, -1
	s_delay_alu instid0(SALU_CYCLE_1)
	s_cmp_lg_u32 s9, 0
	s_cselect_b32 s9, s22, s8
	s_cselect_b32 s8, s23, s4
	s_mov_b32 s4, 0
	s_branch .LBB186_252
.LBB186_251:                            ;   in Loop: Header=BB186_18 Depth=1
	s_mov_b32 s4, -1
                                        ; implicit-def: $sgpr8_sgpr9
.LBB186_252:                            ;   in Loop: Header=BB186_18 Depth=1
	s_delay_alu instid0(SALU_CYCLE_1)
	s_and_not1_b32 vcc_lo, exec_lo, s4
	s_cbranch_vccnz .LBB186_254
; %bb.253:                              ;   in Loop: Header=BB186_18 Depth=1
	v_cvt_f32_u32_e32 v2, s34
	s_sub_co_i32 s8, 0, s34
	s_delay_alu instid0(VALU_DEP_1) | instskip(SKIP_1) | instid1(TRANS32_DEP_1)
	v_rcp_iflag_f32_e32 v2, v2
	v_nop
	v_mul_f32_e32 v2, 0x4f7ffffe, v2
	s_delay_alu instid0(VALU_DEP_1) | instskip(NEXT) | instid1(VALU_DEP_1)
	v_cvt_u32_f32_e32 v2, v2
	v_readfirstlane_b32 s4, v2
	s_mul_i32 s8, s8, s4
	s_delay_alu instid0(SALU_CYCLE_1) | instskip(NEXT) | instid1(SALU_CYCLE_1)
	s_mul_hi_u32 s8, s4, s8
	s_add_co_i32 s4, s4, s8
	s_delay_alu instid0(SALU_CYCLE_1) | instskip(NEXT) | instid1(SALU_CYCLE_1)
	s_mul_hi_u32 s4, s76, s4
	s_mul_i32 s4, s4, s34
	s_delay_alu instid0(SALU_CYCLE_1) | instskip(NEXT) | instid1(SALU_CYCLE_1)
	s_sub_co_i32 s4, s76, s4
	s_sub_co_i32 s8, s4, s34
	s_cmp_ge_u32 s4, s34
	s_cselect_b32 s4, s8, s4
	s_delay_alu instid0(SALU_CYCLE_1) | instskip(SKIP_2) | instid1(SALU_CYCLE_1)
	s_sub_co_i32 s8, s4, s34
	s_cmp_ge_u32 s4, s34
	s_cselect_b32 s26, s8, s4
	s_mov_b64 s[8:9], s[26:27]
.LBB186_254:                            ;   in Loop: Header=BB186_18 Depth=1
	s_delay_alu instid0(SALU_CYCLE_1)
	s_sub_nc_u64 s[8:9], s[76:77], s[8:9]
	s_mov_b32 s22, exec_lo
                                        ; implicit-def: $vgpr10_vgpr11
	v_cmpx_gt_u64_e64 s[8:9], v[0:1]
	s_cbranch_execz .LBB186_264
; %bb.255:                              ;   in Loop: Header=BB186_18 Depth=1
	v_mov_b64_e32 v[34:35], v[0:1]
	s_mov_b32 s4, 0
                                        ; implicit-def: $sgpr23
	s_branch .LBB186_259
.LBB186_256:                            ;   in Loop: Header=BB186_259 Depth=2
	s_or_b32 exec_lo, exec_lo, s25
	s_wait_dscnt 0x0
	s_barrier_signal -1
	s_barrier_wait -1
	ds_load_b128 v[8:11], v21 offset:3072
	s_wait_dscnt 0x0
	s_barrier_signal -1
	s_barrier_wait -1
	v_cmp_eq_f64_e32 vcc_lo, 0, v[8:9]
	s_cbranch_vccz .LBB186_262
; %bb.257:                              ;   in Loop: Header=BB186_259 Depth=2
	v_add_nc_u64_e32 v[34:35], s[34:35], v[34:35]
	s_mov_b32 s25, 0
	s_delay_alu instid0(VALU_DEP_1)
	v_cmp_le_u64_e32 vcc_lo, s[8:9], v[34:35]
	s_or_not1_b32 s26, vcc_lo, exec_lo
.LBB186_258:                            ;   in Loop: Header=BB186_259 Depth=2
	s_delay_alu instid0(SALU_CYCLE_1) | instskip(NEXT) | instid1(SALU_CYCLE_1)
	s_and_b32 s26, exec_lo, s26
	s_or_b32 s4, s26, s4
	s_and_not1_b32 s23, s23, exec_lo
	s_and_b32 s25, s25, exec_lo
	s_delay_alu instid0(SALU_CYCLE_1)
	s_or_b32 s23, s23, s25
	s_and_not1_b32 exec_lo, exec_lo, s4
	s_cbranch_execz .LBB186_263
.LBB186_259:                            ;   Parent Loop BB186_18 Depth=1
                                        ; =>  This Inner Loop Header: Depth=2
	s_mov_b32 s25, exec_lo
	s_delay_alu instid0(VALU_DEP_1)
	v_cmpx_gt_u64_e64 s[36:37], v[34:35]
	s_cbranch_execz .LBB186_256
; %bb.260:                              ;   in Loop: Header=BB186_259 Depth=2
	v_mul_u64_e32 v[4:5], s[30:31], v[34:35]
	s_delay_alu instid0(VALU_DEP_1) | instskip(SKIP_4) | instid1(VALU_DEP_1)
	v_lshl_add_u64 v[4:5], v[4:5], 3, s[28:29]
	global_load_b64 v[4:5], v[4:5], off
	s_wait_loadcnt 0x0
	v_cmp_o_f64_e32 vcc_lo, v[4:5], v[4:5]
	v_ashrrev_i32_e32 v2, 31, v5
	v_or_b32_e32 v8, 0x80000000, v2
	s_delay_alu instid0(VALU_DEP_1) | instskip(SKIP_1) | instid1(VALU_DEP_1)
	v_xor_b32_e32 v8, v8, v5
	v_xor_b32_e32 v2, v2, v4
	v_dual_cndmask_b32 v8, -1, v8, vcc_lo :: v_dual_cndmask_b32 v2, -1, v2, vcc_lo
	s_delay_alu instid0(VALU_DEP_1) | instskip(NEXT) | instid1(VALU_DEP_2)
	v_and_b32_e32 v9, v8, v13
	v_and_b32_e32 v8, v2, v12
	s_delay_alu instid0(VALU_DEP_1)
	v_cmp_eq_u64_e32 vcc_lo, v[8:9], v[14:15]
	s_and_b32 exec_lo, exec_lo, vcc_lo
	s_cbranch_execz .LBB186_256
; %bb.261:                              ;   in Loop: Header=BB186_259 Depth=2
	v_mov_b32_e32 v2, v21
	ds_store_b128 v21, v[2:5] offset:3072
	s_branch .LBB186_256
.LBB186_262:                            ;   in Loop: Header=BB186_259 Depth=2
	s_mov_b32 s26, -1
	s_mov_b32 s25, -1
                                        ; implicit-def: $vgpr34_vgpr35
	s_branch .LBB186_258
.LBB186_263:                            ;   in Loop: Header=BB186_18 Depth=1
	s_or_b32 exec_lo, exec_lo, s4
	s_delay_alu instid0(SALU_CYCLE_1) | instskip(SKIP_1) | instid1(SALU_CYCLE_1)
	s_and_not1_b32 s4, s24, exec_lo
	s_and_b32 s8, s23, exec_lo
	s_or_b32 s24, s4, s8
.LBB186_264:                            ;   in Loop: Header=BB186_18 Depth=1
	s_or_b32 exec_lo, exec_lo, s22
	s_mov_b32 s54, 0
	s_mov_b32 s55, -1
.LBB186_265:                            ;   in Loop: Header=BB186_18 Depth=1
	s_or_not1_b32 s4, s24, exec_lo
.LBB186_266:                            ;   in Loop: Header=BB186_18 Depth=1
	s_or_b32 exec_lo, exec_lo, s53
	s_mov_b32 s9, 0
	s_and_saveexec_b32 s8, s4
	s_cbranch_execz .LBB186_277
; %bb.267:                              ;   in Loop: Header=BB186_18 Depth=1
	v_mov_b64_e32 v[4:5], 1
	v_mov_b32_e32 v20, 1
	s_xor_b32 s9, s52, -1
	s_delay_alu instid0(SALU_CYCLE_1)
	s_and_saveexec_b32 s4, s9
	s_cbranch_execz .LBB186_276
; %bb.268:                              ;   in Loop: Header=BB186_18 Depth=1
	s_mov_b32 s9, exec_lo
	v_cmpx_ge_u64_e64 s[20:21], v[32:33]
	s_xor_b32 s9, exec_lo, s9
	s_cbranch_execz .LBB186_273
; %bb.269:                              ;   in Loop: Header=BB186_18 Depth=1
	ds_load_b64 v[4:5], v21 offset:5120
	v_or_b32_e32 v15, s13, v15
	v_or_b32_e32 v14, s12, v14
	;; [unrolled: 1-line block ×4, first 2 shown]
	s_wait_dscnt 0x0
	v_cmp_ne_u64_e32 vcc_lo, 0, v[4:5]
	s_cbranch_vccnz .LBB186_273
; %bb.270:                              ;   in Loop: Header=BB186_18 Depth=1
	s_and_saveexec_b32 s22, s5
; %bb.271:                              ;   in Loop: Header=BB186_18 Depth=1
	v_mov_b64_e32 v[4:5], s[20:21]
	ds_store_b64 v21, v[4:5] offset:5128
; %bb.272:                              ;   in Loop: Header=BB186_18 Depth=1
	s_or_b32 exec_lo, exec_lo, s22
	s_wait_dscnt 0x0
	s_barrier_signal -1
	s_barrier_wait -1
.LBB186_273:                            ;   in Loop: Header=BB186_18 Depth=1
	s_and_not1_saveexec_b32 s9, s9
; %bb.274:                              ;   in Loop: Header=BB186_18 Depth=1
	v_sub_nc_u64_e64 v[32:33], v[32:33], s[20:21]
; %bb.275:                              ;   in Loop: Header=BB186_18 Depth=1
	s_or_b32 exec_lo, exec_lo, s9
	s_delay_alu instid0(VALU_DEP_1)
	v_mov_b64_e32 v[4:5], v[32:33]
	v_mov_b32_e32 v20, 8
.LBB186_276:                            ;   in Loop: Header=BB186_18 Depth=1
	s_or_b32 exec_lo, exec_lo, s4
	s_delay_alu instid0(VALU_DEP_2)
	v_mov_b64_e32 v[32:33], v[4:5]
	s_mov_b32 s9, exec_lo
.LBB186_277:                            ;   in Loop: Header=BB186_18 Depth=1
	s_or_b32 exec_lo, exec_lo, s8
	s_delay_alu instid0(SALU_CYCLE_1)
	s_or_not1_b32 s4, s9, exec_lo
.LBB186_278:                            ;   in Loop: Header=BB186_18 Depth=1
	s_or_b32 exec_lo, exec_lo, s95
	s_delay_alu instid0(VALU_DEP_1)
	v_mov_b64_e32 v[34:35], v[32:33]
	s_and_not1_b32 s8, s93, exec_lo
	s_and_b32 s9, s55, exec_lo
	s_and_not1_b32 s22, s92, exec_lo
	s_and_b32 s23, s54, exec_lo
	s_or_b32 s93, s8, s9
	s_or_b32 s92, s22, s23
	s_and_b32 s8, s4, exec_lo
.LBB186_279:                            ;   in Loop: Header=BB186_18 Depth=1
	s_or_b32 exec_lo, exec_lo, s94
	s_delay_alu instid0(SALU_CYCLE_1)
	s_or_not1_b32 s4, s8, exec_lo
.LBB186_280:                            ;   in Loop: Header=BB186_18 Depth=1
	s_or_b32 exec_lo, exec_lo, s91
	v_mov_b64_e32 v[32:33], v[34:35]
	s_and_not1_b32 s8, s89, exec_lo
	s_and_b32 s9, s93, exec_lo
	s_and_not1_b32 s22, s84, exec_lo
	s_and_b32 s23, s92, exec_lo
	s_or_b32 s89, s8, s9
	s_or_b32 s84, s22, s23
	s_and_b32 s8, s4, exec_lo
.LBB186_281:                            ;   in Loop: Header=BB186_18 Depth=1
	s_or_b32 exec_lo, exec_lo, s90
	s_delay_alu instid0(SALU_CYCLE_1)
	s_or_not1_b32 s4, s8, exec_lo
.LBB186_282:                            ;   in Loop: Header=BB186_18 Depth=1
	s_or_b32 exec_lo, exec_lo, s83
	s_mov_b32 s8, 0
	s_mov_b32 s9, 0
	s_and_saveexec_b32 s22, s4
	s_delay_alu instid0(SALU_CYCLE_1)
	s_xor_b32 s4, exec_lo, s22
; %bb.283:                              ;   in Loop: Header=BB186_18 Depth=1
	v_cmp_ne_u32_e32 vcc_lo, 8, v20
	v_cmp_eq_u32_e64 s8, 8, v20
	s_and_b32 s9, vcc_lo, exec_lo
	s_and_b32 s8, s8, exec_lo
; %bb.284:                              ;   in Loop: Header=BB186_18 Depth=1
	s_or_b32 exec_lo, exec_lo, s4
	s_delay_alu instid0(SALU_CYCLE_1)
	s_and_not1_b32 s4, s86, exec_lo
	s_and_b32 s22, s89, exec_lo
	s_and_not1_b32 s23, s85, exec_lo
	s_and_b32 s24, s84, exec_lo
	s_or_b32 s86, s4, s22
	s_or_b32 s85, s23, s24
	s_and_b32 s83, s9, exec_lo
	s_and_b32 s84, s8, exec_lo
.LBB186_285:                            ;   in Loop: Header=BB186_18 Depth=1
	s_or_b32 exec_lo, exec_lo, s88
.LBB186_286:                            ;   in Loop: Header=BB186_18 Depth=1
	s_delay_alu instid0(SALU_CYCLE_1)
	s_and_b32 vcc_lo, exec_lo, s87
	s_cbranch_vccz .LBB186_303
; %bb.287:                              ;   in Loop: Header=BB186_18 Depth=1
	s_cmp_eq_u64 s[20:21], 1
                                        ; implicit-def: $sgpr87
                                        ; implicit-def: $sgpr82
	s_cselect_b32 s4, -1, 0
	s_delay_alu instid0(SALU_CYCLE_1)
	s_and_b32 s7, s4, s7
	s_mov_b32 s4, -1
	s_and_saveexec_b32 s52, s7
	s_cbranch_execz .LBB186_322
; %bb.288:                              ;   in Loop: Header=BB186_18 Depth=1
	ds_load_b64 v[4:5], v21 offset:5120
	s_wait_dscnt 0x0
	s_barrier_signal -1
	s_barrier_wait -1
	v_readfirstlane_b32 s8, v4
	v_readfirstlane_b32 s9, v5
	s_and_saveexec_b32 s4, s6
; %bb.289:                              ;   in Loop: Header=BB186_18 Depth=1
	ds_store_b64 v39, v[26:27]
; %bb.290:                              ;   in Loop: Header=BB186_18 Depth=1
	s_or_b32 exec_lo, exec_lo, s4
	v_or_b32_e32 v25, s13, v25
	v_or_b32_e32 v24, s12, v24
	;; [unrolled: 1-line block ×4, first 2 shown]
	s_mov_b32 s82, -1
	s_mov_b32 s87, 0
	s_cmp_eq_u64 s[8:9], 0
	s_mov_b32 s24, 0
	s_mov_b32 s25, -1
	s_wait_dscnt 0x0
	s_barrier_signal -1
	s_barrier_wait -1
                                        ; implicit-def: $vgpr6_vgpr7
	s_cbranch_scc1 .LBB186_306
; %bb.291:                              ;   in Loop: Header=BB186_18 Depth=1
	s_add_nc_u64 s[22:23], s[8:9], s[74:75]
	s_delay_alu instid0(SALU_CYCLE_1) | instskip(NEXT) | instid1(SALU_CYCLE_1)
	s_and_b64 s[24:25], s[22:23], 0xffffffff00000000
	s_cmp_lg_u64 s[24:25], 0
	s_cbranch_scc0 .LBB186_349
; %bb.292:                              ;   in Loop: Header=BB186_18 Depth=1
	s_cvt_f32_u32 s4, s34
	s_sub_nc_u64 s[54:55], 0, s[34:35]
	s_delay_alu instid0(SALU_CYCLE_2) | instskip(NEXT) | instid1(SALU_CYCLE_3)
	s_fmamk_f32 s4, s64, 0x0, s4
	v_s_rcp_f32 s4, s4
	s_delay_alu instid0(TRANS32_DEP_1) | instskip(NEXT) | instid1(SALU_CYCLE_3)
	s_mul_f32 s4, s4, 0x5f7ffffc
	s_mul_f32 s24, s4, 0x2f800000
	s_delay_alu instid0(SALU_CYCLE_3) | instskip(NEXT) | instid1(SALU_CYCLE_3)
	s_trunc_f32 s24, s24
	s_fmamk_f32 s4, s24, 0xcf800000, s4
	s_cvt_u32_f32 s25, s24
	s_delay_alu instid0(SALU_CYCLE_2) | instskip(NEXT) | instid1(SALU_CYCLE_3)
	s_cvt_u32_f32 s24, s4
	s_mul_u64 s[60:61], s[54:55], s[24:25]
	s_delay_alu instid0(SALU_CYCLE_1)
	s_mul_hi_u32 s89, s24, s61
	s_mul_i32 s88, s24, s61
	s_mul_hi_u32 s26, s24, s60
	s_mul_i32 s40, s25, s60
	s_add_nc_u64 s[88:89], s[26:27], s[88:89]
	s_mul_hi_u32 s4, s25, s60
	s_mul_hi_u32 s41, s25, s61
	s_add_co_u32 s26, s88, s40
	s_add_co_ci_u32 s26, s89, s4
	s_mul_i32 s60, s25, s61
	s_add_co_ci_u32 s61, s41, 0
	s_delay_alu instid0(SALU_CYCLE_1) | instskip(NEXT) | instid1(SALU_CYCLE_1)
	s_add_nc_u64 s[60:61], s[26:27], s[60:61]
	s_add_co_u32 s24, s24, s60
	s_cselect_b32 s4, -1, 0
	s_delay_alu instid0(SALU_CYCLE_1) | instskip(SKIP_1) | instid1(SALU_CYCLE_1)
	s_cmp_lg_u32 s4, 0
	s_add_co_ci_u32 s25, s25, s61
	s_mul_u64 s[54:55], s[54:55], s[24:25]
	s_delay_alu instid0(SALU_CYCLE_1)
	s_mul_hi_u32 s61, s24, s55
	s_mul_i32 s60, s24, s55
	s_mul_hi_u32 s26, s24, s54
	s_mul_i32 s40, s25, s54
	s_add_nc_u64 s[60:61], s[26:27], s[60:61]
	s_mul_hi_u32 s4, s25, s54
	s_mul_hi_u32 s41, s25, s55
	s_add_co_u32 s26, s60, s40
	s_add_co_ci_u32 s26, s61, s4
	s_mul_i32 s54, s25, s55
	s_add_co_ci_u32 s55, s41, 0
	s_delay_alu instid0(SALU_CYCLE_1) | instskip(NEXT) | instid1(SALU_CYCLE_1)
	s_add_nc_u64 s[54:55], s[26:27], s[54:55]
	s_add_co_u32 s4, s24, s54
	s_cselect_b32 s24, -1, 0
	s_mul_hi_u32 s26, s22, s4
	s_cmp_lg_u32 s24, 0
	s_mul_hi_u32 s40, s23, s4
	s_add_co_ci_u32 s41, s25, s55
	s_mul_i32 s4, s23, s4
	s_mul_hi_u32 s25, s22, s41
	s_mul_i32 s24, s22, s41
	s_mul_hi_u32 s42, s23, s41
	s_add_nc_u64 s[24:25], s[26:27], s[24:25]
	s_mul_i32 s54, s23, s41
	s_add_co_u32 s4, s24, s4
	s_add_co_ci_u32 s26, s25, s40
	s_add_co_ci_u32 s55, s42, 0
	s_delay_alu instid0(SALU_CYCLE_1) | instskip(NEXT) | instid1(SALU_CYCLE_1)
	s_add_nc_u64 s[24:25], s[26:27], s[54:55]
	s_and_b64 s[54:55], s[24:25], 0xffffffff00000000
	s_delay_alu instid0(SALU_CYCLE_1) | instskip(NEXT) | instid1(SALU_CYCLE_1)
	s_or_b32 s54, s54, s24
	s_mul_u64 s[24:25], s[34:35], s[54:55]
	s_delay_alu instid0(SALU_CYCLE_1) | instskip(SKIP_1) | instid1(SALU_CYCLE_1)
	s_sub_co_u32 s4, s22, s24
	s_cselect_b32 s24, -1, 0
	s_cmp_lg_u32 s24, 0
	s_sub_co_ci_u32 s24, s23, s25
	s_sub_co_u32 s25, s4, s34
	s_cselect_b32 s26, -1, 0
	s_delay_alu instid0(SALU_CYCLE_1) | instskip(SKIP_3) | instid1(SALU_CYCLE_1)
	s_cmp_lg_u32 s26, 0
	s_sub_co_ci_u32 s26, s24, 0
	s_sub_co_u32 s40, s25, s34
	s_cselect_b32 s41, -1, 0
	s_cmp_lg_u32 s41, 0
	s_sub_co_ci_u32 s41, s26, 0
	s_cmp_ge_u32 s25, s34
	s_cselect_b32 s42, -1, 0
	s_cmp_eq_u32 s26, 0
	s_cselect_b32 s42, s42, -1
	s_delay_alu instid0(SALU_CYCLE_1)
	s_cmp_lg_u32 s42, 0
	s_cselect_b32 s26, s41, s26
	s_cselect_b32 s40, s40, s25
	s_cmp_ge_u32 s4, s34
	s_cselect_b32 s25, -1, 0
	s_cmp_eq_u32 s24, 0
	s_cselect_b32 s25, s25, -1
	s_delay_alu instid0(SALU_CYCLE_1)
	s_cmp_lg_u32 s25, 0
	s_cselect_b32 s25, s26, s24
	s_cselect_b32 s24, s40, s4
	s_cbranch_execnz .LBB186_294
.LBB186_293:                            ;   in Loop: Header=BB186_18 Depth=1
	v_cvt_f32_u32_e32 v2, s34
	s_sub_co_i32 s24, 0, s34
	s_delay_alu instid0(VALU_DEP_1) | instskip(SKIP_1) | instid1(TRANS32_DEP_1)
	v_rcp_iflag_f32_e32 v2, v2
	v_nop
	v_mul_f32_e32 v2, 0x4f7ffffe, v2
	s_delay_alu instid0(VALU_DEP_1) | instskip(NEXT) | instid1(VALU_DEP_1)
	v_cvt_u32_f32_e32 v2, v2
	v_readfirstlane_b32 s4, v2
	s_mul_i32 s24, s24, s4
	s_delay_alu instid0(SALU_CYCLE_1) | instskip(NEXT) | instid1(SALU_CYCLE_1)
	s_mul_hi_u32 s24, s4, s24
	s_add_co_i32 s4, s4, s24
	s_delay_alu instid0(SALU_CYCLE_1) | instskip(NEXT) | instid1(SALU_CYCLE_1)
	s_mul_hi_u32 s4, s22, s4
	s_mul_i32 s4, s4, s34
	s_delay_alu instid0(SALU_CYCLE_1) | instskip(NEXT) | instid1(SALU_CYCLE_1)
	s_sub_co_i32 s4, s22, s4
	s_sub_co_i32 s24, s4, s34
	s_cmp_ge_u32 s4, s34
	s_cselect_b32 s4, s24, s4
	s_delay_alu instid0(SALU_CYCLE_1) | instskip(SKIP_2) | instid1(SALU_CYCLE_1)
	s_sub_co_i32 s24, s4, s34
	s_cmp_ge_u32 s4, s34
	s_cselect_b32 s26, s24, s4
	s_mov_b64 s[24:25], s[26:27]
.LBB186_294:                            ;   in Loop: Header=BB186_18 Depth=1
	s_delay_alu instid0(SALU_CYCLE_1)
	s_sub_nc_u64 s[22:23], s[22:23], s[24:25]
	s_mov_b32 s25, 0
	s_mov_b32 s24, 0
	s_mov_b32 s26, exec_lo
                                        ; implicit-def: $vgpr6_vgpr7
	v_cmpx_gt_u64_e64 s[22:23], v[0:1]
	s_cbranch_execz .LBB186_305
; %bb.295:                              ;   in Loop: Header=BB186_18 Depth=1
	v_mov_b64_e32 v[8:9], v[0:1]
	v_mov_b32_e32 v10, v38
                                        ; implicit-def: $sgpr53
	s_branch .LBB186_299
.LBB186_296:                            ;   in Loop: Header=BB186_299 Depth=2
	s_or_b32 exec_lo, exec_lo, s4
	s_wait_dscnt 0x0
	s_barrier_signal -1
	s_barrier_wait -1
	ds_load_b128 v[4:7], v21 offset:3072
	s_wait_dscnt 0x0
	s_barrier_signal -1
	s_barrier_wait -1
	v_cmp_neq_f64_e32 vcc_lo, 0, v[4:5]
	s_cbranch_vccnz .LBB186_302
; %bb.297:                              ;   in Loop: Header=BB186_299 Depth=2
	v_add_nc_u64_e32 v[8:9], s[34:35], v[8:9]
	v_add_nc_u32_e32 v10, s103, v10
	s_mov_b32 s4, 0
	s_delay_alu instid0(VALU_DEP_2)
	v_cmp_le_u64_e32 vcc_lo, s[22:23], v[8:9]
	s_or_not1_b32 s54, vcc_lo, exec_lo
.LBB186_298:                            ;   in Loop: Header=BB186_299 Depth=2
	s_delay_alu instid0(SALU_CYCLE_1) | instskip(NEXT) | instid1(SALU_CYCLE_1)
	s_and_b32 s40, exec_lo, s54
	s_or_b32 s24, s40, s24
	s_and_not1_b32 s40, s53, exec_lo
	s_and_b32 s4, s4, exec_lo
	s_delay_alu instid0(SALU_CYCLE_1)
	s_or_b32 s53, s40, s4
	s_and_not1_b32 exec_lo, exec_lo, s24
	s_cbranch_execz .LBB186_304
.LBB186_299:                            ;   Parent Loop BB186_18 Depth=1
                                        ; =>  This Inner Loop Header: Depth=2
	s_mov_b32 s4, exec_lo
	s_delay_alu instid0(VALU_DEP_2)
	v_cmpx_gt_u64_e64 s[8:9], v[8:9]
	s_cbranch_execz .LBB186_296
; %bb.300:                              ;   in Loop: Header=BB186_299 Depth=2
	ds_load_b64 v[4:5], v10
	s_wait_dscnt 0x0
	v_cmp_o_f64_e32 vcc_lo, v[4:5], v[4:5]
	v_ashrrev_i32_e32 v2, 31, v5
	s_delay_alu instid0(VALU_DEP_1) | instskip(NEXT) | instid1(VALU_DEP_1)
	v_or_b32_e32 v6, 0x80000000, v2
	v_xor_b32_e32 v6, v6, v5
	s_delay_alu instid0(VALU_DEP_1) | instskip(NEXT) | instid1(VALU_DEP_1)
	v_dual_cndmask_b32 v6, -1, v6, vcc_lo :: v_dual_bitop2_b32 v2, v2, v4 bitop3:0x14
	v_dual_cndmask_b32 v2, -1, v2, vcc_lo :: v_dual_bitop2_b32 v7, v6, v29 bitop3:0x40
	s_delay_alu instid0(VALU_DEP_1) | instskip(NEXT) | instid1(VALU_DEP_1)
	v_and_b32_e32 v6, v2, v28
	v_cmp_eq_u64_e32 vcc_lo, v[6:7], v[24:25]
	s_and_b32 exec_lo, exec_lo, vcc_lo
	s_cbranch_execz .LBB186_296
; %bb.301:                              ;   in Loop: Header=BB186_299 Depth=2
	v_mov_b32_e32 v2, v21
	ds_store_b128 v21, v[2:5] offset:3072
	s_branch .LBB186_296
.LBB186_302:                            ;   in Loop: Header=BB186_299 Depth=2
	s_mov_b32 s54, -1
	s_mov_b32 s4, -1
                                        ; implicit-def: $vgpr8_vgpr9
                                        ; implicit-def: $vgpr10
	s_branch .LBB186_298
.LBB186_303:                            ;   in Loop: Header=BB186_18 Depth=1
	v_mov_b64_e32 v[24:25], v[14:15]
	v_mov_b64_e32 v[28:29], v[12:13]
	;; [unrolled: 1-line block ×3, first 2 shown]
	s_mov_b32 s87, 0
	s_and_saveexec_b32 s4, s84
	s_cbranch_execnz .LBB186_487
	s_branch .LBB186_488
.LBB186_304:                            ;   in Loop: Header=BB186_18 Depth=1
	s_or_b32 exec_lo, exec_lo, s24
	s_delay_alu instid0(SALU_CYCLE_1)
	s_and_b32 s24, s53, exec_lo
.LBB186_305:                            ;   in Loop: Header=BB186_18 Depth=1
	s_or_b32 exec_lo, exec_lo, s26
.LBB186_306:                            ;   in Loop: Header=BB186_18 Depth=1
	s_delay_alu instid0(SALU_CYCLE_1)
	s_and_b32 vcc_lo, exec_lo, s25
	s_cbranch_vccz .LBB186_321
; %bb.307:                              ;   in Loop: Header=BB186_18 Depth=1
	s_and_b64 s[8:9], s[76:77], 0xffffffff00000000
	s_delay_alu instid0(SALU_CYCLE_1)
	s_cmp_lg_u64 s[8:9], 0
	s_cbranch_scc0 .LBB186_350
; %bb.308:                              ;   in Loop: Header=BB186_18 Depth=1
	s_cvt_f32_u32 s4, s34
	s_sub_nc_u64 s[22:23], 0, s[34:35]
	s_delay_alu instid0(SALU_CYCLE_2) | instskip(NEXT) | instid1(SALU_CYCLE_3)
	s_fmamk_f32 s4, s64, 0x0, s4
	v_s_rcp_f32 s4, s4
	s_delay_alu instid0(TRANS32_DEP_1) | instskip(NEXT) | instid1(SALU_CYCLE_3)
	s_mul_f32 s4, s4, 0x5f7ffffc
	s_mul_f32 s8, s4, 0x2f800000
	s_delay_alu instid0(SALU_CYCLE_3) | instskip(NEXT) | instid1(SALU_CYCLE_3)
	s_trunc_f32 s8, s8
	s_fmamk_f32 s4, s8, 0xcf800000, s4
	s_cvt_u32_f32 s9, s8
	s_delay_alu instid0(SALU_CYCLE_2) | instskip(NEXT) | instid1(SALU_CYCLE_3)
	s_cvt_u32_f32 s8, s4
	s_mul_u64 s[54:55], s[22:23], s[8:9]
	s_delay_alu instid0(SALU_CYCLE_1)
	s_mul_hi_u32 s61, s8, s55
	s_mul_i32 s60, s8, s55
	s_mul_hi_u32 s26, s8, s54
	s_mul_i32 s25, s9, s54
	s_add_nc_u64 s[60:61], s[26:27], s[60:61]
	s_mul_hi_u32 s4, s9, s54
	s_mul_hi_u32 s40, s9, s55
	s_add_co_u32 s25, s60, s25
	s_add_co_ci_u32 s26, s61, s4
	s_mul_i32 s54, s9, s55
	s_add_co_ci_u32 s55, s40, 0
	s_delay_alu instid0(SALU_CYCLE_1) | instskip(NEXT) | instid1(SALU_CYCLE_1)
	s_add_nc_u64 s[54:55], s[26:27], s[54:55]
	s_add_co_u32 s8, s8, s54
	s_cselect_b32 s4, -1, 0
	s_delay_alu instid0(SALU_CYCLE_1) | instskip(SKIP_1) | instid1(SALU_CYCLE_1)
	s_cmp_lg_u32 s4, 0
	s_add_co_ci_u32 s9, s9, s55
	s_mul_u64 s[22:23], s[22:23], s[8:9]
	s_delay_alu instid0(SALU_CYCLE_1)
	s_mul_hi_u32 s55, s8, s23
	s_mul_i32 s54, s8, s23
	s_mul_hi_u32 s26, s8, s22
	s_mul_i32 s25, s9, s22
	s_add_nc_u64 s[54:55], s[26:27], s[54:55]
	s_mul_hi_u32 s4, s9, s22
	s_mul_hi_u32 s40, s9, s23
	s_mul_i32 s22, s9, s23
	s_add_co_u32 s23, s54, s25
	s_add_co_ci_u32 s26, s55, s4
	s_add_co_ci_u32 s23, s40, 0
	s_delay_alu instid0(SALU_CYCLE_1) | instskip(NEXT) | instid1(SALU_CYCLE_1)
	s_add_nc_u64 s[22:23], s[26:27], s[22:23]
	s_add_co_u32 s4, s8, s22
	s_cselect_b32 s8, -1, 0
	s_mul_hi_u32 s26, s76, s4
	s_cmp_lg_u32 s8, 0
	s_mul_hi_u32 s25, s77, s4
	s_add_co_ci_u32 s22, s9, s23
	s_mul_i32 s4, s77, s4
	s_mul_hi_u32 s9, s76, s22
	s_mul_i32 s8, s76, s22
	s_mul_hi_u32 s23, s77, s22
	s_add_nc_u64 s[8:9], s[26:27], s[8:9]
	s_mul_i32 s22, s77, s22
	s_add_co_u32 s4, s8, s4
	s_add_co_ci_u32 s26, s9, s25
	s_add_co_ci_u32 s23, s23, 0
	s_delay_alu instid0(SALU_CYCLE_1) | instskip(NEXT) | instid1(SALU_CYCLE_1)
	s_add_nc_u64 s[8:9], s[26:27], s[22:23]
	s_and_b64 s[22:23], s[8:9], 0xffffffff00000000
	s_delay_alu instid0(SALU_CYCLE_1) | instskip(NEXT) | instid1(SALU_CYCLE_1)
	s_or_b32 s22, s22, s8
	s_mul_u64 s[8:9], s[34:35], s[22:23]
	s_delay_alu instid0(SALU_CYCLE_1) | instskip(SKIP_1) | instid1(SALU_CYCLE_1)
	s_sub_co_u32 s4, s76, s8
	s_cselect_b32 s8, -1, 0
	s_cmp_lg_u32 s8, 0
	s_sub_co_ci_u32 s8, s77, s9
	s_sub_co_u32 s9, s4, s34
	s_cselect_b32 s22, -1, 0
	s_delay_alu instid0(SALU_CYCLE_1) | instskip(SKIP_3) | instid1(SALU_CYCLE_1)
	s_cmp_lg_u32 s22, 0
	s_sub_co_ci_u32 s22, s8, 0
	s_sub_co_u32 s23, s9, s34
	s_cselect_b32 s25, -1, 0
	s_cmp_lg_u32 s25, 0
	s_sub_co_ci_u32 s25, s22, 0
	s_cmp_ge_u32 s9, s34
	s_cselect_b32 s26, -1, 0
	s_cmp_eq_u32 s22, 0
	s_cselect_b32 s26, s26, -1
	s_delay_alu instid0(SALU_CYCLE_1)
	s_cmp_lg_u32 s26, 0
	s_cselect_b32 s22, s25, s22
	s_cselect_b32 s23, s23, s9
	s_cmp_ge_u32 s4, s34
	s_cselect_b32 s9, -1, 0
	s_cmp_eq_u32 s8, 0
	s_cselect_b32 s9, s9, -1
	s_delay_alu instid0(SALU_CYCLE_1)
	s_cmp_lg_u32 s9, 0
	s_cselect_b32 s9, s22, s8
	s_cselect_b32 s8, s23, s4
	s_cbranch_execnz .LBB186_310
.LBB186_309:                            ;   in Loop: Header=BB186_18 Depth=1
	v_cvt_f32_u32_e32 v2, s34
	s_sub_co_i32 s8, 0, s34
	s_delay_alu instid0(VALU_DEP_1) | instskip(SKIP_1) | instid1(TRANS32_DEP_1)
	v_rcp_iflag_f32_e32 v2, v2
	v_nop
	v_mul_f32_e32 v2, 0x4f7ffffe, v2
	s_delay_alu instid0(VALU_DEP_1) | instskip(NEXT) | instid1(VALU_DEP_1)
	v_cvt_u32_f32_e32 v2, v2
	v_readfirstlane_b32 s4, v2
	s_mul_i32 s8, s8, s4
	s_delay_alu instid0(SALU_CYCLE_1) | instskip(NEXT) | instid1(SALU_CYCLE_1)
	s_mul_hi_u32 s8, s4, s8
	s_add_co_i32 s4, s4, s8
	s_delay_alu instid0(SALU_CYCLE_1) | instskip(NEXT) | instid1(SALU_CYCLE_1)
	s_mul_hi_u32 s4, s76, s4
	s_mul_i32 s4, s4, s34
	s_delay_alu instid0(SALU_CYCLE_1) | instskip(NEXT) | instid1(SALU_CYCLE_1)
	s_sub_co_i32 s4, s76, s4
	s_sub_co_i32 s8, s4, s34
	s_cmp_ge_u32 s4, s34
	s_cselect_b32 s4, s8, s4
	s_delay_alu instid0(SALU_CYCLE_1) | instskip(SKIP_2) | instid1(SALU_CYCLE_1)
	s_sub_co_i32 s8, s4, s34
	s_cmp_ge_u32 s4, s34
	s_cselect_b32 s26, s8, s4
	s_mov_b64 s[8:9], s[26:27]
.LBB186_310:                            ;   in Loop: Header=BB186_18 Depth=1
	s_delay_alu instid0(SALU_CYCLE_1)
	s_sub_nc_u64 s[8:9], s[76:77], s[8:9]
	s_mov_b32 s22, exec_lo
                                        ; implicit-def: $vgpr6_vgpr7
	v_cmpx_gt_u64_e64 s[8:9], v[0:1]
	s_cbranch_execz .LBB186_320
; %bb.311:                              ;   in Loop: Header=BB186_18 Depth=1
	v_mov_b64_e32 v[8:9], v[0:1]
	s_mov_b32 s23, 0
                                        ; implicit-def: $sgpr4
	s_branch .LBB186_315
.LBB186_312:                            ;   in Loop: Header=BB186_315 Depth=2
	s_or_b32 exec_lo, exec_lo, s25
	s_wait_dscnt 0x0
	s_barrier_signal -1
	s_barrier_wait -1
	ds_load_b128 v[4:7], v21 offset:3072
	s_wait_dscnt 0x0
	s_barrier_signal -1
	s_barrier_wait -1
	v_cmp_neq_f64_e32 vcc_lo, 0, v[4:5]
	s_cbranch_vccnz .LBB186_318
; %bb.313:                              ;   in Loop: Header=BB186_315 Depth=2
	v_add_nc_u64_e32 v[8:9], s[34:35], v[8:9]
	s_mov_b32 s25, 0
	s_delay_alu instid0(VALU_DEP_1)
	v_cmp_le_u64_e32 vcc_lo, s[8:9], v[8:9]
	s_or_not1_b32 s26, vcc_lo, exec_lo
.LBB186_314:                            ;   in Loop: Header=BB186_315 Depth=2
	s_delay_alu instid0(SALU_CYCLE_1) | instskip(NEXT) | instid1(SALU_CYCLE_1)
	s_and_b32 s26, exec_lo, s26
	s_or_b32 s23, s26, s23
	s_and_not1_b32 s4, s4, exec_lo
	s_and_b32 s25, s25, exec_lo
	s_delay_alu instid0(SALU_CYCLE_1)
	s_or_b32 s4, s4, s25
	s_and_not1_b32 exec_lo, exec_lo, s23
	s_cbranch_execz .LBB186_319
.LBB186_315:                            ;   Parent Loop BB186_18 Depth=1
                                        ; =>  This Inner Loop Header: Depth=2
	s_mov_b32 s25, exec_lo
	s_delay_alu instid0(VALU_DEP_1)
	v_cmpx_gt_u64_e64 s[36:37], v[8:9]
	s_cbranch_execz .LBB186_312
; %bb.316:                              ;   in Loop: Header=BB186_315 Depth=2
	v_mul_u64_e32 v[4:5], s[30:31], v[8:9]
	s_delay_alu instid0(VALU_DEP_1) | instskip(SKIP_4) | instid1(VALU_DEP_1)
	v_lshl_add_u64 v[4:5], v[4:5], 3, s[28:29]
	global_load_b64 v[4:5], v[4:5], off
	s_wait_loadcnt 0x0
	v_cmp_o_f64_e32 vcc_lo, v[4:5], v[4:5]
	v_ashrrev_i32_e32 v2, 31, v5
	v_or_b32_e32 v6, 0x80000000, v2
	s_delay_alu instid0(VALU_DEP_1) | instskip(NEXT) | instid1(VALU_DEP_1)
	v_xor_b32_e32 v6, v6, v5
	v_dual_cndmask_b32 v6, -1, v6, vcc_lo :: v_dual_bitop2_b32 v2, v2, v4 bitop3:0x14
	s_delay_alu instid0(VALU_DEP_1) | instskip(NEXT) | instid1(VALU_DEP_1)
	v_dual_cndmask_b32 v2, -1, v2, vcc_lo :: v_dual_bitop2_b32 v7, v6, v29 bitop3:0x40
	v_and_b32_e32 v6, v2, v28
	s_delay_alu instid0(VALU_DEP_1)
	v_cmp_eq_u64_e32 vcc_lo, v[6:7], v[24:25]
	s_and_b32 exec_lo, exec_lo, vcc_lo
	s_cbranch_execz .LBB186_312
; %bb.317:                              ;   in Loop: Header=BB186_315 Depth=2
	v_mov_b32_e32 v2, v21
	ds_store_b128 v21, v[2:5] offset:3072
	s_branch .LBB186_312
.LBB186_318:                            ;   in Loop: Header=BB186_315 Depth=2
	s_mov_b32 s26, -1
	s_mov_b32 s25, -1
                                        ; implicit-def: $vgpr8_vgpr9
	s_branch .LBB186_314
.LBB186_319:                            ;   in Loop: Header=BB186_18 Depth=1
	s_or_b32 exec_lo, exec_lo, s23
	s_delay_alu instid0(SALU_CYCLE_1) | instskip(SKIP_1) | instid1(SALU_CYCLE_1)
	s_and_not1_b32 s8, s24, exec_lo
	s_and_b32 s4, s4, exec_lo
	s_or_b32 s24, s8, s4
.LBB186_320:                            ;   in Loop: Header=BB186_18 Depth=1
	s_or_b32 exec_lo, exec_lo, s22
	s_mov_b32 s82, 0
	s_mov_b32 s87, -1
.LBB186_321:                            ;   in Loop: Header=BB186_18 Depth=1
	s_or_not1_b32 s4, s24, exec_lo
.LBB186_322:                            ;   in Loop: Header=BB186_18 Depth=1
	s_or_b32 exec_lo, exec_lo, s52
                                        ; implicit-def: $vgpr32_vgpr33
                                        ; implicit-def: $vgpr20
	s_and_saveexec_b32 s24, s4
	s_cbranch_execz .LBB186_486
; %bb.323:                              ;   in Loop: Header=BB186_18 Depth=1
	v_mov_b64_e32 v[32:33], 1
	v_mov_b32_e32 v20, 1
	s_xor_b32 s4, s7, -1
	s_mov_b32 s8, 0
	s_and_saveexec_b32 s7, s4
	s_cbranch_execz .LBB186_332
; %bb.324:                              ;   in Loop: Header=BB186_18 Depth=1
	s_mov_b32 s4, exec_lo
	v_cmpx_ge_u64_e64 s[20:21], v[30:31]
	s_xor_b32 s4, exec_lo, s4
	s_cbranch_execz .LBB186_329
; %bb.325:                              ;   in Loop: Header=BB186_18 Depth=1
	ds_load_b64 v[4:5], v21 offset:5120
	v_or_b32_e32 v25, s13, v25
	v_or_b32_e32 v24, s12, v24
	v_or_b32_e32 v29, s13, v29
	v_or_b32_e32 v28, s12, v28
	s_wait_dscnt 0x0
	v_cmp_ne_u64_e32 vcc_lo, 0, v[4:5]
	s_cbranch_vccnz .LBB186_329
; %bb.326:                              ;   in Loop: Header=BB186_18 Depth=1
	s_and_saveexec_b32 s8, s5
; %bb.327:                              ;   in Loop: Header=BB186_18 Depth=1
	v_mov_b64_e32 v[4:5], s[20:21]
	ds_store_b64 v21, v[4:5] offset:5128
; %bb.328:                              ;   in Loop: Header=BB186_18 Depth=1
	s_or_b32 exec_lo, exec_lo, s8
	s_wait_dscnt 0x0
	s_barrier_signal -1
	s_barrier_wait -1
.LBB186_329:                            ;   in Loop: Header=BB186_18 Depth=1
	s_or_saveexec_b32 s4, s4
	v_mov_b32_e32 v20, 5
	s_mov_b32 s8, 0
	s_xor_b32 exec_lo, exec_lo, s4
; %bb.330:                              ;   in Loop: Header=BB186_18 Depth=1
	v_sub_nc_u64_e64 v[30:31], v[30:31], s[20:21]
	v_mov_b32_e32 v20, 0
	s_mov_b32 s8, exec_lo
; %bb.331:                              ;   in Loop: Header=BB186_18 Depth=1
	s_or_b32 exec_lo, exec_lo, s4
	s_delay_alu instid0(VALU_DEP_2)
	v_mov_b64_e32 v[32:33], v[30:31]
	s_and_b32 s8, s8, exec_lo
.LBB186_332:                            ;   in Loop: Header=BB186_18 Depth=1
	s_or_b32 exec_lo, exec_lo, s7
	s_mov_b32 s4, -1
                                        ; implicit-def: $sgpr25
                                        ; implicit-def: $sgpr85
	s_and_saveexec_b32 s7, s8
	s_delay_alu instid0(SALU_CYCLE_1)
	s_xor_b32 s7, exec_lo, s7
	s_cbranch_execz .LBB186_483
; %bb.333:                              ;   in Loop: Header=BB186_18 Depth=1
	v_cmp_eq_u64_e32 vcc_lo, 1, v[32:33]
	s_cmp_eq_u64 s[18:19], 1
                                        ; implicit-def: $sgpr85
                                        ; implicit-def: $sgpr25
	s_cselect_b32 s4, -1, 0
	s_delay_alu instid0(SALU_CYCLE_1)
	s_and_b32 s86, s4, vcc_lo
	s_mov_b32 s4, -1
	s_and_saveexec_b32 s52, s86
	s_cbranch_execz .LBB186_369
; %bb.334:                              ;   in Loop: Header=BB186_18 Depth=1
	ds_load_b64 v[4:5], v21 offset:5120
	s_wait_dscnt 0x0
	s_barrier_signal -1
	s_barrier_wait -1
	v_readfirstlane_b32 s8, v4
	v_readfirstlane_b32 s9, v5
	s_and_saveexec_b32 s4, s6
; %bb.335:                              ;   in Loop: Header=BB186_18 Depth=1
	ds_store_b64 v39, v[26:27]
; %bb.336:                              ;   in Loop: Header=BB186_18 Depth=1
	s_or_b32 exec_lo, exec_lo, s4
	v_and_b32_e32 v2, s15, v25
	v_and_b32_e32 v4, s14, v24
	s_lshl_b64 s[20:21], 2, s104
	v_or_b32_e32 v29, s13, v29
	v_or_b32_e32 v28, s12, v28
	;; [unrolled: 1-line block ×4, first 2 shown]
	s_mov_b32 s25, -1
	s_mov_b32 s85, 0
	s_cmp_eq_u64 s[8:9], 0
	s_mov_b32 s22, 0
	s_mov_b32 s23, -1
	s_wait_dscnt 0x0
	s_barrier_signal -1
	s_barrier_wait -1
                                        ; implicit-def: $vgpr6_vgpr7
	s_cbranch_scc1 .LBB186_353
; %bb.337:                              ;   in Loop: Header=BB186_18 Depth=1
	s_add_nc_u64 s[20:21], s[8:9], s[74:75]
	s_delay_alu instid0(SALU_CYCLE_1) | instskip(NEXT) | instid1(SALU_CYCLE_1)
	s_and_b64 s[22:23], s[20:21], 0xffffffff00000000
	s_cmp_lg_u64 s[22:23], 0
	s_cbranch_scc0 .LBB186_396
; %bb.338:                              ;   in Loop: Header=BB186_18 Depth=1
	s_cvt_f32_u32 s4, s34
	s_sub_nc_u64 s[54:55], 0, s[34:35]
	s_delay_alu instid0(SALU_CYCLE_2) | instskip(NEXT) | instid1(SALU_CYCLE_3)
	s_fmamk_f32 s4, s64, 0x0, s4
	v_s_rcp_f32 s4, s4
	s_delay_alu instid0(TRANS32_DEP_1) | instskip(NEXT) | instid1(SALU_CYCLE_3)
	s_mul_f32 s4, s4, 0x5f7ffffc
	s_mul_f32 s22, s4, 0x2f800000
	s_delay_alu instid0(SALU_CYCLE_3) | instskip(NEXT) | instid1(SALU_CYCLE_3)
	s_trunc_f32 s22, s22
	s_fmamk_f32 s4, s22, 0xcf800000, s4
	s_cvt_u32_f32 s23, s22
	s_delay_alu instid0(SALU_CYCLE_2) | instskip(NEXT) | instid1(SALU_CYCLE_3)
	s_cvt_u32_f32 s22, s4
	s_mul_u64 s[60:61], s[54:55], s[22:23]
	s_delay_alu instid0(SALU_CYCLE_1)
	s_mul_hi_u32 s89, s22, s61
	s_mul_i32 s88, s22, s61
	s_mul_hi_u32 s26, s22, s60
	s_mul_i32 s40, s23, s60
	s_add_nc_u64 s[88:89], s[26:27], s[88:89]
	s_mul_hi_u32 s4, s23, s60
	s_mul_hi_u32 s41, s23, s61
	s_add_co_u32 s26, s88, s40
	s_add_co_ci_u32 s26, s89, s4
	s_mul_i32 s60, s23, s61
	s_add_co_ci_u32 s61, s41, 0
	s_delay_alu instid0(SALU_CYCLE_1) | instskip(NEXT) | instid1(SALU_CYCLE_1)
	s_add_nc_u64 s[60:61], s[26:27], s[60:61]
	s_add_co_u32 s22, s22, s60
	s_cselect_b32 s4, -1, 0
	s_delay_alu instid0(SALU_CYCLE_1) | instskip(SKIP_1) | instid1(SALU_CYCLE_1)
	s_cmp_lg_u32 s4, 0
	s_add_co_ci_u32 s23, s23, s61
	s_mul_u64 s[54:55], s[54:55], s[22:23]
	s_delay_alu instid0(SALU_CYCLE_1)
	s_mul_hi_u32 s61, s22, s55
	s_mul_i32 s60, s22, s55
	s_mul_hi_u32 s26, s22, s54
	s_mul_i32 s40, s23, s54
	s_add_nc_u64 s[60:61], s[26:27], s[60:61]
	s_mul_hi_u32 s4, s23, s54
	s_mul_hi_u32 s41, s23, s55
	s_add_co_u32 s26, s60, s40
	s_add_co_ci_u32 s26, s61, s4
	s_mul_i32 s54, s23, s55
	s_add_co_ci_u32 s55, s41, 0
	s_delay_alu instid0(SALU_CYCLE_1) | instskip(NEXT) | instid1(SALU_CYCLE_1)
	s_add_nc_u64 s[54:55], s[26:27], s[54:55]
	s_add_co_u32 s4, s22, s54
	s_cselect_b32 s22, -1, 0
	s_mul_hi_u32 s26, s20, s4
	s_cmp_lg_u32 s22, 0
	s_mul_hi_u32 s40, s21, s4
	s_add_co_ci_u32 s41, s23, s55
	s_mul_i32 s4, s21, s4
	s_mul_hi_u32 s23, s20, s41
	s_mul_i32 s22, s20, s41
	s_mul_hi_u32 s42, s21, s41
	s_add_nc_u64 s[22:23], s[26:27], s[22:23]
	s_mul_i32 s54, s21, s41
	s_add_co_u32 s4, s22, s4
	s_add_co_ci_u32 s26, s23, s40
	s_add_co_ci_u32 s55, s42, 0
	s_delay_alu instid0(SALU_CYCLE_1) | instskip(NEXT) | instid1(SALU_CYCLE_1)
	s_add_nc_u64 s[22:23], s[26:27], s[54:55]
	s_and_b64 s[54:55], s[22:23], 0xffffffff00000000
	s_delay_alu instid0(SALU_CYCLE_1) | instskip(NEXT) | instid1(SALU_CYCLE_1)
	s_or_b32 s54, s54, s22
	s_mul_u64 s[22:23], s[34:35], s[54:55]
	s_delay_alu instid0(SALU_CYCLE_1) | instskip(SKIP_1) | instid1(SALU_CYCLE_1)
	s_sub_co_u32 s4, s20, s22
	s_cselect_b32 s22, -1, 0
	s_cmp_lg_u32 s22, 0
	s_sub_co_ci_u32 s22, s21, s23
	s_sub_co_u32 s23, s4, s34
	s_cselect_b32 s26, -1, 0
	s_delay_alu instid0(SALU_CYCLE_1) | instskip(SKIP_3) | instid1(SALU_CYCLE_1)
	s_cmp_lg_u32 s26, 0
	s_sub_co_ci_u32 s26, s22, 0
	s_sub_co_u32 s40, s23, s34
	s_cselect_b32 s41, -1, 0
	s_cmp_lg_u32 s41, 0
	s_sub_co_ci_u32 s41, s26, 0
	s_cmp_ge_u32 s23, s34
	s_cselect_b32 s42, -1, 0
	s_cmp_eq_u32 s26, 0
	s_cselect_b32 s42, s42, -1
	s_delay_alu instid0(SALU_CYCLE_1)
	s_cmp_lg_u32 s42, 0
	s_cselect_b32 s26, s41, s26
	s_cselect_b32 s40, s40, s23
	s_cmp_ge_u32 s4, s34
	s_cselect_b32 s23, -1, 0
	s_cmp_eq_u32 s22, 0
	s_cselect_b32 s23, s23, -1
	s_delay_alu instid0(SALU_CYCLE_1)
	s_cmp_lg_u32 s23, 0
	s_cselect_b32 s23, s26, s22
	s_cselect_b32 s22, s40, s4
	s_cbranch_execnz .LBB186_340
.LBB186_339:                            ;   in Loop: Header=BB186_18 Depth=1
	v_cvt_f32_u32_e32 v2, s34
	s_sub_co_i32 s22, 0, s34
	s_delay_alu instid0(VALU_DEP_1) | instskip(SKIP_1) | instid1(TRANS32_DEP_1)
	v_rcp_iflag_f32_e32 v2, v2
	v_nop
	v_mul_f32_e32 v2, 0x4f7ffffe, v2
	s_delay_alu instid0(VALU_DEP_1) | instskip(NEXT) | instid1(VALU_DEP_1)
	v_cvt_u32_f32_e32 v2, v2
	v_readfirstlane_b32 s4, v2
	s_mul_i32 s22, s22, s4
	s_delay_alu instid0(SALU_CYCLE_1) | instskip(NEXT) | instid1(SALU_CYCLE_1)
	s_mul_hi_u32 s22, s4, s22
	s_add_co_i32 s4, s4, s22
	s_delay_alu instid0(SALU_CYCLE_1) | instskip(NEXT) | instid1(SALU_CYCLE_1)
	s_mul_hi_u32 s4, s20, s4
	s_mul_i32 s4, s4, s34
	s_delay_alu instid0(SALU_CYCLE_1) | instskip(NEXT) | instid1(SALU_CYCLE_1)
	s_sub_co_i32 s4, s20, s4
	s_sub_co_i32 s22, s4, s34
	s_cmp_ge_u32 s4, s34
	s_cselect_b32 s4, s22, s4
	s_delay_alu instid0(SALU_CYCLE_1) | instskip(SKIP_2) | instid1(SALU_CYCLE_1)
	s_sub_co_i32 s22, s4, s34
	s_cmp_ge_u32 s4, s34
	s_cselect_b32 s26, s22, s4
	s_mov_b64 s[22:23], s[26:27]
.LBB186_340:                            ;   in Loop: Header=BB186_18 Depth=1
	s_delay_alu instid0(SALU_CYCLE_1)
	s_sub_nc_u64 s[20:21], s[20:21], s[22:23]
	s_mov_b32 s23, 0
	s_mov_b32 s22, 0
	s_mov_b32 s26, exec_lo
                                        ; implicit-def: $vgpr6_vgpr7
	v_cmpx_gt_u64_e64 s[20:21], v[0:1]
	s_cbranch_execz .LBB186_352
; %bb.341:                              ;   in Loop: Header=BB186_18 Depth=1
	v_mov_b64_e32 v[8:9], v[0:1]
	v_mov_b32_e32 v10, v38
                                        ; implicit-def: $sgpr53
	s_branch .LBB186_345
.LBB186_342:                            ;   in Loop: Header=BB186_345 Depth=2
	s_or_b32 exec_lo, exec_lo, s4
	s_wait_dscnt 0x0
	s_barrier_signal -1
	s_barrier_wait -1
	ds_load_b128 v[4:7], v21 offset:3072
	s_wait_dscnt 0x0
	s_barrier_signal -1
	s_barrier_wait -1
	v_cmp_neq_f64_e32 vcc_lo, 0, v[4:5]
	s_cbranch_vccnz .LBB186_348
; %bb.343:                              ;   in Loop: Header=BB186_345 Depth=2
	v_add_nc_u64_e32 v[8:9], s[34:35], v[8:9]
	v_add_nc_u32_e32 v10, s103, v10
	s_mov_b32 s4, 0
	s_delay_alu instid0(VALU_DEP_2)
	v_cmp_le_u64_e32 vcc_lo, s[20:21], v[8:9]
	s_or_not1_b32 s54, vcc_lo, exec_lo
.LBB186_344:                            ;   in Loop: Header=BB186_345 Depth=2
	s_delay_alu instid0(SALU_CYCLE_1) | instskip(NEXT) | instid1(SALU_CYCLE_1)
	s_and_b32 s40, exec_lo, s54
	s_or_b32 s22, s40, s22
	s_and_not1_b32 s40, s53, exec_lo
	s_and_b32 s4, s4, exec_lo
	s_delay_alu instid0(SALU_CYCLE_1)
	s_or_b32 s53, s40, s4
	s_and_not1_b32 exec_lo, exec_lo, s22
	s_cbranch_execz .LBB186_351
.LBB186_345:                            ;   Parent Loop BB186_18 Depth=1
                                        ; =>  This Inner Loop Header: Depth=2
	s_mov_b32 s4, exec_lo
	s_delay_alu instid0(VALU_DEP_2)
	v_cmpx_gt_u64_e64 s[8:9], v[8:9]
	s_cbranch_execz .LBB186_342
; %bb.346:                              ;   in Loop: Header=BB186_345 Depth=2
	ds_load_b64 v[4:5], v10
	s_wait_dscnt 0x0
	v_cmp_o_f64_e32 vcc_lo, v[4:5], v[4:5]
	v_ashrrev_i32_e32 v2, 31, v5
	s_delay_alu instid0(VALU_DEP_1) | instskip(NEXT) | instid1(VALU_DEP_1)
	v_or_b32_e32 v6, 0x80000000, v2
	v_xor_b32_e32 v6, v6, v5
	s_delay_alu instid0(VALU_DEP_1) | instskip(NEXT) | instid1(VALU_DEP_1)
	v_dual_cndmask_b32 v6, -1, v6, vcc_lo :: v_dual_bitop2_b32 v2, v2, v4 bitop3:0x14
	v_dual_cndmask_b32 v2, -1, v2, vcc_lo :: v_dual_bitop2_b32 v7, v6, v29 bitop3:0x40
	s_delay_alu instid0(VALU_DEP_1) | instskip(NEXT) | instid1(VALU_DEP_1)
	v_and_b32_e32 v6, v2, v28
	v_cmp_eq_u64_e32 vcc_lo, v[6:7], v[24:25]
	s_and_b32 exec_lo, exec_lo, vcc_lo
	s_cbranch_execz .LBB186_342
; %bb.347:                              ;   in Loop: Header=BB186_345 Depth=2
	v_mov_b32_e32 v2, v21
	ds_store_b128 v21, v[2:5] offset:3072
	s_branch .LBB186_342
.LBB186_348:                            ;   in Loop: Header=BB186_345 Depth=2
	s_mov_b32 s54, -1
	s_mov_b32 s4, -1
                                        ; implicit-def: $vgpr8_vgpr9
                                        ; implicit-def: $vgpr10
	s_branch .LBB186_344
.LBB186_349:                            ;   in Loop: Header=BB186_18 Depth=1
                                        ; implicit-def: $sgpr24_sgpr25
	s_branch .LBB186_293
.LBB186_350:                            ;   in Loop: Header=BB186_18 Depth=1
                                        ; implicit-def: $sgpr8_sgpr9
	s_branch .LBB186_309
.LBB186_351:                            ;   in Loop: Header=BB186_18 Depth=1
	s_or_b32 exec_lo, exec_lo, s22
	s_delay_alu instid0(SALU_CYCLE_1)
	s_and_b32 s22, s53, exec_lo
.LBB186_352:                            ;   in Loop: Header=BB186_18 Depth=1
	s_or_b32 exec_lo, exec_lo, s26
.LBB186_353:                            ;   in Loop: Header=BB186_18 Depth=1
	s_delay_alu instid0(SALU_CYCLE_1)
	s_and_b32 vcc_lo, exec_lo, s23
	s_cbranch_vccz .LBB186_368
; %bb.354:                              ;   in Loop: Header=BB186_18 Depth=1
	s_and_b64 s[8:9], s[76:77], 0xffffffff00000000
	s_delay_alu instid0(SALU_CYCLE_1)
	s_cmp_lg_u64 s[8:9], 0
	s_cbranch_scc0 .LBB186_397
; %bb.355:                              ;   in Loop: Header=BB186_18 Depth=1
	s_cvt_f32_u32 s4, s34
	s_sub_nc_u64 s[20:21], 0, s[34:35]
	s_delay_alu instid0(SALU_CYCLE_2) | instskip(NEXT) | instid1(SALU_CYCLE_3)
	s_fmamk_f32 s4, s64, 0x0, s4
	v_s_rcp_f32 s4, s4
	s_delay_alu instid0(TRANS32_DEP_1) | instskip(NEXT) | instid1(SALU_CYCLE_3)
	s_mul_f32 s4, s4, 0x5f7ffffc
	s_mul_f32 s8, s4, 0x2f800000
	s_delay_alu instid0(SALU_CYCLE_3) | instskip(NEXT) | instid1(SALU_CYCLE_3)
	s_trunc_f32 s8, s8
	s_fmamk_f32 s4, s8, 0xcf800000, s4
	s_cvt_u32_f32 s9, s8
	s_delay_alu instid0(SALU_CYCLE_2) | instskip(NEXT) | instid1(SALU_CYCLE_3)
	s_cvt_u32_f32 s8, s4
	s_mul_u64 s[54:55], s[20:21], s[8:9]
	s_delay_alu instid0(SALU_CYCLE_1)
	s_mul_hi_u32 s61, s8, s55
	s_mul_i32 s60, s8, s55
	s_mul_hi_u32 s26, s8, s54
	s_mul_i32 s23, s9, s54
	s_add_nc_u64 s[60:61], s[26:27], s[60:61]
	s_mul_hi_u32 s4, s9, s54
	s_mul_hi_u32 s25, s9, s55
	s_add_co_u32 s23, s60, s23
	s_add_co_ci_u32 s26, s61, s4
	s_mul_i32 s54, s9, s55
	s_add_co_ci_u32 s55, s25, 0
	s_delay_alu instid0(SALU_CYCLE_1) | instskip(NEXT) | instid1(SALU_CYCLE_1)
	s_add_nc_u64 s[54:55], s[26:27], s[54:55]
	s_add_co_u32 s8, s8, s54
	s_cselect_b32 s4, -1, 0
	s_delay_alu instid0(SALU_CYCLE_1) | instskip(SKIP_1) | instid1(SALU_CYCLE_1)
	s_cmp_lg_u32 s4, 0
	s_add_co_ci_u32 s9, s9, s55
	s_mul_u64 s[20:21], s[20:21], s[8:9]
	s_delay_alu instid0(SALU_CYCLE_1)
	s_mul_hi_u32 s55, s8, s21
	s_mul_i32 s54, s8, s21
	s_mul_hi_u32 s26, s8, s20
	s_mul_i32 s23, s9, s20
	s_add_nc_u64 s[54:55], s[26:27], s[54:55]
	s_mul_hi_u32 s4, s9, s20
	s_mul_hi_u32 s25, s9, s21
	s_mul_i32 s20, s9, s21
	s_add_co_u32 s21, s54, s23
	s_add_co_ci_u32 s26, s55, s4
	s_add_co_ci_u32 s21, s25, 0
	s_delay_alu instid0(SALU_CYCLE_1) | instskip(NEXT) | instid1(SALU_CYCLE_1)
	s_add_nc_u64 s[20:21], s[26:27], s[20:21]
	s_add_co_u32 s4, s8, s20
	s_cselect_b32 s8, -1, 0
	s_mul_hi_u32 s26, s76, s4
	s_cmp_lg_u32 s8, 0
	s_mul_hi_u32 s23, s77, s4
	s_add_co_ci_u32 s20, s9, s21
	s_mul_i32 s4, s77, s4
	s_mul_hi_u32 s9, s76, s20
	s_mul_i32 s8, s76, s20
	s_mul_hi_u32 s21, s77, s20
	s_add_nc_u64 s[8:9], s[26:27], s[8:9]
	s_mul_i32 s20, s77, s20
	s_add_co_u32 s4, s8, s4
	s_add_co_ci_u32 s26, s9, s23
	s_add_co_ci_u32 s21, s21, 0
	s_delay_alu instid0(SALU_CYCLE_1) | instskip(NEXT) | instid1(SALU_CYCLE_1)
	s_add_nc_u64 s[8:9], s[26:27], s[20:21]
	s_and_b64 s[20:21], s[8:9], 0xffffffff00000000
	s_delay_alu instid0(SALU_CYCLE_1) | instskip(NEXT) | instid1(SALU_CYCLE_1)
	s_or_b32 s20, s20, s8
	s_mul_u64 s[8:9], s[34:35], s[20:21]
	s_delay_alu instid0(SALU_CYCLE_1) | instskip(SKIP_1) | instid1(SALU_CYCLE_1)
	s_sub_co_u32 s4, s76, s8
	s_cselect_b32 s8, -1, 0
	s_cmp_lg_u32 s8, 0
	s_sub_co_ci_u32 s8, s77, s9
	s_sub_co_u32 s9, s4, s34
	s_cselect_b32 s20, -1, 0
	s_delay_alu instid0(SALU_CYCLE_1) | instskip(SKIP_3) | instid1(SALU_CYCLE_1)
	s_cmp_lg_u32 s20, 0
	s_sub_co_ci_u32 s20, s8, 0
	s_sub_co_u32 s21, s9, s34
	s_cselect_b32 s23, -1, 0
	s_cmp_lg_u32 s23, 0
	s_sub_co_ci_u32 s23, s20, 0
	s_cmp_ge_u32 s9, s34
	s_cselect_b32 s25, -1, 0
	s_cmp_eq_u32 s20, 0
	s_cselect_b32 s25, s25, -1
	s_delay_alu instid0(SALU_CYCLE_1)
	s_cmp_lg_u32 s25, 0
	s_cselect_b32 s20, s23, s20
	s_cselect_b32 s21, s21, s9
	s_cmp_ge_u32 s4, s34
	s_cselect_b32 s9, -1, 0
	s_cmp_eq_u32 s8, 0
	s_cselect_b32 s9, s9, -1
	s_delay_alu instid0(SALU_CYCLE_1)
	s_cmp_lg_u32 s9, 0
	s_cselect_b32 s9, s20, s8
	s_cselect_b32 s8, s21, s4
	s_cbranch_execnz .LBB186_357
.LBB186_356:                            ;   in Loop: Header=BB186_18 Depth=1
	v_cvt_f32_u32_e32 v2, s34
	s_sub_co_i32 s8, 0, s34
	s_delay_alu instid0(VALU_DEP_1) | instskip(SKIP_1) | instid1(TRANS32_DEP_1)
	v_rcp_iflag_f32_e32 v2, v2
	v_nop
	v_mul_f32_e32 v2, 0x4f7ffffe, v2
	s_delay_alu instid0(VALU_DEP_1) | instskip(NEXT) | instid1(VALU_DEP_1)
	v_cvt_u32_f32_e32 v2, v2
	v_readfirstlane_b32 s4, v2
	s_mul_i32 s8, s8, s4
	s_delay_alu instid0(SALU_CYCLE_1) | instskip(NEXT) | instid1(SALU_CYCLE_1)
	s_mul_hi_u32 s8, s4, s8
	s_add_co_i32 s4, s4, s8
	s_delay_alu instid0(SALU_CYCLE_1) | instskip(NEXT) | instid1(SALU_CYCLE_1)
	s_mul_hi_u32 s4, s76, s4
	s_mul_i32 s4, s4, s34
	s_delay_alu instid0(SALU_CYCLE_1) | instskip(NEXT) | instid1(SALU_CYCLE_1)
	s_sub_co_i32 s4, s76, s4
	s_sub_co_i32 s8, s4, s34
	s_cmp_ge_u32 s4, s34
	s_cselect_b32 s4, s8, s4
	s_delay_alu instid0(SALU_CYCLE_1) | instskip(SKIP_2) | instid1(SALU_CYCLE_1)
	s_sub_co_i32 s8, s4, s34
	s_cmp_ge_u32 s4, s34
	s_cselect_b32 s26, s8, s4
	s_mov_b64 s[8:9], s[26:27]
.LBB186_357:                            ;   in Loop: Header=BB186_18 Depth=1
	s_delay_alu instid0(SALU_CYCLE_1)
	s_sub_nc_u64 s[8:9], s[76:77], s[8:9]
	s_mov_b32 s20, exec_lo
                                        ; implicit-def: $vgpr6_vgpr7
	v_cmpx_gt_u64_e64 s[8:9], v[0:1]
	s_cbranch_execz .LBB186_367
; %bb.358:                              ;   in Loop: Header=BB186_18 Depth=1
	v_mov_b64_e32 v[8:9], v[0:1]
	s_mov_b32 s4, 0
                                        ; implicit-def: $sgpr21
	s_branch .LBB186_362
.LBB186_359:                            ;   in Loop: Header=BB186_362 Depth=2
	s_or_b32 exec_lo, exec_lo, s23
	s_wait_dscnt 0x0
	s_barrier_signal -1
	s_barrier_wait -1
	ds_load_b128 v[4:7], v21 offset:3072
	s_wait_dscnt 0x0
	s_barrier_signal -1
	s_barrier_wait -1
	v_cmp_eq_f64_e32 vcc_lo, 0, v[4:5]
	s_cbranch_vccz .LBB186_365
; %bb.360:                              ;   in Loop: Header=BB186_362 Depth=2
	v_add_nc_u64_e32 v[8:9], s[34:35], v[8:9]
	s_mov_b32 s23, 0
	s_delay_alu instid0(VALU_DEP_1)
	v_cmp_le_u64_e32 vcc_lo, s[8:9], v[8:9]
	s_or_not1_b32 s25, vcc_lo, exec_lo
.LBB186_361:                            ;   in Loop: Header=BB186_362 Depth=2
	s_delay_alu instid0(SALU_CYCLE_1) | instskip(NEXT) | instid1(SALU_CYCLE_1)
	s_and_b32 s25, exec_lo, s25
	s_or_b32 s4, s25, s4
	s_and_not1_b32 s21, s21, exec_lo
	s_and_b32 s23, s23, exec_lo
	s_delay_alu instid0(SALU_CYCLE_1)
	s_or_b32 s21, s21, s23
	s_and_not1_b32 exec_lo, exec_lo, s4
	s_cbranch_execz .LBB186_366
.LBB186_362:                            ;   Parent Loop BB186_18 Depth=1
                                        ; =>  This Inner Loop Header: Depth=2
	s_mov_b32 s23, exec_lo
	s_delay_alu instid0(VALU_DEP_1)
	v_cmpx_gt_u64_e64 s[36:37], v[8:9]
	s_cbranch_execz .LBB186_359
; %bb.363:                              ;   in Loop: Header=BB186_362 Depth=2
	v_mul_u64_e32 v[4:5], s[30:31], v[8:9]
	s_delay_alu instid0(VALU_DEP_1) | instskip(SKIP_4) | instid1(VALU_DEP_1)
	v_lshl_add_u64 v[4:5], v[4:5], 3, s[28:29]
	global_load_b64 v[4:5], v[4:5], off
	s_wait_loadcnt 0x0
	v_cmp_o_f64_e32 vcc_lo, v[4:5], v[4:5]
	v_ashrrev_i32_e32 v2, 31, v5
	v_or_b32_e32 v6, 0x80000000, v2
	s_delay_alu instid0(VALU_DEP_1) | instskip(NEXT) | instid1(VALU_DEP_1)
	v_xor_b32_e32 v6, v6, v5
	v_dual_cndmask_b32 v6, -1, v6, vcc_lo :: v_dual_bitop2_b32 v2, v2, v4 bitop3:0x14
	s_delay_alu instid0(VALU_DEP_1) | instskip(NEXT) | instid1(VALU_DEP_1)
	v_dual_cndmask_b32 v2, -1, v2, vcc_lo :: v_dual_bitop2_b32 v7, v6, v29 bitop3:0x40
	v_and_b32_e32 v6, v2, v28
	s_delay_alu instid0(VALU_DEP_1)
	v_cmp_eq_u64_e32 vcc_lo, v[6:7], v[24:25]
	s_and_b32 exec_lo, exec_lo, vcc_lo
	s_cbranch_execz .LBB186_359
; %bb.364:                              ;   in Loop: Header=BB186_362 Depth=2
	v_mov_b32_e32 v2, v21
	ds_store_b128 v21, v[2:5] offset:3072
	s_branch .LBB186_359
.LBB186_365:                            ;   in Loop: Header=BB186_362 Depth=2
	s_mov_b32 s25, -1
	s_mov_b32 s23, -1
                                        ; implicit-def: $vgpr8_vgpr9
	s_branch .LBB186_361
.LBB186_366:                            ;   in Loop: Header=BB186_18 Depth=1
	s_or_b32 exec_lo, exec_lo, s4
	s_delay_alu instid0(SALU_CYCLE_1) | instskip(SKIP_1) | instid1(SALU_CYCLE_1)
	s_and_not1_b32 s4, s22, exec_lo
	s_and_b32 s8, s21, exec_lo
	s_or_b32 s22, s4, s8
.LBB186_367:                            ;   in Loop: Header=BB186_18 Depth=1
	s_or_b32 exec_lo, exec_lo, s20
	s_mov_b32 s25, 0
	s_mov_b32 s85, -1
.LBB186_368:                            ;   in Loop: Header=BB186_18 Depth=1
	s_or_not1_b32 s4, s22, exec_lo
.LBB186_369:                            ;   in Loop: Header=BB186_18 Depth=1
	s_or_b32 exec_lo, exec_lo, s52
	s_mov_b32 s8, 0
	s_and_saveexec_b32 s22, s4
	s_cbranch_execz .LBB186_482
; %bb.370:                              ;   in Loop: Header=BB186_18 Depth=1
	v_mov_b64_e32 v[8:9], 1
	v_mov_b32_e32 v20, 1
	s_xor_b32 s4, s86, -1
	s_mov_b32 s9, 0
	s_and_saveexec_b32 s8, s4
	s_cbranch_execz .LBB186_379
; %bb.371:                              ;   in Loop: Header=BB186_18 Depth=1
	s_mov_b32 s4, exec_lo
	v_cmpx_ge_u64_e64 s[18:19], v[32:33]
	s_xor_b32 s4, exec_lo, s4
	s_cbranch_execz .LBB186_376
; %bb.372:                              ;   in Loop: Header=BB186_18 Depth=1
	ds_load_b64 v[4:5], v21 offset:5120
	v_and_b32_e32 v2, s15, v25
	v_and_b32_e32 v8, s14, v24
	s_lshl_b64 s[20:21], 2, s104
	v_or_b32_e32 v29, s13, v29
	v_or_b32_e32 v28, s12, v28
	;; [unrolled: 1-line block ×4, first 2 shown]
	s_wait_dscnt 0x0
	v_cmp_ne_u64_e32 vcc_lo, 0, v[4:5]
	s_cbranch_vccnz .LBB186_376
; %bb.373:                              ;   in Loop: Header=BB186_18 Depth=1
	s_and_saveexec_b32 s9, s5
; %bb.374:                              ;   in Loop: Header=BB186_18 Depth=1
	v_mov_b64_e32 v[4:5], s[18:19]
	ds_store_b64 v21, v[4:5] offset:5128
; %bb.375:                              ;   in Loop: Header=BB186_18 Depth=1
	s_or_b32 exec_lo, exec_lo, s9
	s_wait_dscnt 0x0
	s_barrier_signal -1
	s_barrier_wait -1
.LBB186_376:                            ;   in Loop: Header=BB186_18 Depth=1
	s_or_saveexec_b32 s4, s4
	v_mov_b32_e32 v20, 5
	s_mov_b32 s9, 0
	s_xor_b32 exec_lo, exec_lo, s4
; %bb.377:                              ;   in Loop: Header=BB186_18 Depth=1
	v_sub_nc_u64_e64 v[32:33], v[32:33], s[18:19]
	v_mov_b32_e32 v20, 0
	s_mov_b32 s9, exec_lo
; %bb.378:                              ;   in Loop: Header=BB186_18 Depth=1
	s_or_b32 exec_lo, exec_lo, s4
	s_delay_alu instid0(VALU_DEP_2)
	v_mov_b64_e32 v[8:9], v[32:33]
	s_and_b32 s9, s9, exec_lo
.LBB186_379:                            ;   in Loop: Header=BB186_18 Depth=1
	s_or_b32 exec_lo, exec_lo, s8
	s_mov_b32 s4, -1
                                        ; implicit-def: $sgpr86
                                        ; implicit-def: $sgpr88
	s_and_saveexec_b32 s23, s9
	s_cbranch_execz .LBB186_481
; %bb.380:                              ;   in Loop: Header=BB186_18 Depth=1
	s_delay_alu instid0(VALU_DEP_1) | instskip(SKIP_2) | instid1(SALU_CYCLE_1)
	v_cmp_eq_u64_e32 vcc_lo, 1, v[8:9]
	s_cmp_eq_u64 s[16:17], 1
                                        ; implicit-def: $sgpr88
                                        ; implicit-def: $sgpr86
	s_cselect_b32 s4, -1, 0
	s_and_b32 s89, s4, vcc_lo
	s_mov_b32 s4, -1
	s_and_saveexec_b32 s52, s89
	s_cbranch_execz .LBB186_416
; %bb.381:                              ;   in Loop: Header=BB186_18 Depth=1
	ds_load_b64 v[4:5], v21 offset:5120
	s_wait_dscnt 0x0
	s_barrier_signal -1
	s_barrier_wait -1
	v_readfirstlane_b32 s8, v4
	v_readfirstlane_b32 s9, v5
	s_and_saveexec_b32 s4, s6
; %bb.382:                              ;   in Loop: Header=BB186_18 Depth=1
	ds_store_b64 v39, v[26:27]
; %bb.383:                              ;   in Loop: Header=BB186_18 Depth=1
	s_or_b32 exec_lo, exec_lo, s4
	v_and_b32_e32 v2, s15, v25
	v_and_b32_e32 v4, s14, v24
	s_lshl_b64 s[18:19], 1, s104
	v_or_b32_e32 v29, s13, v29
	v_or_b32_e32 v28, s12, v28
	v_or_b32_e32 v25, s19, v2
	v_or_b32_e32 v24, s18, v4
	s_mov_b32 s86, -1
	s_mov_b32 s88, 0
	s_cmp_eq_u64 s[8:9], 0
	s_mov_b32 s20, 0
	s_mov_b32 s21, -1
	s_wait_dscnt 0x0
	s_barrier_signal -1
	s_barrier_wait -1
                                        ; implicit-def: $vgpr6_vgpr7
	s_cbranch_scc1 .LBB186_400
; %bb.384:                              ;   in Loop: Header=BB186_18 Depth=1
	s_add_nc_u64 s[18:19], s[8:9], s[74:75]
	s_delay_alu instid0(SALU_CYCLE_1) | instskip(NEXT) | instid1(SALU_CYCLE_1)
	s_and_b64 s[20:21], s[18:19], 0xffffffff00000000
	s_cmp_lg_u64 s[20:21], 0
	s_cbranch_scc0 .LBB186_433
; %bb.385:                              ;   in Loop: Header=BB186_18 Depth=1
	s_cvt_f32_u32 s4, s34
	s_sub_nc_u64 s[54:55], 0, s[34:35]
	s_delay_alu instid0(SALU_CYCLE_2) | instskip(NEXT) | instid1(SALU_CYCLE_3)
	s_fmamk_f32 s4, s64, 0x0, s4
	v_s_rcp_f32 s4, s4
	s_delay_alu instid0(TRANS32_DEP_1) | instskip(NEXT) | instid1(SALU_CYCLE_3)
	s_mul_f32 s4, s4, 0x5f7ffffc
	s_mul_f32 s20, s4, 0x2f800000
	s_delay_alu instid0(SALU_CYCLE_3) | instskip(NEXT) | instid1(SALU_CYCLE_3)
	s_trunc_f32 s20, s20
	s_fmamk_f32 s4, s20, 0xcf800000, s4
	s_cvt_u32_f32 s21, s20
	s_delay_alu instid0(SALU_CYCLE_2) | instskip(NEXT) | instid1(SALU_CYCLE_3)
	s_cvt_u32_f32 s20, s4
	s_mul_u64 s[60:61], s[54:55], s[20:21]
	s_delay_alu instid0(SALU_CYCLE_1)
	s_mul_hi_u32 s91, s20, s61
	s_mul_i32 s90, s20, s61
	s_mul_hi_u32 s26, s20, s60
	s_mul_i32 s40, s21, s60
	s_add_nc_u64 s[90:91], s[26:27], s[90:91]
	s_mul_hi_u32 s4, s21, s60
	s_mul_hi_u32 s41, s21, s61
	s_add_co_u32 s26, s90, s40
	s_add_co_ci_u32 s26, s91, s4
	s_mul_i32 s60, s21, s61
	s_add_co_ci_u32 s61, s41, 0
	s_delay_alu instid0(SALU_CYCLE_1) | instskip(NEXT) | instid1(SALU_CYCLE_1)
	s_add_nc_u64 s[60:61], s[26:27], s[60:61]
	s_add_co_u32 s20, s20, s60
	s_cselect_b32 s4, -1, 0
	s_delay_alu instid0(SALU_CYCLE_1) | instskip(SKIP_1) | instid1(SALU_CYCLE_1)
	s_cmp_lg_u32 s4, 0
	s_add_co_ci_u32 s21, s21, s61
	s_mul_u64 s[54:55], s[54:55], s[20:21]
	s_delay_alu instid0(SALU_CYCLE_1)
	s_mul_hi_u32 s61, s20, s55
	s_mul_i32 s60, s20, s55
	s_mul_hi_u32 s26, s20, s54
	s_mul_i32 s40, s21, s54
	s_add_nc_u64 s[60:61], s[26:27], s[60:61]
	s_mul_hi_u32 s4, s21, s54
	s_mul_hi_u32 s41, s21, s55
	s_add_co_u32 s26, s60, s40
	s_add_co_ci_u32 s26, s61, s4
	s_mul_i32 s54, s21, s55
	s_add_co_ci_u32 s55, s41, 0
	s_delay_alu instid0(SALU_CYCLE_1) | instskip(NEXT) | instid1(SALU_CYCLE_1)
	s_add_nc_u64 s[54:55], s[26:27], s[54:55]
	s_add_co_u32 s4, s20, s54
	s_cselect_b32 s20, -1, 0
	s_mul_hi_u32 s26, s18, s4
	s_cmp_lg_u32 s20, 0
	s_mul_hi_u32 s40, s19, s4
	s_add_co_ci_u32 s41, s21, s55
	s_mul_i32 s4, s19, s4
	s_mul_hi_u32 s21, s18, s41
	s_mul_i32 s20, s18, s41
	s_mul_hi_u32 s42, s19, s41
	s_add_nc_u64 s[20:21], s[26:27], s[20:21]
	s_mul_i32 s54, s19, s41
	s_add_co_u32 s4, s20, s4
	s_add_co_ci_u32 s26, s21, s40
	s_add_co_ci_u32 s55, s42, 0
	s_delay_alu instid0(SALU_CYCLE_1) | instskip(NEXT) | instid1(SALU_CYCLE_1)
	s_add_nc_u64 s[20:21], s[26:27], s[54:55]
	s_and_b64 s[54:55], s[20:21], 0xffffffff00000000
	s_delay_alu instid0(SALU_CYCLE_1) | instskip(NEXT) | instid1(SALU_CYCLE_1)
	s_or_b32 s54, s54, s20
	s_mul_u64 s[20:21], s[34:35], s[54:55]
	s_delay_alu instid0(SALU_CYCLE_1) | instskip(SKIP_1) | instid1(SALU_CYCLE_1)
	s_sub_co_u32 s4, s18, s20
	s_cselect_b32 s20, -1, 0
	s_cmp_lg_u32 s20, 0
	s_sub_co_ci_u32 s20, s19, s21
	s_sub_co_u32 s21, s4, s34
	s_cselect_b32 s26, -1, 0
	s_delay_alu instid0(SALU_CYCLE_1) | instskip(SKIP_3) | instid1(SALU_CYCLE_1)
	s_cmp_lg_u32 s26, 0
	s_sub_co_ci_u32 s26, s20, 0
	s_sub_co_u32 s40, s21, s34
	s_cselect_b32 s41, -1, 0
	s_cmp_lg_u32 s41, 0
	s_sub_co_ci_u32 s41, s26, 0
	s_cmp_ge_u32 s21, s34
	s_cselect_b32 s42, -1, 0
	s_cmp_eq_u32 s26, 0
	s_cselect_b32 s42, s42, -1
	s_delay_alu instid0(SALU_CYCLE_1)
	s_cmp_lg_u32 s42, 0
	s_cselect_b32 s26, s41, s26
	s_cselect_b32 s40, s40, s21
	s_cmp_ge_u32 s4, s34
	s_cselect_b32 s21, -1, 0
	s_cmp_eq_u32 s20, 0
	s_cselect_b32 s21, s21, -1
	s_delay_alu instid0(SALU_CYCLE_1)
	s_cmp_lg_u32 s21, 0
	s_cselect_b32 s21, s26, s20
	s_cselect_b32 s20, s40, s4
	s_cbranch_execnz .LBB186_387
.LBB186_386:                            ;   in Loop: Header=BB186_18 Depth=1
	v_cvt_f32_u32_e32 v2, s34
	s_sub_co_i32 s20, 0, s34
	s_delay_alu instid0(VALU_DEP_1) | instskip(SKIP_1) | instid1(TRANS32_DEP_1)
	v_rcp_iflag_f32_e32 v2, v2
	v_nop
	v_mul_f32_e32 v2, 0x4f7ffffe, v2
	s_delay_alu instid0(VALU_DEP_1) | instskip(NEXT) | instid1(VALU_DEP_1)
	v_cvt_u32_f32_e32 v2, v2
	v_readfirstlane_b32 s4, v2
	s_mul_i32 s20, s20, s4
	s_delay_alu instid0(SALU_CYCLE_1) | instskip(NEXT) | instid1(SALU_CYCLE_1)
	s_mul_hi_u32 s20, s4, s20
	s_add_co_i32 s4, s4, s20
	s_delay_alu instid0(SALU_CYCLE_1) | instskip(NEXT) | instid1(SALU_CYCLE_1)
	s_mul_hi_u32 s4, s18, s4
	s_mul_i32 s4, s4, s34
	s_delay_alu instid0(SALU_CYCLE_1) | instskip(NEXT) | instid1(SALU_CYCLE_1)
	s_sub_co_i32 s4, s18, s4
	s_sub_co_i32 s20, s4, s34
	s_cmp_ge_u32 s4, s34
	s_cselect_b32 s4, s20, s4
	s_delay_alu instid0(SALU_CYCLE_1) | instskip(SKIP_2) | instid1(SALU_CYCLE_1)
	s_sub_co_i32 s20, s4, s34
	s_cmp_ge_u32 s4, s34
	s_cselect_b32 s26, s20, s4
	s_mov_b64 s[20:21], s[26:27]
.LBB186_387:                            ;   in Loop: Header=BB186_18 Depth=1
	s_delay_alu instid0(SALU_CYCLE_1)
	s_sub_nc_u64 s[18:19], s[18:19], s[20:21]
	s_mov_b32 s21, 0
	s_mov_b32 s20, 0
	s_mov_b32 s26, exec_lo
                                        ; implicit-def: $vgpr6_vgpr7
	v_cmpx_gt_u64_e64 s[18:19], v[0:1]
	s_cbranch_execz .LBB186_399
; %bb.388:                              ;   in Loop: Header=BB186_18 Depth=1
	v_mov_b64_e32 v[10:11], v[0:1]
	v_mov_b32_e32 v12, v38
                                        ; implicit-def: $sgpr53
	s_branch .LBB186_392
.LBB186_389:                            ;   in Loop: Header=BB186_392 Depth=2
	s_or_b32 exec_lo, exec_lo, s4
	s_wait_dscnt 0x0
	s_barrier_signal -1
	s_barrier_wait -1
	ds_load_b128 v[4:7], v21 offset:3072
	s_wait_dscnt 0x0
	s_barrier_signal -1
	s_barrier_wait -1
	v_cmp_neq_f64_e32 vcc_lo, 0, v[4:5]
	s_cbranch_vccnz .LBB186_395
; %bb.390:                              ;   in Loop: Header=BB186_392 Depth=2
	v_add_nc_u64_e32 v[10:11], s[34:35], v[10:11]
	v_add_nc_u32_e32 v12, s103, v12
	s_mov_b32 s4, 0
	s_delay_alu instid0(VALU_DEP_2)
	v_cmp_le_u64_e32 vcc_lo, s[18:19], v[10:11]
	s_or_not1_b32 s54, vcc_lo, exec_lo
.LBB186_391:                            ;   in Loop: Header=BB186_392 Depth=2
	s_delay_alu instid0(SALU_CYCLE_1) | instskip(NEXT) | instid1(SALU_CYCLE_1)
	s_and_b32 s40, exec_lo, s54
	s_or_b32 s20, s40, s20
	s_and_not1_b32 s40, s53, exec_lo
	s_and_b32 s4, s4, exec_lo
	s_delay_alu instid0(SALU_CYCLE_1)
	s_or_b32 s53, s40, s4
	s_and_not1_b32 exec_lo, exec_lo, s20
	s_cbranch_execz .LBB186_398
.LBB186_392:                            ;   Parent Loop BB186_18 Depth=1
                                        ; =>  This Inner Loop Header: Depth=2
	s_mov_b32 s4, exec_lo
	s_delay_alu instid0(VALU_DEP_2)
	v_cmpx_gt_u64_e64 s[8:9], v[10:11]
	s_cbranch_execz .LBB186_389
; %bb.393:                              ;   in Loop: Header=BB186_392 Depth=2
	ds_load_b64 v[4:5], v12
	s_wait_dscnt 0x0
	v_cmp_o_f64_e32 vcc_lo, v[4:5], v[4:5]
	v_ashrrev_i32_e32 v2, 31, v5
	s_delay_alu instid0(VALU_DEP_1) | instskip(NEXT) | instid1(VALU_DEP_1)
	v_or_b32_e32 v6, 0x80000000, v2
	v_xor_b32_e32 v6, v6, v5
	s_delay_alu instid0(VALU_DEP_1) | instskip(NEXT) | instid1(VALU_DEP_1)
	v_dual_cndmask_b32 v6, -1, v6, vcc_lo :: v_dual_bitop2_b32 v2, v2, v4 bitop3:0x14
	v_dual_cndmask_b32 v2, -1, v2, vcc_lo :: v_dual_bitop2_b32 v7, v6, v29 bitop3:0x40
	s_delay_alu instid0(VALU_DEP_1) | instskip(NEXT) | instid1(VALU_DEP_1)
	v_and_b32_e32 v6, v2, v28
	v_cmp_eq_u64_e32 vcc_lo, v[6:7], v[24:25]
	s_and_b32 exec_lo, exec_lo, vcc_lo
	s_cbranch_execz .LBB186_389
; %bb.394:                              ;   in Loop: Header=BB186_392 Depth=2
	v_mov_b32_e32 v2, v21
	ds_store_b128 v21, v[2:5] offset:3072
	s_branch .LBB186_389
.LBB186_395:                            ;   in Loop: Header=BB186_392 Depth=2
	s_mov_b32 s54, -1
	s_mov_b32 s4, -1
                                        ; implicit-def: $vgpr10_vgpr11
                                        ; implicit-def: $vgpr12
	s_branch .LBB186_391
.LBB186_396:                            ;   in Loop: Header=BB186_18 Depth=1
                                        ; implicit-def: $sgpr22_sgpr23
	s_branch .LBB186_339
.LBB186_397:                            ;   in Loop: Header=BB186_18 Depth=1
                                        ; implicit-def: $sgpr8_sgpr9
	s_branch .LBB186_356
.LBB186_398:                            ;   in Loop: Header=BB186_18 Depth=1
	s_or_b32 exec_lo, exec_lo, s20
	s_delay_alu instid0(SALU_CYCLE_1)
	s_and_b32 s20, s53, exec_lo
.LBB186_399:                            ;   in Loop: Header=BB186_18 Depth=1
	s_or_b32 exec_lo, exec_lo, s26
.LBB186_400:                            ;   in Loop: Header=BB186_18 Depth=1
	s_delay_alu instid0(SALU_CYCLE_1)
	s_and_b32 vcc_lo, exec_lo, s21
	s_cbranch_vccz .LBB186_415
; %bb.401:                              ;   in Loop: Header=BB186_18 Depth=1
	s_and_b64 s[8:9], s[76:77], 0xffffffff00000000
	s_delay_alu instid0(SALU_CYCLE_1)
	s_cmp_lg_u64 s[8:9], 0
	s_cbranch_scc0 .LBB186_434
; %bb.402:                              ;   in Loop: Header=BB186_18 Depth=1
	s_cvt_f32_u32 s4, s34
	s_sub_nc_u64 s[18:19], 0, s[34:35]
	s_delay_alu instid0(SALU_CYCLE_2) | instskip(NEXT) | instid1(SALU_CYCLE_3)
	s_fmamk_f32 s4, s64, 0x0, s4
	v_s_rcp_f32 s4, s4
	s_delay_alu instid0(TRANS32_DEP_1) | instskip(NEXT) | instid1(SALU_CYCLE_3)
	s_mul_f32 s4, s4, 0x5f7ffffc
	s_mul_f32 s8, s4, 0x2f800000
	s_delay_alu instid0(SALU_CYCLE_3) | instskip(NEXT) | instid1(SALU_CYCLE_3)
	s_trunc_f32 s8, s8
	s_fmamk_f32 s4, s8, 0xcf800000, s4
	s_cvt_u32_f32 s9, s8
	s_delay_alu instid0(SALU_CYCLE_2) | instskip(NEXT) | instid1(SALU_CYCLE_3)
	s_cvt_u32_f32 s8, s4
	s_mul_u64 s[54:55], s[18:19], s[8:9]
	s_delay_alu instid0(SALU_CYCLE_1)
	s_mul_hi_u32 s61, s8, s55
	s_mul_i32 s60, s8, s55
	s_mul_hi_u32 s26, s8, s54
	s_mul_i32 s21, s9, s54
	s_add_nc_u64 s[60:61], s[26:27], s[60:61]
	s_mul_hi_u32 s4, s9, s54
	s_mul_hi_u32 s40, s9, s55
	s_add_co_u32 s21, s60, s21
	s_add_co_ci_u32 s26, s61, s4
	s_mul_i32 s54, s9, s55
	s_add_co_ci_u32 s55, s40, 0
	s_delay_alu instid0(SALU_CYCLE_1) | instskip(NEXT) | instid1(SALU_CYCLE_1)
	s_add_nc_u64 s[54:55], s[26:27], s[54:55]
	s_add_co_u32 s8, s8, s54
	s_cselect_b32 s4, -1, 0
	s_delay_alu instid0(SALU_CYCLE_1) | instskip(SKIP_1) | instid1(SALU_CYCLE_1)
	s_cmp_lg_u32 s4, 0
	s_add_co_ci_u32 s9, s9, s55
	s_mul_u64 s[18:19], s[18:19], s[8:9]
	s_delay_alu instid0(SALU_CYCLE_1)
	s_mul_hi_u32 s55, s8, s19
	s_mul_i32 s54, s8, s19
	s_mul_hi_u32 s26, s8, s18
	s_mul_i32 s21, s9, s18
	s_add_nc_u64 s[54:55], s[26:27], s[54:55]
	s_mul_hi_u32 s4, s9, s18
	s_mul_hi_u32 s40, s9, s19
	s_mul_i32 s18, s9, s19
	s_add_co_u32 s19, s54, s21
	s_add_co_ci_u32 s26, s55, s4
	s_add_co_ci_u32 s19, s40, 0
	s_delay_alu instid0(SALU_CYCLE_1) | instskip(NEXT) | instid1(SALU_CYCLE_1)
	s_add_nc_u64 s[18:19], s[26:27], s[18:19]
	s_add_co_u32 s4, s8, s18
	s_cselect_b32 s8, -1, 0
	s_mul_hi_u32 s26, s76, s4
	s_cmp_lg_u32 s8, 0
	s_mul_hi_u32 s21, s77, s4
	s_add_co_ci_u32 s18, s9, s19
	s_mul_i32 s4, s77, s4
	s_mul_hi_u32 s9, s76, s18
	s_mul_i32 s8, s76, s18
	s_mul_hi_u32 s19, s77, s18
	s_add_nc_u64 s[8:9], s[26:27], s[8:9]
	s_mul_i32 s18, s77, s18
	s_add_co_u32 s4, s8, s4
	s_add_co_ci_u32 s26, s9, s21
	s_add_co_ci_u32 s19, s19, 0
	s_delay_alu instid0(SALU_CYCLE_1) | instskip(NEXT) | instid1(SALU_CYCLE_1)
	s_add_nc_u64 s[8:9], s[26:27], s[18:19]
	s_and_b64 s[18:19], s[8:9], 0xffffffff00000000
	s_delay_alu instid0(SALU_CYCLE_1) | instskip(NEXT) | instid1(SALU_CYCLE_1)
	s_or_b32 s18, s18, s8
	s_mul_u64 s[8:9], s[34:35], s[18:19]
	s_delay_alu instid0(SALU_CYCLE_1) | instskip(SKIP_1) | instid1(SALU_CYCLE_1)
	s_sub_co_u32 s4, s76, s8
	s_cselect_b32 s8, -1, 0
	s_cmp_lg_u32 s8, 0
	s_sub_co_ci_u32 s8, s77, s9
	s_sub_co_u32 s9, s4, s34
	s_cselect_b32 s18, -1, 0
	s_delay_alu instid0(SALU_CYCLE_1) | instskip(SKIP_3) | instid1(SALU_CYCLE_1)
	s_cmp_lg_u32 s18, 0
	s_sub_co_ci_u32 s18, s8, 0
	s_sub_co_u32 s19, s9, s34
	s_cselect_b32 s21, -1, 0
	s_cmp_lg_u32 s21, 0
	s_sub_co_ci_u32 s21, s18, 0
	s_cmp_ge_u32 s9, s34
	s_cselect_b32 s26, -1, 0
	s_cmp_eq_u32 s18, 0
	s_cselect_b32 s26, s26, -1
	s_delay_alu instid0(SALU_CYCLE_1)
	s_cmp_lg_u32 s26, 0
	s_cselect_b32 s18, s21, s18
	s_cselect_b32 s19, s19, s9
	s_cmp_ge_u32 s4, s34
	s_cselect_b32 s9, -1, 0
	s_cmp_eq_u32 s8, 0
	s_cselect_b32 s9, s9, -1
	s_delay_alu instid0(SALU_CYCLE_1)
	s_cmp_lg_u32 s9, 0
	s_cselect_b32 s9, s18, s8
	s_cselect_b32 s8, s19, s4
	s_cbranch_execnz .LBB186_404
.LBB186_403:                            ;   in Loop: Header=BB186_18 Depth=1
	v_cvt_f32_u32_e32 v2, s34
	s_sub_co_i32 s8, 0, s34
	s_delay_alu instid0(VALU_DEP_1) | instskip(SKIP_1) | instid1(TRANS32_DEP_1)
	v_rcp_iflag_f32_e32 v2, v2
	v_nop
	v_mul_f32_e32 v2, 0x4f7ffffe, v2
	s_delay_alu instid0(VALU_DEP_1) | instskip(NEXT) | instid1(VALU_DEP_1)
	v_cvt_u32_f32_e32 v2, v2
	v_readfirstlane_b32 s4, v2
	s_mul_i32 s8, s8, s4
	s_delay_alu instid0(SALU_CYCLE_1) | instskip(NEXT) | instid1(SALU_CYCLE_1)
	s_mul_hi_u32 s8, s4, s8
	s_add_co_i32 s4, s4, s8
	s_delay_alu instid0(SALU_CYCLE_1) | instskip(NEXT) | instid1(SALU_CYCLE_1)
	s_mul_hi_u32 s4, s76, s4
	s_mul_i32 s4, s4, s34
	s_delay_alu instid0(SALU_CYCLE_1) | instskip(NEXT) | instid1(SALU_CYCLE_1)
	s_sub_co_i32 s4, s76, s4
	s_sub_co_i32 s8, s4, s34
	s_cmp_ge_u32 s4, s34
	s_cselect_b32 s4, s8, s4
	s_delay_alu instid0(SALU_CYCLE_1) | instskip(SKIP_2) | instid1(SALU_CYCLE_1)
	s_sub_co_i32 s8, s4, s34
	s_cmp_ge_u32 s4, s34
	s_cselect_b32 s26, s8, s4
	s_mov_b64 s[8:9], s[26:27]
.LBB186_404:                            ;   in Loop: Header=BB186_18 Depth=1
	s_delay_alu instid0(SALU_CYCLE_1)
	s_sub_nc_u64 s[8:9], s[76:77], s[8:9]
	s_mov_b32 s18, exec_lo
                                        ; implicit-def: $vgpr6_vgpr7
	v_cmpx_gt_u64_e64 s[8:9], v[0:1]
	s_cbranch_execz .LBB186_414
; %bb.405:                              ;   in Loop: Header=BB186_18 Depth=1
	v_mov_b64_e32 v[10:11], v[0:1]
	s_mov_b32 s4, 0
                                        ; implicit-def: $sgpr19
	s_branch .LBB186_409
.LBB186_406:                            ;   in Loop: Header=BB186_409 Depth=2
	s_or_b32 exec_lo, exec_lo, s21
	s_wait_dscnt 0x0
	s_barrier_signal -1
	s_barrier_wait -1
	ds_load_b128 v[4:7], v21 offset:3072
	s_wait_dscnt 0x0
	s_barrier_signal -1
	s_barrier_wait -1
	v_cmp_eq_f64_e32 vcc_lo, 0, v[4:5]
	s_cbranch_vccz .LBB186_412
; %bb.407:                              ;   in Loop: Header=BB186_409 Depth=2
	v_add_nc_u64_e32 v[10:11], s[34:35], v[10:11]
	s_mov_b32 s21, 0
	s_delay_alu instid0(VALU_DEP_1)
	v_cmp_le_u64_e32 vcc_lo, s[8:9], v[10:11]
	s_or_not1_b32 s26, vcc_lo, exec_lo
.LBB186_408:                            ;   in Loop: Header=BB186_409 Depth=2
	s_delay_alu instid0(SALU_CYCLE_1) | instskip(NEXT) | instid1(SALU_CYCLE_1)
	s_and_b32 s26, exec_lo, s26
	s_or_b32 s4, s26, s4
	s_and_not1_b32 s19, s19, exec_lo
	s_and_b32 s21, s21, exec_lo
	s_delay_alu instid0(SALU_CYCLE_1)
	s_or_b32 s19, s19, s21
	s_and_not1_b32 exec_lo, exec_lo, s4
	s_cbranch_execz .LBB186_413
.LBB186_409:                            ;   Parent Loop BB186_18 Depth=1
                                        ; =>  This Inner Loop Header: Depth=2
	s_mov_b32 s21, exec_lo
	s_delay_alu instid0(VALU_DEP_1)
	v_cmpx_gt_u64_e64 s[36:37], v[10:11]
	s_cbranch_execz .LBB186_406
; %bb.410:                              ;   in Loop: Header=BB186_409 Depth=2
	v_mul_u64_e32 v[4:5], s[30:31], v[10:11]
	s_delay_alu instid0(VALU_DEP_1) | instskip(SKIP_4) | instid1(VALU_DEP_1)
	v_lshl_add_u64 v[4:5], v[4:5], 3, s[28:29]
	global_load_b64 v[4:5], v[4:5], off
	s_wait_loadcnt 0x0
	v_cmp_o_f64_e32 vcc_lo, v[4:5], v[4:5]
	v_ashrrev_i32_e32 v2, 31, v5
	v_or_b32_e32 v6, 0x80000000, v2
	s_delay_alu instid0(VALU_DEP_1) | instskip(NEXT) | instid1(VALU_DEP_1)
	v_xor_b32_e32 v6, v6, v5
	v_dual_cndmask_b32 v6, -1, v6, vcc_lo :: v_dual_bitop2_b32 v2, v2, v4 bitop3:0x14
	s_delay_alu instid0(VALU_DEP_1) | instskip(NEXT) | instid1(VALU_DEP_1)
	v_dual_cndmask_b32 v2, -1, v2, vcc_lo :: v_dual_bitop2_b32 v7, v6, v29 bitop3:0x40
	v_and_b32_e32 v6, v2, v28
	s_delay_alu instid0(VALU_DEP_1)
	v_cmp_eq_u64_e32 vcc_lo, v[6:7], v[24:25]
	s_and_b32 exec_lo, exec_lo, vcc_lo
	s_cbranch_execz .LBB186_406
; %bb.411:                              ;   in Loop: Header=BB186_409 Depth=2
	v_mov_b32_e32 v2, v21
	ds_store_b128 v21, v[2:5] offset:3072
	s_branch .LBB186_406
.LBB186_412:                            ;   in Loop: Header=BB186_409 Depth=2
	s_mov_b32 s26, -1
	s_mov_b32 s21, -1
                                        ; implicit-def: $vgpr10_vgpr11
	s_branch .LBB186_408
.LBB186_413:                            ;   in Loop: Header=BB186_18 Depth=1
	s_or_b32 exec_lo, exec_lo, s4
	s_delay_alu instid0(SALU_CYCLE_1) | instskip(SKIP_1) | instid1(SALU_CYCLE_1)
	s_and_not1_b32 s4, s20, exec_lo
	s_and_b32 s8, s19, exec_lo
	s_or_b32 s20, s4, s8
.LBB186_414:                            ;   in Loop: Header=BB186_18 Depth=1
	s_or_b32 exec_lo, exec_lo, s18
	s_mov_b32 s86, 0
	s_mov_b32 s88, -1
.LBB186_415:                            ;   in Loop: Header=BB186_18 Depth=1
	s_or_not1_b32 s4, s20, exec_lo
.LBB186_416:                            ;   in Loop: Header=BB186_18 Depth=1
	s_or_b32 exec_lo, exec_lo, s52
	s_mov_b32 s8, 0
	s_and_saveexec_b32 s20, s4
	s_cbranch_execz .LBB186_480
; %bb.417:                              ;   in Loop: Header=BB186_18 Depth=1
	v_mov_b64_e32 v[10:11], 1
	v_mov_b32_e32 v20, 1
	s_xor_b32 s4, s89, -1
	s_mov_b32 s9, 0
	s_and_saveexec_b32 s8, s4
	s_cbranch_execz .LBB186_426
; %bb.418:                              ;   in Loop: Header=BB186_18 Depth=1
	s_mov_b32 s4, exec_lo
	v_cmpx_ge_u64_e64 s[16:17], v[8:9]
	s_xor_b32 s4, exec_lo, s4
	s_cbranch_execz .LBB186_423
; %bb.419:                              ;   in Loop: Header=BB186_18 Depth=1
	ds_load_b64 v[4:5], v21 offset:5120
	v_and_b32_e32 v2, s15, v25
	v_and_b32_e32 v10, s14, v24
	s_lshl_b64 s[18:19], 1, s104
	v_or_b32_e32 v29, s13, v29
	v_or_b32_e32 v28, s12, v28
	;; [unrolled: 1-line block ×4, first 2 shown]
	s_wait_dscnt 0x0
	v_cmp_ne_u64_e32 vcc_lo, 0, v[4:5]
	s_cbranch_vccnz .LBB186_423
; %bb.420:                              ;   in Loop: Header=BB186_18 Depth=1
	s_and_saveexec_b32 s9, s5
; %bb.421:                              ;   in Loop: Header=BB186_18 Depth=1
	v_mov_b64_e32 v[4:5], s[16:17]
	ds_store_b64 v21, v[4:5] offset:5128
; %bb.422:                              ;   in Loop: Header=BB186_18 Depth=1
	s_or_b32 exec_lo, exec_lo, s9
	s_wait_dscnt 0x0
	s_barrier_signal -1
	s_barrier_wait -1
.LBB186_423:                            ;   in Loop: Header=BB186_18 Depth=1
	s_or_saveexec_b32 s4, s4
	v_mov_b32_e32 v20, 5
	s_mov_b32 s9, 0
	s_xor_b32 exec_lo, exec_lo, s4
; %bb.424:                              ;   in Loop: Header=BB186_18 Depth=1
	v_sub_nc_u64_e64 v[8:9], v[8:9], s[16:17]
	v_mov_b32_e32 v20, 0
	s_mov_b32 s9, exec_lo
; %bb.425:                              ;   in Loop: Header=BB186_18 Depth=1
	s_or_b32 exec_lo, exec_lo, s4
	s_delay_alu instid0(VALU_DEP_2)
	v_mov_b64_e32 v[10:11], v[8:9]
	s_and_b32 s9, s9, exec_lo
.LBB186_426:                            ;   in Loop: Header=BB186_18 Depth=1
	s_or_b32 exec_lo, exec_lo, s8
	s_mov_b32 s4, -1
                                        ; implicit-def: $sgpr55
                                        ; implicit-def: $sgpr54
	s_and_saveexec_b32 s21, s9
	s_cbranch_execz .LBB186_479
; %bb.427:                              ;   in Loop: Header=BB186_18 Depth=1
	s_delay_alu instid0(VALU_DEP_1) | instskip(SKIP_2) | instid1(SALU_CYCLE_1)
	v_cmp_eq_u64_e32 vcc_lo, 1, v[10:11]
	s_cmp_eq_u64 s[10:11], 1
                                        ; implicit-def: $sgpr55
                                        ; implicit-def: $sgpr54
	s_cselect_b32 s4, -1, 0
	s_and_b32 s52, s4, vcc_lo
	s_mov_b32 s4, -1
	s_and_saveexec_b32 s53, s52
	s_cbranch_execz .LBB186_467
; %bb.428:                              ;   in Loop: Header=BB186_18 Depth=1
	ds_load_b64 v[4:5], v21 offset:5120
	s_wait_dscnt 0x0
	s_barrier_signal -1
	s_barrier_wait -1
	v_readfirstlane_b32 s8, v4
	v_readfirstlane_b32 s9, v5
	s_and_saveexec_b32 s4, s6
; %bb.429:                              ;   in Loop: Header=BB186_18 Depth=1
	ds_store_b64 v39, v[26:27]
; %bb.430:                              ;   in Loop: Header=BB186_18 Depth=1
	s_or_b32 exec_lo, exec_lo, s4
	v_and_b32_e32 v25, s15, v25
	v_and_b32_e32 v24, s14, v24
	v_or_b32_e32 v29, s13, v29
	v_or_b32_e32 v28, s12, v28
	s_mov_b32 s54, -1
	s_mov_b32 s55, 0
	s_cmp_eq_u64 s[8:9], 0
	s_mov_b32 s18, 0
	s_mov_b32 s19, -1
	s_wait_dscnt 0x0
	s_barrier_signal -1
	s_barrier_wait -1
                                        ; implicit-def: $vgpr6_vgpr7
	s_cbranch_scc1 .LBB186_449
; %bb.431:                              ;   in Loop: Header=BB186_18 Depth=1
	s_add_nc_u64 s[16:17], s[8:9], s[74:75]
	s_delay_alu instid0(SALU_CYCLE_1) | instskip(NEXT) | instid1(SALU_CYCLE_1)
	s_and_b64 s[18:19], s[16:17], 0xffffffff00000000
	s_cmp_lg_u64 s[18:19], 0
	s_cbranch_scc0 .LBB186_435
; %bb.432:                              ;   in Loop: Header=BB186_18 Depth=1
	s_cvt_f32_u32 s4, s34
	s_sub_nc_u64 s[60:61], 0, s[34:35]
	s_delay_alu instid0(SALU_CYCLE_2) | instskip(NEXT) | instid1(SALU_CYCLE_3)
	s_fmamk_f32 s4, s64, 0x0, s4
	v_s_rcp_f32 s4, s4
	s_delay_alu instid0(TRANS32_DEP_1) | instskip(NEXT) | instid1(SALU_CYCLE_3)
	s_mul_f32 s4, s4, 0x5f7ffffc
	s_mul_f32 s18, s4, 0x2f800000
	s_delay_alu instid0(SALU_CYCLE_3) | instskip(NEXT) | instid1(SALU_CYCLE_3)
	s_trunc_f32 s18, s18
	s_fmamk_f32 s4, s18, 0xcf800000, s4
	s_cvt_u32_f32 s19, s18
	s_delay_alu instid0(SALU_CYCLE_2) | instskip(NEXT) | instid1(SALU_CYCLE_3)
	s_cvt_u32_f32 s18, s4
	s_mul_u64 s[90:91], s[60:61], s[18:19]
	s_delay_alu instid0(SALU_CYCLE_1)
	s_mul_hi_u32 s93, s18, s91
	s_mul_i32 s92, s18, s91
	s_mul_hi_u32 s26, s18, s90
	s_mul_i32 s40, s19, s90
	s_add_nc_u64 s[92:93], s[26:27], s[92:93]
	s_mul_hi_u32 s4, s19, s90
	s_mul_hi_u32 s41, s19, s91
	s_add_co_u32 s26, s92, s40
	s_add_co_ci_u32 s26, s93, s4
	s_mul_i32 s90, s19, s91
	s_add_co_ci_u32 s91, s41, 0
	s_delay_alu instid0(SALU_CYCLE_1) | instskip(NEXT) | instid1(SALU_CYCLE_1)
	s_add_nc_u64 s[90:91], s[26:27], s[90:91]
	s_add_co_u32 s18, s18, s90
	s_cselect_b32 s4, -1, 0
	s_delay_alu instid0(SALU_CYCLE_1) | instskip(SKIP_1) | instid1(SALU_CYCLE_1)
	s_cmp_lg_u32 s4, 0
	s_add_co_ci_u32 s19, s19, s91
	s_mul_u64 s[60:61], s[60:61], s[18:19]
	s_delay_alu instid0(SALU_CYCLE_1)
	s_mul_hi_u32 s91, s18, s61
	s_mul_i32 s90, s18, s61
	s_mul_hi_u32 s26, s18, s60
	s_mul_i32 s40, s19, s60
	s_add_nc_u64 s[90:91], s[26:27], s[90:91]
	s_mul_hi_u32 s4, s19, s60
	s_mul_hi_u32 s41, s19, s61
	s_add_co_u32 s26, s90, s40
	s_add_co_ci_u32 s26, s91, s4
	s_mul_i32 s60, s19, s61
	s_add_co_ci_u32 s61, s41, 0
	s_delay_alu instid0(SALU_CYCLE_1) | instskip(NEXT) | instid1(SALU_CYCLE_1)
	s_add_nc_u64 s[60:61], s[26:27], s[60:61]
	s_add_co_u32 s4, s18, s60
	s_cselect_b32 s18, -1, 0
	s_mul_hi_u32 s26, s16, s4
	s_cmp_lg_u32 s18, 0
	s_mul_hi_u32 s40, s17, s4
	s_add_co_ci_u32 s41, s19, s61
	s_mul_i32 s4, s17, s4
	s_mul_hi_u32 s19, s16, s41
	s_mul_i32 s18, s16, s41
	s_mul_hi_u32 s42, s17, s41
	s_add_nc_u64 s[18:19], s[26:27], s[18:19]
	s_mul_i32 s60, s17, s41
	s_add_co_u32 s4, s18, s4
	s_add_co_ci_u32 s26, s19, s40
	s_add_co_ci_u32 s61, s42, 0
	s_delay_alu instid0(SALU_CYCLE_1) | instskip(NEXT) | instid1(SALU_CYCLE_1)
	s_add_nc_u64 s[18:19], s[26:27], s[60:61]
	s_and_b64 s[60:61], s[18:19], 0xffffffff00000000
	s_delay_alu instid0(SALU_CYCLE_1) | instskip(NEXT) | instid1(SALU_CYCLE_1)
	s_or_b32 s60, s60, s18
	s_mul_u64 s[18:19], s[34:35], s[60:61]
	s_delay_alu instid0(SALU_CYCLE_1) | instskip(SKIP_1) | instid1(SALU_CYCLE_1)
	s_sub_co_u32 s4, s16, s18
	s_cselect_b32 s18, -1, 0
	s_cmp_lg_u32 s18, 0
	s_sub_co_ci_u32 s18, s17, s19
	s_sub_co_u32 s19, s4, s34
	s_cselect_b32 s26, -1, 0
	s_delay_alu instid0(SALU_CYCLE_1) | instskip(SKIP_3) | instid1(SALU_CYCLE_1)
	s_cmp_lg_u32 s26, 0
	s_sub_co_ci_u32 s26, s18, 0
	s_sub_co_u32 s40, s19, s34
	s_cselect_b32 s41, -1, 0
	s_cmp_lg_u32 s41, 0
	s_sub_co_ci_u32 s41, s26, 0
	s_cmp_ge_u32 s19, s34
	s_cselect_b32 s42, -1, 0
	s_cmp_eq_u32 s26, 0
	s_cselect_b32 s42, s42, -1
	s_delay_alu instid0(SALU_CYCLE_1)
	s_cmp_lg_u32 s42, 0
	s_cselect_b32 s26, s41, s26
	s_cselect_b32 s40, s40, s19
	s_cmp_ge_u32 s4, s34
	s_cselect_b32 s19, -1, 0
	s_cmp_eq_u32 s18, 0
	s_cselect_b32 s19, s19, -1
	s_delay_alu instid0(SALU_CYCLE_1)
	s_cmp_lg_u32 s19, 0
	s_cselect_b32 s19, s26, s18
	s_cselect_b32 s18, s40, s4
	s_mov_b32 s4, 0
	s_branch .LBB186_436
.LBB186_433:                            ;   in Loop: Header=BB186_18 Depth=1
                                        ; implicit-def: $sgpr20_sgpr21
	s_branch .LBB186_386
.LBB186_434:                            ;   in Loop: Header=BB186_18 Depth=1
                                        ; implicit-def: $sgpr8_sgpr9
	s_branch .LBB186_403
.LBB186_435:                            ;   in Loop: Header=BB186_18 Depth=1
	s_mov_b32 s4, -1
                                        ; implicit-def: $sgpr18_sgpr19
.LBB186_436:                            ;   in Loop: Header=BB186_18 Depth=1
	s_delay_alu instid0(SALU_CYCLE_1)
	s_and_not1_b32 vcc_lo, exec_lo, s4
	s_cbranch_vccnz .LBB186_438
; %bb.437:                              ;   in Loop: Header=BB186_18 Depth=1
	v_cvt_f32_u32_e32 v2, s34
	s_sub_co_i32 s18, 0, s34
	s_delay_alu instid0(VALU_DEP_1) | instskip(SKIP_1) | instid1(TRANS32_DEP_1)
	v_rcp_iflag_f32_e32 v2, v2
	v_nop
	v_mul_f32_e32 v2, 0x4f7ffffe, v2
	s_delay_alu instid0(VALU_DEP_1) | instskip(NEXT) | instid1(VALU_DEP_1)
	v_cvt_u32_f32_e32 v2, v2
	v_readfirstlane_b32 s4, v2
	s_mul_i32 s18, s18, s4
	s_delay_alu instid0(SALU_CYCLE_1) | instskip(NEXT) | instid1(SALU_CYCLE_1)
	s_mul_hi_u32 s18, s4, s18
	s_add_co_i32 s4, s4, s18
	s_delay_alu instid0(SALU_CYCLE_1) | instskip(NEXT) | instid1(SALU_CYCLE_1)
	s_mul_hi_u32 s4, s16, s4
	s_mul_i32 s4, s4, s34
	s_delay_alu instid0(SALU_CYCLE_1) | instskip(NEXT) | instid1(SALU_CYCLE_1)
	s_sub_co_i32 s4, s16, s4
	s_sub_co_i32 s18, s4, s34
	s_cmp_ge_u32 s4, s34
	s_cselect_b32 s4, s18, s4
	s_delay_alu instid0(SALU_CYCLE_1) | instskip(SKIP_2) | instid1(SALU_CYCLE_1)
	s_sub_co_i32 s18, s4, s34
	s_cmp_ge_u32 s4, s34
	s_cselect_b32 s26, s18, s4
	s_mov_b64 s[18:19], s[26:27]
.LBB186_438:                            ;   in Loop: Header=BB186_18 Depth=1
	s_delay_alu instid0(SALU_CYCLE_1)
	s_sub_nc_u64 s[16:17], s[16:17], s[18:19]
	s_mov_b32 s19, 0
	s_mov_b32 s18, 0
	s_mov_b32 s26, exec_lo
                                        ; implicit-def: $vgpr6_vgpr7
	v_cmpx_gt_u64_e64 s[16:17], v[0:1]
	s_cbranch_execz .LBB186_448
; %bb.439:                              ;   in Loop: Header=BB186_18 Depth=1
	v_mov_b64_e32 v[8:9], v[0:1]
	v_mov_b32_e32 v12, v38
                                        ; implicit-def: $sgpr89
	s_branch .LBB186_443
.LBB186_440:                            ;   in Loop: Header=BB186_443 Depth=2
	s_or_b32 exec_lo, exec_lo, s4
	s_wait_dscnt 0x0
	s_barrier_signal -1
	s_barrier_wait -1
	ds_load_b128 v[4:7], v21 offset:3072
	s_wait_dscnt 0x0
	s_barrier_signal -1
	s_barrier_wait -1
	v_cmp_neq_f64_e32 vcc_lo, 0, v[4:5]
	s_cbranch_vccnz .LBB186_446
; %bb.441:                              ;   in Loop: Header=BB186_443 Depth=2
	v_add_nc_u64_e32 v[8:9], s[34:35], v[8:9]
	v_add_nc_u32_e32 v12, s103, v12
	s_mov_b32 s4, 0
	s_delay_alu instid0(VALU_DEP_2)
	v_cmp_le_u64_e32 vcc_lo, s[16:17], v[8:9]
	s_or_not1_b32 s60, vcc_lo, exec_lo
.LBB186_442:                            ;   in Loop: Header=BB186_443 Depth=2
	s_delay_alu instid0(SALU_CYCLE_1) | instskip(NEXT) | instid1(SALU_CYCLE_1)
	s_and_b32 s40, exec_lo, s60
	s_or_b32 s18, s40, s18
	s_and_not1_b32 s40, s89, exec_lo
	s_and_b32 s4, s4, exec_lo
	s_delay_alu instid0(SALU_CYCLE_1)
	s_or_b32 s89, s40, s4
	s_and_not1_b32 exec_lo, exec_lo, s18
	s_cbranch_execz .LBB186_447
.LBB186_443:                            ;   Parent Loop BB186_18 Depth=1
                                        ; =>  This Inner Loop Header: Depth=2
	s_mov_b32 s4, exec_lo
	s_delay_alu instid0(VALU_DEP_2)
	v_cmpx_gt_u64_e64 s[8:9], v[8:9]
	s_cbranch_execz .LBB186_440
; %bb.444:                              ;   in Loop: Header=BB186_443 Depth=2
	ds_load_b64 v[4:5], v12
	s_wait_dscnt 0x0
	v_cmp_o_f64_e32 vcc_lo, v[4:5], v[4:5]
	v_ashrrev_i32_e32 v2, 31, v5
	s_delay_alu instid0(VALU_DEP_1) | instskip(NEXT) | instid1(VALU_DEP_1)
	v_or_b32_e32 v6, 0x80000000, v2
	v_xor_b32_e32 v6, v6, v5
	s_delay_alu instid0(VALU_DEP_1) | instskip(NEXT) | instid1(VALU_DEP_1)
	v_dual_cndmask_b32 v6, -1, v6, vcc_lo :: v_dual_bitop2_b32 v2, v2, v4 bitop3:0x14
	v_dual_cndmask_b32 v2, -1, v2, vcc_lo :: v_dual_bitop2_b32 v7, v6, v29 bitop3:0x40
	s_delay_alu instid0(VALU_DEP_1) | instskip(NEXT) | instid1(VALU_DEP_1)
	v_and_b32_e32 v6, v2, v28
	v_cmp_eq_u64_e32 vcc_lo, v[6:7], v[24:25]
	s_and_b32 exec_lo, exec_lo, vcc_lo
	s_cbranch_execz .LBB186_440
; %bb.445:                              ;   in Loop: Header=BB186_443 Depth=2
	v_mov_b32_e32 v2, v21
	ds_store_b128 v21, v[2:5] offset:3072
	s_branch .LBB186_440
.LBB186_446:                            ;   in Loop: Header=BB186_443 Depth=2
	s_mov_b32 s60, -1
	s_mov_b32 s4, -1
                                        ; implicit-def: $vgpr8_vgpr9
                                        ; implicit-def: $vgpr12
	s_branch .LBB186_442
.LBB186_447:                            ;   in Loop: Header=BB186_18 Depth=1
	s_or_b32 exec_lo, exec_lo, s18
	s_delay_alu instid0(SALU_CYCLE_1)
	s_and_b32 s18, s89, exec_lo
.LBB186_448:                            ;   in Loop: Header=BB186_18 Depth=1
	s_or_b32 exec_lo, exec_lo, s26
.LBB186_449:                            ;   in Loop: Header=BB186_18 Depth=1
	s_delay_alu instid0(SALU_CYCLE_1)
	s_and_b32 vcc_lo, exec_lo, s19
	s_cbranch_vccz .LBB186_466
; %bb.450:                              ;   in Loop: Header=BB186_18 Depth=1
	s_and_b64 s[8:9], s[76:77], 0xffffffff00000000
	s_delay_alu instid0(SALU_CYCLE_1)
	s_cmp_lg_u64 s[8:9], 0
	s_cbranch_scc0 .LBB186_452
; %bb.451:                              ;   in Loop: Header=BB186_18 Depth=1
	s_cvt_f32_u32 s4, s34
	s_sub_nc_u64 s[16:17], 0, s[34:35]
	s_delay_alu instid0(SALU_CYCLE_2) | instskip(NEXT) | instid1(SALU_CYCLE_3)
	s_fmamk_f32 s4, s64, 0x0, s4
	v_s_rcp_f32 s4, s4
	s_delay_alu instid0(TRANS32_DEP_1) | instskip(NEXT) | instid1(SALU_CYCLE_3)
	s_mul_f32 s4, s4, 0x5f7ffffc
	s_mul_f32 s8, s4, 0x2f800000
	s_delay_alu instid0(SALU_CYCLE_3) | instskip(NEXT) | instid1(SALU_CYCLE_3)
	s_trunc_f32 s8, s8
	s_fmamk_f32 s4, s8, 0xcf800000, s4
	s_cvt_u32_f32 s9, s8
	s_delay_alu instid0(SALU_CYCLE_2) | instskip(NEXT) | instid1(SALU_CYCLE_3)
	s_cvt_u32_f32 s8, s4
	s_mul_u64 s[54:55], s[16:17], s[8:9]
	s_delay_alu instid0(SALU_CYCLE_1)
	s_mul_hi_u32 s61, s8, s55
	s_mul_i32 s60, s8, s55
	s_mul_hi_u32 s26, s8, s54
	s_mul_i32 s19, s9, s54
	s_add_nc_u64 s[60:61], s[26:27], s[60:61]
	s_mul_hi_u32 s4, s9, s54
	s_mul_hi_u32 s40, s9, s55
	s_add_co_u32 s19, s60, s19
	s_add_co_ci_u32 s26, s61, s4
	s_mul_i32 s54, s9, s55
	s_add_co_ci_u32 s55, s40, 0
	s_delay_alu instid0(SALU_CYCLE_1) | instskip(NEXT) | instid1(SALU_CYCLE_1)
	s_add_nc_u64 s[54:55], s[26:27], s[54:55]
	s_add_co_u32 s8, s8, s54
	s_cselect_b32 s4, -1, 0
	s_delay_alu instid0(SALU_CYCLE_1) | instskip(SKIP_1) | instid1(SALU_CYCLE_1)
	s_cmp_lg_u32 s4, 0
	s_add_co_ci_u32 s9, s9, s55
	s_mul_u64 s[16:17], s[16:17], s[8:9]
	s_delay_alu instid0(SALU_CYCLE_1)
	s_mul_hi_u32 s55, s8, s17
	s_mul_i32 s54, s8, s17
	s_mul_hi_u32 s26, s8, s16
	s_mul_i32 s19, s9, s16
	s_add_nc_u64 s[54:55], s[26:27], s[54:55]
	s_mul_hi_u32 s4, s9, s16
	s_mul_hi_u32 s40, s9, s17
	s_mul_i32 s16, s9, s17
	s_add_co_u32 s17, s54, s19
	s_add_co_ci_u32 s26, s55, s4
	s_add_co_ci_u32 s17, s40, 0
	s_delay_alu instid0(SALU_CYCLE_1) | instskip(NEXT) | instid1(SALU_CYCLE_1)
	s_add_nc_u64 s[16:17], s[26:27], s[16:17]
	s_add_co_u32 s4, s8, s16
	s_cselect_b32 s8, -1, 0
	s_mul_hi_u32 s26, s76, s4
	s_cmp_lg_u32 s8, 0
	s_mul_hi_u32 s19, s77, s4
	s_add_co_ci_u32 s16, s9, s17
	s_mul_i32 s4, s77, s4
	s_mul_hi_u32 s9, s76, s16
	s_mul_i32 s8, s76, s16
	s_mul_hi_u32 s17, s77, s16
	s_add_nc_u64 s[8:9], s[26:27], s[8:9]
	s_mul_i32 s16, s77, s16
	s_add_co_u32 s4, s8, s4
	s_add_co_ci_u32 s26, s9, s19
	s_add_co_ci_u32 s17, s17, 0
	s_delay_alu instid0(SALU_CYCLE_1) | instskip(NEXT) | instid1(SALU_CYCLE_1)
	s_add_nc_u64 s[8:9], s[26:27], s[16:17]
	s_and_b64 s[16:17], s[8:9], 0xffffffff00000000
	s_delay_alu instid0(SALU_CYCLE_1) | instskip(NEXT) | instid1(SALU_CYCLE_1)
	s_or_b32 s16, s16, s8
	s_mul_u64 s[8:9], s[34:35], s[16:17]
	s_delay_alu instid0(SALU_CYCLE_1) | instskip(SKIP_1) | instid1(SALU_CYCLE_1)
	s_sub_co_u32 s4, s76, s8
	s_cselect_b32 s8, -1, 0
	s_cmp_lg_u32 s8, 0
	s_sub_co_ci_u32 s8, s77, s9
	s_sub_co_u32 s9, s4, s34
	s_cselect_b32 s16, -1, 0
	s_delay_alu instid0(SALU_CYCLE_1) | instskip(SKIP_3) | instid1(SALU_CYCLE_1)
	s_cmp_lg_u32 s16, 0
	s_sub_co_ci_u32 s16, s8, 0
	s_sub_co_u32 s17, s9, s34
	s_cselect_b32 s19, -1, 0
	s_cmp_lg_u32 s19, 0
	s_sub_co_ci_u32 s19, s16, 0
	s_cmp_ge_u32 s9, s34
	s_cselect_b32 s26, -1, 0
	s_cmp_eq_u32 s16, 0
	s_cselect_b32 s26, s26, -1
	s_delay_alu instid0(SALU_CYCLE_1)
	s_cmp_lg_u32 s26, 0
	s_cselect_b32 s16, s19, s16
	s_cselect_b32 s17, s17, s9
	s_cmp_ge_u32 s4, s34
	s_cselect_b32 s9, -1, 0
	s_cmp_eq_u32 s8, 0
	s_cselect_b32 s9, s9, -1
	s_delay_alu instid0(SALU_CYCLE_1)
	s_cmp_lg_u32 s9, 0
	s_cselect_b32 s9, s16, s8
	s_cselect_b32 s8, s17, s4
	s_mov_b32 s4, 0
	s_branch .LBB186_453
.LBB186_452:                            ;   in Loop: Header=BB186_18 Depth=1
	s_mov_b32 s4, -1
                                        ; implicit-def: $sgpr8_sgpr9
.LBB186_453:                            ;   in Loop: Header=BB186_18 Depth=1
	s_delay_alu instid0(SALU_CYCLE_1)
	s_and_not1_b32 vcc_lo, exec_lo, s4
	s_cbranch_vccnz .LBB186_455
; %bb.454:                              ;   in Loop: Header=BB186_18 Depth=1
	v_cvt_f32_u32_e32 v2, s34
	s_sub_co_i32 s8, 0, s34
	s_delay_alu instid0(VALU_DEP_1) | instskip(SKIP_1) | instid1(TRANS32_DEP_1)
	v_rcp_iflag_f32_e32 v2, v2
	v_nop
	v_mul_f32_e32 v2, 0x4f7ffffe, v2
	s_delay_alu instid0(VALU_DEP_1) | instskip(NEXT) | instid1(VALU_DEP_1)
	v_cvt_u32_f32_e32 v2, v2
	v_readfirstlane_b32 s4, v2
	s_mul_i32 s8, s8, s4
	s_delay_alu instid0(SALU_CYCLE_1) | instskip(NEXT) | instid1(SALU_CYCLE_1)
	s_mul_hi_u32 s8, s4, s8
	s_add_co_i32 s4, s4, s8
	s_delay_alu instid0(SALU_CYCLE_1) | instskip(NEXT) | instid1(SALU_CYCLE_1)
	s_mul_hi_u32 s4, s76, s4
	s_mul_i32 s4, s4, s34
	s_delay_alu instid0(SALU_CYCLE_1) | instskip(NEXT) | instid1(SALU_CYCLE_1)
	s_sub_co_i32 s4, s76, s4
	s_sub_co_i32 s8, s4, s34
	s_cmp_ge_u32 s4, s34
	s_cselect_b32 s4, s8, s4
	s_delay_alu instid0(SALU_CYCLE_1) | instskip(SKIP_2) | instid1(SALU_CYCLE_1)
	s_sub_co_i32 s8, s4, s34
	s_cmp_ge_u32 s4, s34
	s_cselect_b32 s26, s8, s4
	s_mov_b64 s[8:9], s[26:27]
.LBB186_455:                            ;   in Loop: Header=BB186_18 Depth=1
	s_delay_alu instid0(SALU_CYCLE_1)
	s_sub_nc_u64 s[8:9], s[76:77], s[8:9]
	s_mov_b32 s16, exec_lo
                                        ; implicit-def: $vgpr6_vgpr7
	v_cmpx_gt_u64_e64 s[8:9], v[0:1]
	s_cbranch_execz .LBB186_465
; %bb.456:                              ;   in Loop: Header=BB186_18 Depth=1
	v_mov_b64_e32 v[8:9], v[0:1]
	s_mov_b32 s4, 0
                                        ; implicit-def: $sgpr17
	s_branch .LBB186_460
.LBB186_457:                            ;   in Loop: Header=BB186_460 Depth=2
	s_or_b32 exec_lo, exec_lo, s19
	s_wait_dscnt 0x0
	s_barrier_signal -1
	s_barrier_wait -1
	ds_load_b128 v[4:7], v21 offset:3072
	s_wait_dscnt 0x0
	s_barrier_signal -1
	s_barrier_wait -1
	v_cmp_eq_f64_e32 vcc_lo, 0, v[4:5]
	s_cbranch_vccz .LBB186_463
; %bb.458:                              ;   in Loop: Header=BB186_460 Depth=2
	v_add_nc_u64_e32 v[8:9], s[34:35], v[8:9]
	s_mov_b32 s19, 0
	s_delay_alu instid0(VALU_DEP_1)
	v_cmp_le_u64_e32 vcc_lo, s[8:9], v[8:9]
	s_or_not1_b32 s26, vcc_lo, exec_lo
.LBB186_459:                            ;   in Loop: Header=BB186_460 Depth=2
	s_delay_alu instid0(SALU_CYCLE_1) | instskip(NEXT) | instid1(SALU_CYCLE_1)
	s_and_b32 s26, exec_lo, s26
	s_or_b32 s4, s26, s4
	s_and_not1_b32 s17, s17, exec_lo
	s_and_b32 s19, s19, exec_lo
	s_delay_alu instid0(SALU_CYCLE_1)
	s_or_b32 s17, s17, s19
	s_and_not1_b32 exec_lo, exec_lo, s4
	s_cbranch_execz .LBB186_464
.LBB186_460:                            ;   Parent Loop BB186_18 Depth=1
                                        ; =>  This Inner Loop Header: Depth=2
	s_mov_b32 s19, exec_lo
	s_delay_alu instid0(VALU_DEP_1)
	v_cmpx_gt_u64_e64 s[36:37], v[8:9]
	s_cbranch_execz .LBB186_457
; %bb.461:                              ;   in Loop: Header=BB186_460 Depth=2
	v_mul_u64_e32 v[4:5], s[30:31], v[8:9]
	s_delay_alu instid0(VALU_DEP_1) | instskip(SKIP_4) | instid1(VALU_DEP_1)
	v_lshl_add_u64 v[4:5], v[4:5], 3, s[28:29]
	global_load_b64 v[4:5], v[4:5], off
	s_wait_loadcnt 0x0
	v_cmp_o_f64_e32 vcc_lo, v[4:5], v[4:5]
	v_ashrrev_i32_e32 v2, 31, v5
	v_or_b32_e32 v6, 0x80000000, v2
	s_delay_alu instid0(VALU_DEP_1) | instskip(NEXT) | instid1(VALU_DEP_1)
	v_xor_b32_e32 v6, v6, v5
	v_dual_cndmask_b32 v6, -1, v6, vcc_lo :: v_dual_bitop2_b32 v2, v2, v4 bitop3:0x14
	s_delay_alu instid0(VALU_DEP_1) | instskip(NEXT) | instid1(VALU_DEP_1)
	v_dual_cndmask_b32 v2, -1, v2, vcc_lo :: v_dual_bitop2_b32 v7, v6, v29 bitop3:0x40
	v_and_b32_e32 v6, v2, v28
	s_delay_alu instid0(VALU_DEP_1)
	v_cmp_eq_u64_e32 vcc_lo, v[6:7], v[24:25]
	s_and_b32 exec_lo, exec_lo, vcc_lo
	s_cbranch_execz .LBB186_457
; %bb.462:                              ;   in Loop: Header=BB186_460 Depth=2
	v_mov_b32_e32 v2, v21
	ds_store_b128 v21, v[2:5] offset:3072
	s_branch .LBB186_457
.LBB186_463:                            ;   in Loop: Header=BB186_460 Depth=2
	s_mov_b32 s26, -1
	s_mov_b32 s19, -1
                                        ; implicit-def: $vgpr8_vgpr9
	s_branch .LBB186_459
.LBB186_464:                            ;   in Loop: Header=BB186_18 Depth=1
	s_or_b32 exec_lo, exec_lo, s4
	s_delay_alu instid0(SALU_CYCLE_1) | instskip(SKIP_1) | instid1(SALU_CYCLE_1)
	s_and_not1_b32 s4, s18, exec_lo
	s_and_b32 s8, s17, exec_lo
	s_or_b32 s18, s4, s8
.LBB186_465:                            ;   in Loop: Header=BB186_18 Depth=1
	s_or_b32 exec_lo, exec_lo, s16
	s_mov_b32 s54, 0
	s_mov_b32 s55, -1
.LBB186_466:                            ;   in Loop: Header=BB186_18 Depth=1
	s_or_not1_b32 s4, s18, exec_lo
.LBB186_467:                            ;   in Loop: Header=BB186_18 Depth=1
	s_or_b32 exec_lo, exec_lo, s53
	s_mov_b32 s9, 0
	s_and_saveexec_b32 s8, s4
	s_cbranch_execz .LBB186_478
; %bb.468:                              ;   in Loop: Header=BB186_18 Depth=1
	v_mov_b64_e32 v[4:5], 1
	v_mov_b32_e32 v20, 1
	s_xor_b32 s9, s52, -1
	s_delay_alu instid0(SALU_CYCLE_1)
	s_and_saveexec_b32 s4, s9
	s_cbranch_execz .LBB186_477
; %bb.469:                              ;   in Loop: Header=BB186_18 Depth=1
	s_mov_b32 s9, exec_lo
	v_cmpx_ge_u64_e64 s[10:11], v[10:11]
	s_xor_b32 s9, exec_lo, s9
	s_cbranch_execz .LBB186_474
; %bb.470:                              ;   in Loop: Header=BB186_18 Depth=1
	ds_load_b64 v[4:5], v21 offset:5120
	v_and_b32_e32 v25, s15, v25
	v_and_b32_e32 v24, s14, v24
	v_or_b32_e32 v29, s13, v29
	v_or_b32_e32 v28, s12, v28
	s_wait_dscnt 0x0
	v_cmp_ne_u64_e32 vcc_lo, 0, v[4:5]
	s_cbranch_vccnz .LBB186_474
; %bb.471:                              ;   in Loop: Header=BB186_18 Depth=1
	s_and_saveexec_b32 s12, s5
; %bb.472:                              ;   in Loop: Header=BB186_18 Depth=1
	v_mov_b64_e32 v[4:5], s[10:11]
	ds_store_b64 v21, v[4:5] offset:5128
; %bb.473:                              ;   in Loop: Header=BB186_18 Depth=1
	s_or_b32 exec_lo, exec_lo, s12
	s_wait_dscnt 0x0
	s_barrier_signal -1
	s_barrier_wait -1
.LBB186_474:                            ;   in Loop: Header=BB186_18 Depth=1
	s_and_not1_saveexec_b32 s9, s9
; %bb.475:                              ;   in Loop: Header=BB186_18 Depth=1
	v_sub_nc_u64_e64 v[10:11], v[10:11], s[10:11]
; %bb.476:                              ;   in Loop: Header=BB186_18 Depth=1
	s_or_b32 exec_lo, exec_lo, s9
	s_delay_alu instid0(VALU_DEP_1)
	v_mov_b64_e32 v[4:5], v[10:11]
	v_mov_b32_e32 v20, 5
.LBB186_477:                            ;   in Loop: Header=BB186_18 Depth=1
	s_or_b32 exec_lo, exec_lo, s4
	s_delay_alu instid0(VALU_DEP_2)
	v_mov_b64_e32 v[10:11], v[4:5]
	s_mov_b32 s9, exec_lo
.LBB186_478:                            ;   in Loop: Header=BB186_18 Depth=1
	s_or_b32 exec_lo, exec_lo, s8
	s_delay_alu instid0(SALU_CYCLE_1)
	s_or_not1_b32 s4, s9, exec_lo
.LBB186_479:                            ;   in Loop: Header=BB186_18 Depth=1
	s_or_b32 exec_lo, exec_lo, s21
	s_delay_alu instid0(SALU_CYCLE_1)
	s_and_not1_b32 s8, s88, exec_lo
	s_and_b32 s9, s55, exec_lo
	s_and_not1_b32 s10, s86, exec_lo
	s_and_b32 s11, s54, exec_lo
	v_mov_b64_e32 v[8:9], v[10:11]
	s_or_b32 s88, s8, s9
	s_or_b32 s86, s10, s11
	s_and_b32 s8, s4, exec_lo
.LBB186_480:                            ;   in Loop: Header=BB186_18 Depth=1
	s_or_b32 exec_lo, exec_lo, s20
	s_delay_alu instid0(SALU_CYCLE_1)
	s_or_not1_b32 s4, s8, exec_lo
.LBB186_481:                            ;   in Loop: Header=BB186_18 Depth=1
	s_or_b32 exec_lo, exec_lo, s23
	s_delay_alu instid0(SALU_CYCLE_1)
	s_and_not1_b32 s8, s85, exec_lo
	s_and_b32 s9, s88, exec_lo
	s_and_not1_b32 s10, s25, exec_lo
	s_and_b32 s11, s86, exec_lo
	v_mov_b64_e32 v[32:33], v[8:9]
	s_or_b32 s85, s8, s9
	s_or_b32 s25, s10, s11
	s_and_b32 s8, s4, exec_lo
.LBB186_482:                            ;   in Loop: Header=BB186_18 Depth=1
	s_or_b32 exec_lo, exec_lo, s22
	s_delay_alu instid0(SALU_CYCLE_1)
	s_or_not1_b32 s4, s8, exec_lo
.LBB186_483:                            ;   in Loop: Header=BB186_18 Depth=1
	s_or_b32 exec_lo, exec_lo, s7
	s_mov_b32 s7, s84
	s_mov_b32 s8, s83
	s_and_saveexec_b32 s9, s4
; %bb.484:                              ;   in Loop: Header=BB186_18 Depth=1
	v_cmp_ne_u32_e32 vcc_lo, 5, v20
	v_cmp_eq_u32_e64 s7, 5, v20
	s_and_not1_b32 s4, s83, exec_lo
	s_and_not1_b32 s10, s84, exec_lo
	s_and_b32 s8, vcc_lo, exec_lo
	s_and_b32 s7, s7, exec_lo
	s_or_b32 s8, s4, s8
	s_or_b32 s7, s10, s7
; %bb.485:                              ;   in Loop: Header=BB186_18 Depth=1
	s_or_b32 exec_lo, exec_lo, s9
	s_delay_alu instid0(SALU_CYCLE_1)
	s_and_not1_b32 s4, s87, exec_lo
	s_and_b32 s9, s85, exec_lo
	s_and_not1_b32 s10, s82, exec_lo
	s_and_b32 s11, s25, exec_lo
	s_or_b32 s87, s4, s9
	s_and_not1_b32 s4, s83, exec_lo
	s_and_b32 s8, s8, exec_lo
	s_and_not1_b32 s9, s84, exec_lo
	s_and_b32 s7, s7, exec_lo
	s_or_b32 s82, s10, s11
	s_or_b32 s83, s4, s8
	;; [unrolled: 1-line block ×3, first 2 shown]
.LBB186_486:                            ;   in Loop: Header=BB186_18 Depth=1
	s_or_b32 exec_lo, exec_lo, s24
	s_mov_b32 s85, 0
	s_mov_b32 s86, 0
	s_and_saveexec_b32 s4, s84
.LBB186_487:                            ;   in Loop: Header=BB186_18 Depth=1
	v_mov_b32_e32 v20, 0
	s_or_b32 s83, s83, exec_lo
.LBB186_488:                            ;   in Loop: Header=BB186_18 Depth=1
	s_or_b32 exec_lo, exec_lo, s4
	v_mov_b64_e32 v[30:31], v[32:33]
	s_and_not1_b32 s4, s49, exec_lo
	s_and_b32 s8, s87, exec_lo
	s_and_not1_b32 s9, s73, exec_lo
	s_and_b32 s10, s82, exec_lo
	s_or_b32 s49, s4, s8
	s_or_b32 s73, s9, s10
	s_and_not1_b32 s4, s51, exec_lo
	s_and_b32 s8, s86, exec_lo
	s_and_not1_b32 s9, s50, exec_lo
	s_and_b32 s10, s85, exec_lo
	s_mov_b32 s7, -1
	s_and_not1_b32 s48, s48, exec_lo
	s_or_b32 s51, s4, s8
	s_or_b32 s50, s9, s10
	s_and_saveexec_b32 s4, s83
	s_delay_alu instid0(SALU_CYCLE_1)
	s_xor_b32 s4, exec_lo, s4
	s_cbranch_execz .LBB186_17
; %bb.489:                              ;   in Loop: Header=BB186_18 Depth=1
	s_mov_b32 s8, -1
	s_mov_b32 s9, exec_lo
	v_cmpx_eq_u32_e32 0, v20
	s_cbranch_execz .LBB186_16
; %bb.490:                              ;   in Loop: Header=BB186_18 Depth=1
	s_xor_b32 s66, s66, 1
	s_add_co_i32 s10, s104, -2
	s_cmp_eq_u32 s104, 0
	s_mov_b32 s104, s10
	s_cselect_b32 s7, -1, 0
	s_xor_b32 s8, exec_lo, -1
	s_or_not1_b32 s7, s7, exec_lo
	s_branch .LBB186_16
.LBB186_491:
	s_or_b32 exec_lo, exec_lo, vcc_hi
	s_xor_b32 s6, s72, -1
	s_xor_b32 s8, s70, -1
	;; [unrolled: 1-line block ×5, first 2 shown]
	s_mov_b32 s7, 0
	s_and_saveexec_b32 s11, s10
	s_delay_alu instid0(SALU_CYCLE_1)
	s_xor_b32 s16, exec_lo, s11
	s_cbranch_execnz .LBB186_496
; %bb.492:
	s_and_not1_saveexec_b32 s0, s16
	s_cbranch_execnz .LBB186_515
.LBB186_493:
	s_or_b32 exec_lo, exec_lo, s0
	s_and_saveexec_b32 s0, s7
.LBB186_494:
	; divergent unreachable
.LBB186_495:
	s_endpgm
.LBB186_496:
	s_and_saveexec_b32 s10, s9
	s_delay_alu instid0(SALU_CYCLE_1)
	s_xor_b32 s17, exec_lo, s10
	s_cbranch_execz .LBB186_513
; %bb.497:
	s_and_saveexec_b32 s9, s8
	s_delay_alu instid0(SALU_CYCLE_1)
	s_xor_b32 s18, exec_lo, s9
	s_cbranch_execz .LBB186_511
; %bb.498:
	;; [unrolled: 5-line block ×3, first 2 shown]
	s_and_saveexec_b32 s6, s4
	s_delay_alu instid0(SALU_CYCLE_1)
	s_xor_b32 s4, exec_lo, s6
; %bb.500:
	v_dual_mov_b32 v3, 0 :: v_dual_lshrrev_b32 v2, 31, v25
	s_delay_alu instid0(VALU_DEP_1) | instskip(NEXT) | instid1(VALU_DEP_1)
	v_add_nc_u64_e32 v[2:3], -1, v[2:3]
	v_or_b32_e32 v3, 0x80000000, v3
	s_delay_alu instid0(VALU_DEP_2) | instskip(NEXT) | instid1(VALU_DEP_2)
	v_xor_b32_e32 v6, v2, v24
	v_xor_b32_e32 v7, v3, v25
; %bb.501:
	s_or_b32 exec_lo, exec_lo, s4
	s_and_saveexec_b32 s4, s5
; %bb.502:
	v_mov_b64_e32 v[2:3], 0
	v_mov_b32_e32 v4, 0
	ds_store_b64 v4, v[2:3] offset:5136
; %bb.503:
	s_or_b32 exec_lo, exec_lo, s4
	v_mov_b64_e32 v[4:5], 0
	s_wait_dscnt 0x0
	s_barrier_signal -1
	s_barrier_wait -1
	s_and_saveexec_b32 s4, s3
	s_cbranch_execz .LBB186_505
; %bb.504:
	global_load_b64 v[4:5], v[18:19], off
.LBB186_505:
	s_wait_xcnt 0x0
	s_or_b32 exec_lo, exec_lo, s4
	s_load_b128 s[24:27], s[0:1], 0x380
	v_cmp_o_f64_e64 s5, v[6:7], v[6:7]
	v_readlane_b32 s6, v56, 2
	v_readlane_b32 s7, v56, 3
	s_add_nc_u64 s[10:11], s[36:37], 31
	s_mov_b64 s[12:13], 0xffffffffffffffe0
	v_ashrrev_i32_e32 v2, 31, v7
	s_and_b64 s[10:11], s[10:11], s[12:13]
	s_mov_b32 s21, -1
	v_cmp_gt_u64_e32 vcc_lo, s[10:11], v[0:1]
	s_load_b128 s[48:51], s[0:1], 0x298
	v_or_b32_e32 v3, 0x80000000, v2
	s_delay_alu instid0(VALU_DEP_1)
	v_xor_b32_e32 v3, v3, v7
	v_xor_b32_e32 v2, v2, v6
	s_wait_kmcnt 0x0
	s_mov_b64 s[42:43], s[26:27]
	s_mov_b64 s[40:41], s[24:25]
	s_load_b128 s[24:27], s[0:1], 0x1d8
	s_mul_u64 s[40:41], s[6:7], s[40:41]
	s_mul_u64 s[14:15], s[62:63], s[42:43]
	s_mov_b64 s[54:55], s[50:51]
	s_mov_b64 s[52:53], s[48:49]
	s_load_b128 s[48:51], s[0:1], 0x440
	v_dual_cndmask_b32 v3, -1, v3, s5 :: v_dual_cndmask_b32 v2, -1, v2, s5
	s_mov_b32 s5, 0
	s_wait_kmcnt 0x0
	s_mul_u64 s[22:23], s[68:69], s[24:25]
	s_mul_u64 s[26:27], s[58:59], s[26:27]
	s_sub_nc_u64 s[12:13], s[58:59], s[22:23]
	s_sub_nc_u64 s[22:23], s[62:63], s[40:41]
	v_readlane_b32 s40, v56, 0
	v_readlane_b32 s41, v56, 1
	s_mul_u64 s[24:25], s[68:69], s[52:53]
	s_mul_u64 s[12:13], s[12:13], s[54:55]
	s_lshl_b64 s[24:25], s[24:25], 3
	s_lshl_b64 s[12:13], s[12:13], 3
	s_mul_u64 s[42:43], s[6:7], s[48:49]
	s_clause 0x1
	s_load_b64 s[6:7], s[0:1], 0x368
	s_load_b64 s[8:9], s[0:1], 0x510
	s_wait_xcnt 0x0
	s_sub_nc_u64 s[0:1], s[56:57], s[14:15]
	s_sub_nc_u64 s[14:15], s[56:57], s[26:27]
	s_mul_u64 s[22:23], s[22:23], s[50:51]
	s_mul_u64 s[14:15], s[14:15], s[40:41]
	v_readlane_b32 s40, v56, 6
	s_lshl_b64 s[26:27], s[42:43], 3
	s_mul_u64 s[0:1], s[0:1], s[44:45]
	s_lshl_b64 s[22:23], s[22:23], 3
	v_readlane_b32 s41, v56, 7
	s_lshl_b64 s[14:15], s[14:15], 3
	s_lshl_b64 s[0:1], s[0:1], 3
	s_add_nc_u64 s[24:25], s[40:41], s[24:25]
	v_readlane_b32 s40, v56, 4
	v_readlane_b32 s41, v56, 5
	s_add_nc_u64 s[12:13], s[24:25], s[12:13]
	s_delay_alu instid0(SALU_CYCLE_1) | instskip(SKIP_1) | instid1(SALU_CYCLE_1)
	s_add_nc_u64 s[12:13], s[12:13], s[14:15]
	s_add_nc_u64 s[26:27], s[40:41], s[26:27]
	;; [unrolled: 1-line block ×3, first 2 shown]
	s_delay_alu instid0(SALU_CYCLE_1)
	s_add_nc_u64 s[14:15], s[22:23], s[0:1]
	s_mov_b32 s1, 0
	s_and_saveexec_b32 s20, vcc_lo
	s_cbranch_execnz .LBB186_516
; %bb.506:
	s_or_b32 exec_lo, exec_lo, s20
	s_and_saveexec_b32 s4, s21
	s_cbranch_execnz .LBB186_533
.LBB186_507:
	s_or_b32 exec_lo, exec_lo, s4
	s_and_saveexec_b32 s0, s1
	s_delay_alu instid0(SALU_CYCLE_1)
	s_xor_b32 s0, exec_lo, s0
	s_cbranch_execnz .LBB186_558
.LBB186_508:
	s_or_b32 exec_lo, exec_lo, s0
	s_wait_kmcnt 0x0
	s_and_b32 s7, s5, exec_lo
.LBB186_509:
	s_and_not1_saveexec_b32 s0, s19
	s_cbranch_execnz .LBB186_560
.LBB186_510:
	s_or_b32 exec_lo, exec_lo, s0
	s_delay_alu instid0(SALU_CYCLE_1)
	s_and_b32 s7, s7, exec_lo
.LBB186_511:
	s_and_not1_saveexec_b32 s0, s18
	s_cbranch_execnz .LBB186_559
.LBB186_512:
	s_or_b32 exec_lo, exec_lo, s0
	s_delay_alu instid0(SALU_CYCLE_1)
	s_and_b32 s7, s7, exec_lo
.LBB186_513:
	s_and_not1_saveexec_b32 s0, s17
	s_cbranch_execnz .LBB186_554
.LBB186_514:
	s_or_b32 exec_lo, exec_lo, s0
	s_delay_alu instid0(SALU_CYCLE_1)
	s_and_b32 s7, s7, exec_lo
	s_and_not1_saveexec_b32 s0, s16
	s_cbranch_execz .LBB186_493
.LBB186_515:
	s_or_b32 s7, s7, exec_lo
	s_trap 2
	s_or_b32 exec_lo, exec_lo, s0
	s_and_saveexec_b32 s0, s7
	s_cbranch_execnz .LBB186_494
	s_branch .LBB186_495
.LBB186_516:
	v_mov_b64_e32 v[14:15], v[0:1]
	v_mov_b32_e32 v7, 0
	s_mov_b32 s21, 0
                                        ; implicit-def: $sgpr22
                                        ; implicit-def: $vgpr12_vgpr13
	s_branch .LBB186_518
.LBB186_517:                            ;   in Loop: Header=BB186_518 Depth=1
	s_or_b32 exec_lo, exec_lo, s23
	s_xor_b32 s0, s4, -1
	s_and_b32 s1, exec_lo, s1
	s_wait_loadcnt 0x0
	v_mov_b64_e32 v[4:5], v[10:11]
	v_mov_b64_e32 v[14:15], v[8:9]
	s_or_b32 s21, s1, s21
	s_and_not1_b32 s1, s22, exec_lo
	s_and_b32 s0, s0, exec_lo
	s_delay_alu instid0(SALU_CYCLE_1)
	s_or_b32 s22, s1, s0
	s_and_not1_b32 exec_lo, exec_lo, s21
	s_cbranch_execz .LBB186_532
.LBB186_518:                            ; =>This Inner Loop Header: Depth=1
	s_delay_alu instid0(VALU_DEP_2) | instskip(SKIP_2) | instid1(VALU_DEP_2)
	v_add_nc_u64_e32 v[8:9], s[34:35], v[14:15]
	v_mov_b64_e32 v[10:11], 0
	s_mov_b32 s1, exec_lo
	v_cmpx_gt_u64_e64 s[36:37], v[8:9]
	s_cbranch_execz .LBB186_520
; %bb.519:                              ;   in Loop: Header=BB186_518 Depth=1
	v_mul_u64_e32 v[10:11], s[30:31], v[8:9]
	s_delay_alu instid0(VALU_DEP_1)
	v_lshl_add_u64 v[10:11], v[10:11], 3, s[28:29]
	global_load_b64 v[10:11], v[10:11], off
.LBB186_520:                            ;   in Loop: Header=BB186_518 Depth=1
	s_wait_xcnt 0x0
	s_or_b32 exec_lo, exec_lo, s1
	s_mov_b32 s4, 0
	s_mov_b32 s1, exec_lo
	v_cmpx_gt_u64_e64 s[36:37], v[14:15]
	s_cbranch_execz .LBB186_522
; %bb.521:                              ;   in Loop: Header=BB186_518 Depth=1
	s_wait_loadcnt 0x0
	v_cmp_o_f64_e64 s0, v[4:5], v[4:5]
	v_ashrrev_i32_e32 v6, 31, v5
	s_delay_alu instid0(VALU_DEP_1) | instskip(NEXT) | instid1(VALU_DEP_1)
	v_or_b32_e32 v17, 0x80000000, v6
	v_xor_b32_e32 v17, v17, v5
	s_delay_alu instid0(VALU_DEP_1) | instskip(NEXT) | instid1(VALU_DEP_1)
	v_dual_cndmask_b32 v21, -1, v17, s0 :: v_dual_bitop2_b32 v6, v6, v4 bitop3:0x14
	v_cndmask_b32_e64 v20, -1, v6, s0
	s_delay_alu instid0(VALU_DEP_1) | instskip(NEXT) | instid1(VALU_DEP_1)
	v_cmp_gt_u64_e64 s0, v[20:21], v[2:3]
	v_cndmask_b32_e64 v6, 0, 1, s0
	v_cmp_lt_u64_e64 s0, v[20:21], v[2:3]
	s_delay_alu instid0(VALU_DEP_1) | instskip(NEXT) | instid1(VALU_DEP_1)
	v_cndmask_b32_e64 v17, 0, 1, s0
	v_cndmask_b32_e64 v6, v17, v6, s46
	s_delay_alu instid0(VALU_DEP_1) | instskip(NEXT) | instid1(VALU_DEP_1)
	v_and_b32_e32 v6, 1, v6
	v_cmp_eq_u32_e64 s0, 1, v6
	s_and_b32 s4, s0, exec_lo
.LBB186_522:                            ;   in Loop: Header=BB186_518 Depth=1
	s_or_b32 exec_lo, exec_lo, s1
	v_cndmask_b32_e64 v6, 0, 1, s4
	s_delay_alu instid0(VALU_DEP_1) | instskip(SKIP_2) | instid1(SALU_CYCLE_1)
	v_cmp_ne_u32_e64 s0, 0, v6
	s_cmp_lg_u32 s0, 0
	s_cselect_b32 s1, -1, 0
	s_and_b32 s1, s2, s1
	s_delay_alu instid0(SALU_CYCLE_1)
	s_and_saveexec_b32 s23, s1
	s_cbranch_execz .LBB186_526
; %bb.523:                              ;   in Loop: Header=BB186_518 Depth=1
	s_mov_b32 s26, exec_lo
	s_bcnt1_i32_b32 s24, s0
	v_mbcnt_lo_u32_b32 v17, s26, 0
	s_mov_b32 s25, exec_lo
                                        ; implicit-def: $vgpr12_vgpr13
	s_delay_alu instid0(VALU_DEP_1)
	v_cmpx_eq_u32_e32 0, v17
	s_cbranch_execz .LBB186_525
; %bb.524:                              ;   in Loop: Header=BB186_518 Depth=1
	s_bcnt1_i32_b32 s1, s26
	s_delay_alu instid0(SALU_CYCLE_1) | instskip(NEXT) | instid1(SALU_CYCLE_1)
	s_mul_i32 s1, s24, s1
	v_mov_b32_e32 v6, s1
	s_wait_dscnt 0x0
	ds_add_rtn_u64 v[12:13], v7, v[6:7] offset:5136
.LBB186_525:                            ;   in Loop: Header=BB186_518 Depth=1
	s_or_b32 exec_lo, exec_lo, s25
	s_wait_dscnt 0x0
	v_readfirstlane_b32 s27, v13
	v_readfirstlane_b32 s26, v12
	s_delay_alu instid0(VALU_DEP_1)
	v_mad_nc_u64_u32 v[12:13], s24, v17, s[26:27]
.LBB186_526:                            ;   in Loop: Header=BB186_518 Depth=1
	s_or_b32 exec_lo, exec_lo, s23
	s_wait_dscnt 0x1
	ds_bpermute_b32 v12, v7, v12
	s_wait_dscnt 0x1
	ds_bpermute_b32 v13, v7, v13
	s_mov_b32 s1, -1
	s_mov_b32 s24, -1
	s_and_saveexec_b32 s23, s4
	s_cbranch_execz .LBB186_530
; %bb.527:                              ;   in Loop: Header=BB186_518 Depth=1
	v_and_b32_e32 v6, s0, v16
	s_mov_b32 s4, 0
	s_mov_b32 s24, exec_lo
	s_delay_alu instid0(VALU_DEP_1) | instskip(SKIP_1) | instid1(VALU_DEP_1)
	v_bcnt_u32_b32 v6, v6, 0
	s_wait_dscnt 0x0
	v_add_nc_u64_e32 v[20:21], v[12:13], v[6:7]
	s_delay_alu instid0(VALU_DEP_1)
	v_cmpx_gt_u64_e64 s[38:39], v[20:21]
	s_cbranch_execz .LBB186_529
; %bb.528:                              ;   in Loop: Header=BB186_518 Depth=1
	s_wait_kmcnt 0x0
	v_mul_u64_e32 v[22:23], s[6:7], v[20:21]
	v_mul_u64_e32 v[20:21], s[8:9], v[20:21]
	s_mov_b32 s4, exec_lo
	s_delay_alu instid0(VALU_DEP_2) | instskip(NEXT) | instid1(VALU_DEP_2)
	v_lshl_add_u64 v[22:23], v[22:23], 3, s[12:13]
	v_lshl_add_u64 v[20:21], v[20:21], 3, s[14:15]
	s_wait_loadcnt 0x0
	global_store_b64 v[22:23], v[4:5], off
	global_store_b64 v[20:21], v[14:15], off
.LBB186_529:                            ;   in Loop: Header=BB186_518 Depth=1
	s_wait_xcnt 0x0
	s_or_b32 exec_lo, exec_lo, s24
	s_delay_alu instid0(SALU_CYCLE_1)
	s_or_not1_b32 s24, s4, exec_lo
.LBB186_530:                            ;   in Loop: Header=BB186_518 Depth=1
	s_or_b32 exec_lo, exec_lo, s23
	s_mov_b32 s4, -1
	s_and_saveexec_b32 s23, s24
	s_cbranch_execz .LBB186_517
; %bb.531:                              ;   in Loop: Header=BB186_518 Depth=1
	v_cmp_le_u64_e64 s0, s[10:11], v[8:9]
	s_xor_b32 s4, exec_lo, -1
	s_or_not1_b32 s1, s0, exec_lo
	s_branch .LBB186_517
.LBB186_532:
	s_or_b32 exec_lo, exec_lo, s21
	s_delay_alu instid0(SALU_CYCLE_1)
	s_mov_b32 s1, exec_lo
	s_or_not1_b32 s21, s22, exec_lo
	s_or_b32 exec_lo, exec_lo, s20
	s_and_saveexec_b32 s4, s21
	s_cbranch_execz .LBB186_507
.LBB186_533:
	v_mov_b64_e32 v[10:11], 0
	s_wait_storecnt 0x0
	s_wait_loadcnt_dscnt 0x0
	s_barrier_signal -1
	s_barrier_wait -1
	s_and_saveexec_b32 s0, s3
	s_cbranch_execz .LBB186_535
; %bb.534:
	global_load_b64 v[10:11], v[18:19], off
.LBB186_535:
	s_wait_xcnt 0x0
	s_or_b32 exec_lo, exec_lo, s0
	s_mov_b32 s0, 0
	s_and_saveexec_b32 s3, vcc_lo
	s_cbranch_execz .LBB186_557
; %bb.536:
	v_mov_b32_e32 v5, 0
	s_mov_b32 s5, 0
                                        ; implicit-def: $sgpr20
                                        ; implicit-def: $vgpr12_vgpr13
	s_branch .LBB186_539
.LBB186_537:                            ;   in Loop: Header=BB186_539 Depth=1
	s_or_b32 exec_lo, exec_lo, s21
	s_delay_alu instid0(SALU_CYCLE_1)
	s_or_not1_b32 s23, s23, exec_lo
	s_or_not1_b32 s22, s22, exec_lo
.LBB186_538:                            ;   in Loop: Header=BB186_539 Depth=1
	s_or_b32 exec_lo, exec_lo, s0
	s_xor_b32 s0, s23, -1
	s_and_b32 s21, exec_lo, s22
	v_mov_b64_e32 v[0:1], v[6:7]
	s_wait_loadcnt 0x0
	v_mov_b64_e32 v[10:11], v[8:9]
	s_or_b32 s5, s21, s5
	s_and_not1_b32 s20, s20, exec_lo
	s_and_b32 s0, s0, exec_lo
	s_delay_alu instid0(SALU_CYCLE_1)
	s_or_b32 s20, s20, s0
	s_and_not1_b32 exec_lo, exec_lo, s5
	s_cbranch_execz .LBB186_555
.LBB186_539:                            ; =>This Inner Loop Header: Depth=1
	v_add_nc_u64_e32 v[6:7], s[34:35], v[0:1]
	v_mov_b64_e32 v[8:9], 0
	s_mov_b32 s0, exec_lo
	s_delay_alu instid0(VALU_DEP_2)
	v_cmpx_gt_u64_e64 s[36:37], v[6:7]
	s_cbranch_execz .LBB186_541
; %bb.540:                              ;   in Loop: Header=BB186_539 Depth=1
	v_mul_u64_e32 v[8:9], s[30:31], v[6:7]
	s_delay_alu instid0(VALU_DEP_1)
	v_lshl_add_u64 v[8:9], v[8:9], 3, s[28:29]
	global_load_b64 v[8:9], v[8:9], off
.LBB186_541:                            ;   in Loop: Header=BB186_539 Depth=1
	s_wait_xcnt 0x0
	s_or_b32 exec_lo, exec_lo, s0
	s_mov_b32 s21, 0
	s_mov_b32 s0, exec_lo
	v_cmpx_gt_u64_e64 s[36:37], v[0:1]
	s_cbranch_execz .LBB186_543
; %bb.542:                              ;   in Loop: Header=BB186_539 Depth=1
	s_wait_loadcnt 0x0
	v_cmp_o_f64_e32 vcc_lo, v[10:11], v[10:11]
	v_ashrrev_i32_e32 v4, 31, v11
	s_delay_alu instid0(VALU_DEP_1) | instskip(NEXT) | instid1(VALU_DEP_1)
	v_or_b32_e32 v14, 0x80000000, v4
	v_xor_b32_e32 v14, v14, v11
	v_xor_b32_e32 v4, v4, v10
	s_delay_alu instid0(VALU_DEP_1) | instskip(NEXT) | instid1(VALU_DEP_1)
	v_dual_cndmask_b32 v15, -1, v14 :: v_dual_cndmask_b32 v14, -1, v4
	v_cmp_eq_u64_e32 vcc_lo, v[14:15], v[2:3]
	s_and_b32 s21, vcc_lo, exec_lo
.LBB186_543:                            ;   in Loop: Header=BB186_539 Depth=1
	s_or_b32 exec_lo, exec_lo, s0
	v_cndmask_b32_e64 v4, 0, 1, s21
	s_delay_alu instid0(VALU_DEP_1) | instskip(SKIP_2) | instid1(SALU_CYCLE_1)
	v_cmp_ne_u32_e32 vcc_lo, 0, v4
	s_cmp_lg_u32 vcc_lo, 0
	s_cselect_b32 s0, -1, 0
	s_and_b32 s0, s2, s0
	s_delay_alu instid0(SALU_CYCLE_1)
	s_and_saveexec_b32 s22, s0
	s_cbranch_execz .LBB186_547
; %bb.544:                              ;   in Loop: Header=BB186_539 Depth=1
	s_mov_b32 s25, exec_lo
	s_bcnt1_i32_b32 s23, vcc_lo
	v_mbcnt_lo_u32_b32 v14, s25, 0
	s_mov_b32 s24, exec_lo
                                        ; implicit-def: $vgpr12_vgpr13
	s_delay_alu instid0(VALU_DEP_1)
	v_cmpx_eq_u32_e32 0, v14
; %bb.545:                              ;   in Loop: Header=BB186_539 Depth=1
	s_bcnt1_i32_b32 s0, s25
	s_delay_alu instid0(SALU_CYCLE_1) | instskip(NEXT) | instid1(SALU_CYCLE_1)
	s_mul_i32 s0, s23, s0
	v_mov_b32_e32 v4, s0
	ds_add_rtn_u64 v[12:13], v5, v[4:5] offset:5136
; %bb.546:                              ;   in Loop: Header=BB186_539 Depth=1
	s_or_b32 exec_lo, exec_lo, s24
	s_wait_dscnt 0x0
	v_readfirstlane_b32 s25, v13
	v_readfirstlane_b32 s24, v12
	s_delay_alu instid0(VALU_DEP_1)
	v_mad_nc_u64_u32 v[12:13], s23, v14, s[24:25]
.LBB186_547:                            ;   in Loop: Header=BB186_539 Depth=1
	s_or_b32 exec_lo, exec_lo, s22
	ds_bpermute_b32 v12, v5, v12
	ds_bpermute_b32 v13, v5, v13
	s_cmp_eq_u32 vcc_lo, 0
	s_mov_b32 s22, -1
	s_cselect_b32 s23, -1, 0
	s_wait_dscnt 0x0
	v_cmp_gt_u64_e64 s0, s[38:39], v[12:13]
	s_or_b32 s24, s23, s0
	s_mov_b32 s23, -1
	s_and_saveexec_b32 s0, s24
	s_cbranch_execz .LBB186_538
; %bb.548:                              ;   in Loop: Header=BB186_539 Depth=1
	v_and_b32_e32 v4, vcc_lo, v16
	v_sub_nc_u64_e32 v[14:15], s[38:39], v[12:13]
	s_mov_b32 s24, -1
	s_delay_alu instid0(VALU_DEP_2) | instskip(NEXT) | instid1(VALU_DEP_1)
	v_bcnt_u32_b32 v4, v4, 0
	v_bcnt_u32_b32 v4, 0, v4
	s_delay_alu instid0(VALU_DEP_1) | instskip(SKIP_1) | instid1(SALU_CYCLE_1)
	v_cmp_gt_u64_e32 vcc_lo, v[14:15], v[4:5]
	s_and_b32 s25, s21, vcc_lo
	s_and_saveexec_b32 s21, s25
	s_cbranch_execz .LBB186_552
; %bb.549:                              ;   in Loop: Header=BB186_539 Depth=1
	v_add_nc_u64_e32 v[14:15], v[12:13], v[4:5]
	s_mov_b32 s24, 0
	s_mov_b32 s23, exec_lo
	s_delay_alu instid0(VALU_DEP_1)
	v_cmpx_gt_u64_e64 s[38:39], v[14:15]
	s_cbranch_execz .LBB186_551
; %bb.550:                              ;   in Loop: Header=BB186_539 Depth=1
	s_wait_kmcnt 0x0
	v_mul_u64_e32 v[18:19], s[6:7], v[14:15]
	v_mul_u64_e32 v[14:15], s[8:9], v[14:15]
	s_mov_b32 s24, exec_lo
	s_delay_alu instid0(VALU_DEP_2) | instskip(NEXT) | instid1(VALU_DEP_2)
	v_lshl_add_u64 v[18:19], v[18:19], 3, s[12:13]
	v_lshl_add_u64 v[14:15], v[14:15], 3, s[14:15]
	s_wait_loadcnt 0x0
	global_store_b64 v[18:19], v[10:11], off
	global_store_b64 v[14:15], v[0:1], off
.LBB186_551:                            ;   in Loop: Header=BB186_539 Depth=1
	s_wait_xcnt 0x0
	s_or_b32 exec_lo, exec_lo, s23
	s_delay_alu instid0(SALU_CYCLE_1)
	s_xor_b32 s23, exec_lo, -1
	s_or_not1_b32 s24, s24, exec_lo
.LBB186_552:                            ;   in Loop: Header=BB186_539 Depth=1
	s_or_b32 exec_lo, exec_lo, s21
	s_and_saveexec_b32 s21, s24
	s_cbranch_execz .LBB186_537
; %bb.553:                              ;   in Loop: Header=BB186_539 Depth=1
	v_cmp_le_u64_e32 vcc_lo, s[10:11], v[6:7]
	s_or_b32 s23, s23, exec_lo
	s_or_not1_b32 s22, vcc_lo, exec_lo
	s_branch .LBB186_537
.LBB186_554:
	s_or_b32 s7, s7, exec_lo
	s_trap 2
	s_branch .LBB186_514
.LBB186_555:
	s_or_b32 exec_lo, exec_lo, s5
	s_mov_b32 s0, 0
	s_and_saveexec_b32 s2, s20
	s_delay_alu instid0(SALU_CYCLE_1)
	s_xor_b32 s2, exec_lo, s2
	s_cbranch_execnz .LBB186_561
.LBB186_556:
	s_or_b32 exec_lo, exec_lo, s2
	s_delay_alu instid0(SALU_CYCLE_1)
	s_and_b32 s0, s0, exec_lo
.LBB186_557:
	s_or_b32 exec_lo, exec_lo, s3
	s_delay_alu instid0(SALU_CYCLE_1) | instskip(SKIP_3) | instid1(SALU_CYCLE_1)
	s_and_b32 s5, s0, exec_lo
	s_and_not1_b32 s1, s1, exec_lo
	s_or_b32 exec_lo, exec_lo, s4
	s_and_saveexec_b32 s0, s1
	s_xor_b32 s0, exec_lo, s0
	s_cbranch_execz .LBB186_508
.LBB186_558:
	s_or_b32 s5, s5, exec_lo
	s_trap 2
	s_branch .LBB186_508
.LBB186_559:
	s_or_b32 s7, s7, exec_lo
	s_trap 2
	s_branch .LBB186_512
.LBB186_560:
	s_or_b32 s7, s7, exec_lo
	s_trap 2
	s_branch .LBB186_510
.LBB186_561:
	s_mov_b32 s0, exec_lo
	s_trap 2
	s_branch .LBB186_556
	.section	.rodata,"a",@progbits
	.p2align	6, 0x0
	.amdhsa_kernel _ZN2at6native6sbtopk10gatherTopKIdmLi3ELb0EEEvNS_4cuda6detail10TensorInfoIKT_T0_EES8_S8_bS8_S8_NS5_IS6_S8_EES8_NS5_IlS8_EES8_PS6_
		.amdhsa_group_segment_fixed_size 5152
		.amdhsa_private_segment_fixed_size 0
		.amdhsa_kernarg_size 1568
		.amdhsa_user_sgpr_count 2
		.amdhsa_user_sgpr_dispatch_ptr 0
		.amdhsa_user_sgpr_queue_ptr 0
		.amdhsa_user_sgpr_kernarg_segment_ptr 1
		.amdhsa_user_sgpr_dispatch_id 0
		.amdhsa_user_sgpr_kernarg_preload_length 0
		.amdhsa_user_sgpr_kernarg_preload_offset 0
		.amdhsa_user_sgpr_private_segment_size 0
		.amdhsa_wavefront_size32 1
		.amdhsa_uses_dynamic_stack 0
		.amdhsa_enable_private_segment 0
		.amdhsa_system_sgpr_workgroup_id_x 1
		.amdhsa_system_sgpr_workgroup_id_y 1
		.amdhsa_system_sgpr_workgroup_id_z 1
		.amdhsa_system_sgpr_workgroup_info 0
		.amdhsa_system_vgpr_workitem_id 0
		.amdhsa_next_free_vgpr 57
		.amdhsa_next_free_sgpr 105
		.amdhsa_named_barrier_count 0
		.amdhsa_reserve_vcc 1
		.amdhsa_float_round_mode_32 0
		.amdhsa_float_round_mode_16_64 0
		.amdhsa_float_denorm_mode_32 3
		.amdhsa_float_denorm_mode_16_64 3
		.amdhsa_fp16_overflow 0
		.amdhsa_memory_ordered 1
		.amdhsa_forward_progress 1
		.amdhsa_inst_pref_size 207
		.amdhsa_round_robin_scheduling 0
		.amdhsa_exception_fp_ieee_invalid_op 0
		.amdhsa_exception_fp_denorm_src 0
		.amdhsa_exception_fp_ieee_div_zero 0
		.amdhsa_exception_fp_ieee_overflow 0
		.amdhsa_exception_fp_ieee_underflow 0
		.amdhsa_exception_fp_ieee_inexact 0
		.amdhsa_exception_int_div_zero 0
	.end_amdhsa_kernel
	.section	.text._ZN2at6native6sbtopk10gatherTopKIdmLi3ELb0EEEvNS_4cuda6detail10TensorInfoIKT_T0_EES8_S8_bS8_S8_NS5_IS6_S8_EES8_NS5_IlS8_EES8_PS6_,"axG",@progbits,_ZN2at6native6sbtopk10gatherTopKIdmLi3ELb0EEEvNS_4cuda6detail10TensorInfoIKT_T0_EES8_S8_bS8_S8_NS5_IS6_S8_EES8_NS5_IlS8_EES8_PS6_,comdat
.Lfunc_end186:
	.size	_ZN2at6native6sbtopk10gatherTopKIdmLi3ELb0EEEvNS_4cuda6detail10TensorInfoIKT_T0_EES8_S8_bS8_S8_NS5_IS6_S8_EES8_NS5_IlS8_EES8_PS6_, .Lfunc_end186-_ZN2at6native6sbtopk10gatherTopKIdmLi3ELb0EEEvNS_4cuda6detail10TensorInfoIKT_T0_EES8_S8_bS8_S8_NS5_IS6_S8_EES8_NS5_IlS8_EES8_PS6_
                                        ; -- End function
	.set _ZN2at6native6sbtopk10gatherTopKIdmLi3ELb0EEEvNS_4cuda6detail10TensorInfoIKT_T0_EES8_S8_bS8_S8_NS5_IS6_S8_EES8_NS5_IlS8_EES8_PS6_.num_vgpr, 57
	.set _ZN2at6native6sbtopk10gatherTopKIdmLi3ELb0EEEvNS_4cuda6detail10TensorInfoIKT_T0_EES8_S8_bS8_S8_NS5_IS6_S8_EES8_NS5_IlS8_EES8_PS6_.num_agpr, 0
	.set _ZN2at6native6sbtopk10gatherTopKIdmLi3ELb0EEEvNS_4cuda6detail10TensorInfoIKT_T0_EES8_S8_bS8_S8_NS5_IS6_S8_EES8_NS5_IlS8_EES8_PS6_.numbered_sgpr, 105
	.set _ZN2at6native6sbtopk10gatherTopKIdmLi3ELb0EEEvNS_4cuda6detail10TensorInfoIKT_T0_EES8_S8_bS8_S8_NS5_IS6_S8_EES8_NS5_IlS8_EES8_PS6_.num_named_barrier, 0
	.set _ZN2at6native6sbtopk10gatherTopKIdmLi3ELb0EEEvNS_4cuda6detail10TensorInfoIKT_T0_EES8_S8_bS8_S8_NS5_IS6_S8_EES8_NS5_IlS8_EES8_PS6_.private_seg_size, 0
	.set _ZN2at6native6sbtopk10gatherTopKIdmLi3ELb0EEEvNS_4cuda6detail10TensorInfoIKT_T0_EES8_S8_bS8_S8_NS5_IS6_S8_EES8_NS5_IlS8_EES8_PS6_.uses_vcc, 1
	.set _ZN2at6native6sbtopk10gatherTopKIdmLi3ELb0EEEvNS_4cuda6detail10TensorInfoIKT_T0_EES8_S8_bS8_S8_NS5_IS6_S8_EES8_NS5_IlS8_EES8_PS6_.uses_flat_scratch, 0
	.set _ZN2at6native6sbtopk10gatherTopKIdmLi3ELb0EEEvNS_4cuda6detail10TensorInfoIKT_T0_EES8_S8_bS8_S8_NS5_IS6_S8_EES8_NS5_IlS8_EES8_PS6_.has_dyn_sized_stack, 0
	.set _ZN2at6native6sbtopk10gatherTopKIdmLi3ELb0EEEvNS_4cuda6detail10TensorInfoIKT_T0_EES8_S8_bS8_S8_NS5_IS6_S8_EES8_NS5_IlS8_EES8_PS6_.has_recursion, 0
	.set _ZN2at6native6sbtopk10gatherTopKIdmLi3ELb0EEEvNS_4cuda6detail10TensorInfoIKT_T0_EES8_S8_bS8_S8_NS5_IS6_S8_EES8_NS5_IlS8_EES8_PS6_.has_indirect_call, 0
	.section	.AMDGPU.csdata,"",@progbits
; Kernel info:
; codeLenInByte = 26480
; TotalNumSgprs: 107
; NumVgprs: 57
; ScratchSize: 0
; MemoryBound: 0
; FloatMode: 240
; IeeeMode: 1
; LDSByteSize: 5152 bytes/workgroup (compile time only)
; SGPRBlocks: 0
; VGPRBlocks: 3
; NumSGPRsForWavesPerEU: 107
; NumVGPRsForWavesPerEU: 57
; NamedBarCnt: 0
; Occupancy: 16
; WaveLimiterHint : 1
; COMPUTE_PGM_RSRC2:SCRATCH_EN: 0
; COMPUTE_PGM_RSRC2:USER_SGPR: 2
; COMPUTE_PGM_RSRC2:TRAP_HANDLER: 0
; COMPUTE_PGM_RSRC2:TGID_X_EN: 1
; COMPUTE_PGM_RSRC2:TGID_Y_EN: 1
; COMPUTE_PGM_RSRC2:TGID_Z_EN: 1
; COMPUTE_PGM_RSRC2:TIDIG_COMP_CNT: 0
	.section	.text._ZN2at6native6mbtopk23computeBlockDigitCountsIdmmLin1EEEvNS_4cuda6detail10TensorInfoIKT_T0_EEjPjjS8_iijT1_PSB_Ps,"axG",@progbits,_ZN2at6native6mbtopk23computeBlockDigitCountsIdmmLin1EEEvNS_4cuda6detail10TensorInfoIKT_T0_EEjPjjS8_iijT1_PSB_Ps,comdat
	.protected	_ZN2at6native6mbtopk23computeBlockDigitCountsIdmmLin1EEEvNS_4cuda6detail10TensorInfoIKT_T0_EEjPjjS8_iijT1_PSB_Ps ; -- Begin function _ZN2at6native6mbtopk23computeBlockDigitCountsIdmmLin1EEEvNS_4cuda6detail10TensorInfoIKT_T0_EEjPjjS8_iijT1_PSB_Ps
	.globl	_ZN2at6native6mbtopk23computeBlockDigitCountsIdmmLin1EEEvNS_4cuda6detail10TensorInfoIKT_T0_EEjPjjS8_iijT1_PSB_Ps
	.p2align	8
	.type	_ZN2at6native6mbtopk23computeBlockDigitCountsIdmmLin1EEEvNS_4cuda6detail10TensorInfoIKT_T0_EEjPjjS8_iijT1_PSB_Ps,@function
_ZN2at6native6mbtopk23computeBlockDigitCountsIdmmLin1EEEvNS_4cuda6detail10TensorInfoIKT_T0_EEjPjjS8_iijT1_PSB_Ps: ; @_ZN2at6native6mbtopk23computeBlockDigitCountsIdmmLin1EEEvNS_4cuda6detail10TensorInfoIKT_T0_EEjPjjS8_iijT1_PSB_Ps
; %bb.0:
	s_load_b96 s[8:10], s[0:1], 0x1c0
	s_bfe_u32 s2, ttmp6, 0x40010
	s_and_b32 s4, ttmp7, 0xffff
	s_add_co_i32 s5, s2, 1
	s_bfe_u32 s6, ttmp6, 0x40004
	s_mul_i32 s5, s4, s5
	s_load_b64 s[2:3], s[0:1], 0x1e8
	s_add_co_i32 s6, s6, s5
	s_bfe_u32 s7, ttmp6, 0x4000c
	s_bfe_u32 s12, ttmp6, 0x40014
	s_add_co_i32 s7, s7, 1
	s_and_b32 s11, ttmp6, 15
	s_mul_i32 s7, ttmp9, s7
	s_add_co_i32 s12, s12, 1
	s_add_co_i32 s11, s11, s7
	s_getreg_b32 s13, hwreg(HW_REG_IB_STS2, 6, 4)
	s_mov_b32 s15, 0
	s_wait_kmcnt 0x0
	s_cvt_f32_u32 s5, s10
	s_delay_alu instid0(SALU_CYCLE_3) | instskip(SKIP_1) | instid1(SALU_CYCLE_1)
	v_rcp_iflag_f32_e32 v1, s5
	s_lshr_b32 s5, ttmp7, 16
	s_mul_i32 s7, s5, s12
	s_bfe_u32 s12, ttmp6, 0x40008
	s_delay_alu instid0(SALU_CYCLE_1) | instskip(SKIP_1) | instid1(TRANS32_DEP_1)
	s_add_co_i32 s12, s12, s7
	v_nop
	v_readfirstlane_b32 s14, v1
	s_cmp_eq_u32 s13, 0
	s_cselect_b32 s5, s5, s12
	s_load_b32 s12, s[0:1], 0x1b0
	s_mul_f32 s7, s14, 0x4f7ffffe
	s_mul_i32 s3, s3, s5
	s_cselect_b32 s5, ttmp9, s11
	s_cselect_b32 s4, s4, s6
	s_cvt_u32_f32 s7, s7
	s_sub_co_i32 s6, 0, s10
	s_add_co_i32 s3, s3, s4
	s_delay_alu instid0(SALU_CYCLE_1) | instskip(SKIP_3) | instid1(SALU_CYCLE_1)
	s_mul_i32 s26, s3, s2
	s_mul_i32 s6, s6, s7
	s_add_co_i32 s26, s26, s5
	s_mul_hi_u32 s2, s7, s6
	s_add_co_i32 s7, s7, s2
	s_delay_alu instid0(SALU_CYCLE_1) | instskip(NEXT) | instid1(SALU_CYCLE_1)
	s_mul_hi_u32 s2, s26, s7
	s_mul_i32 s3, s2, s10
	s_add_co_i32 s4, s2, 1
	s_sub_co_i32 s3, s26, s3
	s_delay_alu instid0(SALU_CYCLE_1)
	s_sub_co_i32 s5, s3, s10
	s_cmp_ge_u32 s3, s10
	s_cselect_b32 s2, s4, s2
	s_cselect_b32 s3, s5, s3
	s_add_co_i32 s4, s2, 1
	s_cmp_ge_u32 s3, s10
	s_cselect_b32 s14, s4, s2
	s_wait_kmcnt 0x0
	s_cmp_ge_u32 s14, s12
	s_cbranch_scc1 .LBB187_28
; %bb.1:
	s_clause 0x2
	s_load_b128 s[4:7], s[0:1], 0x1d0
	s_load_b32 s11, s[0:1], 0x198
	s_load_b64 s[2:3], s[0:1], 0x1e0
	s_mov_b64 s[12:13], 0
	s_wait_kmcnt 0x0
	s_load_b64 s[6:7], s[6:7], s14 offset:0x0 scale_offset
	s_cmp_lt_i32 s11, 2
	s_cbranch_scc1 .LBB187_7
; %bb.2:
	s_add_co_i32 s18, s11, -1
	s_mov_b32 s19, 0
	s_add_co_i32 s11, s11, 1
	s_lshl_b64 s[12:13], s[18:19], 3
	s_mov_b64 s[22:23], s[14:15]
	s_add_nc_u64 s[16:17], s[0:1], s[12:13]
	s_mov_b64 s[12:13], 0
	s_add_nc_u64 s[20:21], s[16:17], 8
.LBB187_3:                              ; =>This Inner Loop Header: Depth=1
	s_load_b64 s[24:25], s[20:21], 0x0
	s_mov_b64 s[16:17], 0
	s_wait_kmcnt 0x0
	v_cmp_lt_u64_e64 s15, s[22:23], s[24:25]
	s_and_b32 vcc_lo, exec_lo, s15
	s_cbranch_vccnz .LBB187_5
; %bb.4:                                ;   in Loop: Header=BB187_3 Depth=1
	v_cvt_f32_u32_e32 v1, s24
	s_sub_co_i32 s16, 0, s24
	s_delay_alu instid0(VALU_DEP_1) | instskip(SKIP_1) | instid1(TRANS32_DEP_1)
	v_rcp_iflag_f32_e32 v1, v1
	v_nop
	v_mul_f32_e32 v1, 0x4f7ffffe, v1
	s_delay_alu instid0(VALU_DEP_1) | instskip(NEXT) | instid1(VALU_DEP_1)
	v_cvt_u32_f32_e32 v1, v1
	v_readfirstlane_b32 s15, v1
	s_mul_i32 s16, s16, s15
	s_delay_alu instid0(SALU_CYCLE_1) | instskip(NEXT) | instid1(SALU_CYCLE_1)
	s_mul_hi_u32 s16, s15, s16
	s_add_co_i32 s15, s15, s16
	s_delay_alu instid0(SALU_CYCLE_1) | instskip(NEXT) | instid1(SALU_CYCLE_1)
	s_mul_hi_u32 s15, s22, s15
	s_mul_i32 s16, s15, s24
	s_add_co_i32 s17, s15, 1
	s_sub_co_i32 s16, s22, s16
	s_delay_alu instid0(SALU_CYCLE_1)
	s_sub_co_i32 s18, s16, s24
	s_cmp_ge_u32 s16, s24
	s_cselect_b32 s15, s17, s15
	s_cselect_b32 s16, s18, s16
	s_add_co_i32 s17, s15, 1
	s_cmp_ge_u32 s16, s24
	s_cselect_b32 s18, s17, s15
	s_delay_alu instid0(SALU_CYCLE_1)
	s_mov_b64 s[16:17], s[18:19]
.LBB187_5:                              ;   in Loop: Header=BB187_3 Depth=1
	s_load_b64 s[28:29], s[20:21], 0xc8
	s_mul_u64 s[24:25], s[16:17], s[24:25]
	s_add_co_i32 s11, s11, -1
	s_sub_nc_u64 s[22:23], s[22:23], s[24:25]
	s_cmp_gt_u32 s11, 2
	s_wait_xcnt 0x0
	s_add_nc_u64 s[20:21], s[20:21], -8
	s_wait_kmcnt 0x0
	s_mul_u64 s[22:23], s[28:29], s[22:23]
	s_delay_alu instid0(SALU_CYCLE_1)
	s_add_nc_u64 s[12:13], s[22:23], s[12:13]
	s_cbranch_scc0 .LBB187_8
; %bb.6:                                ;   in Loop: Header=BB187_3 Depth=1
	s_mov_b64 s[22:23], s[16:17]
	s_branch .LBB187_3
.LBB187_7:
	s_mov_b64 s[16:17], s[14:15]
.LBB187_8:
	v_cmp_gt_u32_e32 vcc_lo, 0x100, v0
	v_lshlrev_b32_e32 v1, 2, v0
	s_and_saveexec_b32 s11, vcc_lo
; %bb.9:
	v_mov_b32_e32 v2, 0
	ds_store_b32 v1, v2
; %bb.10:
	s_or_b32 exec_lo, exec_lo, s11
	s_load_b32 s18, s[0:1], 0x1a0
	s_mul_i32 s11, s14, s10
	s_mov_b32 s15, 0
	s_sub_co_i32 s11, s26, s11
	s_wait_dscnt 0x0
	s_wait_xcnt 0x0
	s_mul_i32 s14, s9, s11
	s_add_co_i32 s11, s11, 1
	s_lshl_b32 s19, s14, 8
	s_barrier_signal -1
	s_barrier_wait -1
	s_wait_kmcnt 0x0
	s_sub_co_i32 s14, s18, s19
	s_delay_alu instid0(SALU_CYCLE_1) | instskip(NEXT) | instid1(SALU_CYCLE_1)
	s_add_nc_u64 s[20:21], s[14:15], 0xff
	s_lshr_b64 s[20:21], s[20:21], 8
	s_cmp_lt_u32 s11, s10
	s_cselect_b32 s14, s9, s20
	s_delay_alu instid0(SALU_CYCLE_1)
	s_cmp_lt_i32 s14, 1
	s_cbranch_scc1 .LBB187_26
; %bb.11:
	s_clause 0x2
	s_load_b64 s[20:21], s[0:1], 0xd0
	s_load_b64 s[10:11], s[0:1], 0x1b8
	;; [unrolled: 1-line block ×3, first 2 shown]
	v_add_nc_u32_e32 v6, s19, v0
	s_lshl_b64 s[12:13], s[12:13], 3
	s_wait_kmcnt 0x0
	s_mul_u64 s[0:1], s[20:21], s[16:17]
	s_delay_alu instid0(SALU_CYCLE_1) | instskip(NEXT) | instid1(SALU_CYCLE_1)
	s_lshl_b64 s[0:1], s[0:1], 3
	s_add_nc_u64 s[16:17], s[22:23], s[0:1]
	s_and_b32 s1, s8, 0xff
	s_cmp_eq_u32 s14, 1
	s_add_nc_u64 s[8:9], s[16:17], s[12:13]
	s_cbranch_scc1 .LBB187_21
; %bb.12:
	v_dual_mov_b32 v3, 0 :: v_dual_mov_b32 v7, 1
	v_mov_b32_e32 v2, v6
	s_and_b32 s12, s14, 0x7ffffffe
	s_mov_b32 s13, 0
	s_branch .LBB187_14
.LBB187_13:                             ;   in Loop: Header=BB187_14 Depth=1
	s_or_b32 exec_lo, exec_lo, s15
	v_add_nc_u32_e32 v2, 0x200, v2
	s_add_co_i32 s13, s13, 2
	s_delay_alu instid0(SALU_CYCLE_1)
	s_cmp_eq_u32 s12, s13
	s_cbranch_scc1 .LBB187_20
.LBB187_14:                             ; =>This Inner Loop Header: Depth=1
	s_mov_b32 s15, exec_lo
	v_cmpx_gt_u32_e64 s18, v2
	s_cbranch_execz .LBB187_17
; %bb.15:                               ;   in Loop: Header=BB187_14 Depth=1
	v_mul_u64_e32 v[4:5], s[10:11], v[2:3]
	s_delay_alu instid0(VALU_DEP_1) | instskip(SKIP_4) | instid1(VALU_DEP_1)
	v_lshl_add_u64 v[4:5], v[4:5], 3, s[8:9]
	global_load_b64 v[4:5], v[4:5], off
	s_wait_loadcnt 0x0
	v_cmp_o_f64_e64 s0, v[4:5], v[4:5]
	v_ashrrev_i32_e32 v8, 31, v5
	v_or_b32_e32 v9, 0x80000000, v8
	s_delay_alu instid0(VALU_DEP_1) | instskip(SKIP_1) | instid1(VALU_DEP_1)
	v_xor_b32_e32 v9, v9, v5
	s_wait_xcnt 0x0
	v_dual_cndmask_b32 v5, -1, v9, s0 :: v_dual_bitop2_b32 v4, v8, v4 bitop3:0x14
	s_delay_alu instid0(VALU_DEP_1) | instskip(NEXT) | instid1(VALU_DEP_1)
	v_dual_cndmask_b32 v4, -1, v4, s0 :: v_dual_bitop2_b32 v8, s7, v5 bitop3:0x14
	v_xor_b32_e32 v10, s6, v4
	s_delay_alu instid0(VALU_DEP_2) | instskip(NEXT) | instid1(VALU_DEP_2)
	v_and_b32_e32 v9, s5, v8
	v_and_b32_e32 v8, s4, v10
	s_delay_alu instid0(VALU_DEP_1)
	v_cmp_eq_u64_e64 s0, 0, v[8:9]
	s_and_b32 exec_lo, exec_lo, s0
	s_cbranch_execz .LBB187_17
; %bb.16:                               ;   in Loop: Header=BB187_14 Depth=1
	v_lshrrev_b64 v[4:5], s1, v[4:5]
	s_delay_alu instid0(VALU_DEP_1) | instskip(NEXT) | instid1(VALU_DEP_1)
	v_and_b32_e32 v4, 0xff, v4
	v_lshlrev_b32_e32 v4, 2, v4
	ds_add_u32 v4, v7
.LBB187_17:                             ;   in Loop: Header=BB187_14 Depth=1
	s_or_b32 exec_lo, exec_lo, s15
	v_add_nc_u32_e32 v4, 0x100, v2
	s_mov_b32 s15, exec_lo
	s_delay_alu instid0(VALU_DEP_1)
	v_cmpx_gt_u32_e64 s18, v4
	s_cbranch_execz .LBB187_13
; %bb.18:                               ;   in Loop: Header=BB187_14 Depth=1
	v_mov_b32_e32 v5, v3
	s_delay_alu instid0(VALU_DEP_1) | instskip(NEXT) | instid1(VALU_DEP_1)
	v_mul_u64_e32 v[4:5], s[10:11], v[4:5]
	v_lshl_add_u64 v[4:5], v[4:5], 3, s[8:9]
	global_load_b64 v[4:5], v[4:5], off
	s_wait_loadcnt 0x0
	v_cmp_o_f64_e64 s0, v[4:5], v[4:5]
	v_ashrrev_i32_e32 v8, 31, v5
	s_delay_alu instid0(VALU_DEP_1) | instskip(NEXT) | instid1(VALU_DEP_1)
	v_or_b32_e32 v9, 0x80000000, v8
	v_xor_b32_e32 v9, v9, v5
	s_delay_alu instid0(VALU_DEP_1) | instskip(NEXT) | instid1(VALU_DEP_1)
	v_dual_cndmask_b32 v5, -1, v9, s0 :: v_dual_bitop2_b32 v4, v8, v4 bitop3:0x14
	v_dual_cndmask_b32 v4, -1, v4, s0 :: v_dual_bitop2_b32 v8, s7, v5 bitop3:0x14
	s_delay_alu instid0(VALU_DEP_1) | instskip(NEXT) | instid1(VALU_DEP_2)
	v_xor_b32_e32 v10, s6, v4
	v_and_b32_e32 v9, s5, v8
	s_delay_alu instid0(VALU_DEP_2) | instskip(NEXT) | instid1(VALU_DEP_1)
	v_and_b32_e32 v8, s4, v10
	v_cmp_eq_u64_e64 s0, 0, v[8:9]
	s_and_b32 exec_lo, exec_lo, s0
	s_cbranch_execz .LBB187_13
; %bb.19:                               ;   in Loop: Header=BB187_14 Depth=1
	v_lshrrev_b64 v[4:5], s1, v[4:5]
	s_delay_alu instid0(VALU_DEP_1) | instskip(NEXT) | instid1(VALU_DEP_1)
	v_and_b32_e32 v4, 0xff, v4
	v_lshlrev_b32_e32 v4, 2, v4
	ds_add_u32 v4, v7
	s_branch .LBB187_13
.LBB187_20:
	s_lshl_b32 s15, s12, 8
.LBB187_21:
	s_bitcmp0_b32 s14, 0
	s_cbranch_scc1 .LBB187_26
; %bb.22:
	v_add_nc_u32_e32 v2, s15, v6
	s_mov_b32 s12, exec_lo
	s_delay_alu instid0(VALU_DEP_1)
	v_cmpx_gt_u32_e64 s18, v2
	s_cbranch_execz .LBB187_25
; %bb.23:
	v_mov_b32_e32 v3, 0
	s_delay_alu instid0(VALU_DEP_1) | instskip(NEXT) | instid1(VALU_DEP_1)
	v_mul_u64_e32 v[2:3], s[10:11], v[2:3]
	v_lshl_add_u64 v[2:3], v[2:3], 3, s[8:9]
	global_load_b64 v[2:3], v[2:3], off
	s_wait_loadcnt 0x0
	v_cmp_o_f64_e64 s0, v[2:3], v[2:3]
	v_ashrrev_i32_e32 v4, 31, v3
	s_delay_alu instid0(VALU_DEP_1) | instskip(NEXT) | instid1(VALU_DEP_1)
	v_or_b32_e32 v5, 0x80000000, v4
	v_xor_b32_e32 v5, v5, v3
	s_delay_alu instid0(VALU_DEP_1) | instskip(NEXT) | instid1(VALU_DEP_1)
	v_dual_cndmask_b32 v3, -1, v5, s0 :: v_dual_bitop2_b32 v2, v4, v2 bitop3:0x14
	v_dual_cndmask_b32 v2, -1, v2, s0 :: v_dual_bitop2_b32 v4, s7, v3 bitop3:0x14
	s_delay_alu instid0(VALU_DEP_1) | instskip(NEXT) | instid1(VALU_DEP_2)
	v_xor_b32_e32 v6, s6, v2
	v_and_b32_e32 v5, s5, v4
	s_delay_alu instid0(VALU_DEP_2) | instskip(NEXT) | instid1(VALU_DEP_1)
	v_and_b32_e32 v4, s4, v6
	v_cmp_eq_u64_e64 s0, 0, v[4:5]
	s_and_b32 exec_lo, exec_lo, s0
	s_cbranch_execz .LBB187_25
; %bb.24:
	v_lshrrev_b64 v[2:3], s1, v[2:3]
	v_mov_b32_e32 v3, 1
	s_delay_alu instid0(VALU_DEP_2) | instskip(NEXT) | instid1(VALU_DEP_1)
	v_and_b32_e32 v2, 0xff, v2
	v_lshlrev_b32_e32 v2, 2, v2
	ds_add_u32 v2, v3
.LBB187_25:
	s_or_b32 exec_lo, exec_lo, s12
.LBB187_26:
	s_wait_dscnt 0x0
	s_barrier_signal -1
	s_barrier_wait -1
	s_and_saveexec_b32 s0, vcc_lo
	s_cbranch_execz .LBB187_28
; %bb.27:
	ds_load_b32 v1, v1
	v_lshl_or_b32 v0, s26, 8, v0
	s_wait_dscnt 0x0
	global_store_b16 v0, v1, s[2:3] scale_offset
.LBB187_28:
	s_endpgm
	.section	.rodata,"a",@progbits
	.p2align	6, 0x0
	.amdhsa_kernel _ZN2at6native6mbtopk23computeBlockDigitCountsIdmmLin1EEEvNS_4cuda6detail10TensorInfoIKT_T0_EEjPjjS8_iijT1_PSB_Ps
		.amdhsa_group_segment_fixed_size 1024
		.amdhsa_private_segment_fixed_size 0
		.amdhsa_kernarg_size 744
		.amdhsa_user_sgpr_count 2
		.amdhsa_user_sgpr_dispatch_ptr 0
		.amdhsa_user_sgpr_queue_ptr 0
		.amdhsa_user_sgpr_kernarg_segment_ptr 1
		.amdhsa_user_sgpr_dispatch_id 0
		.amdhsa_user_sgpr_kernarg_preload_length 0
		.amdhsa_user_sgpr_kernarg_preload_offset 0
		.amdhsa_user_sgpr_private_segment_size 0
		.amdhsa_wavefront_size32 1
		.amdhsa_uses_dynamic_stack 0
		.amdhsa_enable_private_segment 0
		.amdhsa_system_sgpr_workgroup_id_x 1
		.amdhsa_system_sgpr_workgroup_id_y 1
		.amdhsa_system_sgpr_workgroup_id_z 1
		.amdhsa_system_sgpr_workgroup_info 0
		.amdhsa_system_vgpr_workitem_id 0
		.amdhsa_next_free_vgpr 11
		.amdhsa_next_free_sgpr 30
		.amdhsa_named_barrier_count 0
		.amdhsa_reserve_vcc 1
		.amdhsa_float_round_mode_32 0
		.amdhsa_float_round_mode_16_64 0
		.amdhsa_float_denorm_mode_32 3
		.amdhsa_float_denorm_mode_16_64 3
		.amdhsa_fp16_overflow 0
		.amdhsa_memory_ordered 1
		.amdhsa_forward_progress 1
		.amdhsa_inst_pref_size 12
		.amdhsa_round_robin_scheduling 0
		.amdhsa_exception_fp_ieee_invalid_op 0
		.amdhsa_exception_fp_denorm_src 0
		.amdhsa_exception_fp_ieee_div_zero 0
		.amdhsa_exception_fp_ieee_overflow 0
		.amdhsa_exception_fp_ieee_underflow 0
		.amdhsa_exception_fp_ieee_inexact 0
		.amdhsa_exception_int_div_zero 0
	.end_amdhsa_kernel
	.section	.text._ZN2at6native6mbtopk23computeBlockDigitCountsIdmmLin1EEEvNS_4cuda6detail10TensorInfoIKT_T0_EEjPjjS8_iijT1_PSB_Ps,"axG",@progbits,_ZN2at6native6mbtopk23computeBlockDigitCountsIdmmLin1EEEvNS_4cuda6detail10TensorInfoIKT_T0_EEjPjjS8_iijT1_PSB_Ps,comdat
.Lfunc_end187:
	.size	_ZN2at6native6mbtopk23computeBlockDigitCountsIdmmLin1EEEvNS_4cuda6detail10TensorInfoIKT_T0_EEjPjjS8_iijT1_PSB_Ps, .Lfunc_end187-_ZN2at6native6mbtopk23computeBlockDigitCountsIdmmLin1EEEvNS_4cuda6detail10TensorInfoIKT_T0_EEjPjjS8_iijT1_PSB_Ps
                                        ; -- End function
	.set _ZN2at6native6mbtopk23computeBlockDigitCountsIdmmLin1EEEvNS_4cuda6detail10TensorInfoIKT_T0_EEjPjjS8_iijT1_PSB_Ps.num_vgpr, 11
	.set _ZN2at6native6mbtopk23computeBlockDigitCountsIdmmLin1EEEvNS_4cuda6detail10TensorInfoIKT_T0_EEjPjjS8_iijT1_PSB_Ps.num_agpr, 0
	.set _ZN2at6native6mbtopk23computeBlockDigitCountsIdmmLin1EEEvNS_4cuda6detail10TensorInfoIKT_T0_EEjPjjS8_iijT1_PSB_Ps.numbered_sgpr, 30
	.set _ZN2at6native6mbtopk23computeBlockDigitCountsIdmmLin1EEEvNS_4cuda6detail10TensorInfoIKT_T0_EEjPjjS8_iijT1_PSB_Ps.num_named_barrier, 0
	.set _ZN2at6native6mbtopk23computeBlockDigitCountsIdmmLin1EEEvNS_4cuda6detail10TensorInfoIKT_T0_EEjPjjS8_iijT1_PSB_Ps.private_seg_size, 0
	.set _ZN2at6native6mbtopk23computeBlockDigitCountsIdmmLin1EEEvNS_4cuda6detail10TensorInfoIKT_T0_EEjPjjS8_iijT1_PSB_Ps.uses_vcc, 1
	.set _ZN2at6native6mbtopk23computeBlockDigitCountsIdmmLin1EEEvNS_4cuda6detail10TensorInfoIKT_T0_EEjPjjS8_iijT1_PSB_Ps.uses_flat_scratch, 0
	.set _ZN2at6native6mbtopk23computeBlockDigitCountsIdmmLin1EEEvNS_4cuda6detail10TensorInfoIKT_T0_EEjPjjS8_iijT1_PSB_Ps.has_dyn_sized_stack, 0
	.set _ZN2at6native6mbtopk23computeBlockDigitCountsIdmmLin1EEEvNS_4cuda6detail10TensorInfoIKT_T0_EEjPjjS8_iijT1_PSB_Ps.has_recursion, 0
	.set _ZN2at6native6mbtopk23computeBlockDigitCountsIdmmLin1EEEvNS_4cuda6detail10TensorInfoIKT_T0_EEjPjjS8_iijT1_PSB_Ps.has_indirect_call, 0
	.section	.AMDGPU.csdata,"",@progbits
; Kernel info:
; codeLenInByte = 1468
; TotalNumSgprs: 32
; NumVgprs: 11
; ScratchSize: 0
; MemoryBound: 0
; FloatMode: 240
; IeeeMode: 1
; LDSByteSize: 1024 bytes/workgroup (compile time only)
; SGPRBlocks: 0
; VGPRBlocks: 0
; NumSGPRsForWavesPerEU: 32
; NumVGPRsForWavesPerEU: 11
; NamedBarCnt: 0
; Occupancy: 16
; WaveLimiterHint : 0
; COMPUTE_PGM_RSRC2:SCRATCH_EN: 0
; COMPUTE_PGM_RSRC2:USER_SGPR: 2
; COMPUTE_PGM_RSRC2:TRAP_HANDLER: 0
; COMPUTE_PGM_RSRC2:TGID_X_EN: 1
; COMPUTE_PGM_RSRC2:TGID_Y_EN: 1
; COMPUTE_PGM_RSRC2:TGID_Z_EN: 1
; COMPUTE_PGM_RSRC2:TIDIG_COMP_CNT: 0
	.section	.text._ZN2at6native6mbtopk10gatherTopKIdmLin1EEEvNS_4cuda6detail10TensorInfoIKT_T0_EES8_S8_bjS8_NS5_IS6_S8_EES8_NS5_IlS8_EES8_jjPS6_PjSD_j,"axG",@progbits,_ZN2at6native6mbtopk10gatherTopKIdmLin1EEEvNS_4cuda6detail10TensorInfoIKT_T0_EES8_S8_bjS8_NS5_IS6_S8_EES8_NS5_IlS8_EES8_jjPS6_PjSD_j,comdat
	.protected	_ZN2at6native6mbtopk10gatherTopKIdmLin1EEEvNS_4cuda6detail10TensorInfoIKT_T0_EES8_S8_bjS8_NS5_IS6_S8_EES8_NS5_IlS8_EES8_jjPS6_PjSD_j ; -- Begin function _ZN2at6native6mbtopk10gatherTopKIdmLin1EEEvNS_4cuda6detail10TensorInfoIKT_T0_EES8_S8_bjS8_NS5_IS6_S8_EES8_NS5_IlS8_EES8_jjPS6_PjSD_j
	.globl	_ZN2at6native6mbtopk10gatherTopKIdmLin1EEEvNS_4cuda6detail10TensorInfoIKT_T0_EES8_S8_bjS8_NS5_IS6_S8_EES8_NS5_IlS8_EES8_jjPS6_PjSD_j
	.p2align	8
	.type	_ZN2at6native6mbtopk10gatherTopKIdmLin1EEEvNS_4cuda6detail10TensorInfoIKT_T0_EES8_S8_bjS8_NS5_IS6_S8_EES8_NS5_IlS8_EES8_jjPS6_PjSD_j,@function
_ZN2at6native6mbtopk10gatherTopKIdmLin1EEEvNS_4cuda6detail10TensorInfoIKT_T0_EES8_S8_bjS8_NS5_IS6_S8_EES8_NS5_IlS8_EES8_jjPS6_PjSD_j: ; @_ZN2at6native6mbtopk10gatherTopKIdmLin1EEEvNS_4cuda6detail10TensorInfoIKT_T0_EES8_S8_bjS8_NS5_IS6_S8_EES8_NS5_IlS8_EES8_jjPS6_PjSD_j
; %bb.0:
	s_bfe_u32 s2, ttmp6, 0x40010
	s_and_b32 s4, ttmp7, 0xffff
	s_add_co_i32 s5, s2, 1
	s_clause 0x1
	s_load_b32 s6, s[0:1], 0x530
	s_load_b64 s[2:3], s[0:1], 0x538
	s_bfe_u32 s8, ttmp6, 0x4000c
	s_mul_i32 s5, s4, s5
	s_bfe_u32 s7, ttmp6, 0x40004
	s_add_co_i32 s8, s8, 1
	s_bfe_u32 s9, ttmp6, 0x40014
	s_add_co_i32 s7, s7, s5
	s_and_b32 s5, ttmp6, 15
	s_mul_i32 s8, ttmp9, s8
	s_lshr_b32 s10, ttmp7, 16
	s_add_co_i32 s9, s9, 1
	s_add_co_i32 s5, s5, s8
	s_mul_i32 s8, s10, s9
	s_bfe_u32 s9, ttmp6, 0x40008
	s_getreg_b32 s11, hwreg(HW_REG_IB_STS2, 6, 4)
	s_add_co_i32 s9, s9, s8
	s_cmp_eq_u32 s11, 0
	s_cselect_b32 s8, s10, s9
	s_cselect_b32 s4, s4, s7
	s_wait_kmcnt 0x0
	s_mul_i32 s3, s3, s8
	s_cselect_b32 s5, ttmp9, s5
	s_add_co_i32 s3, s3, s4
	s_delay_alu instid0(SALU_CYCLE_1) | instskip(NEXT) | instid1(SALU_CYCLE_1)
	s_mul_i32 s3, s3, s2
	s_add_co_i32 s3, s3, s5
	s_delay_alu instid0(SALU_CYCLE_1)
	s_cmp_ge_u32 s3, s6
	s_cbranch_scc1 .LBB188_61
; %bb.1:
	s_load_b64 s[16:17], s[0:1], 0x510
	s_wait_kmcnt 0x0
	s_cvt_f32_u32 s2, s17
	s_sub_co_i32 s4, 0, s17
	s_lshl_b32 s33, s16, 8
	s_delay_alu instid0(SALU_CYCLE_1) | instskip(SKIP_1) | instid1(TRANS32_DEP_1)
	v_rcp_iflag_f32_e32 v1, s2
	v_nop
	v_readfirstlane_b32 s2, v1
	s_mul_f32 s2, s2, 0x4f7ffffe
	s_delay_alu instid0(SALU_CYCLE_3) | instskip(NEXT) | instid1(SALU_CYCLE_3)
	s_cvt_u32_f32 s2, s2
	s_mul_i32 s4, s4, s2
	s_delay_alu instid0(SALU_CYCLE_1) | instskip(NEXT) | instid1(SALU_CYCLE_1)
	s_mul_hi_u32 s4, s2, s4
	s_add_co_i32 s2, s2, s4
	s_load_b128 s[4:7], s[0:1], 0x1a0
	s_mul_hi_u32 s2, s3, s2
	s_delay_alu instid0(SALU_CYCLE_1) | instskip(SKIP_2) | instid1(SALU_CYCLE_1)
	s_mul_i32 s8, s2, s17
	s_add_co_i32 s9, s2, 1
	s_sub_co_i32 s8, s3, s8
	s_sub_co_i32 s10, s8, s17
	s_cmp_ge_u32 s8, s17
	s_cselect_b32 s2, s9, s2
	s_cselect_b32 s8, s10, s8
	s_add_co_i32 s9, s2, 1
	s_cmp_ge_u32 s8, s17
	s_cselect_b32 s2, s9, s2
	s_delay_alu instid0(SALU_CYCLE_1) | instskip(NEXT) | instid1(SALU_CYCLE_1)
	s_mul_i32 s20, s2, s17
	s_sub_co_i32 s46, s3, s20
	s_delay_alu instid0(SALU_CYCLE_1) | instskip(NEXT) | instid1(SALU_CYCLE_1)
	s_add_co_i32 s3, s46, 1
	s_cmp_lt_u32 s3, s17
	s_cbranch_scc1 .LBB188_3
; %bb.2:
	s_mul_i32 s8, s46, s33
	s_mov_b32 s9, 0
	s_wait_kmcnt 0x0
	s_sub_nc_u64 s[10:11], s[4:5], s[8:9]
	s_delay_alu instid0(SALU_CYCLE_1) | instskip(NEXT) | instid1(SALU_CYCLE_1)
	s_add_nc_u64 s[10:11], s[10:11], 0xff
	s_ashr_i32 s3, s11, 31
	s_delay_alu instid0(SALU_CYCLE_1) | instskip(NEXT) | instid1(SALU_CYCLE_1)
	s_lshr_b32 s8, s3, 24
	s_add_nc_u64 s[8:9], s[10:11], s[8:9]
	s_delay_alu instid0(SALU_CYCLE_1) | instskip(NEXT) | instid1(SALU_CYCLE_1)
	s_lshr_b64 s[8:9], s[8:9], 8
	s_mov_b32 s16, s8
.LBB188_3:
	s_load_b32 s10, s[0:1], 0x198
	s_mov_b32 s9, 0
	s_mov_b64 s[18:19], 0
	s_mov_b32 s3, s9
	s_delay_alu instid0(SALU_CYCLE_1)
	s_mov_b64 s[22:23], s[2:3]
	s_wait_kmcnt 0x0
	s_cmp_lt_i32 s10, 2
	s_cbranch_scc1 .LBB188_9
; %bb.4:
	s_add_co_i32 s8, s10, -1
	s_add_co_i32 s21, s10, 1
	s_lshl_b64 s[12:13], s[8:9], 3
	s_delay_alu instid0(SALU_CYCLE_1)
	s_add_nc_u64 s[10:11], s[0:1], s[12:13]
	s_mov_b64 s[12:13], s[2:3]
	s_add_nc_u64 s[10:11], s[10:11], 8
.LBB188_5:                              ; =>This Inner Loop Header: Depth=1
	s_load_b64 s[14:15], s[10:11], 0x0
	s_mov_b64 s[22:23], 0
	s_wait_kmcnt 0x0
	v_cmp_lt_u64_e64 s8, s[12:13], s[14:15]
	s_and_b32 vcc_lo, exec_lo, s8
	s_cbranch_vccnz .LBB188_7
; %bb.6:                                ;   in Loop: Header=BB188_5 Depth=1
	v_cvt_f32_u32_e32 v1, s14
	s_sub_co_i32 s22, 0, s14
	s_delay_alu instid0(VALU_DEP_1) | instskip(SKIP_1) | instid1(TRANS32_DEP_1)
	v_rcp_iflag_f32_e32 v1, v1
	v_nop
	v_mul_f32_e32 v1, 0x4f7ffffe, v1
	s_delay_alu instid0(VALU_DEP_1) | instskip(NEXT) | instid1(VALU_DEP_1)
	v_cvt_u32_f32_e32 v1, v1
	v_readfirstlane_b32 s8, v1
	s_mul_i32 s22, s22, s8
	s_delay_alu instid0(SALU_CYCLE_1) | instskip(NEXT) | instid1(SALU_CYCLE_1)
	s_mul_hi_u32 s22, s8, s22
	s_add_co_i32 s8, s8, s22
	s_delay_alu instid0(SALU_CYCLE_1) | instskip(NEXT) | instid1(SALU_CYCLE_1)
	s_mul_hi_u32 s8, s12, s8
	s_mul_i32 s22, s8, s14
	s_add_co_i32 s23, s8, 1
	s_sub_co_i32 s22, s12, s22
	s_delay_alu instid0(SALU_CYCLE_1)
	s_sub_co_i32 s24, s22, s14
	s_cmp_ge_u32 s22, s14
	s_cselect_b32 s8, s23, s8
	s_cselect_b32 s22, s24, s22
	s_add_co_i32 s23, s8, 1
	s_cmp_ge_u32 s22, s14
	s_cselect_b32 s8, s23, s8
	s_delay_alu instid0(SALU_CYCLE_1)
	s_mov_b64 s[22:23], s[8:9]
.LBB188_7:                              ;   in Loop: Header=BB188_5 Depth=1
	s_load_b64 s[24:25], s[10:11], 0xc8
	s_mul_u64 s[14:15], s[22:23], s[14:15]
	s_add_co_i32 s21, s21, -1
	s_sub_nc_u64 s[12:13], s[12:13], s[14:15]
	s_cmp_gt_u32 s21, 2
	s_wait_xcnt 0x0
	s_add_nc_u64 s[10:11], s[10:11], -8
	s_wait_kmcnt 0x0
	s_mul_u64 s[12:13], s[24:25], s[12:13]
	s_delay_alu instid0(SALU_CYCLE_1)
	s_add_nc_u64 s[18:19], s[12:13], s[18:19]
	s_cbranch_scc0 .LBB188_9
; %bb.8:                                ;   in Loop: Header=BB188_5 Depth=1
	s_mov_b64 s[12:13], s[22:23]
	s_branch .LBB188_5
.LBB188_9:
	s_load_b32 s12, s[0:1], 0x358
	s_add_nc_u64 s[8:9], s[0:1], 0x1c0
	s_mov_b64 s[24:25], 0
	s_mov_b64 s[26:27], s[2:3]
	s_wait_kmcnt 0x0
	s_cmp_lt_i32 s12, 2
	s_cbranch_scc1 .LBB188_15
; %bb.10:
	s_add_co_i32 s10, s12, -1
	s_mov_b32 s11, 0
	s_add_co_i32 s21, s12, 1
	s_lshl_b64 s[14:15], s[10:11], 3
	s_delay_alu instid0(SALU_CYCLE_1)
	s_add_nc_u64 s[12:13], s[8:9], s[14:15]
	s_mov_b64 s[14:15], s[2:3]
	s_add_nc_u64 s[12:13], s[12:13], 8
.LBB188_11:                             ; =>This Inner Loop Header: Depth=1
	s_load_b64 s[28:29], s[12:13], 0x0
	s_mov_b64 s[26:27], 0
	s_wait_kmcnt 0x0
	v_cmp_lt_u64_e64 s10, s[14:15], s[28:29]
	s_and_b32 vcc_lo, exec_lo, s10
	s_cbranch_vccnz .LBB188_13
; %bb.12:                               ;   in Loop: Header=BB188_11 Depth=1
	v_cvt_f32_u32_e32 v1, s28
	s_sub_co_i32 s26, 0, s28
	s_delay_alu instid0(VALU_DEP_1) | instskip(SKIP_1) | instid1(TRANS32_DEP_1)
	v_rcp_iflag_f32_e32 v1, v1
	v_nop
	v_mul_f32_e32 v1, 0x4f7ffffe, v1
	s_delay_alu instid0(VALU_DEP_1) | instskip(NEXT) | instid1(VALU_DEP_1)
	v_cvt_u32_f32_e32 v1, v1
	v_readfirstlane_b32 s10, v1
	s_mul_i32 s26, s26, s10
	s_delay_alu instid0(SALU_CYCLE_1) | instskip(NEXT) | instid1(SALU_CYCLE_1)
	s_mul_hi_u32 s26, s10, s26
	s_add_co_i32 s10, s10, s26
	s_delay_alu instid0(SALU_CYCLE_1) | instskip(NEXT) | instid1(SALU_CYCLE_1)
	s_mul_hi_u32 s10, s14, s10
	s_mul_i32 s26, s10, s28
	s_add_co_i32 s27, s10, 1
	s_sub_co_i32 s26, s14, s26
	s_delay_alu instid0(SALU_CYCLE_1)
	s_sub_co_i32 s30, s26, s28
	s_cmp_ge_u32 s26, s28
	s_cselect_b32 s10, s27, s10
	s_cselect_b32 s26, s30, s26
	s_add_co_i32 s27, s10, 1
	s_cmp_ge_u32 s26, s28
	s_cselect_b32 s10, s27, s10
	s_delay_alu instid0(SALU_CYCLE_1)
	s_mov_b64 s[26:27], s[10:11]
.LBB188_13:                             ;   in Loop: Header=BB188_11 Depth=1
	s_load_b64 s[30:31], s[12:13], 0xc8
	s_mul_u64 s[28:29], s[26:27], s[28:29]
	s_add_co_i32 s21, s21, -1
	s_sub_nc_u64 s[14:15], s[14:15], s[28:29]
	s_cmp_gt_u32 s21, 2
	s_wait_xcnt 0x0
	s_add_nc_u64 s[12:13], s[12:13], -8
	s_wait_kmcnt 0x0
	s_mul_u64 s[14:15], s[30:31], s[14:15]
	s_delay_alu instid0(SALU_CYCLE_1)
	s_add_nc_u64 s[24:25], s[14:15], s[24:25]
	s_cbranch_scc0 .LBB188_15
; %bb.14:                               ;   in Loop: Header=BB188_11 Depth=1
	s_mov_b64 s[14:15], s[26:27]
	s_branch .LBB188_11
.LBB188_15:
	s_clause 0x1
	s_load_b64 s[30:31], s[0:1], 0xd0
	s_load_b32 s12, s[0:1], 0x500
	s_mov_b64 s[28:29], 0
	s_wait_kmcnt 0x0
	s_cmp_lt_i32 s12, 2
	s_cbranch_scc1 .LBB188_21
; %bb.16:
	s_add_co_i32 s10, s12, -1
	s_mov_b32 s11, 0
	s_add_nc_u64 s[14:15], s[0:1], 0x368
	s_lshl_b64 s[28:29], s[10:11], 3
	s_add_co_i32 s21, s12, 1
	s_add_nc_u64 s[14:15], s[14:15], s[28:29]
	s_mov_b64 s[28:29], 0
	s_add_nc_u64 s[12:13], s[14:15], 8
	s_mov_b64 s[14:15], s[2:3]
.LBB188_17:                             ; =>This Inner Loop Header: Depth=1
	s_load_b64 s[34:35], s[12:13], 0x0
	s_mov_b64 s[36:37], 0
	s_wait_kmcnt 0x0
	v_cmp_lt_u64_e64 s10, s[14:15], s[34:35]
	s_and_b32 vcc_lo, exec_lo, s10
	s_cbranch_vccnz .LBB188_19
; %bb.18:                               ;   in Loop: Header=BB188_17 Depth=1
	v_cvt_f32_u32_e32 v1, s34
	s_sub_co_i32 s36, 0, s34
	s_delay_alu instid0(VALU_DEP_1) | instskip(SKIP_1) | instid1(TRANS32_DEP_1)
	v_rcp_iflag_f32_e32 v1, v1
	v_nop
	v_mul_f32_e32 v1, 0x4f7ffffe, v1
	s_delay_alu instid0(VALU_DEP_1) | instskip(NEXT) | instid1(VALU_DEP_1)
	v_cvt_u32_f32_e32 v1, v1
	v_readfirstlane_b32 s10, v1
	s_mul_i32 s36, s36, s10
	s_delay_alu instid0(SALU_CYCLE_1) | instskip(NEXT) | instid1(SALU_CYCLE_1)
	s_mul_hi_u32 s36, s10, s36
	s_add_co_i32 s10, s10, s36
	s_delay_alu instid0(SALU_CYCLE_1) | instskip(NEXT) | instid1(SALU_CYCLE_1)
	s_mul_hi_u32 s10, s14, s10
	s_mul_i32 s36, s10, s34
	s_add_co_i32 s37, s10, 1
	s_sub_co_i32 s36, s14, s36
	s_delay_alu instid0(SALU_CYCLE_1)
	s_sub_co_i32 s38, s36, s34
	s_cmp_ge_u32 s36, s34
	s_cselect_b32 s10, s37, s10
	s_cselect_b32 s36, s38, s36
	s_add_co_i32 s37, s10, 1
	s_cmp_ge_u32 s36, s34
	s_cselect_b32 s10, s37, s10
	s_delay_alu instid0(SALU_CYCLE_1)
	s_mov_b64 s[36:37], s[10:11]
.LBB188_19:                             ;   in Loop: Header=BB188_17 Depth=1
	s_load_b64 s[38:39], s[12:13], 0xc8
	s_mul_u64 s[34:35], s[36:37], s[34:35]
	s_add_co_i32 s21, s21, -1
	s_sub_nc_u64 s[14:15], s[14:15], s[34:35]
	s_cmp_gt_u32 s21, 2
	s_wait_xcnt 0x0
	s_add_nc_u64 s[12:13], s[12:13], -8
	s_wait_kmcnt 0x0
	s_mul_u64 s[14:15], s[38:39], s[14:15]
	s_delay_alu instid0(SALU_CYCLE_1)
	s_add_nc_u64 s[28:29], s[14:15], s[28:29]
	s_cbranch_scc0 .LBB188_22
; %bb.20:                               ;   in Loop: Header=BB188_17 Depth=1
	s_mov_b64 s[14:15], s[36:37]
	s_branch .LBB188_17
.LBB188_21:
	s_mov_b64 s[36:37], s[2:3]
.LBB188_22:
	s_load_b64 s[38:39], s[8:9], 0xd0
	s_wait_xcnt 0x0
	s_load_b128 s[8:11], s[0:1], 0x518
	s_lshl_b64 s[2:3], s[2:3], 3
	s_mov_b32 s21, 0
	s_wait_kmcnt 0x0
	s_add_nc_u64 s[2:3], s[8:9], s[2:3]
	s_load_b64 s[34:35], s[2:3], 0x0
	s_wait_xcnt 0x0
	v_cmp_ne_u32_e64 s2, 0, v0
	v_cmp_eq_u32_e64 s3, 0, v0
	s_and_saveexec_b32 s47, s3
	s_cbranch_execz .LBB188_38
; %bb.23:
	s_load_b64 s[40:41], s[0:1], 0x528
	s_lshl_b64 s[42:43], s[20:21], 2
	s_cmp_lt_u32 s17, 4
	s_cbranch_scc1 .LBB188_35
; %bb.24:
	s_mov_b64 s[8:9], 0
	s_mov_b32 s20, 0
.LBB188_25:                             ; =>This Inner Loop Header: Depth=1
	s_add_nc_u64 s[44:45], s[10:11], s[42:43]
	s_cmp_ge_u32 s20, s46
	s_load_b128 s[12:15], s[44:45], 0x0
	s_wait_kmcnt 0x0
	s_add_nc_u64 s[44:45], s[40:41], s[42:43]
	s_cbranch_scc0 .LBB188_32
; %bb.26:                               ;   in Loop: Header=BB188_25 Depth=1
	s_add_co_i32 s48, s20, 1
	s_delay_alu instid0(SALU_CYCLE_1)
	s_cmp_ge_u32 s48, s46
	s_cbranch_scc0 .LBB188_33
.LBB188_27:                             ;   in Loop: Header=BB188_25 Depth=1
	s_add_co_i32 s48, s48, 1
	s_delay_alu instid0(SALU_CYCLE_1)
	s_cmp_ge_u32 s48, s46
	s_cbranch_scc0 .LBB188_34
.LBB188_28:                             ;   in Loop: Header=BB188_25 Depth=1
	s_add_co_i32 s48, s48, 1
	s_delay_alu instid0(SALU_CYCLE_1)
	s_cmp_ge_u32 s48, s46
	s_cbranch_scc1 .LBB188_30
.LBB188_29:                             ;   in Loop: Header=BB188_25 Depth=1
	s_load_b32 s44, s[44:45], 0xc
	s_add_co_i32 s9, s15, s9
	s_wait_kmcnt 0x0
	s_add_co_i32 s8, s44, s8
.LBB188_30:                             ;   in Loop: Header=BB188_25 Depth=1
	s_add_co_i32 s12, s12, s21
	s_add_nc_u64 s[10:11], s[10:11], 16
	s_add_co_i32 s12, s12, s13
	s_add_co_i32 s13, s48, 4
	;; [unrolled: 1-line block ×3, first 2 shown]
	s_add_nc_u64 s[40:41], s[40:41], 16
	s_add_co_i32 s21, s12, s15
	s_add_co_i32 s12, s48, 1
	s_cmp_ge_u32 s13, s17
	s_cbranch_scc1 .LBB188_36
; %bb.31:                               ;   in Loop: Header=BB188_25 Depth=1
	s_mov_b32 s20, s12
	s_branch .LBB188_25
.LBB188_32:                             ;   in Loop: Header=BB188_25 Depth=1
	s_load_b32 s48, s[44:45], 0x0
	s_add_co_i32 s9, s12, s9
	s_wait_kmcnt 0x0
	s_add_co_i32 s8, s48, s8
	s_add_co_i32 s48, s20, 1
	s_delay_alu instid0(SALU_CYCLE_1)
	s_cmp_ge_u32 s48, s46
	s_cbranch_scc1 .LBB188_27
.LBB188_33:                             ;   in Loop: Header=BB188_25 Depth=1
	s_load_b32 s49, s[44:45], 0x4
	s_add_co_i32 s9, s13, s9
	s_wait_kmcnt 0x0
	s_add_co_i32 s8, s49, s8
	s_add_co_i32 s48, s48, 1
	s_delay_alu instid0(SALU_CYCLE_1)
	s_cmp_ge_u32 s48, s46
	s_cbranch_scc1 .LBB188_28
.LBB188_34:                             ;   in Loop: Header=BB188_25 Depth=1
	s_load_b32 s49, s[44:45], 0x8
	s_add_co_i32 s9, s14, s9
	s_wait_kmcnt 0x0
	s_add_co_i32 s8, s49, s8
	s_add_co_i32 s48, s48, 1
	s_delay_alu instid0(SALU_CYCLE_1)
	s_cmp_ge_u32 s48, s46
	s_cbranch_scc0 .LBB188_29
	s_branch .LBB188_30
.LBB188_35:
	s_mov_b64 s[8:9], 0
	s_add_nc_u64 s[10:11], s[10:11], s[42:43]
	s_wait_kmcnt 0x0
	s_add_nc_u64 s[12:13], s[40:41], s[42:43]
	s_mov_b32 s14, 0
	s_delay_alu instid0(SALU_CYCLE_1)
	s_cmp_ge_u32 s14, s17
	s_cbranch_scc0 .LBB188_59
	s_branch .LBB188_37
.LBB188_36:
	s_add_co_i32 s14, s20, 4
	s_add_nc_u64 s[12:13], s[40:41], s[42:43]
	s_add_nc_u64 s[10:11], s[10:11], s[42:43]
	s_cmp_ge_u32 s14, s17
	s_cbranch_scc0 .LBB188_59
.LBB188_37:
	v_dual_mov_b32 v2, s8 :: v_dual_mov_b32 v3, s21
	v_dual_mov_b32 v4, s9 :: v_dual_mov_b32 v1, 0
	ds_store_b96 v1, v[2:4] offset:1056
.LBB188_38:
	s_or_b32 exec_lo, exec_lo, s47
	s_clause 0x3
	s_load_b64 s[8:9], s[0:1], 0x438
	s_load_b64 s[14:15], s[0:1], 0x0
	;; [unrolled: 1-line block ×4, first 2 shown]
	s_cmp_eq_u32 s16, 0
	s_wait_dscnt 0x0
	s_barrier_signal -1
	s_barrier_wait -1
	s_cbranch_scc1 .LBB188_61
; %bb.39:
	s_wait_kmcnt 0x0
	v_cmp_o_f64_e64 s17, s[34:35], s[34:35]
	v_dual_mov_b32 v7, 0 :: v_dual_lshrrev_b32 v1, 3, v0
	s_mul_u64 s[26:27], s[38:39], s[26:27]
	s_mul_u64 s[22:23], s[30:31], s[22:23]
	;; [unrolled: 1-line block ×3, first 2 shown]
	ds_load_b96 v[2:4], v7 offset:1056
	s_clause 0x3
	s_load_b32 s38, s[0:1], 0x1b0
	s_load_b64 s[8:9], s[0:1], 0x1b8
	s_load_b64 s[10:11], s[0:1], 0x360
	;; [unrolled: 1-line block ×3, first 2 shown]
	v_dual_add_nc_u32 v8, -1, v0 :: v_dual_bitop2_b32 v1, 28, v1 bitop3:0x40
	s_ashr_i32 s36, s35, 31
	s_wait_xcnt 0x0
	s_lshl_b64 s[0:1], s[22:23], 3
	s_lshl_b64 s[22:23], s[26:27], 3
	v_lshrrev_b32_e32 v6, 3, v8
	s_lshl_b64 s[26:27], s[30:31], 3
	s_mov_b32 s37, s36
	v_lshl_add_u32 v5, v0, 2, v1
	v_and_b32_e32 v1, 0xfc, v0
	v_mbcnt_lo_u32_b32 v10, -1, 0
	v_lshlrev_b32_e32 v9, 5, v0
	s_lshl_b64 s[18:19], s[18:19], 3
	s_add_nc_u64 s[0:1], s[14:15], s[0:1]
	s_add_nc_u64 s[20:21], s[20:21], s[22:23]
	;; [unrolled: 1-line block ×3, first 2 shown]
	s_or_b64 s[26:27], s[36:37], 0x8000000000000000
	s_lshl_b64 s[24:25], s[24:25], 3
	s_wait_dscnt 0x0
	v_add_nc_u32_e32 v2, v2, v3
	v_and_b32_e32 v3, 0x1ffffffc, v6
	v_mad_u32 v6, s46, s33, v0
	s_lshl_b64 s[28:29], s[28:29], 3
	s_add_nc_u64 s[14:15], s[0:1], s[18:19]
	s_xor_b64 s[0:1], s[26:27], s[34:35]
	s_and_b32 s17, s17, exec_lo
	s_add_nc_u64 s[18:19], s[20:21], s[24:25]
	s_cselect_b32 s20, s0, -1
	v_cmp_gt_u32_e64 s0, 32, v0
	v_lshl_add_u32 v11, v8, 2, v3
	v_dual_add_nc_u32 v12, v1, v9 :: v_dual_bitop2_b32 v13, 15, v10 bitop3:0x40
	v_add_nc_u32_e32 v15, -1, v10
	v_bfe_i32 v14, v10, 4, 1
	s_cselect_b32 s21, s1, -1
	s_wait_kmcnt 0x0
	s_bitcmp1_b32 s38, 0
	s_add_nc_u64 s[22:23], s[22:23], s[28:29]
	s_cselect_b32 s1, -1, 0
                                        ; implicit-def: $vgpr0_vgpr1
	s_branch .LBB188_42
.LBB188_40:                             ;   in Loop: Header=BB188_42 Depth=1
	s_wait_xcnt 0x0
	s_or_b32 exec_lo, exec_lo, s17
	v_add_nc_u32_e32 v2, v3, v2
.LBB188_41:                             ;   in Loop: Header=BB188_42 Depth=1
	v_add_nc_u32_e32 v4, v16, v4
	v_add_nc_u32_e32 v6, 0x100, v6
	s_add_co_i32 s16, s16, -1
	s_delay_alu instid0(SALU_CYCLE_1)
	s_cmp_lg_u32 s16, 0
	s_cbranch_scc0 .LBB188_61
.LBB188_42:                             ; =>This Inner Loop Header: Depth=1
	v_dual_mov_b32 v3, v7 :: v_dual_mov_b32 v8, v7
	s_mov_b32 s17, exec_lo
	v_cmpx_gt_u64_e64 s[4:5], v[6:7]
	s_cbranch_execz .LBB188_44
; %bb.43:                               ;   in Loop: Header=BB188_42 Depth=1
	v_mul_u64_e32 v[0:1], s[8:9], v[6:7]
	s_delay_alu instid0(VALU_DEP_1) | instskip(SKIP_4) | instid1(VALU_DEP_1)
	v_lshl_add_u64 v[0:1], v[0:1], 3, s[14:15]
	global_load_b64 v[0:1], v[0:1], off
	s_wait_loadcnt 0x0
	v_cmp_o_f64_e32 vcc_lo, v[0:1], v[0:1]
	v_ashrrev_i32_e32 v3, 31, v1
	v_or_b32_e32 v8, 0x80000000, v3
	s_delay_alu instid0(VALU_DEP_1) | instskip(SKIP_1) | instid1(VALU_DEP_1)
	v_xor_b32_e32 v8, v8, v1
	v_xor_b32_e32 v3, v3, v0
	v_dual_cndmask_b32 v9, -1, v8 :: v_dual_cndmask_b32 v8, -1, v3
	s_delay_alu instid0(VALU_DEP_1) | instskip(SKIP_4) | instid1(VALU_DEP_2)
	v_cmp_lt_u64_e32 vcc_lo, s[20:21], v[8:9]
	v_cndmask_b32_e64 v3, 0, 1, vcc_lo
	v_cmp_gt_u64_e32 vcc_lo, s[20:21], v[8:9]
	v_cndmask_b32_e64 v16, 0, 1, vcc_lo
	v_cmp_eq_u64_e32 vcc_lo, s[20:21], v[8:9]
	v_cndmask_b32_e64 v3, v16, v3, s1
	v_cndmask_b32_e64 v8, 0, 1, vcc_lo
	s_delay_alu instid0(VALU_DEP_2)
	v_and_b32_e32 v3, 1, v3
.LBB188_44:                             ;   in Loop: Header=BB188_42 Depth=1
	s_wait_xcnt 0x0
	s_or_b32 exec_lo, exec_lo, s17
	ds_store_b32 v5, v3
	s_wait_dscnt 0x0
	s_barrier_signal -1
	s_barrier_wait -1
	s_and_saveexec_b32 s17, s0
	s_cbranch_execz .LBB188_46
; %bb.45:                               ;   in Loop: Header=BB188_42 Depth=1
	ds_load_2addr_b32 v[16:17], v12 offset1:1
	ds_load_2addr_b32 v[18:19], v12 offset0:2 offset1:3
	ds_load_2addr_b32 v[20:21], v12 offset0:4 offset1:5
	;; [unrolled: 1-line block ×3, first 2 shown]
	v_cmp_ne_u32_e32 vcc_lo, 0, v13
	; wave barrier
	s_wait_dscnt 0x3
	v_add_nc_u32_e32 v9, v17, v16
	s_wait_dscnt 0x2
	s_delay_alu instid0(VALU_DEP_1) | instskip(SKIP_1) | instid1(VALU_DEP_1)
	v_add3_u32 v9, v9, v18, v19
	s_wait_dscnt 0x1
	v_add3_u32 v9, v9, v20, v21
	s_wait_dscnt 0x0
	s_delay_alu instid0(VALU_DEP_1) | instskip(NEXT) | instid1(VALU_DEP_1)
	v_add3_u32 v9, v9, v22, v23
	v_mov_b32_dpp v17, v9 row_shr:1 row_mask:0xf bank_mask:0xf
	s_delay_alu instid0(VALU_DEP_1) | instskip(SKIP_1) | instid1(VALU_DEP_2)
	v_cndmask_b32_e32 v17, 0, v17, vcc_lo
	v_cmp_lt_u32_e32 vcc_lo, 1, v13
	v_add_nc_u32_e32 v9, v17, v9
	s_delay_alu instid0(VALU_DEP_1) | instskip(NEXT) | instid1(VALU_DEP_1)
	v_mov_b32_dpp v17, v9 row_shr:2 row_mask:0xf bank_mask:0xf
	v_cndmask_b32_e32 v17, 0, v17, vcc_lo
	v_cmp_lt_u32_e32 vcc_lo, 3, v13
	s_delay_alu instid0(VALU_DEP_2) | instskip(NEXT) | instid1(VALU_DEP_1)
	v_add_nc_u32_e32 v9, v9, v17
	v_mov_b32_dpp v17, v9 row_shr:4 row_mask:0xf bank_mask:0xf
	s_delay_alu instid0(VALU_DEP_1) | instskip(SKIP_1) | instid1(VALU_DEP_2)
	v_cndmask_b32_e32 v17, 0, v17, vcc_lo
	v_cmp_lt_u32_e32 vcc_lo, 7, v13
	v_add_nc_u32_e32 v9, v9, v17
	s_delay_alu instid0(VALU_DEP_1) | instskip(NEXT) | instid1(VALU_DEP_1)
	v_mov_b32_dpp v17, v9 row_shr:8 row_mask:0xf bank_mask:0xf
	v_cndmask_b32_e32 v17, 0, v17, vcc_lo
	v_cmp_gt_i32_e32 vcc_lo, 0, v15
	s_delay_alu instid0(VALU_DEP_2) | instskip(SKIP_3) | instid1(VALU_DEP_1)
	v_dual_cndmask_b32 v18, v15, v10 :: v_dual_add_nc_u32 v9, v9, v17
	ds_swizzle_b32 v17, v9 offset:swizzle(BROADCAST,32,15)
	s_wait_dscnt 0x0
	v_dual_lshlrev_b32 v18, 2, v18 :: v_dual_bitop2_b32 v17, v14, v17 bitop3:0x40
	v_add_nc_u32_e32 v9, v9, v17
	ds_bpermute_b32 v9, v18, v9
	s_wait_dscnt 0x0
	v_add_nc_u32_e32 v9, v9, v16
	s_delay_alu instid0(VALU_DEP_1)
	v_cndmask_b32_e64 v9, v9, v3, s3
	ds_store_b32 v12, v9
	; wave barrier
	ds_load_2addr_b32 v[16:17], v12 offset0:1 offset1:2
	ds_load_2addr_b32 v[18:19], v12 offset0:3 offset1:4
	;; [unrolled: 1-line block ×3, first 2 shown]
	ds_load_b32 v22, v12 offset:28
	s_wait_dscnt 0x3
	v_add_nc_u32_e32 v9, v16, v9
	s_delay_alu instid0(VALU_DEP_1) | instskip(SKIP_1) | instid1(VALU_DEP_1)
	v_add_nc_u32_e32 v16, v17, v9
	s_wait_dscnt 0x2
	v_add_nc_u32_e32 v17, v18, v16
	s_delay_alu instid0(VALU_DEP_1) | instskip(SKIP_1) | instid1(VALU_DEP_1)
	v_add_nc_u32_e32 v18, v19, v17
	;; [unrolled: 4-line block ×3, first 2 shown]
	s_wait_dscnt 0x0
	v_add_nc_u32_e32 v21, v22, v20
	ds_store_2addr_b32 v12, v9, v16 offset0:1 offset1:2
	ds_store_2addr_b32 v12, v17, v18 offset0:3 offset1:4
	;; [unrolled: 1-line block ×3, first 2 shown]
	ds_store_b32 v12, v21 offset:28
.LBB188_46:                             ;   in Loop: Header=BB188_42 Depth=1
	s_or_b32 exec_lo, exec_lo, s17
	v_mov_b32_e32 v9, 0
	s_wait_dscnt 0x0
	s_barrier_signal -1
	s_barrier_wait -1
	s_and_saveexec_b32 s17, s2
; %bb.47:                               ;   in Loop: Header=BB188_42 Depth=1
	ds_load_b32 v9, v11
; %bb.48:                               ;   in Loop: Header=BB188_42 Depth=1
	s_or_b32 exec_lo, exec_lo, s17
	ds_load_b32 v16, v7 offset:1048
	s_mov_b32 s17, exec_lo
	s_wait_dscnt 0x0
	s_barrier_signal -1
	s_barrier_wait -1
	v_cmpx_ne_u32_e32 0, v3
	s_cbranch_execz .LBB188_50
; %bb.49:                               ;   in Loop: Header=BB188_42 Depth=1
	v_dual_mov_b32 v19, v7 :: v_dual_add_nc_u32 v18, v9, v4
	s_delay_alu instid0(VALU_DEP_1) | instskip(SKIP_1) | instid1(VALU_DEP_2)
	v_mul_u64_e32 v[20:21], s[10:11], v[18:19]
	v_mul_u64_e32 v[18:19], s[12:13], v[18:19]
	v_lshl_add_u64 v[20:21], v[20:21], 3, s[18:19]
	s_delay_alu instid0(VALU_DEP_2)
	v_lshl_add_u64 v[18:19], v[18:19], 3, s[22:23]
	global_store_b64 v[20:21], v[0:1], off
	global_store_b64 v[18:19], v[6:7], off
.LBB188_50:                             ;   in Loop: Header=BB188_42 Depth=1
	s_wait_xcnt 0x0
	s_or_b32 exec_lo, exec_lo, s17
	v_mov_b32_e32 v3, v7
	s_delay_alu instid0(VALU_DEP_1)
	v_cmp_le_u64_e32 vcc_lo, s[6:7], v[2:3]
	s_cbranch_vccnz .LBB188_41
; %bb.51:                               ;   in Loop: Header=BB188_42 Depth=1
	ds_store_b32 v5, v8
	s_wait_storecnt_dscnt 0x0
	s_barrier_signal -1
	s_barrier_wait -1
	s_and_saveexec_b32 s17, s0
	s_cbranch_execz .LBB188_53
; %bb.52:                               ;   in Loop: Header=BB188_42 Depth=1
	ds_load_2addr_b32 v[18:19], v12 offset1:1
	ds_load_2addr_b32 v[20:21], v12 offset0:2 offset1:3
	ds_load_2addr_b32 v[22:23], v12 offset0:4 offset1:5
	;; [unrolled: 1-line block ×3, first 2 shown]
	v_cmp_ne_u32_e32 vcc_lo, 0, v13
	; wave barrier
	s_wait_dscnt 0x3
	v_add_nc_u32_e32 v3, v19, v18
	s_wait_dscnt 0x2
	s_delay_alu instid0(VALU_DEP_1) | instskip(SKIP_1) | instid1(VALU_DEP_1)
	v_add3_u32 v3, v3, v20, v21
	s_wait_dscnt 0x1
	v_add3_u32 v3, v3, v22, v23
	s_wait_dscnt 0x0
	s_delay_alu instid0(VALU_DEP_1) | instskip(NEXT) | instid1(VALU_DEP_1)
	v_add3_u32 v3, v3, v24, v25
	v_mov_b32_dpp v9, v3 row_shr:1 row_mask:0xf bank_mask:0xf
	s_delay_alu instid0(VALU_DEP_1) | instskip(SKIP_1) | instid1(VALU_DEP_2)
	v_cndmask_b32_e32 v9, 0, v9, vcc_lo
	v_cmp_lt_u32_e32 vcc_lo, 1, v13
	v_add_nc_u32_e32 v3, v9, v3
	s_delay_alu instid0(VALU_DEP_1) | instskip(NEXT) | instid1(VALU_DEP_1)
	v_mov_b32_dpp v9, v3 row_shr:2 row_mask:0xf bank_mask:0xf
	v_cndmask_b32_e32 v9, 0, v9, vcc_lo
	v_cmp_lt_u32_e32 vcc_lo, 3, v13
	s_delay_alu instid0(VALU_DEP_2) | instskip(NEXT) | instid1(VALU_DEP_1)
	v_add_nc_u32_e32 v3, v3, v9
	v_mov_b32_dpp v9, v3 row_shr:4 row_mask:0xf bank_mask:0xf
	s_delay_alu instid0(VALU_DEP_1) | instskip(SKIP_1) | instid1(VALU_DEP_2)
	v_cndmask_b32_e32 v9, 0, v9, vcc_lo
	v_cmp_lt_u32_e32 vcc_lo, 7, v13
	v_add_nc_u32_e32 v3, v3, v9
	s_delay_alu instid0(VALU_DEP_1) | instskip(NEXT) | instid1(VALU_DEP_1)
	v_mov_b32_dpp v9, v3 row_shr:8 row_mask:0xf bank_mask:0xf
	v_cndmask_b32_e32 v9, 0, v9, vcc_lo
	v_cmp_gt_i32_e32 vcc_lo, 0, v15
	s_delay_alu instid0(VALU_DEP_2)
	v_add_nc_u32_e32 v3, v3, v9
	v_cndmask_b32_e32 v17, v15, v10, vcc_lo
	ds_swizzle_b32 v9, v3 offset:swizzle(BROADCAST,32,15)
	v_lshlrev_b32_e32 v17, 2, v17
	s_wait_dscnt 0x0
	v_and_b32_e32 v9, v14, v9
	s_delay_alu instid0(VALU_DEP_1) | instskip(SKIP_3) | instid1(VALU_DEP_1)
	v_add_nc_u32_e32 v3, v3, v9
	ds_bpermute_b32 v3, v17, v3
	s_wait_dscnt 0x0
	v_add_nc_u32_e32 v3, v3, v18
	v_cndmask_b32_e64 v3, v3, v8, s3
	ds_store_b32 v12, v3
	; wave barrier
	ds_load_2addr_b32 v[18:19], v12 offset0:1 offset1:2
	ds_load_2addr_b32 v[20:21], v12 offset0:3 offset1:4
	;; [unrolled: 1-line block ×3, first 2 shown]
	ds_load_b32 v9, v12 offset:28
	s_wait_dscnt 0x3
	v_add_nc_u32_e32 v3, v18, v3
	s_delay_alu instid0(VALU_DEP_1) | instskip(SKIP_1) | instid1(VALU_DEP_1)
	v_add_nc_u32_e32 v17, v19, v3
	s_wait_dscnt 0x2
	v_add_nc_u32_e32 v18, v20, v17
	s_delay_alu instid0(VALU_DEP_1) | instskip(SKIP_1) | instid1(VALU_DEP_1)
	v_add_nc_u32_e32 v19, v21, v18
	;; [unrolled: 4-line block ×3, first 2 shown]
	s_wait_dscnt 0x0
	v_add_nc_u32_e32 v9, v9, v21
	ds_store_2addr_b32 v12, v3, v17 offset0:1 offset1:2
	ds_store_2addr_b32 v12, v18, v19 offset0:3 offset1:4
	;; [unrolled: 1-line block ×3, first 2 shown]
	ds_store_b32 v12, v9 offset:28
.LBB188_53:                             ;   in Loop: Header=BB188_42 Depth=1
	s_or_b32 exec_lo, exec_lo, s17
	v_mov_b32_e32 v9, 0
	s_wait_dscnt 0x0
	s_barrier_signal -1
	s_barrier_wait -1
	s_and_saveexec_b32 s17, s2
; %bb.54:                               ;   in Loop: Header=BB188_42 Depth=1
	ds_load_b32 v9, v11
; %bb.55:                               ;   in Loop: Header=BB188_42 Depth=1
	s_or_b32 exec_lo, exec_lo, s17
	ds_load_b32 v3, v7 offset:1048
	s_mov_b32 s17, exec_lo
	s_wait_dscnt 0x0
	s_barrier_signal -1
	s_barrier_wait -1
	v_cmpx_ne_u32_e32 0, v8
	s_cbranch_execz .LBB188_40
; %bb.56:                               ;   in Loop: Header=BB188_42 Depth=1
	v_dual_mov_b32 v9, v7 :: v_dual_add_nc_u32 v8, v9, v2
	s_delay_alu instid0(VALU_DEP_1)
	v_cmp_gt_u64_e32 vcc_lo, s[6:7], v[8:9]
	s_and_b32 exec_lo, exec_lo, vcc_lo
	s_cbranch_execz .LBB188_40
; %bb.57:                               ;   in Loop: Header=BB188_42 Depth=1
	v_mul_u64_e32 v[18:19], s[10:11], v[8:9]
	v_mul_u64_e32 v[8:9], s[12:13], v[8:9]
	s_delay_alu instid0(VALU_DEP_2) | instskip(NEXT) | instid1(VALU_DEP_2)
	v_lshl_add_u64 v[18:19], v[18:19], 3, s[18:19]
	v_lshl_add_u64 v[8:9], v[8:9], 3, s[22:23]
	global_store_b64 v[18:19], v[0:1], off
	global_store_b64 v[8:9], v[6:7], off
	s_branch .LBB188_40
.LBB188_58:                             ;   in Loop: Header=BB188_59 Depth=1
	s_add_co_i32 s14, s14, 1
	s_wait_kmcnt 0x0
	s_add_co_i32 s21, s15, s21
	s_add_nc_u64 s[10:11], s[10:11], 4
	s_cmp_lt_u32 s14, s17
	s_add_nc_u64 s[12:13], s[12:13], 4
	s_cbranch_scc0 .LBB188_37
.LBB188_59:                             ; =>This Inner Loop Header: Depth=1
	s_load_b32 s15, s[10:11], 0x0
	s_cmp_ge_u32 s14, s46
	s_cbranch_scc1 .LBB188_58
; %bb.60:                               ;   in Loop: Header=BB188_59 Depth=1
	s_load_b32 s20, s[12:13], 0x0
	s_wait_kmcnt 0x0
	s_add_co_i32 s9, s15, s9
	s_add_co_i32 s8, s20, s8
	s_branch .LBB188_58
.LBB188_61:
	s_endpgm
	.section	.rodata,"a",@progbits
	.p2align	6, 0x0
	.amdhsa_kernel _ZN2at6native6mbtopk10gatherTopKIdmLin1EEEvNS_4cuda6detail10TensorInfoIKT_T0_EES8_S8_bjS8_NS5_IS6_S8_EES8_NS5_IlS8_EES8_jjPS6_PjSD_j
		.amdhsa_group_segment_fixed_size 1068
		.amdhsa_private_segment_fixed_size 0
		.amdhsa_kernarg_size 1592
		.amdhsa_user_sgpr_count 2
		.amdhsa_user_sgpr_dispatch_ptr 0
		.amdhsa_user_sgpr_queue_ptr 0
		.amdhsa_user_sgpr_kernarg_segment_ptr 1
		.amdhsa_user_sgpr_dispatch_id 0
		.amdhsa_user_sgpr_kernarg_preload_length 0
		.amdhsa_user_sgpr_kernarg_preload_offset 0
		.amdhsa_user_sgpr_private_segment_size 0
		.amdhsa_wavefront_size32 1
		.amdhsa_uses_dynamic_stack 0
		.amdhsa_enable_private_segment 0
		.amdhsa_system_sgpr_workgroup_id_x 1
		.amdhsa_system_sgpr_workgroup_id_y 1
		.amdhsa_system_sgpr_workgroup_id_z 1
		.amdhsa_system_sgpr_workgroup_info 0
		.amdhsa_system_vgpr_workitem_id 0
		.amdhsa_next_free_vgpr 26
		.amdhsa_next_free_sgpr 50
		.amdhsa_named_barrier_count 0
		.amdhsa_reserve_vcc 1
		.amdhsa_float_round_mode_32 0
		.amdhsa_float_round_mode_16_64 0
		.amdhsa_float_denorm_mode_32 3
		.amdhsa_float_denorm_mode_16_64 3
		.amdhsa_fp16_overflow 0
		.amdhsa_memory_ordered 1
		.amdhsa_forward_progress 1
		.amdhsa_inst_pref_size 27
		.amdhsa_round_robin_scheduling 0
		.amdhsa_exception_fp_ieee_invalid_op 0
		.amdhsa_exception_fp_denorm_src 0
		.amdhsa_exception_fp_ieee_div_zero 0
		.amdhsa_exception_fp_ieee_overflow 0
		.amdhsa_exception_fp_ieee_underflow 0
		.amdhsa_exception_fp_ieee_inexact 0
		.amdhsa_exception_int_div_zero 0
	.end_amdhsa_kernel
	.section	.text._ZN2at6native6mbtopk10gatherTopKIdmLin1EEEvNS_4cuda6detail10TensorInfoIKT_T0_EES8_S8_bjS8_NS5_IS6_S8_EES8_NS5_IlS8_EES8_jjPS6_PjSD_j,"axG",@progbits,_ZN2at6native6mbtopk10gatherTopKIdmLin1EEEvNS_4cuda6detail10TensorInfoIKT_T0_EES8_S8_bjS8_NS5_IS6_S8_EES8_NS5_IlS8_EES8_jjPS6_PjSD_j,comdat
.Lfunc_end188:
	.size	_ZN2at6native6mbtopk10gatherTopKIdmLin1EEEvNS_4cuda6detail10TensorInfoIKT_T0_EES8_S8_bjS8_NS5_IS6_S8_EES8_NS5_IlS8_EES8_jjPS6_PjSD_j, .Lfunc_end188-_ZN2at6native6mbtopk10gatherTopKIdmLin1EEEvNS_4cuda6detail10TensorInfoIKT_T0_EES8_S8_bjS8_NS5_IS6_S8_EES8_NS5_IlS8_EES8_jjPS6_PjSD_j
                                        ; -- End function
	.set _ZN2at6native6mbtopk10gatherTopKIdmLin1EEEvNS_4cuda6detail10TensorInfoIKT_T0_EES8_S8_bjS8_NS5_IS6_S8_EES8_NS5_IlS8_EES8_jjPS6_PjSD_j.num_vgpr, 26
	.set _ZN2at6native6mbtopk10gatherTopKIdmLin1EEEvNS_4cuda6detail10TensorInfoIKT_T0_EES8_S8_bjS8_NS5_IS6_S8_EES8_NS5_IlS8_EES8_jjPS6_PjSD_j.num_agpr, 0
	.set _ZN2at6native6mbtopk10gatherTopKIdmLin1EEEvNS_4cuda6detail10TensorInfoIKT_T0_EES8_S8_bjS8_NS5_IS6_S8_EES8_NS5_IlS8_EES8_jjPS6_PjSD_j.numbered_sgpr, 50
	.set _ZN2at6native6mbtopk10gatherTopKIdmLin1EEEvNS_4cuda6detail10TensorInfoIKT_T0_EES8_S8_bjS8_NS5_IS6_S8_EES8_NS5_IlS8_EES8_jjPS6_PjSD_j.num_named_barrier, 0
	.set _ZN2at6native6mbtopk10gatherTopKIdmLin1EEEvNS_4cuda6detail10TensorInfoIKT_T0_EES8_S8_bjS8_NS5_IS6_S8_EES8_NS5_IlS8_EES8_jjPS6_PjSD_j.private_seg_size, 0
	.set _ZN2at6native6mbtopk10gatherTopKIdmLin1EEEvNS_4cuda6detail10TensorInfoIKT_T0_EES8_S8_bjS8_NS5_IS6_S8_EES8_NS5_IlS8_EES8_jjPS6_PjSD_j.uses_vcc, 1
	.set _ZN2at6native6mbtopk10gatherTopKIdmLin1EEEvNS_4cuda6detail10TensorInfoIKT_T0_EES8_S8_bjS8_NS5_IS6_S8_EES8_NS5_IlS8_EES8_jjPS6_PjSD_j.uses_flat_scratch, 0
	.set _ZN2at6native6mbtopk10gatherTopKIdmLin1EEEvNS_4cuda6detail10TensorInfoIKT_T0_EES8_S8_bjS8_NS5_IS6_S8_EES8_NS5_IlS8_EES8_jjPS6_PjSD_j.has_dyn_sized_stack, 0
	.set _ZN2at6native6mbtopk10gatherTopKIdmLin1EEEvNS_4cuda6detail10TensorInfoIKT_T0_EES8_S8_bjS8_NS5_IS6_S8_EES8_NS5_IlS8_EES8_jjPS6_PjSD_j.has_recursion, 0
	.set _ZN2at6native6mbtopk10gatherTopKIdmLin1EEEvNS_4cuda6detail10TensorInfoIKT_T0_EES8_S8_bjS8_NS5_IS6_S8_EES8_NS5_IlS8_EES8_jjPS6_PjSD_j.has_indirect_call, 0
	.section	.AMDGPU.csdata,"",@progbits
; Kernel info:
; codeLenInByte = 3392
; TotalNumSgprs: 52
; NumVgprs: 26
; ScratchSize: 0
; MemoryBound: 0
; FloatMode: 240
; IeeeMode: 1
; LDSByteSize: 1068 bytes/workgroup (compile time only)
; SGPRBlocks: 0
; VGPRBlocks: 1
; NumSGPRsForWavesPerEU: 52
; NumVGPRsForWavesPerEU: 26
; NamedBarCnt: 0
; Occupancy: 16
; WaveLimiterHint : 1
; COMPUTE_PGM_RSRC2:SCRATCH_EN: 0
; COMPUTE_PGM_RSRC2:USER_SGPR: 2
; COMPUTE_PGM_RSRC2:TRAP_HANDLER: 0
; COMPUTE_PGM_RSRC2:TGID_X_EN: 1
; COMPUTE_PGM_RSRC2:TGID_Y_EN: 1
; COMPUTE_PGM_RSRC2:TGID_Z_EN: 1
; COMPUTE_PGM_RSRC2:TIDIG_COMP_CNT: 0
	.section	.text._ZN2at6native6sbtopk10gatherTopKIdmLin1ELb0EEEvNS_4cuda6detail10TensorInfoIKT_T0_EES8_S8_bS8_S8_NS5_IS6_S8_EES8_NS5_IlS8_EES8_PS6_,"axG",@progbits,_ZN2at6native6sbtopk10gatherTopKIdmLin1ELb0EEEvNS_4cuda6detail10TensorInfoIKT_T0_EES8_S8_bS8_S8_NS5_IS6_S8_EES8_NS5_IlS8_EES8_PS6_,comdat
	.protected	_ZN2at6native6sbtopk10gatherTopKIdmLin1ELb0EEEvNS_4cuda6detail10TensorInfoIKT_T0_EES8_S8_bS8_S8_NS5_IS6_S8_EES8_NS5_IlS8_EES8_PS6_ ; -- Begin function _ZN2at6native6sbtopk10gatherTopKIdmLin1ELb0EEEvNS_4cuda6detail10TensorInfoIKT_T0_EES8_S8_bS8_S8_NS5_IS6_S8_EES8_NS5_IlS8_EES8_PS6_
	.globl	_ZN2at6native6sbtopk10gatherTopKIdmLin1ELb0EEEvNS_4cuda6detail10TensorInfoIKT_T0_EES8_S8_bS8_S8_NS5_IS6_S8_EES8_NS5_IlS8_EES8_PS6_
	.p2align	8
	.type	_ZN2at6native6sbtopk10gatherTopKIdmLin1ELb0EEEvNS_4cuda6detail10TensorInfoIKT_T0_EES8_S8_bS8_S8_NS5_IS6_S8_EES8_NS5_IlS8_EES8_PS6_,@function
_ZN2at6native6sbtopk10gatherTopKIdmLin1ELb0EEEvNS_4cuda6detail10TensorInfoIKT_T0_EES8_S8_bS8_S8_NS5_IS6_S8_EES8_NS5_IlS8_EES8_PS6_: ; @_ZN2at6native6sbtopk10gatherTopKIdmLin1ELb0EEEvNS_4cuda6detail10TensorInfoIKT_T0_EES8_S8_bS8_S8_NS5_IS6_S8_EES8_NS5_IlS8_EES8_PS6_
; %bb.0:
	s_clause 0x1
	s_load_b128 s[28:31], s[0:1], 0x1b8
	s_load_b64 s[8:9], s[0:1], 0x520
	s_bfe_u32 s2, ttmp6, 0x40010
	s_and_b32 s3, ttmp7, 0xffff
	s_add_co_i32 s2, s2, 1
	s_bfe_u32 s5, ttmp6, 0x4000c
	s_mul_i32 s2, s3, s2
	s_bfe_u32 s4, ttmp6, 0x40004
	s_add_co_i32 s5, s5, 1
	s_bfe_u32 s6, ttmp6, 0x40014
	s_add_co_i32 s4, s4, s2
	s_and_b32 s2, ttmp6, 15
	s_mul_i32 s5, ttmp9, s5
	s_lshr_b32 s7, ttmp7, 16
	s_add_co_i32 s6, s6, 1
	s_add_co_i32 s2, s2, s5
	s_mul_i32 s5, s7, s6
	s_bfe_u32 s6, ttmp6, 0x40008
	s_getreg_b32 s10, hwreg(HW_REG_IB_STS2, 6, 4)
	s_add_co_i32 s6, s6, s5
	s_cmp_eq_u32 s10, 0
	s_cselect_b32 s5, s7, s6
	s_cselect_b32 s3, s3, s4
	s_wait_kmcnt 0x0
	s_mul_i32 s5, s9, s5
	s_cselect_b32 s9, ttmp9, s2
	s_add_co_i32 s2, s5, s3
	s_mov_b32 s5, 0
	s_mul_i32 s2, s2, s8
	s_delay_alu instid0(SALU_CYCLE_1) | instskip(NEXT) | instid1(SALU_CYCLE_1)
	s_add_co_i32 s4, s2, s9
	v_cmp_le_u64_e64 s2, s[28:29], s[4:5]
	s_and_b32 vcc_lo, exec_lo, s2
	s_cbranch_vccnz .LBB189_508
; %bb.1:
	s_load_b32 s12, s[0:1], 0x198
	s_mov_b64 s[2:3], 0
	s_mov_b64 s[6:7], s[4:5]
	s_wait_kmcnt 0x0
	s_cmp_lt_i32 s12, 2
	s_cbranch_scc1 .LBB189_9
; %bb.2:
	s_add_co_i32 s10, s12, -1
	s_mov_b32 s11, 0
	s_add_co_i32 s18, s12, 1
	s_lshl_b64 s[2:3], s[10:11], 3
	s_mov_b64 s[14:15], s[4:5]
	s_add_nc_u64 s[6:7], s[0:1], s[2:3]
	s_mov_b64 s[2:3], 0
	s_add_nc_u64 s[12:13], s[6:7], 8
.LBB189_3:                              ; =>This Inner Loop Header: Depth=1
	s_load_b64 s[16:17], s[12:13], 0x0
	s_mov_b32 s10, -1
	s_wait_kmcnt 0x0
	s_or_b64 s[6:7], s[14:15], s[16:17]
	s_delay_alu instid0(SALU_CYCLE_1) | instskip(NEXT) | instid1(SALU_CYCLE_1)
	s_and_b64 s[6:7], s[6:7], 0xffffffff00000000
	s_cmp_lg_u64 s[6:7], 0
                                        ; implicit-def: $sgpr6_sgpr7
	s_cbranch_scc0 .LBB189_5
; %bb.4:                                ;   in Loop: Header=BB189_3 Depth=1
	s_cvt_f32_u32 s6, s16
	s_cvt_f32_u32 s7, s17
	s_sub_nc_u64 s[20:21], 0, s[16:17]
	s_delay_alu instid0(SALU_CYCLE_2) | instskip(NEXT) | instid1(SALU_CYCLE_3)
	s_fmamk_f32 s6, s7, 0x4f800000, s6
	v_s_rcp_f32 s6, s6
	s_delay_alu instid0(TRANS32_DEP_1) | instskip(NEXT) | instid1(SALU_CYCLE_3)
	s_mul_f32 s6, s6, 0x5f7ffffc
	s_mul_f32 s7, s6, 0x2f800000
	s_delay_alu instid0(SALU_CYCLE_3) | instskip(NEXT) | instid1(SALU_CYCLE_3)
	s_trunc_f32 s7, s7
	s_fmamk_f32 s6, s7, 0xcf800000, s6
	s_cvt_u32_f32 s7, s7
	s_delay_alu instid0(SALU_CYCLE_2) | instskip(NEXT) | instid1(SALU_CYCLE_3)
	s_cvt_u32_f32 s6, s6
	s_mul_u64 s[22:23], s[20:21], s[6:7]
	s_delay_alu instid0(SALU_CYCLE_1)
	s_mul_hi_u32 s25, s6, s23
	s_mul_i32 s24, s6, s23
	s_mul_hi_u32 s10, s6, s22
	s_mul_i32 s26, s7, s22
	s_add_nc_u64 s[24:25], s[10:11], s[24:25]
	s_mul_hi_u32 s19, s7, s22
	s_mul_hi_u32 s27, s7, s23
	s_add_co_u32 s10, s24, s26
	s_add_co_ci_u32 s10, s25, s19
	s_mul_i32 s22, s7, s23
	s_add_co_ci_u32 s23, s27, 0
	s_delay_alu instid0(SALU_CYCLE_1) | instskip(NEXT) | instid1(SALU_CYCLE_1)
	s_add_nc_u64 s[22:23], s[10:11], s[22:23]
	s_add_co_u32 s6, s6, s22
	s_cselect_b32 s10, -1, 0
	s_delay_alu instid0(SALU_CYCLE_1) | instskip(SKIP_1) | instid1(SALU_CYCLE_1)
	s_cmp_lg_u32 s10, 0
	s_add_co_ci_u32 s7, s7, s23
	s_mul_u64 s[20:21], s[20:21], s[6:7]
	s_delay_alu instid0(SALU_CYCLE_1)
	s_mul_hi_u32 s23, s6, s21
	s_mul_i32 s22, s6, s21
	s_mul_hi_u32 s10, s6, s20
	s_mul_i32 s24, s7, s20
	s_add_nc_u64 s[22:23], s[10:11], s[22:23]
	s_mul_hi_u32 s19, s7, s20
	s_mul_hi_u32 s25, s7, s21
	s_add_co_u32 s10, s22, s24
	s_add_co_ci_u32 s10, s23, s19
	s_mul_i32 s20, s7, s21
	s_add_co_ci_u32 s21, s25, 0
	s_delay_alu instid0(SALU_CYCLE_1) | instskip(NEXT) | instid1(SALU_CYCLE_1)
	s_add_nc_u64 s[20:21], s[10:11], s[20:21]
	s_add_co_u32 s6, s6, s20
	s_cselect_b32 s19, -1, 0
	s_mul_hi_u32 s10, s14, s6
	s_cmp_lg_u32 s19, 0
	s_mul_hi_u32 s19, s15, s6
	s_add_co_ci_u32 s20, s7, s21
	s_mul_i32 s21, s15, s6
	s_mul_hi_u32 s7, s14, s20
	s_mul_i32 s6, s14, s20
	s_mul_hi_u32 s22, s15, s20
	s_add_nc_u64 s[6:7], s[10:11], s[6:7]
	s_mul_i32 s20, s15, s20
	s_add_co_u32 s6, s6, s21
	s_add_co_ci_u32 s10, s7, s19
	s_add_co_ci_u32 s21, s22, 0
	s_delay_alu instid0(SALU_CYCLE_1) | instskip(NEXT) | instid1(SALU_CYCLE_1)
	s_add_nc_u64 s[6:7], s[10:11], s[20:21]
	s_and_b64 s[20:21], s[6:7], 0xffffffff00000000
	s_delay_alu instid0(SALU_CYCLE_1) | instskip(NEXT) | instid1(SALU_CYCLE_1)
	s_or_b32 s20, s20, s6
	s_mul_u64 s[6:7], s[16:17], s[20:21]
	s_delay_alu instid0(SALU_CYCLE_1)
	s_sub_co_u32 s6, s14, s6
	s_cselect_b32 s10, -1, 0
	s_sub_co_i32 s19, s15, s7
	s_cmp_lg_u32 s10, 0
	s_sub_co_ci_u32 s19, s19, s17
	s_sub_co_u32 s22, s6, s16
	s_cselect_b32 s23, -1, 0
	s_delay_alu instid0(SALU_CYCLE_1) | instskip(SKIP_1) | instid1(SALU_CYCLE_1)
	s_cmp_lg_u32 s23, 0
	s_sub_co_ci_u32 s19, s19, 0
	s_cmp_ge_u32 s19, s17
	s_cselect_b32 s24, -1, 0
	s_cmp_ge_u32 s22, s16
	s_add_nc_u64 s[22:23], s[20:21], 1
	s_cselect_b32 s25, -1, 0
	s_cmp_eq_u32 s19, s17
	s_cselect_b32 s19, s25, s24
	s_add_nc_u64 s[24:25], s[20:21], 2
	s_cmp_lg_u32 s19, 0
	s_cselect_b32 s19, s24, s22
	s_cselect_b32 s22, s25, s23
	s_cmp_lg_u32 s10, 0
	s_sub_co_ci_u32 s7, s15, s7
	s_delay_alu instid0(SALU_CYCLE_1)
	s_cmp_ge_u32 s7, s17
	s_cselect_b32 s10, -1, 0
	s_cmp_ge_u32 s6, s16
	s_cselect_b32 s6, -1, 0
	s_cmp_eq_u32 s7, s17
	s_cselect_b32 s6, s6, s10
	s_mov_b32 s10, 0
	s_cmp_lg_u32 s6, 0
	s_cselect_b32 s7, s22, s21
	s_cselect_b32 s6, s19, s20
.LBB189_5:                              ;   in Loop: Header=BB189_3 Depth=1
	s_and_not1_b32 vcc_lo, exec_lo, s10
	s_cbranch_vccnz .LBB189_7
; %bb.6:                                ;   in Loop: Header=BB189_3 Depth=1
	v_cvt_f32_u32_e32 v1, s16
	s_sub_co_i32 s7, 0, s16
	s_delay_alu instid0(VALU_DEP_1) | instskip(SKIP_1) | instid1(TRANS32_DEP_1)
	v_rcp_iflag_f32_e32 v1, v1
	v_nop
	v_mul_f32_e32 v1, 0x4f7ffffe, v1
	s_delay_alu instid0(VALU_DEP_1) | instskip(NEXT) | instid1(VALU_DEP_1)
	v_cvt_u32_f32_e32 v1, v1
	v_readfirstlane_b32 s6, v1
	s_mul_i32 s7, s7, s6
	s_delay_alu instid0(SALU_CYCLE_1) | instskip(NEXT) | instid1(SALU_CYCLE_1)
	s_mul_hi_u32 s7, s6, s7
	s_add_co_i32 s6, s6, s7
	s_delay_alu instid0(SALU_CYCLE_1) | instskip(NEXT) | instid1(SALU_CYCLE_1)
	s_mul_hi_u32 s6, s14, s6
	s_mul_i32 s7, s6, s16
	s_add_co_i32 s10, s6, 1
	s_sub_co_i32 s7, s14, s7
	s_delay_alu instid0(SALU_CYCLE_1)
	s_sub_co_i32 s19, s7, s16
	s_cmp_ge_u32 s7, s16
	s_cselect_b32 s6, s10, s6
	s_cselect_b32 s7, s19, s7
	s_add_co_i32 s10, s6, 1
	s_cmp_ge_u32 s7, s16
	s_cselect_b32 s10, s10, s6
	s_delay_alu instid0(SALU_CYCLE_1)
	s_mov_b64 s[6:7], s[10:11]
.LBB189_7:                              ;   in Loop: Header=BB189_3 Depth=1
	s_load_b64 s[20:21], s[12:13], 0xc8
	s_mul_u64 s[16:17], s[6:7], s[16:17]
	s_add_co_i32 s18, s18, -1
	s_sub_nc_u64 s[14:15], s[14:15], s[16:17]
	s_cmp_gt_u32 s18, 2
	s_wait_xcnt 0x0
	s_add_nc_u64 s[12:13], s[12:13], -8
	s_wait_kmcnt 0x0
	s_mul_u64 s[14:15], s[20:21], s[14:15]
	s_delay_alu instid0(SALU_CYCLE_1)
	s_add_nc_u64 s[2:3], s[14:15], s[2:3]
	s_cbranch_scc0 .LBB189_9
; %bb.8:                                ;   in Loop: Header=BB189_3 Depth=1
	s_mov_b64 s[14:15], s[6:7]
	s_branch .LBB189_3
.LBB189_9:
	s_load_b32 s16, s[0:1], 0x360
	s_add_nc_u64 s[10:11], s[0:1], 0x520
	s_add_nc_u64 s[12:13], s[0:1], 0x1c8
	s_mov_b64 s[28:29], 0
	s_mov_b64 s[42:43], s[4:5]
	s_wait_kmcnt 0x0
	s_cmp_lt_i32 s16, 2
	s_cbranch_scc1 .LBB189_17
; %bb.10:
	s_add_co_i32 s14, s16, -1
	s_mov_b32 s15, 0
	s_add_co_i32 s22, s16, 1
	s_lshl_b64 s[18:19], s[14:15], 3
	s_delay_alu instid0(SALU_CYCLE_1)
	s_add_nc_u64 s[16:17], s[12:13], s[18:19]
	s_mov_b64 s[18:19], s[4:5]
	s_add_nc_u64 s[16:17], s[16:17], 8
.LBB189_11:                             ; =>This Inner Loop Header: Depth=1
	s_load_b64 s[20:21], s[16:17], 0x0
	s_mov_b32 s14, -1
                                        ; implicit-def: $sgpr42_sgpr43
	s_wait_kmcnt 0x0
	s_or_b64 s[24:25], s[18:19], s[20:21]
	s_delay_alu instid0(SALU_CYCLE_1) | instskip(NEXT) | instid1(SALU_CYCLE_1)
	s_and_b64 s[24:25], s[24:25], 0xffffffff00000000
	s_cmp_lg_u64 s[24:25], 0
	s_cbranch_scc0 .LBB189_13
; %bb.12:                               ;   in Loop: Header=BB189_11 Depth=1
	s_cvt_f32_u32 s14, s20
	s_cvt_f32_u32 s23, s21
	s_sub_nc_u64 s[26:27], 0, s[20:21]
	s_delay_alu instid0(SALU_CYCLE_2) | instskip(NEXT) | instid1(SALU_CYCLE_3)
	s_fmamk_f32 s14, s23, 0x4f800000, s14
	v_s_rcp_f32 s14, s14
	s_delay_alu instid0(TRANS32_DEP_1) | instskip(NEXT) | instid1(SALU_CYCLE_3)
	s_mul_f32 s14, s14, 0x5f7ffffc
	s_mul_f32 s23, s14, 0x2f800000
	s_delay_alu instid0(SALU_CYCLE_3) | instskip(NEXT) | instid1(SALU_CYCLE_3)
	s_trunc_f32 s23, s23
	s_fmamk_f32 s14, s23, 0xcf800000, s14
	s_cvt_u32_f32 s25, s23
	s_delay_alu instid0(SALU_CYCLE_2) | instskip(NEXT) | instid1(SALU_CYCLE_3)
	s_cvt_u32_f32 s24, s14
	s_mul_u64 s[34:35], s[26:27], s[24:25]
	s_delay_alu instid0(SALU_CYCLE_1)
	s_mul_hi_u32 s37, s24, s35
	s_mul_i32 s36, s24, s35
	s_mul_hi_u32 s14, s24, s34
	s_mul_i32 s33, s25, s34
	s_add_nc_u64 s[36:37], s[14:15], s[36:37]
	s_mul_hi_u32 s23, s25, s34
	s_mul_hi_u32 s38, s25, s35
	s_add_co_u32 s14, s36, s33
	s_add_co_ci_u32 s14, s37, s23
	s_mul_i32 s34, s25, s35
	s_add_co_ci_u32 s35, s38, 0
	s_delay_alu instid0(SALU_CYCLE_1) | instskip(NEXT) | instid1(SALU_CYCLE_1)
	s_add_nc_u64 s[34:35], s[14:15], s[34:35]
	s_add_co_u32 s24, s24, s34
	s_cselect_b32 s14, -1, 0
	s_delay_alu instid0(SALU_CYCLE_1) | instskip(SKIP_1) | instid1(SALU_CYCLE_1)
	s_cmp_lg_u32 s14, 0
	s_add_co_ci_u32 s25, s25, s35
	s_mul_u64 s[26:27], s[26:27], s[24:25]
	s_delay_alu instid0(SALU_CYCLE_1)
	s_mul_hi_u32 s35, s24, s27
	s_mul_i32 s34, s24, s27
	s_mul_hi_u32 s14, s24, s26
	s_mul_i32 s33, s25, s26
	s_add_nc_u64 s[34:35], s[14:15], s[34:35]
	s_mul_hi_u32 s23, s25, s26
	s_mul_hi_u32 s36, s25, s27
	s_add_co_u32 s14, s34, s33
	s_add_co_ci_u32 s14, s35, s23
	s_mul_i32 s26, s25, s27
	s_add_co_ci_u32 s27, s36, 0
	s_delay_alu instid0(SALU_CYCLE_1) | instskip(NEXT) | instid1(SALU_CYCLE_1)
	s_add_nc_u64 s[26:27], s[14:15], s[26:27]
	s_add_co_u32 s23, s24, s26
	s_cselect_b32 s24, -1, 0
	s_mul_hi_u32 s14, s18, s23
	s_cmp_lg_u32 s24, 0
	s_mul_hi_u32 s33, s19, s23
	s_add_co_ci_u32 s26, s25, s27
	s_mul_i32 s23, s19, s23
	s_mul_hi_u32 s25, s18, s26
	s_mul_i32 s24, s18, s26
	s_mul_hi_u32 s27, s19, s26
	s_add_nc_u64 s[24:25], s[14:15], s[24:25]
	s_mul_i32 s26, s19, s26
	s_add_co_u32 s14, s24, s23
	s_add_co_ci_u32 s14, s25, s33
	s_add_co_ci_u32 s27, s27, 0
	s_delay_alu instid0(SALU_CYCLE_1) | instskip(NEXT) | instid1(SALU_CYCLE_1)
	s_add_nc_u64 s[24:25], s[14:15], s[26:27]
	s_and_b64 s[26:27], s[24:25], 0xffffffff00000000
	s_delay_alu instid0(SALU_CYCLE_1) | instskip(NEXT) | instid1(SALU_CYCLE_1)
	s_or_b32 s26, s26, s24
	s_mul_u64 s[24:25], s[20:21], s[26:27]
	s_delay_alu instid0(SALU_CYCLE_1)
	s_sub_co_u32 s14, s18, s24
	s_cselect_b32 s23, -1, 0
	s_sub_co_i32 s24, s19, s25
	s_cmp_lg_u32 s23, 0
	s_sub_co_ci_u32 s24, s24, s21
	s_sub_co_u32 s33, s14, s20
	s_cselect_b32 s34, -1, 0
	s_delay_alu instid0(SALU_CYCLE_1) | instskip(SKIP_2) | instid1(SALU_CYCLE_1)
	s_cmp_lg_u32 s34, 0
	s_add_nc_u64 s[34:35], s[26:27], 1
	s_sub_co_ci_u32 s24, s24, 0
	s_cmp_ge_u32 s24, s21
	s_cselect_b32 s36, -1, 0
	s_cmp_ge_u32 s33, s20
	s_cselect_b32 s33, -1, 0
	s_cmp_eq_u32 s24, s21
	s_cselect_b32 s24, s33, s36
	s_add_nc_u64 s[36:37], s[26:27], 2
	s_cmp_lg_u32 s24, 0
	s_cselect_b32 s24, s36, s34
	s_cselect_b32 s33, s37, s35
	s_cmp_lg_u32 s23, 0
	s_sub_co_ci_u32 s23, s19, s25
	s_delay_alu instid0(SALU_CYCLE_1)
	s_cmp_ge_u32 s23, s21
	s_cselect_b32 s25, -1, 0
	s_cmp_ge_u32 s14, s20
	s_cselect_b32 s14, -1, 0
	s_cmp_eq_u32 s23, s21
	s_cselect_b32 s14, s14, s25
	s_delay_alu instid0(SALU_CYCLE_1)
	s_cmp_lg_u32 s14, 0
	s_mov_b32 s14, 0
	s_cselect_b32 s43, s33, s27
	s_cselect_b32 s42, s24, s26
.LBB189_13:                             ;   in Loop: Header=BB189_11 Depth=1
	s_and_not1_b32 vcc_lo, exec_lo, s14
	s_cbranch_vccnz .LBB189_15
; %bb.14:                               ;   in Loop: Header=BB189_11 Depth=1
	v_cvt_f32_u32_e32 v1, s20
	s_sub_co_i32 s23, 0, s20
	s_delay_alu instid0(VALU_DEP_1) | instskip(SKIP_1) | instid1(TRANS32_DEP_1)
	v_rcp_iflag_f32_e32 v1, v1
	v_nop
	v_mul_f32_e32 v1, 0x4f7ffffe, v1
	s_delay_alu instid0(VALU_DEP_1) | instskip(NEXT) | instid1(VALU_DEP_1)
	v_cvt_u32_f32_e32 v1, v1
	v_readfirstlane_b32 s14, v1
	s_mul_i32 s23, s23, s14
	s_delay_alu instid0(SALU_CYCLE_1) | instskip(NEXT) | instid1(SALU_CYCLE_1)
	s_mul_hi_u32 s23, s14, s23
	s_add_co_i32 s14, s14, s23
	s_delay_alu instid0(SALU_CYCLE_1) | instskip(NEXT) | instid1(SALU_CYCLE_1)
	s_mul_hi_u32 s14, s18, s14
	s_mul_i32 s23, s14, s20
	s_add_co_i32 s24, s14, 1
	s_sub_co_i32 s23, s18, s23
	s_delay_alu instid0(SALU_CYCLE_1)
	s_sub_co_i32 s25, s23, s20
	s_cmp_ge_u32 s23, s20
	s_cselect_b32 s14, s24, s14
	s_cselect_b32 s23, s25, s23
	s_add_co_i32 s24, s14, 1
	s_cmp_ge_u32 s23, s20
	s_cselect_b32 s14, s24, s14
	s_delay_alu instid0(SALU_CYCLE_1)
	s_mov_b64 s[42:43], s[14:15]
.LBB189_15:                             ;   in Loop: Header=BB189_11 Depth=1
	s_load_b64 s[24:25], s[16:17], 0xc8
	s_mul_u64 s[20:21], s[42:43], s[20:21]
	s_add_co_i32 s22, s22, -1
	s_sub_nc_u64 s[18:19], s[18:19], s[20:21]
	s_cmp_gt_u32 s22, 2
	s_wait_xcnt 0x0
	s_add_nc_u64 s[16:17], s[16:17], -8
	s_wait_kmcnt 0x0
	s_mul_u64 s[18:19], s[24:25], s[18:19]
	s_delay_alu instid0(SALU_CYCLE_1)
	s_add_nc_u64 s[28:29], s[18:19], s[28:29]
	s_cbranch_scc0 .LBB189_17
; %bb.16:                               ;   in Loop: Header=BB189_11 Depth=1
	s_mov_b64 s[18:19], s[42:43]
	s_branch .LBB189_11
.LBB189_17:
	s_clause 0x1
	s_load_b64 s[14:15], s[0:1], 0xd0
	s_load_b32 s18, s[0:1], 0x508
	s_mov_b64 s[44:45], 0
	s_wait_kmcnt 0x0
	s_cmp_lt_i32 s18, 2
	s_cbranch_scc1 .LBB189_25
; %bb.18:
	s_add_co_i32 s16, s18, -1
	s_mov_b32 s17, 0
	s_add_nc_u64 s[20:21], s[0:1], 0x370
	s_lshl_b64 s[22:23], s[16:17], 3
	s_delay_alu instid0(SALU_CYCLE_1)
	s_add_nc_u64 s[20:21], s[20:21], s[22:23]
	s_add_co_i32 s22, s18, 1
	s_add_nc_u64 s[18:19], s[20:21], 8
.LBB189_19:                             ; =>This Inner Loop Header: Depth=1
	s_load_b64 s[20:21], s[18:19], 0x0
	s_mov_b32 s16, -1
                                        ; implicit-def: $sgpr48_sgpr49
	s_wait_kmcnt 0x0
	s_or_b64 s[24:25], s[4:5], s[20:21]
	s_delay_alu instid0(SALU_CYCLE_1) | instskip(NEXT) | instid1(SALU_CYCLE_1)
	s_and_b64 s[24:25], s[24:25], 0xffffffff00000000
	s_cmp_lg_u64 s[24:25], 0
	s_cbranch_scc0 .LBB189_21
; %bb.20:                               ;   in Loop: Header=BB189_19 Depth=1
	s_cvt_f32_u32 s16, s20
	s_cvt_f32_u32 s23, s21
	s_sub_nc_u64 s[26:27], 0, s[20:21]
	s_delay_alu instid0(SALU_CYCLE_2) | instskip(NEXT) | instid1(SALU_CYCLE_3)
	s_fmamk_f32 s16, s23, 0x4f800000, s16
	v_s_rcp_f32 s16, s16
	s_delay_alu instid0(TRANS32_DEP_1) | instskip(NEXT) | instid1(SALU_CYCLE_3)
	s_mul_f32 s16, s16, 0x5f7ffffc
	s_mul_f32 s23, s16, 0x2f800000
	s_delay_alu instid0(SALU_CYCLE_3) | instskip(NEXT) | instid1(SALU_CYCLE_3)
	s_trunc_f32 s23, s23
	s_fmamk_f32 s16, s23, 0xcf800000, s16
	s_cvt_u32_f32 s25, s23
	s_delay_alu instid0(SALU_CYCLE_2) | instskip(NEXT) | instid1(SALU_CYCLE_3)
	s_cvt_u32_f32 s24, s16
	s_mul_u64 s[34:35], s[26:27], s[24:25]
	s_delay_alu instid0(SALU_CYCLE_1)
	s_mul_hi_u32 s37, s24, s35
	s_mul_i32 s36, s24, s35
	s_mul_hi_u32 s16, s24, s34
	s_mul_i32 s33, s25, s34
	s_add_nc_u64 s[36:37], s[16:17], s[36:37]
	s_mul_hi_u32 s23, s25, s34
	s_mul_hi_u32 s38, s25, s35
	s_add_co_u32 s16, s36, s33
	s_add_co_ci_u32 s16, s37, s23
	s_mul_i32 s34, s25, s35
	s_add_co_ci_u32 s35, s38, 0
	s_delay_alu instid0(SALU_CYCLE_1) | instskip(NEXT) | instid1(SALU_CYCLE_1)
	s_add_nc_u64 s[34:35], s[16:17], s[34:35]
	s_add_co_u32 s24, s24, s34
	s_cselect_b32 s16, -1, 0
	s_delay_alu instid0(SALU_CYCLE_1) | instskip(SKIP_1) | instid1(SALU_CYCLE_1)
	s_cmp_lg_u32 s16, 0
	s_add_co_ci_u32 s25, s25, s35
	s_mul_u64 s[26:27], s[26:27], s[24:25]
	s_delay_alu instid0(SALU_CYCLE_1)
	s_mul_hi_u32 s35, s24, s27
	s_mul_i32 s34, s24, s27
	s_mul_hi_u32 s16, s24, s26
	s_mul_i32 s33, s25, s26
	s_add_nc_u64 s[34:35], s[16:17], s[34:35]
	s_mul_hi_u32 s23, s25, s26
	s_mul_hi_u32 s36, s25, s27
	s_add_co_u32 s16, s34, s33
	s_add_co_ci_u32 s16, s35, s23
	s_mul_i32 s26, s25, s27
	s_add_co_ci_u32 s27, s36, 0
	s_delay_alu instid0(SALU_CYCLE_1) | instskip(NEXT) | instid1(SALU_CYCLE_1)
	s_add_nc_u64 s[26:27], s[16:17], s[26:27]
	s_add_co_u32 s23, s24, s26
	s_cselect_b32 s24, -1, 0
	s_mul_hi_u32 s16, s4, s23
	s_cmp_lg_u32 s24, 0
	s_mul_hi_u32 s33, s5, s23
	s_add_co_ci_u32 s26, s25, s27
	s_mul_i32 s23, s5, s23
	s_mul_hi_u32 s25, s4, s26
	s_mul_i32 s24, s4, s26
	s_mul_hi_u32 s27, s5, s26
	s_add_nc_u64 s[24:25], s[16:17], s[24:25]
	s_mul_i32 s26, s5, s26
	s_add_co_u32 s16, s24, s23
	s_add_co_ci_u32 s16, s25, s33
	s_add_co_ci_u32 s27, s27, 0
	s_delay_alu instid0(SALU_CYCLE_1) | instskip(NEXT) | instid1(SALU_CYCLE_1)
	s_add_nc_u64 s[24:25], s[16:17], s[26:27]
	s_and_b64 s[26:27], s[24:25], 0xffffffff00000000
	s_delay_alu instid0(SALU_CYCLE_1) | instskip(NEXT) | instid1(SALU_CYCLE_1)
	s_or_b32 s26, s26, s24
	s_mul_u64 s[24:25], s[20:21], s[26:27]
	s_delay_alu instid0(SALU_CYCLE_1)
	s_sub_co_u32 s16, s4, s24
	s_cselect_b32 s23, -1, 0
	s_sub_co_i32 s24, s5, s25
	s_cmp_lg_u32 s23, 0
	s_sub_co_ci_u32 s24, s24, s21
	s_sub_co_u32 s33, s16, s20
	s_cselect_b32 s34, -1, 0
	s_delay_alu instid0(SALU_CYCLE_1) | instskip(SKIP_2) | instid1(SALU_CYCLE_1)
	s_cmp_lg_u32 s34, 0
	s_add_nc_u64 s[34:35], s[26:27], 1
	s_sub_co_ci_u32 s24, s24, 0
	s_cmp_ge_u32 s24, s21
	s_cselect_b32 s36, -1, 0
	s_cmp_ge_u32 s33, s20
	s_cselect_b32 s33, -1, 0
	s_cmp_eq_u32 s24, s21
	s_cselect_b32 s24, s33, s36
	s_add_nc_u64 s[36:37], s[26:27], 2
	s_cmp_lg_u32 s24, 0
	s_cselect_b32 s24, s36, s34
	s_cselect_b32 s33, s37, s35
	s_cmp_lg_u32 s23, 0
	s_sub_co_ci_u32 s23, s5, s25
	s_delay_alu instid0(SALU_CYCLE_1)
	s_cmp_ge_u32 s23, s21
	s_cselect_b32 s25, -1, 0
	s_cmp_ge_u32 s16, s20
	s_cselect_b32 s16, -1, 0
	s_cmp_eq_u32 s23, s21
	s_cselect_b32 s16, s16, s25
	s_delay_alu instid0(SALU_CYCLE_1)
	s_cmp_lg_u32 s16, 0
	s_mov_b32 s16, 0
	s_cselect_b32 s49, s33, s27
	s_cselect_b32 s48, s24, s26
.LBB189_21:                             ;   in Loop: Header=BB189_19 Depth=1
	s_and_not1_b32 vcc_lo, exec_lo, s16
	s_cbranch_vccnz .LBB189_23
; %bb.22:                               ;   in Loop: Header=BB189_19 Depth=1
	v_cvt_f32_u32_e32 v1, s20
	s_sub_co_i32 s23, 0, s20
	s_delay_alu instid0(VALU_DEP_1) | instskip(SKIP_1) | instid1(TRANS32_DEP_1)
	v_rcp_iflag_f32_e32 v1, v1
	v_nop
	v_mul_f32_e32 v1, 0x4f7ffffe, v1
	s_delay_alu instid0(VALU_DEP_1) | instskip(NEXT) | instid1(VALU_DEP_1)
	v_cvt_u32_f32_e32 v1, v1
	v_readfirstlane_b32 s16, v1
	s_mul_i32 s23, s23, s16
	s_delay_alu instid0(SALU_CYCLE_1) | instskip(NEXT) | instid1(SALU_CYCLE_1)
	s_mul_hi_u32 s23, s16, s23
	s_add_co_i32 s16, s16, s23
	s_delay_alu instid0(SALU_CYCLE_1) | instskip(NEXT) | instid1(SALU_CYCLE_1)
	s_mul_hi_u32 s16, s4, s16
	s_mul_i32 s23, s16, s20
	s_add_co_i32 s24, s16, 1
	s_sub_co_i32 s23, s4, s23
	s_delay_alu instid0(SALU_CYCLE_1)
	s_sub_co_i32 s25, s23, s20
	s_cmp_ge_u32 s23, s20
	s_cselect_b32 s16, s24, s16
	s_cselect_b32 s23, s25, s23
	s_add_co_i32 s24, s16, 1
	s_cmp_ge_u32 s23, s20
	s_cselect_b32 s16, s24, s16
	s_delay_alu instid0(SALU_CYCLE_1)
	s_mov_b64 s[48:49], s[16:17]
.LBB189_23:                             ;   in Loop: Header=BB189_19 Depth=1
	s_load_b64 s[24:25], s[18:19], 0xc8
	s_mul_u64 s[20:21], s[48:49], s[20:21]
	s_add_co_i32 s22, s22, -1
	s_sub_nc_u64 s[4:5], s[4:5], s[20:21]
	s_cmp_gt_u32 s22, 2
	s_wait_xcnt 0x0
	s_add_nc_u64 s[18:19], s[18:19], -8
	s_wait_kmcnt 0x0
	s_mul_u64 s[4:5], s[24:25], s[4:5]
	s_delay_alu instid0(SALU_CYCLE_1)
	s_add_nc_u64 s[44:45], s[4:5], s[44:45]
	s_cbranch_scc0 .LBB189_26
; %bb.24:                               ;   in Loop: Header=BB189_19 Depth=1
	s_mov_b64 s[4:5], s[48:49]
	s_branch .LBB189_19
.LBB189_25:
	s_mov_b64 s[48:49], s[4:5]
.LBB189_26:
	s_clause 0x1
	s_load_b64 s[4:5], s[12:13], 0xd0
	s_load_b128 s[36:39], s[0:1], 0x1a0
	s_wait_xcnt 0x0
	s_load_b64 s[12:13], s[0:1], 0x0
                                        ; implicit-def: $vgpr74 : SGPR spill to VGPR lane
	s_mov_b32 s27, 0
	s_wait_kmcnt 0x0
	v_writelane_b32 v74, s4, 0
	v_writelane_b32 v74, s5, 1
	v_cmp_eq_u32_e64 s5, 0, v0
	s_and_saveexec_b32 s4, s5
	s_cbranch_execz .LBB189_28
; %bb.27:
	v_dual_mov_b32 v2, 0 :: v_dual_mov_b32 v4, s36
	s_delay_alu instid0(VALU_DEP_1)
	v_dual_mov_b32 v5, s37 :: v_dual_mov_b32 v3, v2
	ds_store_b32 v2, v2 offset:5144
	ds_store_b128 v2, v[2:5] offset:5120
.LBB189_28:
	s_or_b32 exec_lo, exec_lo, s4
	s_lshl_b64 s[58:59], s[2:3], 3
	s_load_b64 s[2:3], s[0:1], 0x440
	s_wait_dscnt 0x0
	s_barrier_signal -1
	s_barrier_wait -1
	s_load_b32 s18, s[10:11], 0xc
	v_mbcnt_lo_u32_b32 v17, -1, 0
	s_mul_u64 s[14:15], s[14:15], s[6:7]
	v_dual_mov_b32 v21, 0 :: v_dual_lshlrev_b32 v22, 2, v0
	v_cmp_gt_u32_e32 vcc_lo, 32, v0
	s_lshl_b64 s[14:15], s[14:15], 3
	v_cmp_gt_i32_e64 s7, 4, v17
	s_delay_alu instid0(VALU_DEP_3) | instskip(SKIP_2) | instid1(VALU_DEP_2)
	v_dual_mov_b32 v1, v21 :: v_dual_lshlrev_b32 v56, 3, v0
	v_dual_lshlrev_b32 v57, 5, v0 :: v_dual_mov_b32 v23, v21
	s_add_nc_u64 s[16:17], s[12:13], s[14:15]
	v_mul_u64_e32 v[2:3], s[30:31], v[0:1]
	v_lshlrev_b64_e64 v[4:5], v17, -1
	s_wait_kmcnt 0x0
	v_writelane_b32 v74, s2, 2
	v_or_b32_e32 v6, 24, v57
	v_or_b32_e32 v7, 16, v57
	v_or_b32_e32 v8, 8, v57
	s_load_b32 s4, s[0:1], 0x1b0
	v_writelane_b32 v74, s3, 3
	s_load_b64 s[2:3], s[0:1], 0x1c8
	v_mad_nc_u64_u32 v[24:25], s30, v6, s[16:17]
	v_mad_nc_u64_u32 v[26:27], s30, v7, s[16:17]
	;; [unrolled: 1-line block ×3, first 2 shown]
	v_not_b32_e32 v16, v4
	s_add_nc_u64 s[60:61], s[16:17], s[58:59]
	v_cmp_lt_u64_e64 s33, 0x180, s[36:37]
	s_movk_i32 s19, 0x3e0
	v_mov_b64_e32 v[36:37], 0
	v_mov_b64_e32 v[40:41], s[38:39]
	;; [unrolled: 1-line block ×4, first 2 shown]
	v_mad_u32 v25, s31, v6, v25
	v_mad_u32 v27, s31, v7, v27
	;; [unrolled: 1-line block ×3, first 2 shown]
	v_mov_b64_e32 v[6:7], 0
	s_mov_b32 s35, s27
	v_cmp_gt_u32_e64 s6, 2, v0
	s_wait_kmcnt 0x0
	s_bitcmp1_b32 s4, 0
	v_add_nc_u32_e32 v58, 0xc00, v56
	v_writelane_b32 v74, s2, 4
	s_cselect_b32 s93, -1, 0
	s_and_b32 s34, s18, 0xffff
	s_and_b32 s90, vcc_lo, s7
	s_bfe_u32 s4, s18, 0xb0005
	v_writelane_b32 v74, s3, 5
	s_load_b64 s[2:3], s[0:1], 0x370
	s_xor_b32 s91, s93, -1
	s_cmp_gt_u32 s34, 31
	v_lshlrev_b64_e32 v[4:5], 3, v[2:3]
	s_cselect_b32 s92, -1, 0
	s_cmp_lt_u32 s9, s8
	v_lshlrev_b64_e32 v[2:3], 5, v[2:3]
	s_cselect_b32 s26, 12, 18
	s_add_co_i32 s7, s4, -1
	s_bfe_u32 s8, s34, 0x30005
	s_and_b32 s7, s7, 0xffff
	v_add_nc_u64_e32 v[18:19], s[60:61], v[4:5]
	s_cmp_gt_u32 s7, 6
	v_add_nc_u64_e32 v[30:31], s[16:17], v[2:3]
	s_cselect_b32 s7, -1, 0
	s_and_b32 s95, s4, 0x7f8
	s_cmp_lg_u32 s8, 0
	v_and_or_b32 v59, v0, s19, 0xc00
	s_cselect_b32 s96, -1, 0
	v_lshl_or_b32 v60, v17, 3, 0xc00
	s_wait_kmcnt 0x0
	v_writelane_b32 v74, s2, 6
	v_mov_b32_e32 v3, 0x3ff00000
	s_add_nc_u64 s[62:63], s[34:35], -1
	s_lshl_b64 s[68:69], s[30:31], 3
	s_add_nc_u64 s[64:65], s[62:63], s[36:37]
	v_writelane_b32 v74, s3, 7
	v_cmp_gt_u64_e64 s3, s[36:37], v[0:1]
	v_cmp_eq_u32_e64 s2, 0, v17
	s_lshl_b32 s97, s34, 3
	s_mov_b32 s98, 62
	v_writelane_b32 v74, s7, 8
	s_add_nc_u64 s[72:73], s[10:11], s[26:27]
	s_and_b64 s[74:75], s[36:37], 0xffffffff00000000
	s_mov_b32 s100, 0x4f800000
	s_mov_b32 s99, 0
	v_writelane_b32 v74, s8, 9
	s_add_nc_u64 s[8:9], s[14:15], s[58:59]
	s_mov_b32 s102, 0
	s_add_nc_u64 s[8:9], s[12:13], s[8:9]
                                        ; implicit-def: $sgpr101
                                        ; implicit-def: $vcc_hi
                                        ; implicit-def: $sgpr104
                                        ; implicit-def: $sgpr50
                                        ; implicit-def: $sgpr103
                                        ; implicit-def: $sgpr54
                                        ; implicit-def: $sgpr55
                                        ; implicit-def: $sgpr51
                                        ; implicit-def: $sgpr53
                                        ; implicit-def: $sgpr52
	s_delay_alu instid0(SALU_CYCLE_1) | instskip(SKIP_2) | instid1(SALU_CYCLE_1)
	v_writelane_b32 v74, s8, 10
	v_writelane_b32 v74, s9, 11
	s_lshl_b64 s[8:9], s[30:31], 5
	v_writelane_b32 v74, s8, 12
	v_writelane_b32 v74, s9, 13
	s_add_nc_u64 s[8:9], s[12:13], s[58:59]
	s_delay_alu instid0(SALU_CYCLE_1)
	s_add_nc_u64 s[12:13], s[8:9], s[14:15]
	s_mul_u64 s[8:9], s[30:31], s[34:35]
	v_writelane_b32 v74, s12, 14
	v_add_nc_u64_e32 v[34:35], s[12:13], v[4:5]
	s_lshl_b64 s[40:41], s[8:9], 3
	v_writelane_b32 v74, s13, 15
	s_branch .LBB189_31
.LBB189_29:                             ;   in Loop: Header=BB189_31 Depth=1
	s_or_b32 exec_lo, exec_lo, s9
	v_mov_b64_e32 v[40:41], v[42:43]
	s_and_not1_b32 s9, s52, exec_lo
	s_and_b32 s8, s8, exec_lo
	s_and_not1_b32 s53, s53, exec_lo
	s_or_b32 s52, s9, s8
	s_and_not1_b32 s51, s51, exec_lo
	s_and_not1_b32 s55, s55, exec_lo
	;; [unrolled: 1-line block ×3, first 2 shown]
	s_or_not1_b32 s7, s7, exec_lo
.LBB189_30:                             ;   in Loop: Header=BB189_31 Depth=1
	s_or_b32 exec_lo, exec_lo, s4
	s_delay_alu instid0(SALU_CYCLE_1) | instskip(NEXT) | instid1(SALU_CYCLE_1)
	s_and_b32 s4, exec_lo, s7
	s_or_b32 s99, s4, s99
	s_and_not1_b32 s4, s103, exec_lo
	s_and_b32 s7, s52, exec_lo
	s_and_not1_b32 s8, s50, exec_lo
	s_or_b32 s103, s4, s7
	s_and_b32 s4, s53, exec_lo
	s_and_not1_b32 s7, s104, exec_lo
	s_and_b32 s9, s51, exec_lo
	s_or_b32 s50, s8, s4
	s_or_b32 s104, s7, s9
	s_and_not1_b32 s4, vcc_hi, exec_lo
	s_and_b32 s7, s55, exec_lo
	s_and_not1_b32 s8, s101, exec_lo
	s_and_b32 s9, s54, exec_lo
	s_or_b32 vcc_hi, s4, s7
	s_or_b32 s101, s8, s9
	s_and_not1_b32 exec_lo, exec_lo, s99
	s_cbranch_execz .LBB189_504
.LBB189_31:                             ; =>This Loop Header: Depth=1
                                        ;     Child Loop BB189_37 Depth 2
                                        ;     Child Loop BB189_50 Depth 2
	;; [unrolled: 1-line block ×24, first 2 shown]
	ds_load_b128 v[8:11], v21 offset:5120
	s_wait_dscnt 0x0
	v_readfirstlane_b32 s77, v9
	v_readfirstlane_b32 s76, v8
	s_cmp_lg_u64 s[76:77], 0
	s_cbranch_scc1 .LBB189_58
; %bb.32:                               ;   in Loop: Header=BB189_31 Depth=1
	s_and_b32 vcc_lo, exec_lo, s33
	s_cbranch_vccz .LBB189_45
; %bb.33:                               ;   in Loop: Header=BB189_31 Depth=1
	v_cmp_gt_u64_e32 vcc_lo, 0x181, v[10:11]
	s_mov_b32 s9, 0
	s_mov_b32 s4, 0
	s_cbranch_vccz .LBB189_46
; %bb.34:                               ;   in Loop: Header=BB189_31 Depth=1
	s_and_saveexec_b32 s10, s3
	s_cbranch_execz .LBB189_113
; %bb.35:                               ;   in Loop: Header=BB189_31 Depth=1
	global_load_u16 v2, v21, s[72:73]
	global_load_b64 v[4:5], v[18:19], off
	v_readlane_b32 s12, v74, 10
	v_readlane_b32 s13, v74, 11
	v_mov_b64_e32 v[12:13], v[0:1]
	s_wait_loadcnt 0x1
	v_and_b32_e32 v20, 0xffff, v2
	s_delay_alu instid0(VALU_DEP_1) | instskip(SKIP_1) | instid1(VALU_DEP_1)
	v_mul_u64_e32 v[8:9], s[68:69], v[20:21]
	v_add_nc_u32_e32 v2, v0, v20
	v_mad_nc_u64_u32 v[10:11], s68, v2, s[12:13]
	s_delay_alu instid0(VALU_DEP_1)
	v_mad_u32 v11, s69, v2, v11
	s_branch .LBB189_37
.LBB189_36:                             ;   in Loop: Header=BB189_37 Depth=2
	s_or_b32 exec_lo, exec_lo, s8
	v_add_nc_u64_e32 v[10:11], v[10:11], v[8:9]
	v_mov_b64_e32 v[4:5], v[14:15]
	s_and_not1_b32 exec_lo, exec_lo, s4
	s_cbranch_execz .LBB189_113
.LBB189_37:                             ;   Parent Loop BB189_31 Depth=1
                                        ; =>  This Inner Loop Header: Depth=2
	v_add_nc_u64_e32 v[12:13], v[12:13], v[20:21]
	v_mov_b64_e32 v[14:15], 0
	s_mov_b32 s8, exec_lo
	s_delay_alu instid0(VALU_DEP_2)
	v_cmp_le_u64_e32 vcc_lo, s[36:37], v[12:13]
	s_wait_xcnt 0x0
	v_cmpx_gt_u64_e64 s[36:37], v[12:13]
	s_cbranch_execz .LBB189_39
; %bb.38:                               ;   in Loop: Header=BB189_37 Depth=2
	global_load_b64 v[14:15], v[10:11], off
.LBB189_39:                             ;   in Loop: Header=BB189_37 Depth=2
	s_wait_xcnt 0x0
	s_or_b32 exec_lo, exec_lo, s8
	s_wait_loadcnt 0x0
	v_cmp_o_f64_e64 s7, v[4:5], v[4:5]
	s_wait_dscnt 0x0
	v_ashrrev_i32_e32 v2, 31, v5
	s_delay_alu instid0(VALU_DEP_1) | instskip(NEXT) | instid1(VALU_DEP_1)
	v_or_b32_e32 v42, 0x80000000, v2
	v_xor_b32_e32 v42, v42, v5
	s_delay_alu instid0(VALU_DEP_1) | instskip(NEXT) | instid1(VALU_DEP_1)
	v_dual_cndmask_b32 v42, -1, v42, s7 :: v_dual_bitop2_b32 v2, v2, v4 bitop3:0x14
	v_dual_cndmask_b32 v2, -1, v2, s7 :: v_dual_bitop2_b32 v43, v42, v39 bitop3:0x40
	s_delay_alu instid0(VALU_DEP_1) | instskip(NEXT) | instid1(VALU_DEP_1)
	v_dual_mov_b32 v2, 0 :: v_dual_bitop2_b32 v42, v2, v38 bitop3:0x40
	v_cmp_eq_u64_e64 s7, v[42:43], v[32:33]
	s_cmp_lg_u32 s7, 0
	s_cselect_b32 s8, -1, 0
	s_delay_alu instid0(SALU_CYCLE_1) | instskip(NEXT) | instid1(SALU_CYCLE_1)
	s_and_b32 s8, s2, s8
	s_and_saveexec_b32 s11, s8
	s_cbranch_execz .LBB189_43
; %bb.40:                               ;   in Loop: Header=BB189_37 Depth=2
	s_mov_b32 s14, exec_lo
	s_bcnt1_i32_b32 s12, s7
	v_mbcnt_lo_u32_b32 v2, s14, 0
	s_mov_b32 s13, exec_lo
                                        ; implicit-def: $vgpr42
	s_delay_alu instid0(VALU_DEP_1)
	v_cmpx_eq_u32_e32 0, v2
; %bb.41:                               ;   in Loop: Header=BB189_37 Depth=2
	s_bcnt1_i32_b32 s8, s14
	s_delay_alu instid0(SALU_CYCLE_1) | instskip(NEXT) | instid1(SALU_CYCLE_1)
	s_mul_i32 s8, s12, s8
	v_mov_b32_e32 v42, s8
	ds_add_rtn_u32 v42, v21, v42 offset:5144
; %bb.42:                               ;   in Loop: Header=BB189_37 Depth=2
	s_or_b32 exec_lo, exec_lo, s13
	s_wait_dscnt 0x0
	v_readfirstlane_b32 s8, v42
	s_delay_alu instid0(VALU_DEP_1)
	v_mad_u32_u24 v2, s12, v2, s8
.LBB189_43:                             ;   in Loop: Header=BB189_37 Depth=2
	s_or_b32 exec_lo, exec_lo, s11
	ds_bpermute_b32 v2, v21, v2
	s_and_b32 s8, exec_lo, vcc_lo
	s_delay_alu instid0(SALU_CYCLE_1)
	s_or_b32 s4, s8, s4
	s_and_saveexec_b32 s8, s7
	s_cbranch_execz .LBB189_36
; %bb.44:                               ;   in Loop: Header=BB189_37 Depth=2
	v_and_b32_e32 v42, s7, v16
	s_delay_alu instid0(VALU_DEP_1) | instskip(NEXT) | instid1(VALU_DEP_1)
	v_bcnt_u32_b32 v42, v42, 0
	v_lshlrev_b32_e32 v42, 3, v42
	s_wait_dscnt 0x0
	s_delay_alu instid0(VALU_DEP_1)
	v_lshl_add_u32 v2, v2, 3, v42
	ds_store_b64 v2, v[4:5]
	s_branch .LBB189_36
.LBB189_45:                             ;   in Loop: Header=BB189_31 Depth=1
	s_mov_b32 s9, -1
	s_mov_b32 s4, 0
.LBB189_46:                             ;   in Loop: Header=BB189_31 Depth=1
	s_and_b32 vcc_lo, exec_lo, s9
	s_cbranch_vccz .LBB189_56
.LBB189_47:                             ;   in Loop: Header=BB189_31 Depth=1
	s_and_saveexec_b32 s4, s3
	s_cbranch_execz .LBB189_53
; %bb.48:                               ;   in Loop: Header=BB189_31 Depth=1
	global_load_u16 v2, v21, s[72:73]
	global_load_b64 v[4:5], v[18:19], off
	s_mov_b32 s7, exec_lo
	s_wait_loadcnt 0x1
	v_and_b32_e32 v8, 0xffff, v2
	v_mov_b32_e32 v2, v0
	s_delay_alu instid0(VALU_DEP_2) | instskip(SKIP_1) | instid1(VALU_DEP_1)
	v_add_nc_u32_e32 v20, v8, v0
	s_wait_xcnt 0x0
	v_cmpx_gt_u64_e64 s[36:37], v[20:21]
	s_cbranch_execz .LBB189_52
; %bb.49:                               ;   in Loop: Header=BB189_31 Depth=1
	v_mov_b32_e32 v9, v21
	v_readlane_b32 s8, v74, 10
	v_readlane_b32 s9, v74, 11
	v_mov_b64_e32 v[14:15], v[20:21]
	v_mov_b64_e32 v[44:45], v[0:1]
	v_mul_u64_e32 v[10:11], s[68:69], v[8:9]
	s_delay_alu instid0(VALU_DEP_4) | instskip(SKIP_1) | instid1(VALU_DEP_1)
	v_mad_nc_u64_u32 v[12:13], s68, v20, s[8:9]
	s_mov_b32 s8, 0
	v_mad_u32 v13, s69, v20, v13
.LBB189_50:                             ;   Parent Loop BB189_31 Depth=1
                                        ; =>  This Inner Loop Header: Depth=2
	global_load_b64 v[42:43], v[12:13], off
	v_mov_b64_e32 v[46:47], v[14:15]
	v_lshlrev_b32_e32 v2, 3, v44
	s_wait_xcnt 0x0
	v_add_nc_u64_e32 v[12:13], v[12:13], v[10:11]
	s_wait_loadcnt 0x1
	ds_store_b64 v2, v[4:5]
	v_add_nc_u64_e32 v[14:15], v[46:47], v[8:9]
	v_mov_b64_e32 v[44:45], v[46:47]
	s_delay_alu instid0(VALU_DEP_2)
	v_cmp_le_u64_e32 vcc_lo, s[36:37], v[14:15]
	s_or_b32 s8, vcc_lo, s8
	s_wait_loadcnt 0x0
	v_mov_b64_e32 v[4:5], v[42:43]
	s_and_not1_b32 exec_lo, exec_lo, s8
	s_cbranch_execnz .LBB189_50
; %bb.51:                               ;   in Loop: Header=BB189_31 Depth=1
	s_or_b32 exec_lo, exec_lo, s8
	v_mov_b64_e32 v[4:5], v[42:43]
	v_sub_nc_u32_e32 v2, v14, v8
.LBB189_52:                             ;   in Loop: Header=BB189_31 Depth=1
	s_or_b32 exec_lo, exec_lo, s7
	s_delay_alu instid0(VALU_DEP_1)
	v_lshlrev_b32_e32 v2, 3, v2
	s_wait_loadcnt 0x0
	ds_store_b64 v2, v[4:5]
.LBB189_53:                             ;   in Loop: Header=BB189_31 Depth=1
	s_or_b32 exec_lo, exec_lo, s4
	s_wait_dscnt 0x0
	s_barrier_signal -1
	s_barrier_wait -1
	s_and_saveexec_b32 s4, s5
; %bb.54:                               ;   in Loop: Header=BB189_31 Depth=1
	v_mov_b64_e32 v[4:5], s[36:37]
	ds_store_b64 v21, v[4:5] offset:5120
; %bb.55:                               ;   in Loop: Header=BB189_31 Depth=1
	s_or_b32 exec_lo, exec_lo, s4
	s_wait_dscnt 0x0
	s_barrier_signal -1
	s_mov_b32 s4, -1
	s_barrier_wait -1
.LBB189_56:                             ;   in Loop: Header=BB189_31 Depth=1
	s_and_b32 vcc_lo, exec_lo, s4
	s_mov_b64 s[76:77], 0
	s_cbranch_vccz .LBB189_58
; %bb.57:                               ;   in Loop: Header=BB189_31 Depth=1
	ds_load_b64 v[4:5], v21 offset:5120
	s_wait_dscnt 0x0
	v_readfirstlane_b32 s76, v4
	v_readfirstlane_b32 s77, v5
.LBB189_58:                             ;   in Loop: Header=BB189_31 Depth=1
	s_delay_alu instid0(VALU_DEP_2)
	s_cmp_lt_i32 s76, 1
	s_mov_b32 s4, -1
                                        ; implicit-def: $vgpr8_vgpr9
                                        ; implicit-def: $vgpr12_vgpr13
	s_cbranch_scc1 .LBB189_68
; %bb.59:                               ;   in Loop: Header=BB189_31 Depth=1
	s_and_b32 vcc_lo, exec_lo, s4
	s_cbranch_vccnz .LBB189_82
.LBB189_60:                             ;   in Loop: Header=BB189_31 Depth=1
	s_lshl_b32 s7, s102, 7
	s_and_saveexec_b32 s4, s2
	s_cbranch_execz .LBB189_62
.LBB189_61:                             ;   in Loop: Header=BB189_31 Depth=1
	v_lshl_add_u32 v2, s7, 3, v59
	ds_store_b128 v2, v[8:11]
	ds_store_b128 v2, v[12:15] offset:16
.LBB189_62:                             ;   in Loop: Header=BB189_31 Depth=1
	s_or_b32 exec_lo, exec_lo, s4
	s_wait_dscnt 0x0
	s_barrier_signal -1
	s_barrier_wait -1
	s_and_saveexec_b32 s8, s90
	s_cbranch_execz .LBB189_96
; %bb.63:                               ;   in Loop: Header=BB189_31 Depth=1
	v_mov_b64_e32 v[4:5], 0
	s_and_not1_b32 vcc_lo, exec_lo, s92
	s_cbranch_vccnz .LBB189_95
; %bb.64:                               ;   in Loop: Header=BB189_31 Depth=1
	v_readlane_b32 s4, v74, 8
	v_mov_b64_e32 v[4:5], 0
	s_and_not1_b32 vcc_lo, exec_lo, s4
	s_cbranch_vccnz .LBB189_92
; %bb.65:                               ;   in Loop: Header=BB189_31 Depth=1
	v_lshl_add_u32 v2, s102, 10, v60
	s_mov_b32 s4, 0
.LBB189_66:                             ;   Parent Loop BB189_31 Depth=1
                                        ; =>  This Inner Loop Header: Depth=2
	ds_load_2addr_b64 v[8:11], v2 offset1:4
	ds_load_2addr_b64 v[12:15], v2 offset0:8 offset1:12
	s_add_co_i32 s4, s4, 8
	s_delay_alu instid0(SALU_CYCLE_1) | instskip(SKIP_2) | instid1(VALU_DEP_1)
	s_cmp_eq_u32 s95, s4
	s_wait_dscnt 0x1
	v_add_nc_u64_e32 v[4:5], v[8:9], v[4:5]
	v_add_nc_u64_e32 v[4:5], v[10:11], v[4:5]
	ds_load_2addr_b64 v[8:11], v2 offset0:16 offset1:20
	s_wait_dscnt 0x1
	v_add_nc_u64_e32 v[4:5], v[12:13], v[4:5]
	s_delay_alu instid0(VALU_DEP_1) | instskip(SKIP_4) | instid1(VALU_DEP_1)
	v_add_nc_u64_e32 v[4:5], v[14:15], v[4:5]
	ds_load_2addr_b64 v[12:15], v2 offset0:24 offset1:28
	v_add_nc_u32_e32 v2, 0x100, v2
	s_wait_dscnt 0x1
	v_add_nc_u64_e32 v[4:5], v[8:9], v[4:5]
	v_add_nc_u64_e32 v[4:5], v[10:11], v[4:5]
	s_wait_dscnt 0x0
	s_delay_alu instid0(VALU_DEP_1) | instskip(NEXT) | instid1(VALU_DEP_1)
	v_add_nc_u64_e32 v[4:5], v[12:13], v[4:5]
	v_add_nc_u64_e32 v[4:5], v[14:15], v[4:5]
	s_cbranch_scc0 .LBB189_66
; %bb.67:                               ;   in Loop: Header=BB189_31 Depth=1
	s_mov_b32 s4, s95
	s_and_not1_b32 vcc_lo, exec_lo, s96
	s_cbranch_vccz .LBB189_93
	s_branch .LBB189_95
.LBB189_68:                             ;   in Loop: Header=BB189_31 Depth=1
	global_load_u16 v2, v21, s[72:73]
	s_mov_b32 s79, s27
	s_wait_loadcnt 0x0
	v_readfirstlane_b32 s4, v2
	s_and_b32 s4, 0xffff, s4
	s_delay_alu instid0(SALU_CYCLE_1)
	s_lshl_b32 s78, s4, 2
	s_cmp_lg_u64 s[74:75], 0
	s_cbranch_scc0 .LBB189_91
; %bb.69:                               ;   in Loop: Header=BB189_31 Depth=1
	s_cvt_f32_u32 s4, s78
	s_sub_nc_u64 s[10:11], 0, s[78:79]
	s_delay_alu instid0(SALU_CYCLE_2) | instskip(NEXT) | instid1(SALU_CYCLE_3)
	s_fmamk_f32 s4, s100, 0x0, s4
	v_s_rcp_f32 s4, s4
	s_delay_alu instid0(TRANS32_DEP_1) | instskip(NEXT) | instid1(SALU_CYCLE_3)
	s_mul_f32 s4, s4, 0x5f7ffffc
	s_mul_f32 s7, s4, 0x2f800000
	s_delay_alu instid0(SALU_CYCLE_3) | instskip(NEXT) | instid1(SALU_CYCLE_3)
	s_trunc_f32 s7, s7
	s_fmamk_f32 s4, s7, 0xcf800000, s4
	s_cvt_u32_f32 s9, s7
	s_delay_alu instid0(SALU_CYCLE_2) | instskip(NEXT) | instid1(SALU_CYCLE_3)
	s_cvt_u32_f32 s8, s4
	s_mul_u64 s[12:13], s[10:11], s[8:9]
	s_delay_alu instid0(SALU_CYCLE_1)
	s_mul_hi_u32 s15, s8, s13
	s_mul_i32 s14, s8, s13
	s_mul_hi_u32 s26, s8, s12
	s_mul_i32 s7, s9, s12
	s_add_nc_u64 s[14:15], s[26:27], s[14:15]
	s_mul_hi_u32 s4, s9, s12
	s_mul_hi_u32 s16, s9, s13
	s_add_co_u32 s7, s14, s7
	s_add_co_ci_u32 s26, s15, s4
	s_mul_i32 s12, s9, s13
	s_add_co_ci_u32 s13, s16, 0
	s_delay_alu instid0(SALU_CYCLE_1) | instskip(NEXT) | instid1(SALU_CYCLE_1)
	s_add_nc_u64 s[12:13], s[26:27], s[12:13]
	s_add_co_u32 s8, s8, s12
	s_cselect_b32 s4, -1, 0
	s_delay_alu instid0(SALU_CYCLE_1) | instskip(SKIP_1) | instid1(SALU_CYCLE_1)
	s_cmp_lg_u32 s4, 0
	s_add_co_ci_u32 s9, s9, s13
	s_mul_u64 s[10:11], s[10:11], s[8:9]
	s_delay_alu instid0(SALU_CYCLE_1)
	s_mul_hi_u32 s13, s8, s11
	s_mul_i32 s12, s8, s11
	s_mul_hi_u32 s26, s8, s10
	s_mul_i32 s7, s9, s10
	s_add_nc_u64 s[12:13], s[26:27], s[12:13]
	s_mul_hi_u32 s4, s9, s10
	s_mul_hi_u32 s14, s9, s11
	s_add_co_u32 s7, s12, s7
	s_add_co_ci_u32 s26, s13, s4
	s_mul_i32 s10, s9, s11
	s_add_co_ci_u32 s11, s14, 0
	s_delay_alu instid0(SALU_CYCLE_1) | instskip(NEXT) | instid1(SALU_CYCLE_1)
	s_add_nc_u64 s[10:11], s[26:27], s[10:11]
	s_add_co_u32 s4, s8, s10
	s_cselect_b32 s7, -1, 0
	s_mul_hi_u32 s26, s36, s4
	s_cmp_lg_u32 s7, 0
	s_mul_hi_u32 s7, s37, s4
	s_add_co_ci_u32 s10, s9, s11
	s_mul_i32 s4, s37, s4
	s_mul_hi_u32 s9, s36, s10
	s_mul_i32 s8, s36, s10
	s_mul_hi_u32 s11, s37, s10
	s_add_nc_u64 s[8:9], s[26:27], s[8:9]
	s_mul_i32 s10, s37, s10
	s_add_co_u32 s4, s8, s4
	s_add_co_ci_u32 s26, s9, s7
	s_add_co_ci_u32 s11, s11, 0
	s_delay_alu instid0(SALU_CYCLE_1) | instskip(NEXT) | instid1(SALU_CYCLE_1)
	s_add_nc_u64 s[8:9], s[26:27], s[10:11]
	s_and_b64 s[10:11], s[8:9], 0xffffffff00000000
	s_delay_alu instid0(SALU_CYCLE_1) | instskip(NEXT) | instid1(SALU_CYCLE_1)
	s_or_b32 s10, s10, s8
	s_mul_u64 s[8:9], s[78:79], s[10:11]
	s_delay_alu instid0(SALU_CYCLE_1) | instskip(SKIP_1) | instid1(SALU_CYCLE_1)
	s_sub_co_u32 s4, s36, s8
	s_cselect_b32 s7, -1, 0
	s_cmp_lg_u32 s7, 0
	s_sub_co_ci_u32 s7, s37, s9
	s_sub_co_u32 s8, s4, s78
	s_cselect_b32 s9, -1, 0
	s_delay_alu instid0(SALU_CYCLE_1) | instskip(SKIP_3) | instid1(SALU_CYCLE_1)
	s_cmp_lg_u32 s9, 0
	s_sub_co_ci_u32 s9, s7, 0
	s_sub_co_u32 s10, s8, s78
	s_cselect_b32 s11, -1, 0
	s_cmp_lg_u32 s11, 0
	s_sub_co_ci_u32 s11, s9, 0
	s_cmp_ge_u32 s8, s78
	s_cselect_b32 s12, -1, 0
	s_cmp_eq_u32 s9, 0
	s_cselect_b32 s12, s12, -1
	s_delay_alu instid0(SALU_CYCLE_1)
	s_cmp_lg_u32 s12, 0
	s_cselect_b32 s9, s11, s9
	s_cselect_b32 s8, s10, s8
	s_cmp_ge_u32 s4, s78
	s_cselect_b32 s10, -1, 0
	s_cmp_eq_u32 s7, 0
	s_cselect_b32 s10, s10, -1
	s_delay_alu instid0(SALU_CYCLE_1)
	s_cmp_lg_u32 s10, 0
	s_cselect_b32 s9, s9, s7
	s_cselect_b32 s8, s8, s4
	s_cbranch_execnz .LBB189_71
.LBB189_70:                             ;   in Loop: Header=BB189_31 Depth=1
	v_cvt_f32_u32_e32 v4, s78
	s_sub_co_i32 s7, 0, s78
	s_delay_alu instid0(VALU_DEP_1) | instskip(SKIP_1) | instid1(TRANS32_DEP_1)
	v_rcp_iflag_f32_e32 v4, v4
	v_nop
	v_mul_f32_e32 v4, 0x4f7ffffe, v4
	s_delay_alu instid0(VALU_DEP_1) | instskip(NEXT) | instid1(VALU_DEP_1)
	v_cvt_u32_f32_e32 v4, v4
	v_readfirstlane_b32 s4, v4
	s_mul_i32 s7, s7, s4
	s_delay_alu instid0(SALU_CYCLE_1) | instskip(NEXT) | instid1(SALU_CYCLE_1)
	s_mul_hi_u32 s7, s4, s7
	s_add_co_i32 s4, s4, s7
	s_delay_alu instid0(SALU_CYCLE_1) | instskip(NEXT) | instid1(SALU_CYCLE_1)
	s_mul_hi_u32 s4, s36, s4
	s_mul_i32 s4, s4, s78
	s_delay_alu instid0(SALU_CYCLE_1) | instskip(NEXT) | instid1(SALU_CYCLE_1)
	s_sub_co_i32 s4, s36, s4
	s_sub_co_i32 s7, s4, s78
	s_cmp_ge_u32 s4, s78
	s_cselect_b32 s4, s7, s4
	s_delay_alu instid0(SALU_CYCLE_1) | instskip(SKIP_2) | instid1(SALU_CYCLE_1)
	s_sub_co_i32 s7, s4, s78
	s_cmp_ge_u32 s4, s78
	s_cselect_b32 s26, s7, s4
	s_mov_b64 s[8:9], s[26:27]
.LBB189_71:                             ;   in Loop: Header=BB189_31 Depth=1
	v_mov_b64_e32 v[8:9], 0
	v_mov_b64_e32 v[10:11], 0
	;; [unrolled: 1-line block ×4, first 2 shown]
	v_and_b32_e32 v4, 0xffff, v2
	v_mov_b32_e32 v5, v21
	s_sub_nc_u64 s[80:81], s[36:37], s[8:9]
	s_mov_b32 s46, exec_lo
	v_cmpx_gt_u64_e64 s[80:81], v[22:23]
	s_cbranch_execz .LBB189_75
; %bb.72:                               ;   in Loop: Header=BB189_31 Depth=1
	v_readlane_b32 s8, v74, 12
	v_readlane_b32 s9, v74, 13
	v_mov_b64_e32 v[44:45], v[30:31]
	v_mov_b64_e32 v[46:47], v[28:29]
	;; [unrolled: 1-line block ×4, first 2 shown]
	v_mul_u64_e32 v[42:43], s[8:9], v[4:5]
	v_mov_b64_e32 v[52:53], v[22:23]
	s_mov_b64 s[82:83], 0
	s_mov_b32 s47, 0
	s_mov_b64 s[84:85], 0
	s_mov_b64 s[86:87], 0
	s_mov_b64 s[88:89], 0
.LBB189_73:                             ;   Parent Loop BB189_31 Depth=1
                                        ; =>  This Inner Loop Header: Depth=2
	v_add_nc_u64_e32 v[8:9], s[58:59], v[44:45]
	v_add_nc_u64_e32 v[10:11], s[58:59], v[46:47]
	;; [unrolled: 1-line block ×7, first 2 shown]
	global_load_b64 v[14:15], v[8:9], off
	global_load_b64 v[12:13], v[10:11], off
	;; [unrolled: 1-line block ×4, first 2 shown]
	s_wait_xcnt 0x1
	v_dual_mov_b32 v65, v21 :: v_dual_mov_b32 v55, v21
	s_wait_xcnt 0x0
	v_mov_b32_e32 v63, v21
	v_cmp_le_u64_e32 vcc_lo, s[80:81], v[52:53]
	v_add_nc_u64_e32 v[46:47], v[46:47], v[42:43]
	v_add_nc_u64_e32 v[44:45], v[44:45], v[42:43]
	s_wait_loadcnt 0x3
	v_cmp_o_f64_e64 s7, v[14:15], v[14:15]
	s_wait_loadcnt 0x2
	v_cmp_o_f64_e64 s8, v[12:13], v[12:13]
	;; [unrolled: 2-line block ×4, first 2 shown]
	v_dual_ashrrev_i32 v2, 31, v15 :: v_dual_ashrrev_i32 v20, 31, v13
	v_dual_ashrrev_i32 v54, 31, v11 :: v_dual_ashrrev_i32 v61, 31, v9
	s_delay_alu instid0(VALU_DEP_2) | instskip(SKIP_1) | instid1(VALU_DEP_3)
	v_or_b32_e32 v62, 0x80000000, v2
	v_xor_b32_e32 v2, v2, v14
	v_or_b32_e32 v66, 0x80000000, v54
	s_delay_alu instid0(VALU_DEP_4)
	v_or_b32_e32 v67, 0x80000000, v61
	v_or_b32_e32 v64, 0x80000000, v20
	v_xor_b32_e32 v62, v62, v15
	v_xor_b32_e32 v20, v20, v12
	;; [unrolled: 1-line block ×6, first 2 shown]
	v_dual_cndmask_b32 v8, -1, v2, s7 :: v_dual_bitop2_b32 v61, v61, v8 bitop3:0x14
	s_delay_alu instid0(VALU_DEP_2) | instskip(NEXT) | instid1(VALU_DEP_4)
	v_cndmask_b32_e64 v11, -1, v14, s8
	v_cndmask_b32_e64 v15, -1, v10, s10
	v_dual_cndmask_b32 v9, -1, v62, s7 :: v_dual_cndmask_b32 v10, -1, v20, s8
	v_dual_cndmask_b32 v13, -1, v12, s9 :: v_dual_cndmask_b32 v12, -1, v54, s9
	v_and_b32_e32 v66, v8, v38
	s_delay_alu instid0(VALU_DEP_3)
	v_dual_cndmask_b32 v14, -1, v61, s10 :: v_dual_bitop2_b32 v67, v9, v39 bitop3:0x40
	v_lshrrev_b64 v[8:9], s98, v[8:9]
	v_and_b32_e32 v69, v11, v39
	v_and_b32_e32 v68, v10, v38
	v_lshrrev_b64 v[10:11], s98, v[10:11]
	v_and_b32_e32 v71, v13, v39
	v_and_b32_e32 v70, v12, v38
	;; [unrolled: 3-line block ×4, first 2 shown]
	v_cmp_eq_u64_e64 s7, v[66:67], v[32:33]
	v_and_b32_e32 v62, 3, v12
	v_cmp_eq_u64_e64 s8, v[68:69], v[32:33]
	v_cmp_eq_u64_e64 s11, 0, v[20:21]
	v_and_b32_e32 v64, 3, v14
	v_cmp_eq_u64_e64 s12, 0, v[54:55]
	v_cmp_eq_u64_e64 s9, v[70:71], v[32:33]
	;; [unrolled: 1-line block ×5, first 2 shown]
	s_and_b32 s4, s7, s11
	v_cmp_eq_u64_e64 s15, 1, v[20:21]
	v_cndmask_b32_e64 v2, 0, 1, s4
	s_and_b32 s4, s8, s12
	v_cmp_eq_u64_e64 s16, 1, v[54:55]
	v_cndmask_b32_e64 v8, 0, 1, s4
	;; [unrolled: 3-line block ×12, first 2 shown]
	s_and_b32 s4, s7, s23
	v_cmp_ne_u32_e64 s7, 0, v2
	v_cndmask_b32_e64 v61, 0, 1, s4
	s_and_b32 s4, s8, s24
	v_cmp_ne_u32_e64 s8, 0, v8
	v_cndmask_b32_e64 v62, 0, 1, s4
	;; [unrolled: 3-line block ×3, first 2 shown]
	s_and_b32 s4, s10, s26
	v_cmp_ne_u32_e64 s10, 0, v10
	v_cmp_ne_u32_e64 s11, 0, v11
	v_cmp_ne_u32_e64 s12, 0, v12
	v_cmp_ne_u32_e64 s13, 0, v13
	v_cmp_ne_u32_e64 s14, 0, v14
	v_cmp_ne_u32_e64 s15, 0, v15
	v_cmp_ne_u32_e64 s16, 0, v20
	v_cndmask_b32_e64 v64, 0, 1, s4
	s_bcnt1_i32_b32 s4, s7
	s_bcnt1_i32_b32 s7, s8
	v_cmp_ne_u32_e64 s17, 0, v54
	v_cmp_ne_u32_e64 s18, 0, v55
	;; [unrolled: 1-line block ×4, first 2 shown]
	s_bcnt1_i32_b32 s8, s9
	s_bcnt1_i32_b32 s9, s10
	;; [unrolled: 1-line block ×4, first 2 shown]
	s_add_co_i32 s4, s7, s4
	v_cmp_ne_u32_e64 s21, 0, v63
	s_bcnt1_i32_b32 s12, s13
	s_bcnt1_i32_b32 s13, s14
	;; [unrolled: 1-line block ×4, first 2 shown]
	s_add_co_i32 s7, s11, s10
	s_add_co_i32 s4, s4, s8
	v_cmp_ne_u32_e64 s22, 0, v64
	s_bcnt1_i32_b32 s16, s17
	s_bcnt1_i32_b32 s17, s18
	;; [unrolled: 1-line block ×4, first 2 shown]
	s_add_co_i32 s10, s15, s14
	s_add_co_i32 s7, s7, s12
	;; [unrolled: 1-line block ×3, first 2 shown]
	s_bcnt1_i32_b32 s20, s21
	s_add_co_i32 s11, s19, s18
	s_add_co_i32 s8, s10, s16
	s_add_nc_u64 s[88:89], s[88:89], s[26:27]
	s_add_co_i32 s26, s7, s13
	s_bcnt1_i32_b32 s21, s22
	s_add_co_i32 s10, s11, s20
	s_add_nc_u64 s[86:87], s[86:87], s[26:27]
	s_add_co_i32 s26, s8, s17
	v_mov_b64_e32 v[8:9], s[88:89]
	s_add_nc_u64 s[84:85], s[84:85], s[26:27]
	s_add_co_i32 s26, s10, s21
	v_mov_b64_e32 v[10:11], s[86:87]
	s_add_nc_u64 s[82:83], s[82:83], s[26:27]
	v_mov_b64_e32 v[12:13], s[84:85]
	v_mov_b64_e32 v[14:15], s[82:83]
	s_or_b32 s47, vcc_lo, s47
	s_delay_alu instid0(SALU_CYCLE_1)
	s_and_not1_b32 exec_lo, exec_lo, s47
	s_cbranch_execnz .LBB189_73
; %bb.74:                               ;   in Loop: Header=BB189_31 Depth=1
	s_or_b32 exec_lo, exec_lo, s47
.LBB189_75:                             ;   in Loop: Header=BB189_31 Depth=1
	s_delay_alu instid0(SALU_CYCLE_1) | instskip(SKIP_2) | instid1(VALU_DEP_1)
	s_or_b32 exec_lo, exec_lo, s46
	v_add_nc_u64_e32 v[42:43], s[80:81], v[0:1]
	s_mov_b32 s10, exec_lo
	v_cmpx_gt_u64_e64 s[36:37], v[42:43]
	s_cbranch_execz .LBB189_81
; %bb.76:                               ;   in Loop: Header=BB189_31 Depth=1
	v_mul_u64_e32 v[44:45], s[30:31], v[42:43]
	s_mov_b32 s11, 0
	s_delay_alu instid0(VALU_DEP_1)
	v_lshl_add_u64 v[44:45], v[44:45], 3, s[60:61]
	global_load_b64 v[46:47], v[44:45], off
	s_branch .LBB189_78
.LBB189_77:                             ;   in Loop: Header=BB189_78 Depth=2
	s_wait_xcnt 0x0
	s_or_b32 exec_lo, exec_lo, s4
	s_wait_loadcnt 0x0
	v_cmp_o_f64_e64 s7, v[46:47], v[46:47]
	v_ashrrev_i32_e32 v2, 31, v47
	s_and_b32 s4, exec_lo, vcc_lo
	s_delay_alu instid0(SALU_CYCLE_1) | instskip(NEXT) | instid1(VALU_DEP_1)
	s_or_b32 s11, s4, s11
	v_or_b32_e32 v20, 0x80000000, v2
	s_delay_alu instid0(VALU_DEP_1) | instskip(NEXT) | instid1(VALU_DEP_1)
	v_xor_b32_e32 v20, v20, v47
	v_dual_cndmask_b32 v47, -1, v20, s7 :: v_dual_bitop2_b32 v2, v2, v46 bitop3:0x14
	s_delay_alu instid0(VALU_DEP_1) | instskip(NEXT) | instid1(VALU_DEP_1)
	v_cndmask_b32_e64 v46, -1, v2, s7
	v_lshrrev_b64 v[48:49], s98, v[46:47]
	v_and_b32_e32 v47, v47, v39
	v_and_b32_e32 v46, v46, v38
	s_delay_alu instid0(VALU_DEP_1) | instskip(NEXT) | instid1(VALU_DEP_4)
	v_cmp_eq_u64_e64 s7, v[46:47], v[32:33]
	v_and_b32_e32 v20, 3, v48
	v_mov_b64_e32 v[46:47], v[44:45]
	s_delay_alu instid0(VALU_DEP_2)
	v_cmp_eq_u64_e64 s8, 0, v[20:21]
	v_cmp_eq_u64_e32 vcc_lo, 1, v[20:21]
	v_cmp_eq_u64_e64 s9, 2, v[20:21]
	s_and_b32 s4, s7, s8
	v_cmp_eq_u64_e64 s8, 3, v[20:21]
	v_cndmask_b32_e64 v2, 0, 1, s4
	s_and_b32 s4, s7, vcc_lo
	s_delay_alu instid0(SALU_CYCLE_1) | instskip(SKIP_1) | instid1(VALU_DEP_2)
	v_cndmask_b32_e64 v20, 0, 1, s4
	s_and_b32 s4, s7, s9
	v_cmp_ne_u32_e32 vcc_lo, 0, v2
	v_cndmask_b32_e64 v2, 0, 1, s4
	s_and_b32 s4, s7, s8
	v_cmp_ne_u32_e64 s9, 0, v20
	v_cndmask_b32_e64 v20, 0, 1, s4
	s_bcnt1_i32_b32 s26, vcc_lo
	v_cmp_ne_u32_e32 vcc_lo, 0, v2
	v_add_nc_u64_e32 v[8:9], s[26:27], v[8:9]
	s_bcnt1_i32_b32 s26, s9
	v_cmp_ne_u32_e64 s7, 0, v20
	v_add_nc_u64_e32 v[10:11], s[26:27], v[10:11]
	s_bcnt1_i32_b32 s26, vcc_lo
	s_delay_alu instid0(SALU_CYCLE_1) | instskip(SKIP_1) | instid1(SALU_CYCLE_1)
	v_add_nc_u64_e32 v[12:13], s[26:27], v[12:13]
	s_bcnt1_i32_b32 s26, s7
	v_add_nc_u64_e32 v[14:15], s[26:27], v[14:15]
	s_and_not1_b32 exec_lo, exec_lo, s11
	s_cbranch_execz .LBB189_80
.LBB189_78:                             ;   Parent Loop BB189_31 Depth=1
                                        ; =>  This Inner Loop Header: Depth=2
	v_add_nc_u64_e32 v[42:43], v[42:43], v[4:5]
	s_wait_xcnt 0x0
	v_mov_b64_e32 v[44:45], 0
	s_mov_b32 s4, exec_lo
	s_delay_alu instid0(VALU_DEP_2)
	v_cmp_le_u64_e32 vcc_lo, s[36:37], v[42:43]
	v_cmpx_gt_u64_e64 s[36:37], v[42:43]
	s_cbranch_execz .LBB189_77
; %bb.79:                               ;   in Loop: Header=BB189_78 Depth=2
	v_mul_u64_e32 v[44:45], s[30:31], v[42:43]
	s_delay_alu instid0(VALU_DEP_1)
	v_lshl_add_u64 v[44:45], v[44:45], 3, s[60:61]
	global_load_b64 v[44:45], v[44:45], off
	s_branch .LBB189_77
.LBB189_80:                             ;   in Loop: Header=BB189_31 Depth=1
	s_or_b32 exec_lo, exec_lo, s11
.LBB189_81:                             ;   in Loop: Header=BB189_31 Depth=1
	s_delay_alu instid0(SALU_CYCLE_1)
	s_or_b32 exec_lo, exec_lo, s10
	s_branch .LBB189_60
.LBB189_82:                             ;   in Loop: Header=BB189_31 Depth=1
	global_load_u16 v2, v21, s[72:73]
	v_mov_b32_e32 v5, v21
	s_mov_b32 s81, s27
	v_mov_b64_e32 v[10:11], 0
	v_mov_b64_e32 v[12:13], 0
	;; [unrolled: 1-line block ×3, first 2 shown]
	s_mov_b32 s47, exec_lo
	s_wait_loadcnt 0x0
	v_readfirstlane_b32 s4, v2
	s_and_b32 s46, 0xffff, s4
	s_delay_alu instid0(SALU_CYCLE_1) | instskip(NEXT) | instid1(SALU_CYCLE_1)
	s_lshl_b32 s78, s46, 2
	s_cvt_f32_u32 s4, s78
	s_sub_co_i32 s7, 0, s78
	s_delay_alu instid0(SALU_CYCLE_2) | instskip(SKIP_1) | instid1(TRANS32_DEP_1)
	v_rcp_iflag_f32_e32 v4, s4
	v_nop
	v_readfirstlane_b32 s4, v4
	v_and_b32_e32 v4, 0xffff, v2
	s_mul_f32 s4, s4, 0x4f7ffffe
	s_delay_alu instid0(SALU_CYCLE_3) | instskip(NEXT) | instid1(SALU_CYCLE_3)
	s_cvt_u32_f32 s4, s4
	s_mul_i32 s7, s7, s4
	s_delay_alu instid0(SALU_CYCLE_1) | instskip(NEXT) | instid1(SALU_CYCLE_1)
	s_mul_hi_u32 s7, s4, s7
	s_add_co_i32 s4, s4, s7
	s_delay_alu instid0(SALU_CYCLE_1) | instskip(NEXT) | instid1(SALU_CYCLE_1)
	s_mul_hi_u32 s4, s76, s4
	s_mul_i32 s7, s4, s78
	s_add_co_i32 s8, s4, 1
	s_sub_co_i32 s7, s76, s7
	s_delay_alu instid0(SALU_CYCLE_1)
	s_sub_co_i32 s9, s7, s78
	s_cmp_ge_u32 s7, s78
	s_cselect_b32 s4, s8, s4
	s_cselect_b32 s7, s9, s7
	s_add_co_i32 s8, s4, 1
	s_cmp_ge_u32 s7, s78
	s_cselect_b32 s80, s8, s4
	s_delay_alu instid0(SALU_CYCLE_1) | instskip(NEXT) | instid1(VALU_DEP_1)
	v_mul_u64_e32 v[8:9], s[80:81], v[4:5]
	v_lshlrev_b64_e32 v[42:43], 2, v[8:9]
	v_mov_b64_e32 v[8:9], 0
	s_delay_alu instid0(VALU_DEP_2)
	v_cmpx_gt_u64_e64 v[42:43], v[22:23]
	s_cbranch_execz .LBB189_86
; %bb.83:                               ;   in Loop: Header=BB189_31 Depth=1
	v_mov_b64_e32 v[44:45], v[22:23]
	v_mov_b32_e32 v2, v57
	s_mov_b32 s79, s27
	s_lshl_b32 s56, s46, 5
	s_mov_b64 s[82:83], 0
	s_mov_b32 s57, 0
	s_mov_b64 s[84:85], 0
	s_mov_b64 s[86:87], 0
	;; [unrolled: 1-line block ×3, first 2 shown]
.LBB189_84:                             ;   Parent Loop BB189_31 Depth=1
                                        ; =>  This Inner Loop Header: Depth=2
	ds_load_b128 v[12:15], v2
	ds_load_b128 v[8:11], v2 offset:16
	v_dual_mov_b32 v47, v21 :: v_dual_mov_b32 v49, v21
	v_dual_mov_b32 v51, v21 :: v_dual_add_nc_u32 v2, s56, v2
	v_add_nc_u64_e32 v[44:45], s[78:79], v[44:45]
	s_delay_alu instid0(VALU_DEP_1)
	v_cmp_ge_u64_e32 vcc_lo, v[44:45], v[42:43]
	s_wait_dscnt 0x1
	v_cmp_o_f64_e64 s7, v[12:13], v[12:13]
	v_cmp_o_f64_e64 s8, v[14:15], v[14:15]
	s_wait_dscnt 0x0
	v_cmp_o_f64_e64 s10, v[10:11], v[10:11]
	v_cmp_o_f64_e64 s9, v[8:9], v[8:9]
	v_dual_ashrrev_i32 v20, 31, v13 :: v_dual_ashrrev_i32 v46, 31, v15
	v_dual_ashrrev_i32 v48, 31, v9 :: v_dual_ashrrev_i32 v50, 31, v11
	s_delay_alu instid0(VALU_DEP_2) | instskip(NEXT) | instid1(VALU_DEP_3)
	v_or_b32_e32 v52, 0x80000000, v20
	v_or_b32_e32 v53, 0x80000000, v46
	s_delay_alu instid0(VALU_DEP_3) | instskip(NEXT) | instid1(VALU_DEP_4)
	v_or_b32_e32 v54, 0x80000000, v48
	v_or_b32_e32 v55, 0x80000000, v50
	v_xor_b32_e32 v20, v20, v12
	v_xor_b32_e32 v52, v52, v13
	;; [unrolled: 1-line block ×6, first 2 shown]
	s_delay_alu instid0(VALU_DEP_4) | instskip(NEXT) | instid1(VALU_DEP_2)
	v_dual_cndmask_b32 v11, -1, v12, s8 :: v_dual_bitop2_b32 v50, v50, v10 bitop3:0x14
	v_cndmask_b32_e64 v15, -1, v8, s10
	v_dual_cndmask_b32 v8, -1, v20, s7 :: v_dual_bitop2_b32 v46, v46, v14 bitop3:0x14
	v_dual_cndmask_b32 v9, -1, v52, s7 :: v_dual_cndmask_b32 v13, -1, v13, s9
	s_delay_alu instid0(VALU_DEP_2) | instskip(NEXT) | instid1(VALU_DEP_2)
	v_dual_cndmask_b32 v12, -1, v48, s9 :: v_dual_bitop2_b32 v52, v8, v38 bitop3:0x40
	v_dual_cndmask_b32 v10, -1, v46, s8 :: v_dual_bitop2_b32 v53, v9, v39 bitop3:0x40
	v_lshrrev_b64 v[8:9], s98, v[8:9]
	v_dual_cndmask_b32 v14, -1, v50, s10 :: v_dual_bitop2_b32 v55, v11, v39 bitop3:0x40
	s_delay_alu instid0(VALU_DEP_3)
	v_and_b32_e32 v54, v10, v38
	v_lshrrev_b64 v[10:11], s98, v[10:11]
	v_and_b32_e32 v63, v13, v39
	v_and_b32_e32 v62, v12, v38
	v_lshrrev_b64 v[12:13], s98, v[12:13]
	v_and_b32_e32 v65, v15, v39
	;; [unrolled: 3-line block ×3, first 2 shown]
	v_and_b32_e32 v46, 3, v10
	v_cmp_eq_u64_e64 s7, v[52:53], v[32:33]
	v_and_b32_e32 v48, 3, v12
	v_cmp_eq_u64_e64 s8, v[54:55], v[32:33]
	v_cmp_eq_u64_e64 s11, 0, v[20:21]
	v_and_b32_e32 v50, 3, v14
	v_cmp_eq_u64_e64 s12, 0, v[46:47]
	v_cmp_eq_u64_e64 s9, v[62:63], v[32:33]
	;; [unrolled: 1-line block ×5, first 2 shown]
	s_and_b32 s4, s7, s11
	v_cmp_eq_u64_e64 s15, 1, v[20:21]
	v_cndmask_b32_e64 v8, 0, 1, s4
	s_and_b32 s4, s8, s12
	v_cmp_eq_u64_e64 s16, 1, v[46:47]
	v_cndmask_b32_e64 v9, 0, 1, s4
	;; [unrolled: 3-line block ×12, first 2 shown]
	s_and_b32 s4, s7, s23
	v_cmp_ne_u32_e64 s7, 0, v8
	v_cndmask_b32_e64 v49, 0, 1, s4
	s_and_b32 s4, s8, s24
	v_cmp_ne_u32_e64 s8, 0, v9
	v_cndmask_b32_e64 v50, 0, 1, s4
	;; [unrolled: 3-line block ×3, first 2 shown]
	s_and_b32 s4, s10, s26
	v_cmp_ne_u32_e64 s10, 0, v11
	v_cmp_ne_u32_e64 s11, 0, v12
	;; [unrolled: 1-line block ×7, first 2 shown]
	v_cndmask_b32_e64 v52, 0, 1, s4
	s_bcnt1_i32_b32 s4, s7
	s_bcnt1_i32_b32 s7, s8
	v_cmp_ne_u32_e64 s17, 0, v47
	v_cmp_ne_u32_e64 s18, 0, v48
	;; [unrolled: 1-line block ×4, first 2 shown]
	s_bcnt1_i32_b32 s8, s9
	s_bcnt1_i32_b32 s9, s10
	;; [unrolled: 1-line block ×4, first 2 shown]
	s_add_co_i32 s4, s7, s4
	v_cmp_ne_u32_e64 s21, 0, v51
	s_bcnt1_i32_b32 s12, s13
	s_bcnt1_i32_b32 s13, s14
	;; [unrolled: 1-line block ×4, first 2 shown]
	s_add_co_i32 s7, s11, s10
	s_add_co_i32 s4, s4, s8
	v_cmp_ne_u32_e64 s22, 0, v52
	s_bcnt1_i32_b32 s16, s17
	s_bcnt1_i32_b32 s17, s18
	s_bcnt1_i32_b32 s18, s19
	s_bcnt1_i32_b32 s19, s20
	s_add_co_i32 s10, s15, s14
	s_add_co_i32 s7, s7, s12
	;; [unrolled: 1-line block ×3, first 2 shown]
	s_bcnt1_i32_b32 s20, s21
	s_add_co_i32 s11, s19, s18
	s_add_co_i32 s8, s10, s16
	s_add_nc_u64 s[88:89], s[88:89], s[26:27]
	s_add_co_i32 s26, s7, s13
	s_bcnt1_i32_b32 s21, s22
	s_add_co_i32 s10, s11, s20
	s_add_nc_u64 s[86:87], s[86:87], s[26:27]
	s_add_co_i32 s26, s8, s17
	v_mov_b64_e32 v[8:9], s[88:89]
	s_add_nc_u64 s[84:85], s[84:85], s[26:27]
	s_add_co_i32 s26, s10, s21
	v_mov_b64_e32 v[10:11], s[86:87]
	s_add_nc_u64 s[82:83], s[82:83], s[26:27]
	v_mov_b64_e32 v[12:13], s[84:85]
	v_mov_b64_e32 v[14:15], s[82:83]
	s_or_b32 s57, vcc_lo, s57
	s_delay_alu instid0(SALU_CYCLE_1)
	s_and_not1_b32 exec_lo, exec_lo, s57
	s_cbranch_execnz .LBB189_84
; %bb.85:                               ;   in Loop: Header=BB189_31 Depth=1
	s_or_b32 exec_lo, exec_lo, s57
.LBB189_86:                             ;   in Loop: Header=BB189_31 Depth=1
	s_delay_alu instid0(SALU_CYCLE_1) | instskip(SKIP_3) | instid1(VALU_DEP_1)
	s_or_b32 exec_lo, exec_lo, s47
	v_add_nc_u64_e32 v[42:43], v[42:43], v[0:1]
	s_and_b64 s[12:13], s[76:77], 0x7fffffff
	s_mov_b32 s14, exec_lo
	v_cmpx_gt_u64_e64 s[12:13], v[42:43]
	s_cbranch_execz .LBB189_90
; %bb.87:                               ;   in Loop: Header=BB189_31 Depth=1
	s_mul_i32 s4, s80, s46
	s_lshl_b32 s16, s46, 3
	v_lshl_add_u32 v2, s4, 5, v56
	s_mov_b32 s15, 0
.LBB189_88:                             ;   Parent Loop BB189_31 Depth=1
                                        ; =>  This Inner Loop Header: Depth=2
	ds_load_b64 v[44:45], v2
	v_add_nc_u64_e32 v[42:43], v[42:43], v[4:5]
	v_add_nc_u32_e32 v2, s16, v2
	s_delay_alu instid0(VALU_DEP_2) | instskip(SKIP_3) | instid1(VALU_DEP_1)
	v_cmp_le_u64_e64 s7, s[12:13], v[42:43]
	s_wait_dscnt 0x0
	v_cmp_o_f64_e32 vcc_lo, v[44:45], v[44:45]
	v_ashrrev_i32_e32 v20, 31, v45
	v_or_b32_e32 v46, 0x80000000, v20
	s_delay_alu instid0(VALU_DEP_1) | instskip(NEXT) | instid1(VALU_DEP_1)
	v_xor_b32_e32 v46, v46, v45
	v_dual_cndmask_b32 v45, -1, v46, vcc_lo :: v_dual_bitop2_b32 v20, v20, v44 bitop3:0x14
	s_delay_alu instid0(VALU_DEP_1) | instskip(NEXT) | instid1(VALU_DEP_1)
	v_dual_cndmask_b32 v44, -1, v20, vcc_lo :: v_dual_bitop2_b32 v47, v45, v39 bitop3:0x40
	v_lshrrev_b64 v[48:49], s98, v[44:45]
	v_and_b32_e32 v46, v44, v38
	s_delay_alu instid0(VALU_DEP_1) | instskip(NEXT) | instid1(VALU_DEP_3)
	v_cmp_eq_u64_e32 vcc_lo, v[46:47], v[32:33]
	v_and_b32_e32 v20, 3, v48
	s_delay_alu instid0(VALU_DEP_1) | instskip(SKIP_4) | instid1(SALU_CYCLE_1)
	v_cmp_eq_u64_e64 s8, 0, v[20:21]
	v_cmp_eq_u64_e64 s9, 1, v[20:21]
	;; [unrolled: 1-line block ×4, first 2 shown]
	s_and_b32 s4, vcc_lo, s8
	v_cndmask_b32_e64 v20, 0, 1, s4
	s_and_b32 s4, vcc_lo, s9
	s_delay_alu instid0(SALU_CYCLE_1) | instskip(SKIP_1) | instid1(SALU_CYCLE_1)
	v_cndmask_b32_e64 v44, 0, 1, s4
	s_and_b32 s4, vcc_lo, s10
	v_cndmask_b32_e64 v45, 0, 1, s4
	s_and_b32 s4, vcc_lo, s11
	v_cmp_ne_u32_e32 vcc_lo, 0, v20
	v_cndmask_b32_e64 v46, 0, 1, s4
	v_cmp_ne_u32_e64 s8, 0, v44
	v_cmp_ne_u32_e64 s9, 0, v45
	s_bcnt1_i32_b32 s26, vcc_lo
	v_cmp_ne_u32_e64 s10, 0, v46
	v_add_nc_u64_e32 v[8:9], s[26:27], v[8:9]
	s_bcnt1_i32_b32 s26, s8
	s_delay_alu instid0(SALU_CYCLE_1) | instskip(SKIP_1) | instid1(SALU_CYCLE_1)
	v_add_nc_u64_e32 v[10:11], s[26:27], v[10:11]
	s_bcnt1_i32_b32 s26, s9
	v_add_nc_u64_e32 v[12:13], s[26:27], v[12:13]
	s_bcnt1_i32_b32 s26, s10
	s_or_b32 s15, s7, s15
	v_add_nc_u64_e32 v[14:15], s[26:27], v[14:15]
	s_and_not1_b32 exec_lo, exec_lo, s15
	s_cbranch_execnz .LBB189_88
; %bb.89:                               ;   in Loop: Header=BB189_31 Depth=1
	s_or_b32 exec_lo, exec_lo, s15
.LBB189_90:                             ;   in Loop: Header=BB189_31 Depth=1
	s_delay_alu instid0(SALU_CYCLE_1)
	s_or_b32 exec_lo, exec_lo, s14
	s_lshl_b32 s7, s102, 7
	s_and_saveexec_b32 s4, s2
	s_cbranch_execnz .LBB189_61
	s_branch .LBB189_62
.LBB189_91:                             ;   in Loop: Header=BB189_31 Depth=1
                                        ; implicit-def: $sgpr8_sgpr9
	s_branch .LBB189_70
.LBB189_92:                             ;   in Loop: Header=BB189_31 Depth=1
	s_mov_b32 s4, 0
	s_and_not1_b32 vcc_lo, exec_lo, s96
	s_cbranch_vccnz .LBB189_95
.LBB189_93:                             ;   in Loop: Header=BB189_31 Depth=1
	s_lshl_b32 s9, s102, 10
	s_lshl_b32 s4, s4, 5
	s_delay_alu instid0(SALU_CYCLE_1)
	v_add3_u32 v2, s9, s4, v60
	v_readlane_b32 s4, v74, 9
.LBB189_94:                             ;   Parent Loop BB189_31 Depth=1
                                        ; =>  This Inner Loop Header: Depth=2
	ds_load_b64 v[8:9], v2
	v_add_nc_u32_e32 v2, 32, v2
	s_add_co_i32 s4, s4, -1
	s_delay_alu instid0(SALU_CYCLE_1)
	s_cmp_lg_u32 s4, 0
	s_wait_dscnt 0x0
	v_add_nc_u64_e32 v[4:5], v[8:9], v[4:5]
	s_cbranch_scc1 .LBB189_94
.LBB189_95:                             ;   in Loop: Header=BB189_31 Depth=1
	v_add_lshl_u32 v2, s7, v17, 3
	ds_store_b64 v2, v[4:5] offset:3072
.LBB189_96:                             ;   in Loop: Header=BB189_31 Depth=1
	s_or_b32 exec_lo, exec_lo, s8
	s_lshl_b32 s4, s7, 3
	s_wait_dscnt 0x0
	v_mov_b32_e32 v2, s4
	s_barrier_signal -1
	s_barrier_wait -1
	v_cmp_eq_u64_e64 s7, 1, v[40:41]
	ds_load_b128 v[8:11], v2 offset:3072
	ds_load_b128 v[12:15], v2 offset:3088
	s_lshl_b64 s[12:13], 3, s98
	s_mov_b32 s81, -1
	s_not_b64 s[14:15], s[12:13]
	s_mov_b32 s76, 0
	s_and_not1_b32 vcc_lo, exec_lo, s91
	s_mov_b32 s78, 0
	s_mov_b32 s77, 0
                                        ; implicit-def: $sgpr79
                                        ; implicit-def: $sgpr80
                                        ; implicit-def: $vgpr42_vgpr43
                                        ; implicit-def: $vgpr20
	s_wait_dscnt 0x1
	v_readfirstlane_b32 s11, v9
	v_readfirstlane_b32 s10, v8
	;; [unrolled: 1-line block ×4, first 2 shown]
	s_wait_dscnt 0x0
	v_readfirstlane_b32 s19, v13
	v_readfirstlane_b32 s18, v12
	;; [unrolled: 1-line block ×4, first 2 shown]
                                        ; implicit-def: $vgpr14_vgpr15
                                        ; implicit-def: $vgpr12_vgpr13
                                        ; implicit-def: $vgpr10_vgpr11
	s_cbranch_vccnz .LBB189_299
; %bb.97:                               ;   in Loop: Header=BB189_31 Depth=1
	v_mov_b64_e32 v[14:15], v[32:33]
	v_mov_b64_e32 v[12:13], v[38:39]
	;; [unrolled: 1-line block ×3, first 2 shown]
	s_cmp_eq_u64 s[10:11], 1
                                        ; implicit-def: $sgpr80
                                        ; implicit-def: $sgpr79
	s_cselect_b32 s4, -1, 0
	s_delay_alu instid0(SALU_CYCLE_1)
	s_and_b32 s56, s4, s7
	s_mov_b32 s4, -1
	s_and_saveexec_b32 s57, s56
	s_cbranch_execz .LBB189_134
; %bb.98:                               ;   in Loop: Header=BB189_31 Depth=1
	ds_load_b64 v[4:5], v21 offset:5120
	s_wait_dscnt 0x0
	s_barrier_signal -1
	s_barrier_wait -1
	v_readfirstlane_b32 s8, v4
	v_readfirstlane_b32 s9, v5
	s_and_saveexec_b32 s4, s6
; %bb.99:                               ;   in Loop: Header=BB189_31 Depth=1
	ds_store_b64 v58, v[36:37]
; %bb.100:                              ;   in Loop: Header=BB189_31 Depth=1
	s_or_b32 exec_lo, exec_lo, s4
	v_and_b32_e32 v15, s15, v33
	v_and_b32_e32 v14, s14, v32
	v_or_b32_e32 v13, s13, v39
	v_or_b32_e32 v12, s12, v38
	s_mov_b32 s79, -1
	s_mov_b32 s80, 0
	s_cmp_eq_u64 s[8:9], 0
	s_mov_b32 s24, 0
	s_mov_b32 s25, -1
	s_wait_dscnt 0x0
	s_barrier_signal -1
	s_barrier_wait -1
                                        ; implicit-def: $vgpr10_vgpr11
	s_cbranch_scc1 .LBB189_118
; %bb.101:                              ;   in Loop: Header=BB189_31 Depth=1
	s_add_nc_u64 s[22:23], s[8:9], s[62:63]
	s_delay_alu instid0(SALU_CYCLE_1) | instskip(NEXT) | instid1(SALU_CYCLE_1)
	s_and_b64 s[24:25], s[22:23], 0xffffffff00000000
	s_cmp_lg_u64 s[24:25], 0
	s_cbranch_scc0 .LBB189_161
; %bb.102:                              ;   in Loop: Header=BB189_31 Depth=1
	s_cvt_f32_u32 s4, s34
	s_sub_nc_u64 s[46:47], 0, s[34:35]
	s_delay_alu instid0(SALU_CYCLE_2) | instskip(NEXT) | instid1(SALU_CYCLE_3)
	s_fmamk_f32 s4, s100, 0x0, s4
	v_s_rcp_f32 s4, s4
	s_delay_alu instid0(TRANS32_DEP_1) | instskip(NEXT) | instid1(SALU_CYCLE_3)
	s_mul_f32 s4, s4, 0x5f7ffffc
	s_mul_f32 s24, s4, 0x2f800000
	s_delay_alu instid0(SALU_CYCLE_3) | instskip(NEXT) | instid1(SALU_CYCLE_3)
	s_trunc_f32 s24, s24
	s_fmamk_f32 s4, s24, 0xcf800000, s4
	s_cvt_u32_f32 s25, s24
	s_delay_alu instid0(SALU_CYCLE_2) | instskip(NEXT) | instid1(SALU_CYCLE_3)
	s_cvt_u32_f32 s24, s4
	s_mul_u64 s[66:67], s[46:47], s[24:25]
	s_delay_alu instid0(SALU_CYCLE_1)
	s_mul_hi_u32 s71, s24, s67
	s_mul_i32 s70, s24, s67
	s_mul_hi_u32 s26, s24, s66
	s_mul_i32 s77, s25, s66
	s_add_nc_u64 s[70:71], s[26:27], s[70:71]
	s_mul_hi_u32 s4, s25, s66
	s_mul_hi_u32 s78, s25, s67
	s_add_co_u32 s26, s70, s77
	s_add_co_ci_u32 s26, s71, s4
	s_mul_i32 s66, s25, s67
	s_add_co_ci_u32 s67, s78, 0
	s_delay_alu instid0(SALU_CYCLE_1) | instskip(NEXT) | instid1(SALU_CYCLE_1)
	s_add_nc_u64 s[66:67], s[26:27], s[66:67]
	s_add_co_u32 s24, s24, s66
	s_cselect_b32 s4, -1, 0
	s_delay_alu instid0(SALU_CYCLE_1) | instskip(SKIP_1) | instid1(SALU_CYCLE_1)
	s_cmp_lg_u32 s4, 0
	s_add_co_ci_u32 s25, s25, s67
	s_mul_u64 s[46:47], s[46:47], s[24:25]
	s_delay_alu instid0(SALU_CYCLE_1)
	s_mul_hi_u32 s67, s24, s47
	s_mul_i32 s66, s24, s47
	s_mul_hi_u32 s26, s24, s46
	s_mul_i32 s70, s25, s46
	s_add_nc_u64 s[66:67], s[26:27], s[66:67]
	s_mul_hi_u32 s4, s25, s46
	s_mul_hi_u32 s71, s25, s47
	s_add_co_u32 s26, s66, s70
	s_add_co_ci_u32 s26, s67, s4
	s_mul_i32 s46, s25, s47
	s_add_co_ci_u32 s47, s71, 0
	s_delay_alu instid0(SALU_CYCLE_1) | instskip(NEXT) | instid1(SALU_CYCLE_1)
	s_add_nc_u64 s[46:47], s[26:27], s[46:47]
	s_add_co_u32 s4, s24, s46
	s_cselect_b32 s24, -1, 0
	s_mul_hi_u32 s26, s22, s4
	s_cmp_lg_u32 s24, 0
	s_mul_hi_u32 s66, s23, s4
	s_add_co_ci_u32 s46, s25, s47
	s_mul_i32 s4, s23, s4
	s_mul_hi_u32 s25, s22, s46
	s_mul_i32 s24, s22, s46
	s_mul_hi_u32 s47, s23, s46
	s_add_nc_u64 s[24:25], s[26:27], s[24:25]
	s_mul_i32 s46, s23, s46
	s_add_co_u32 s4, s24, s4
	s_add_co_ci_u32 s26, s25, s66
	s_add_co_ci_u32 s47, s47, 0
	s_delay_alu instid0(SALU_CYCLE_1) | instskip(NEXT) | instid1(SALU_CYCLE_1)
	s_add_nc_u64 s[24:25], s[26:27], s[46:47]
	s_and_b64 s[46:47], s[24:25], 0xffffffff00000000
	s_delay_alu instid0(SALU_CYCLE_1) | instskip(NEXT) | instid1(SALU_CYCLE_1)
	s_or_b32 s46, s46, s24
	s_mul_u64 s[24:25], s[34:35], s[46:47]
	s_delay_alu instid0(SALU_CYCLE_1) | instskip(SKIP_1) | instid1(SALU_CYCLE_1)
	s_sub_co_u32 s4, s22, s24
	s_cselect_b32 s24, -1, 0
	s_cmp_lg_u32 s24, 0
	s_sub_co_ci_u32 s24, s23, s25
	s_sub_co_u32 s25, s4, s34
	s_cselect_b32 s26, -1, 0
	s_delay_alu instid0(SALU_CYCLE_1) | instskip(SKIP_3) | instid1(SALU_CYCLE_1)
	s_cmp_lg_u32 s26, 0
	s_sub_co_ci_u32 s26, s24, 0
	s_sub_co_u32 s46, s25, s34
	s_cselect_b32 s47, -1, 0
	s_cmp_lg_u32 s47, 0
	s_sub_co_ci_u32 s47, s26, 0
	s_cmp_ge_u32 s25, s34
	s_cselect_b32 s66, -1, 0
	s_cmp_eq_u32 s26, 0
	s_cselect_b32 s66, s66, -1
	s_delay_alu instid0(SALU_CYCLE_1)
	s_cmp_lg_u32 s66, 0
	s_cselect_b32 s26, s47, s26
	s_cselect_b32 s46, s46, s25
	s_cmp_ge_u32 s4, s34
	s_cselect_b32 s25, -1, 0
	s_cmp_eq_u32 s24, 0
	s_cselect_b32 s25, s25, -1
	s_delay_alu instid0(SALU_CYCLE_1)
	s_cmp_lg_u32 s25, 0
	s_cselect_b32 s25, s26, s24
	s_cselect_b32 s24, s46, s4
	s_cbranch_execnz .LBB189_104
.LBB189_103:                            ;   in Loop: Header=BB189_31 Depth=1
	v_cvt_f32_u32_e32 v2, s34
	s_sub_co_i32 s24, 0, s34
	s_delay_alu instid0(VALU_DEP_1) | instskip(SKIP_1) | instid1(TRANS32_DEP_1)
	v_rcp_iflag_f32_e32 v2, v2
	v_nop
	v_mul_f32_e32 v2, 0x4f7ffffe, v2
	s_delay_alu instid0(VALU_DEP_1) | instskip(NEXT) | instid1(VALU_DEP_1)
	v_cvt_u32_f32_e32 v2, v2
	v_readfirstlane_b32 s4, v2
	s_mul_i32 s24, s24, s4
	s_delay_alu instid0(SALU_CYCLE_1) | instskip(NEXT) | instid1(SALU_CYCLE_1)
	s_mul_hi_u32 s24, s4, s24
	s_add_co_i32 s4, s4, s24
	s_delay_alu instid0(SALU_CYCLE_1) | instskip(NEXT) | instid1(SALU_CYCLE_1)
	s_mul_hi_u32 s4, s22, s4
	s_mul_i32 s4, s4, s34
	s_delay_alu instid0(SALU_CYCLE_1) | instskip(NEXT) | instid1(SALU_CYCLE_1)
	s_sub_co_i32 s4, s22, s4
	s_sub_co_i32 s24, s4, s34
	s_cmp_ge_u32 s4, s34
	s_cselect_b32 s4, s24, s4
	s_delay_alu instid0(SALU_CYCLE_1) | instskip(SKIP_2) | instid1(SALU_CYCLE_1)
	s_sub_co_i32 s24, s4, s34
	s_cmp_ge_u32 s4, s34
	s_cselect_b32 s26, s24, s4
	s_mov_b64 s[24:25], s[26:27]
.LBB189_104:                            ;   in Loop: Header=BB189_31 Depth=1
	s_delay_alu instid0(SALU_CYCLE_1)
	s_sub_nc_u64 s[22:23], s[22:23], s[24:25]
	s_mov_b32 s25, 0
	s_mov_b32 s24, 0
	s_mov_b32 s26, exec_lo
                                        ; implicit-def: $vgpr10_vgpr11
	v_cmpx_gt_u64_e64 s[22:23], v[0:1]
	s_cbranch_execz .LBB189_117
; %bb.105:                              ;   in Loop: Header=BB189_31 Depth=1
	v_mov_b64_e32 v[42:43], v[0:1]
	v_mov_b32_e32 v20, v56
	s_mov_b32 s4, 0
                                        ; implicit-def: $sgpr24
	s_branch .LBB189_109
.LBB189_106:                            ;   in Loop: Header=BB189_109 Depth=2
	s_or_b32 exec_lo, exec_lo, s46
	s_wait_dscnt 0x0
	s_barrier_signal -1
	s_barrier_wait -1
	ds_load_b128 v[8:11], v21 offset:3072
	s_wait_dscnt 0x0
	s_barrier_signal -1
	s_barrier_wait -1
	v_cmp_neq_f64_e32 vcc_lo, 0, v[8:9]
	s_cbranch_vccnz .LBB189_112
; %bb.107:                              ;   in Loop: Header=BB189_109 Depth=2
	v_add_nc_u64_e32 v[42:43], s[34:35], v[42:43]
	v_add_nc_u32_e32 v20, s97, v20
	s_mov_b32 s46, 0
	s_delay_alu instid0(VALU_DEP_2)
	v_cmp_le_u64_e32 vcc_lo, s[22:23], v[42:43]
	s_or_not1_b32 s47, vcc_lo, exec_lo
.LBB189_108:                            ;   in Loop: Header=BB189_109 Depth=2
	s_delay_alu instid0(SALU_CYCLE_1) | instskip(NEXT) | instid1(SALU_CYCLE_1)
	s_and_b32 s47, exec_lo, s47
	s_or_b32 s4, s47, s4
	s_and_not1_b32 s24, s24, exec_lo
	s_and_b32 s46, s46, exec_lo
	s_delay_alu instid0(SALU_CYCLE_1)
	s_or_b32 s24, s24, s46
	s_and_not1_b32 exec_lo, exec_lo, s4
	s_cbranch_execz .LBB189_116
.LBB189_109:                            ;   Parent Loop BB189_31 Depth=1
                                        ; =>  This Inner Loop Header: Depth=2
	s_mov_b32 s46, exec_lo
	s_delay_alu instid0(VALU_DEP_2)
	v_cmpx_gt_u64_e64 s[8:9], v[42:43]
	s_cbranch_execz .LBB189_106
; %bb.110:                              ;   in Loop: Header=BB189_109 Depth=2
	ds_load_b64 v[4:5], v20
	s_wait_dscnt 0x0
	v_cmp_o_f64_e32 vcc_lo, v[4:5], v[4:5]
	v_ashrrev_i32_e32 v2, 31, v5
	s_delay_alu instid0(VALU_DEP_1) | instskip(NEXT) | instid1(VALU_DEP_1)
	v_or_b32_e32 v8, 0x80000000, v2
	v_xor_b32_e32 v8, v8, v5
	v_xor_b32_e32 v2, v2, v4
	s_delay_alu instid0(VALU_DEP_1) | instskip(NEXT) | instid1(VALU_DEP_1)
	v_dual_cndmask_b32 v8, -1, v8, vcc_lo :: v_dual_cndmask_b32 v2, -1, v2, vcc_lo
	v_and_b32_e32 v9, v8, v13
	s_delay_alu instid0(VALU_DEP_2) | instskip(NEXT) | instid1(VALU_DEP_1)
	v_and_b32_e32 v8, v2, v12
	v_cmp_eq_u64_e32 vcc_lo, v[8:9], v[14:15]
	s_and_b32 exec_lo, exec_lo, vcc_lo
	s_cbranch_execz .LBB189_106
; %bb.111:                              ;   in Loop: Header=BB189_109 Depth=2
	v_mov_b32_e32 v2, v21
	ds_store_b128 v21, v[2:5] offset:3072
	s_branch .LBB189_106
.LBB189_112:                            ;   in Loop: Header=BB189_109 Depth=2
	s_mov_b32 s47, -1
	s_mov_b32 s46, -1
                                        ; implicit-def: $vgpr42_vgpr43
                                        ; implicit-def: $vgpr20
	s_branch .LBB189_108
.LBB189_113:                            ;   in Loop: Header=BB189_31 Depth=1
	s_or_b32 exec_lo, exec_lo, s10
	s_wait_dscnt 0x0
	s_barrier_signal -1
	s_barrier_wait -1
	s_and_saveexec_b32 s4, s5
	s_cbranch_execz .LBB189_115
; %bb.114:                              ;   in Loop: Header=BB189_31 Depth=1
	ds_load_b32 v4, v21 offset:5144
	s_wait_dscnt 0x0
	v_ashrrev_i32_e32 v5, 31, v4
	ds_store_b64 v21, v[4:5] offset:5120
.LBB189_115:                            ;   in Loop: Header=BB189_31 Depth=1
	s_or_b32 exec_lo, exec_lo, s4
	s_wait_dscnt 0x0
	s_barrier_signal -1
	s_mov_b32 s4, -1
	s_barrier_wait -1
	s_and_b32 vcc_lo, exec_lo, s9
	s_cbranch_vccnz .LBB189_47
	s_branch .LBB189_56
.LBB189_116:                            ;   in Loop: Header=BB189_31 Depth=1
	s_or_b32 exec_lo, exec_lo, s4
	s_delay_alu instid0(SALU_CYCLE_1)
	s_and_b32 s24, s24, exec_lo
.LBB189_117:                            ;   in Loop: Header=BB189_31 Depth=1
	s_or_b32 exec_lo, exec_lo, s26
.LBB189_118:                            ;   in Loop: Header=BB189_31 Depth=1
	s_delay_alu instid0(SALU_CYCLE_1)
	s_and_b32 vcc_lo, exec_lo, s25
	s_cbranch_vccz .LBB189_133
; %bb.119:                              ;   in Loop: Header=BB189_31 Depth=1
	s_and_b64 s[8:9], s[64:65], 0xffffffff00000000
	s_delay_alu instid0(SALU_CYCLE_1)
	s_cmp_lg_u64 s[8:9], 0
	s_cbranch_scc0 .LBB189_162
; %bb.120:                              ;   in Loop: Header=BB189_31 Depth=1
	s_cvt_f32_u32 s4, s34
	s_sub_nc_u64 s[22:23], 0, s[34:35]
	s_delay_alu instid0(SALU_CYCLE_2) | instskip(NEXT) | instid1(SALU_CYCLE_3)
	s_fmamk_f32 s4, s100, 0x0, s4
	v_s_rcp_f32 s4, s4
	s_delay_alu instid0(TRANS32_DEP_1) | instskip(NEXT) | instid1(SALU_CYCLE_3)
	s_mul_f32 s4, s4, 0x5f7ffffc
	s_mul_f32 s8, s4, 0x2f800000
	s_delay_alu instid0(SALU_CYCLE_3) | instskip(NEXT) | instid1(SALU_CYCLE_3)
	s_trunc_f32 s8, s8
	s_fmamk_f32 s4, s8, 0xcf800000, s4
	s_cvt_u32_f32 s9, s8
	s_delay_alu instid0(SALU_CYCLE_2) | instskip(NEXT) | instid1(SALU_CYCLE_3)
	s_cvt_u32_f32 s8, s4
	s_mul_u64 s[46:47], s[22:23], s[8:9]
	s_delay_alu instid0(SALU_CYCLE_1)
	s_mul_hi_u32 s67, s8, s47
	s_mul_i32 s66, s8, s47
	s_mul_hi_u32 s26, s8, s46
	s_mul_i32 s25, s9, s46
	s_add_nc_u64 s[66:67], s[26:27], s[66:67]
	s_mul_hi_u32 s4, s9, s46
	s_mul_hi_u32 s70, s9, s47
	s_add_co_u32 s25, s66, s25
	s_add_co_ci_u32 s26, s67, s4
	s_mul_i32 s46, s9, s47
	s_add_co_ci_u32 s47, s70, 0
	s_delay_alu instid0(SALU_CYCLE_1) | instskip(NEXT) | instid1(SALU_CYCLE_1)
	s_add_nc_u64 s[46:47], s[26:27], s[46:47]
	s_add_co_u32 s8, s8, s46
	s_cselect_b32 s4, -1, 0
	s_delay_alu instid0(SALU_CYCLE_1) | instskip(SKIP_1) | instid1(SALU_CYCLE_1)
	s_cmp_lg_u32 s4, 0
	s_add_co_ci_u32 s9, s9, s47
	s_mul_u64 s[22:23], s[22:23], s[8:9]
	s_delay_alu instid0(SALU_CYCLE_1)
	s_mul_hi_u32 s47, s8, s23
	s_mul_i32 s46, s8, s23
	s_mul_hi_u32 s26, s8, s22
	s_mul_i32 s25, s9, s22
	s_add_nc_u64 s[46:47], s[26:27], s[46:47]
	s_mul_hi_u32 s4, s9, s22
	s_mul_hi_u32 s66, s9, s23
	s_mul_i32 s22, s9, s23
	s_add_co_u32 s23, s46, s25
	s_add_co_ci_u32 s26, s47, s4
	s_add_co_ci_u32 s23, s66, 0
	s_delay_alu instid0(SALU_CYCLE_1) | instskip(NEXT) | instid1(SALU_CYCLE_1)
	s_add_nc_u64 s[22:23], s[26:27], s[22:23]
	s_add_co_u32 s4, s8, s22
	s_cselect_b32 s8, -1, 0
	s_mul_hi_u32 s26, s64, s4
	s_cmp_lg_u32 s8, 0
	s_mul_hi_u32 s25, s65, s4
	s_add_co_ci_u32 s22, s9, s23
	s_mul_i32 s4, s65, s4
	s_mul_hi_u32 s9, s64, s22
	s_mul_i32 s8, s64, s22
	s_mul_hi_u32 s23, s65, s22
	s_add_nc_u64 s[8:9], s[26:27], s[8:9]
	s_mul_i32 s22, s65, s22
	s_add_co_u32 s4, s8, s4
	s_add_co_ci_u32 s26, s9, s25
	s_add_co_ci_u32 s23, s23, 0
	s_delay_alu instid0(SALU_CYCLE_1) | instskip(NEXT) | instid1(SALU_CYCLE_1)
	s_add_nc_u64 s[8:9], s[26:27], s[22:23]
	s_and_b64 s[22:23], s[8:9], 0xffffffff00000000
	s_delay_alu instid0(SALU_CYCLE_1) | instskip(NEXT) | instid1(SALU_CYCLE_1)
	s_or_b32 s22, s22, s8
	s_mul_u64 s[8:9], s[34:35], s[22:23]
	s_delay_alu instid0(SALU_CYCLE_1) | instskip(SKIP_1) | instid1(SALU_CYCLE_1)
	s_sub_co_u32 s4, s64, s8
	s_cselect_b32 s8, -1, 0
	s_cmp_lg_u32 s8, 0
	s_sub_co_ci_u32 s8, s65, s9
	s_sub_co_u32 s9, s4, s34
	s_cselect_b32 s22, -1, 0
	s_delay_alu instid0(SALU_CYCLE_1) | instskip(SKIP_3) | instid1(SALU_CYCLE_1)
	s_cmp_lg_u32 s22, 0
	s_sub_co_ci_u32 s22, s8, 0
	s_sub_co_u32 s23, s9, s34
	s_cselect_b32 s25, -1, 0
	s_cmp_lg_u32 s25, 0
	s_sub_co_ci_u32 s25, s22, 0
	s_cmp_ge_u32 s9, s34
	s_cselect_b32 s26, -1, 0
	s_cmp_eq_u32 s22, 0
	s_cselect_b32 s26, s26, -1
	s_delay_alu instid0(SALU_CYCLE_1)
	s_cmp_lg_u32 s26, 0
	s_cselect_b32 s22, s25, s22
	s_cselect_b32 s23, s23, s9
	s_cmp_ge_u32 s4, s34
	s_cselect_b32 s9, -1, 0
	s_cmp_eq_u32 s8, 0
	s_cselect_b32 s9, s9, -1
	s_delay_alu instid0(SALU_CYCLE_1)
	s_cmp_lg_u32 s9, 0
	s_cselect_b32 s9, s22, s8
	s_cselect_b32 s8, s23, s4
	s_cbranch_execnz .LBB189_122
.LBB189_121:                            ;   in Loop: Header=BB189_31 Depth=1
	v_cvt_f32_u32_e32 v2, s34
	s_sub_co_i32 s8, 0, s34
	s_delay_alu instid0(VALU_DEP_1) | instskip(SKIP_1) | instid1(TRANS32_DEP_1)
	v_rcp_iflag_f32_e32 v2, v2
	v_nop
	v_mul_f32_e32 v2, 0x4f7ffffe, v2
	s_delay_alu instid0(VALU_DEP_1) | instskip(NEXT) | instid1(VALU_DEP_1)
	v_cvt_u32_f32_e32 v2, v2
	v_readfirstlane_b32 s4, v2
	s_mul_i32 s8, s8, s4
	s_delay_alu instid0(SALU_CYCLE_1) | instskip(NEXT) | instid1(SALU_CYCLE_1)
	s_mul_hi_u32 s8, s4, s8
	s_add_co_i32 s4, s4, s8
	s_delay_alu instid0(SALU_CYCLE_1) | instskip(NEXT) | instid1(SALU_CYCLE_1)
	s_mul_hi_u32 s4, s64, s4
	s_mul_i32 s4, s4, s34
	s_delay_alu instid0(SALU_CYCLE_1) | instskip(NEXT) | instid1(SALU_CYCLE_1)
	s_sub_co_i32 s4, s64, s4
	s_sub_co_i32 s8, s4, s34
	s_cmp_ge_u32 s4, s34
	s_cselect_b32 s4, s8, s4
	s_delay_alu instid0(SALU_CYCLE_1) | instskip(SKIP_2) | instid1(SALU_CYCLE_1)
	s_sub_co_i32 s8, s4, s34
	s_cmp_ge_u32 s4, s34
	s_cselect_b32 s26, s8, s4
	s_mov_b64 s[8:9], s[26:27]
.LBB189_122:                            ;   in Loop: Header=BB189_31 Depth=1
	s_delay_alu instid0(SALU_CYCLE_1)
	s_sub_nc_u64 s[8:9], s[64:65], s[8:9]
	s_mov_b32 s22, exec_lo
                                        ; implicit-def: $vgpr10_vgpr11
	v_cmpx_gt_u64_e64 s[8:9], v[0:1]
	s_cbranch_execz .LBB189_132
; %bb.123:                              ;   in Loop: Header=BB189_31 Depth=1
	v_mov_b64_e32 v[42:43], v[34:35]
	v_mov_b64_e32 v[44:45], v[0:1]
	s_mov_b32 s23, 0
                                        ; implicit-def: $sgpr4
	s_branch .LBB189_127
.LBB189_124:                            ;   in Loop: Header=BB189_127 Depth=2
	s_or_b32 exec_lo, exec_lo, s25
	s_wait_dscnt 0x0
	s_barrier_signal -1
	s_barrier_wait -1
	ds_load_b128 v[8:11], v21 offset:3072
	s_wait_dscnt 0x0
	s_barrier_signal -1
	s_barrier_wait -1
	v_cmp_neq_f64_e32 vcc_lo, 0, v[8:9]
	s_cbranch_vccnz .LBB189_130
; %bb.125:                              ;   in Loop: Header=BB189_127 Depth=2
	v_add_nc_u64_e32 v[44:45], s[34:35], v[44:45]
	v_add_nc_u64_e32 v[42:43], s[40:41], v[42:43]
	s_mov_b32 s25, 0
	s_delay_alu instid0(VALU_DEP_2)
	v_cmp_le_u64_e32 vcc_lo, s[8:9], v[44:45]
	s_or_not1_b32 s26, vcc_lo, exec_lo
.LBB189_126:                            ;   in Loop: Header=BB189_127 Depth=2
	s_delay_alu instid0(SALU_CYCLE_1) | instskip(NEXT) | instid1(SALU_CYCLE_1)
	s_and_b32 s26, exec_lo, s26
	s_or_b32 s23, s26, s23
	s_and_not1_b32 s4, s4, exec_lo
	s_and_b32 s25, s25, exec_lo
	s_delay_alu instid0(SALU_CYCLE_1)
	s_or_b32 s4, s4, s25
	s_and_not1_b32 exec_lo, exec_lo, s23
	s_cbranch_execz .LBB189_131
.LBB189_127:                            ;   Parent Loop BB189_31 Depth=1
                                        ; =>  This Inner Loop Header: Depth=2
	s_mov_b32 s25, exec_lo
	s_delay_alu instid0(VALU_DEP_1)
	v_cmpx_gt_u64_e64 s[36:37], v[44:45]
	s_cbranch_execz .LBB189_124
; %bb.128:                              ;   in Loop: Header=BB189_127 Depth=2
	global_load_b64 v[4:5], v[42:43], off
	s_wait_loadcnt 0x0
	v_cmp_o_f64_e32 vcc_lo, v[4:5], v[4:5]
	v_ashrrev_i32_e32 v2, 31, v5
	s_delay_alu instid0(VALU_DEP_1) | instskip(NEXT) | instid1(VALU_DEP_1)
	v_or_b32_e32 v8, 0x80000000, v2
	v_xor_b32_e32 v8, v8, v5
	v_xor_b32_e32 v2, v2, v4
	s_delay_alu instid0(VALU_DEP_1) | instskip(NEXT) | instid1(VALU_DEP_1)
	v_dual_cndmask_b32 v8, -1, v8, vcc_lo :: v_dual_cndmask_b32 v2, -1, v2, vcc_lo
	v_and_b32_e32 v9, v8, v13
	s_delay_alu instid0(VALU_DEP_2) | instskip(NEXT) | instid1(VALU_DEP_1)
	v_and_b32_e32 v8, v2, v12
	v_cmp_eq_u64_e32 vcc_lo, v[8:9], v[14:15]
	s_and_b32 exec_lo, exec_lo, vcc_lo
	s_cbranch_execz .LBB189_124
; %bb.129:                              ;   in Loop: Header=BB189_127 Depth=2
	v_mov_b32_e32 v2, v21
	ds_store_b128 v21, v[2:5] offset:3072
	s_branch .LBB189_124
.LBB189_130:                            ;   in Loop: Header=BB189_127 Depth=2
	s_mov_b32 s26, -1
	s_mov_b32 s25, -1
                                        ; implicit-def: $vgpr44_vgpr45
                                        ; implicit-def: $vgpr42_vgpr43
	s_branch .LBB189_126
.LBB189_131:                            ;   in Loop: Header=BB189_31 Depth=1
	s_or_b32 exec_lo, exec_lo, s23
	s_delay_alu instid0(SALU_CYCLE_1) | instskip(SKIP_1) | instid1(SALU_CYCLE_1)
	s_and_not1_b32 s8, s24, exec_lo
	s_and_b32 s4, s4, exec_lo
	s_or_b32 s24, s8, s4
.LBB189_132:                            ;   in Loop: Header=BB189_31 Depth=1
	s_or_b32 exec_lo, exec_lo, s22
	s_mov_b32 s79, 0
	s_mov_b32 s80, -1
.LBB189_133:                            ;   in Loop: Header=BB189_31 Depth=1
	s_or_not1_b32 s4, s24, exec_lo
.LBB189_134:                            ;   in Loop: Header=BB189_31 Depth=1
	s_or_b32 exec_lo, exec_lo, s57
	s_mov_b32 s81, 0
	s_mov_b32 s78, 0
	;; [unrolled: 1-line block ×3, first 2 shown]
                                        ; implicit-def: $vgpr42_vgpr43
                                        ; implicit-def: $vgpr20
	s_and_saveexec_b32 s82, s4
	s_cbranch_execz .LBB189_298
; %bb.135:                              ;   in Loop: Header=BB189_31 Depth=1
	v_mov_b64_e32 v[42:43], 1
	v_mov_b32_e32 v20, 1
	s_xor_b32 s4, s56, -1
	s_mov_b32 s9, 0
	s_and_saveexec_b32 s8, s4
	s_cbranch_execz .LBB189_144
; %bb.136:                              ;   in Loop: Header=BB189_31 Depth=1
	s_mov_b32 s4, exec_lo
	v_cmpx_ge_u64_e64 s[10:11], v[40:41]
	s_xor_b32 s4, exec_lo, s4
	s_cbranch_execz .LBB189_141
; %bb.137:                              ;   in Loop: Header=BB189_31 Depth=1
	ds_load_b64 v[4:5], v21 offset:5120
	v_and_b32_e32 v15, s15, v15
	v_and_b32_e32 v14, s14, v14
	v_or_b32_e32 v13, s13, v13
	v_or_b32_e32 v12, s12, v12
	s_wait_dscnt 0x0
	v_cmp_ne_u64_e32 vcc_lo, 0, v[4:5]
	s_cbranch_vccnz .LBB189_141
; %bb.138:                              ;   in Loop: Header=BB189_31 Depth=1
	s_and_saveexec_b32 s9, s5
; %bb.139:                              ;   in Loop: Header=BB189_31 Depth=1
	v_mov_b64_e32 v[4:5], s[10:11]
	ds_store_b64 v21, v[4:5] offset:5128
; %bb.140:                              ;   in Loop: Header=BB189_31 Depth=1
	s_or_b32 exec_lo, exec_lo, s9
	s_wait_dscnt 0x0
	s_barrier_signal -1
	s_barrier_wait -1
.LBB189_141:                            ;   in Loop: Header=BB189_31 Depth=1
	s_or_saveexec_b32 s4, s4
	v_mov_b64_e32 v[42:43], v[40:41]
	v_mov_b32_e32 v20, 8
	s_mov_b32 s9, 0
	s_xor_b32 exec_lo, exec_lo, s4
; %bb.142:                              ;   in Loop: Header=BB189_31 Depth=1
	v_sub_nc_u64_e64 v[42:43], v[40:41], s[10:11]
	v_mov_b32_e32 v20, 0
	s_mov_b32 s9, exec_lo
; %bb.143:                              ;   in Loop: Header=BB189_31 Depth=1
	s_or_b32 exec_lo, exec_lo, s4
	s_delay_alu instid0(SALU_CYCLE_1)
	s_and_b32 s9, s9, exec_lo
.LBB189_144:                            ;   in Loop: Header=BB189_31 Depth=1
	s_or_b32 exec_lo, exec_lo, s8
	s_mov_b32 s4, -1
                                        ; implicit-def: $sgpr78
                                        ; implicit-def: $sgpr83
	s_and_saveexec_b32 s8, s9
	s_delay_alu instid0(SALU_CYCLE_1)
	s_xor_b32 s77, exec_lo, s8
	s_cbranch_execz .LBB189_295
; %bb.145:                              ;   in Loop: Header=BB189_31 Depth=1
	v_cmp_eq_u64_e32 vcc_lo, 1, v[42:43]
	s_cmp_eq_u64 s[16:17], 1
                                        ; implicit-def: $sgpr83
                                        ; implicit-def: $sgpr78
	s_cselect_b32 s4, -1, 0
	s_delay_alu instid0(SALU_CYCLE_1)
	s_and_b32 s85, s4, vcc_lo
	s_mov_b32 s4, -1
	s_and_saveexec_b32 s56, s85
	s_cbranch_execz .LBB189_181
; %bb.146:                              ;   in Loop: Header=BB189_31 Depth=1
	ds_load_b64 v[4:5], v21 offset:5120
	s_wait_dscnt 0x0
	s_barrier_signal -1
	s_barrier_wait -1
	v_readfirstlane_b32 s8, v4
	v_readfirstlane_b32 s9, v5
	s_and_saveexec_b32 s4, s6
; %bb.147:                              ;   in Loop: Header=BB189_31 Depth=1
	ds_store_b64 v58, v[36:37]
; %bb.148:                              ;   in Loop: Header=BB189_31 Depth=1
	s_or_b32 exec_lo, exec_lo, s4
	v_and_b32_e32 v2, s15, v15
	v_and_b32_e32 v4, s14, v14
	s_lshl_b64 s[22:23], 1, s98
	v_or_b32_e32 v13, s13, v13
	v_or_b32_e32 v12, s12, v12
	;; [unrolled: 1-line block ×4, first 2 shown]
	s_mov_b32 s78, -1
	s_mov_b32 s83, 0
	s_cmp_eq_u64 s[8:9], 0
	s_mov_b32 s24, 0
	s_mov_b32 s25, -1
	s_wait_dscnt 0x0
	s_barrier_signal -1
	s_barrier_wait -1
                                        ; implicit-def: $vgpr10_vgpr11
	s_cbranch_scc1 .LBB189_165
; %bb.149:                              ;   in Loop: Header=BB189_31 Depth=1
	s_add_nc_u64 s[22:23], s[8:9], s[62:63]
	s_delay_alu instid0(SALU_CYCLE_1) | instskip(NEXT) | instid1(SALU_CYCLE_1)
	s_and_b64 s[24:25], s[22:23], 0xffffffff00000000
	s_cmp_lg_u64 s[24:25], 0
	s_cbranch_scc0 .LBB189_208
; %bb.150:                              ;   in Loop: Header=BB189_31 Depth=1
	s_cvt_f32_u32 s4, s34
	s_sub_nc_u64 s[46:47], 0, s[34:35]
	s_delay_alu instid0(SALU_CYCLE_2) | instskip(NEXT) | instid1(SALU_CYCLE_3)
	s_fmamk_f32 s4, s100, 0x0, s4
	v_s_rcp_f32 s4, s4
	s_delay_alu instid0(TRANS32_DEP_1) | instskip(NEXT) | instid1(SALU_CYCLE_3)
	s_mul_f32 s4, s4, 0x5f7ffffc
	s_mul_f32 s24, s4, 0x2f800000
	s_delay_alu instid0(SALU_CYCLE_3) | instskip(NEXT) | instid1(SALU_CYCLE_3)
	s_trunc_f32 s24, s24
	s_fmamk_f32 s4, s24, 0xcf800000, s4
	s_cvt_u32_f32 s25, s24
	s_delay_alu instid0(SALU_CYCLE_2) | instskip(NEXT) | instid1(SALU_CYCLE_3)
	s_cvt_u32_f32 s24, s4
	s_mul_u64 s[66:67], s[46:47], s[24:25]
	s_delay_alu instid0(SALU_CYCLE_1)
	s_mul_hi_u32 s87, s24, s67
	s_mul_i32 s86, s24, s67
	s_mul_hi_u32 s26, s24, s66
	s_mul_i32 s57, s25, s66
	s_add_nc_u64 s[86:87], s[26:27], s[86:87]
	s_mul_hi_u32 s4, s25, s66
	s_mul_hi_u32 s70, s25, s67
	s_add_co_u32 s26, s86, s57
	s_add_co_ci_u32 s26, s87, s4
	s_mul_i32 s66, s25, s67
	s_add_co_ci_u32 s67, s70, 0
	s_delay_alu instid0(SALU_CYCLE_1) | instskip(NEXT) | instid1(SALU_CYCLE_1)
	s_add_nc_u64 s[66:67], s[26:27], s[66:67]
	s_add_co_u32 s24, s24, s66
	s_cselect_b32 s4, -1, 0
	s_delay_alu instid0(SALU_CYCLE_1) | instskip(SKIP_1) | instid1(SALU_CYCLE_1)
	s_cmp_lg_u32 s4, 0
	s_add_co_ci_u32 s25, s25, s67
	s_mul_u64 s[46:47], s[46:47], s[24:25]
	s_delay_alu instid0(SALU_CYCLE_1)
	s_mul_hi_u32 s67, s24, s47
	s_mul_i32 s66, s24, s47
	s_mul_hi_u32 s26, s24, s46
	s_mul_i32 s57, s25, s46
	s_add_nc_u64 s[66:67], s[26:27], s[66:67]
	s_mul_hi_u32 s4, s25, s46
	s_mul_hi_u32 s70, s25, s47
	s_add_co_u32 s26, s66, s57
	s_add_co_ci_u32 s26, s67, s4
	s_mul_i32 s46, s25, s47
	s_add_co_ci_u32 s47, s70, 0
	s_delay_alu instid0(SALU_CYCLE_1) | instskip(NEXT) | instid1(SALU_CYCLE_1)
	s_add_nc_u64 s[46:47], s[26:27], s[46:47]
	s_add_co_u32 s4, s24, s46
	s_cselect_b32 s24, -1, 0
	s_mul_hi_u32 s26, s22, s4
	s_cmp_lg_u32 s24, 0
	s_mul_hi_u32 s57, s23, s4
	s_add_co_ci_u32 s46, s25, s47
	s_mul_i32 s4, s23, s4
	s_mul_hi_u32 s25, s22, s46
	s_mul_i32 s24, s22, s46
	s_mul_hi_u32 s47, s23, s46
	s_add_nc_u64 s[24:25], s[26:27], s[24:25]
	s_mul_i32 s46, s23, s46
	s_add_co_u32 s4, s24, s4
	s_add_co_ci_u32 s26, s25, s57
	s_add_co_ci_u32 s47, s47, 0
	s_delay_alu instid0(SALU_CYCLE_1) | instskip(NEXT) | instid1(SALU_CYCLE_1)
	s_add_nc_u64 s[24:25], s[26:27], s[46:47]
	s_and_b64 s[46:47], s[24:25], 0xffffffff00000000
	s_delay_alu instid0(SALU_CYCLE_1) | instskip(NEXT) | instid1(SALU_CYCLE_1)
	s_or_b32 s46, s46, s24
	s_mul_u64 s[24:25], s[34:35], s[46:47]
	s_delay_alu instid0(SALU_CYCLE_1) | instskip(SKIP_1) | instid1(SALU_CYCLE_1)
	s_sub_co_u32 s4, s22, s24
	s_cselect_b32 s24, -1, 0
	s_cmp_lg_u32 s24, 0
	s_sub_co_ci_u32 s24, s23, s25
	s_sub_co_u32 s25, s4, s34
	s_cselect_b32 s26, -1, 0
	s_delay_alu instid0(SALU_CYCLE_1) | instskip(SKIP_3) | instid1(SALU_CYCLE_1)
	s_cmp_lg_u32 s26, 0
	s_sub_co_ci_u32 s26, s24, 0
	s_sub_co_u32 s46, s25, s34
	s_cselect_b32 s47, -1, 0
	s_cmp_lg_u32 s47, 0
	s_sub_co_ci_u32 s47, s26, 0
	s_cmp_ge_u32 s25, s34
	s_cselect_b32 s57, -1, 0
	s_cmp_eq_u32 s26, 0
	s_cselect_b32 s57, s57, -1
	s_delay_alu instid0(SALU_CYCLE_1)
	s_cmp_lg_u32 s57, 0
	s_cselect_b32 s26, s47, s26
	s_cselect_b32 s46, s46, s25
	s_cmp_ge_u32 s4, s34
	s_cselect_b32 s25, -1, 0
	s_cmp_eq_u32 s24, 0
	s_cselect_b32 s25, s25, -1
	s_delay_alu instid0(SALU_CYCLE_1)
	s_cmp_lg_u32 s25, 0
	s_cselect_b32 s25, s26, s24
	s_cselect_b32 s24, s46, s4
	s_cbranch_execnz .LBB189_152
.LBB189_151:                            ;   in Loop: Header=BB189_31 Depth=1
	v_cvt_f32_u32_e32 v2, s34
	s_sub_co_i32 s24, 0, s34
	s_delay_alu instid0(VALU_DEP_1) | instskip(SKIP_1) | instid1(TRANS32_DEP_1)
	v_rcp_iflag_f32_e32 v2, v2
	v_nop
	v_mul_f32_e32 v2, 0x4f7ffffe, v2
	s_delay_alu instid0(VALU_DEP_1) | instskip(NEXT) | instid1(VALU_DEP_1)
	v_cvt_u32_f32_e32 v2, v2
	v_readfirstlane_b32 s4, v2
	s_mul_i32 s24, s24, s4
	s_delay_alu instid0(SALU_CYCLE_1) | instskip(NEXT) | instid1(SALU_CYCLE_1)
	s_mul_hi_u32 s24, s4, s24
	s_add_co_i32 s4, s4, s24
	s_delay_alu instid0(SALU_CYCLE_1) | instskip(NEXT) | instid1(SALU_CYCLE_1)
	s_mul_hi_u32 s4, s22, s4
	s_mul_i32 s4, s4, s34
	s_delay_alu instid0(SALU_CYCLE_1) | instskip(NEXT) | instid1(SALU_CYCLE_1)
	s_sub_co_i32 s4, s22, s4
	s_sub_co_i32 s24, s4, s34
	s_cmp_ge_u32 s4, s34
	s_cselect_b32 s4, s24, s4
	s_delay_alu instid0(SALU_CYCLE_1) | instskip(SKIP_2) | instid1(SALU_CYCLE_1)
	s_sub_co_i32 s24, s4, s34
	s_cmp_ge_u32 s4, s34
	s_cselect_b32 s26, s24, s4
	s_mov_b64 s[24:25], s[26:27]
.LBB189_152:                            ;   in Loop: Header=BB189_31 Depth=1
	s_delay_alu instid0(SALU_CYCLE_1)
	s_sub_nc_u64 s[22:23], s[22:23], s[24:25]
	s_mov_b32 s25, 0
	s_mov_b32 s24, 0
	s_mov_b32 s26, exec_lo
                                        ; implicit-def: $vgpr10_vgpr11
	v_cmpx_gt_u64_e64 s[22:23], v[0:1]
	s_cbranch_execz .LBB189_164
; %bb.153:                              ;   in Loop: Header=BB189_31 Depth=1
	v_mov_b64_e32 v[44:45], v[0:1]
	v_mov_b32_e32 v46, v56
                                        ; implicit-def: $sgpr46
	s_branch .LBB189_157
.LBB189_154:                            ;   in Loop: Header=BB189_157 Depth=2
	s_or_b32 exec_lo, exec_lo, s4
	s_wait_dscnt 0x0
	s_barrier_signal -1
	s_barrier_wait -1
	ds_load_b128 v[8:11], v21 offset:3072
	s_wait_dscnt 0x0
	s_barrier_signal -1
	s_barrier_wait -1
	v_cmp_neq_f64_e32 vcc_lo, 0, v[8:9]
	s_cbranch_vccnz .LBB189_160
; %bb.155:                              ;   in Loop: Header=BB189_157 Depth=2
	v_add_nc_u64_e32 v[44:45], s[34:35], v[44:45]
	v_add_nc_u32_e32 v46, s97, v46
	s_mov_b32 s4, 0
	s_delay_alu instid0(VALU_DEP_2)
	v_cmp_le_u64_e32 vcc_lo, s[22:23], v[44:45]
	s_or_not1_b32 s47, vcc_lo, exec_lo
.LBB189_156:                            ;   in Loop: Header=BB189_157 Depth=2
	s_delay_alu instid0(SALU_CYCLE_1) | instskip(NEXT) | instid1(SALU_CYCLE_1)
	s_and_b32 s47, exec_lo, s47
	s_or_b32 s24, s47, s24
	s_and_not1_b32 s46, s46, exec_lo
	s_and_b32 s4, s4, exec_lo
	s_delay_alu instid0(SALU_CYCLE_1)
	s_or_b32 s46, s46, s4
	s_and_not1_b32 exec_lo, exec_lo, s24
	s_cbranch_execz .LBB189_163
.LBB189_157:                            ;   Parent Loop BB189_31 Depth=1
                                        ; =>  This Inner Loop Header: Depth=2
	s_mov_b32 s4, exec_lo
	s_delay_alu instid0(VALU_DEP_2)
	v_cmpx_gt_u64_e64 s[8:9], v[44:45]
	s_cbranch_execz .LBB189_154
; %bb.158:                              ;   in Loop: Header=BB189_157 Depth=2
	ds_load_b64 v[4:5], v46
	s_wait_dscnt 0x0
	v_cmp_o_f64_e32 vcc_lo, v[4:5], v[4:5]
	v_ashrrev_i32_e32 v2, 31, v5
	s_delay_alu instid0(VALU_DEP_1) | instskip(NEXT) | instid1(VALU_DEP_1)
	v_or_b32_e32 v8, 0x80000000, v2
	v_xor_b32_e32 v8, v8, v5
	v_xor_b32_e32 v2, v2, v4
	s_delay_alu instid0(VALU_DEP_1) | instskip(NEXT) | instid1(VALU_DEP_1)
	v_dual_cndmask_b32 v8, -1, v8, vcc_lo :: v_dual_cndmask_b32 v2, -1, v2, vcc_lo
	v_and_b32_e32 v9, v8, v13
	s_delay_alu instid0(VALU_DEP_2) | instskip(NEXT) | instid1(VALU_DEP_1)
	v_and_b32_e32 v8, v2, v12
	v_cmp_eq_u64_e32 vcc_lo, v[8:9], v[14:15]
	s_and_b32 exec_lo, exec_lo, vcc_lo
	s_cbranch_execz .LBB189_154
; %bb.159:                              ;   in Loop: Header=BB189_157 Depth=2
	v_mov_b32_e32 v2, v21
	ds_store_b128 v21, v[2:5] offset:3072
	s_branch .LBB189_154
.LBB189_160:                            ;   in Loop: Header=BB189_157 Depth=2
	s_mov_b32 s47, -1
	s_mov_b32 s4, -1
                                        ; implicit-def: $vgpr44_vgpr45
                                        ; implicit-def: $vgpr46
	s_branch .LBB189_156
.LBB189_161:                            ;   in Loop: Header=BB189_31 Depth=1
                                        ; implicit-def: $sgpr24_sgpr25
	s_branch .LBB189_103
.LBB189_162:                            ;   in Loop: Header=BB189_31 Depth=1
                                        ; implicit-def: $sgpr8_sgpr9
	s_branch .LBB189_121
.LBB189_163:                            ;   in Loop: Header=BB189_31 Depth=1
	s_or_b32 exec_lo, exec_lo, s24
	s_delay_alu instid0(SALU_CYCLE_1)
	s_and_b32 s24, s46, exec_lo
.LBB189_164:                            ;   in Loop: Header=BB189_31 Depth=1
	s_or_b32 exec_lo, exec_lo, s26
.LBB189_165:                            ;   in Loop: Header=BB189_31 Depth=1
	s_delay_alu instid0(SALU_CYCLE_1)
	s_and_b32 vcc_lo, exec_lo, s25
	s_cbranch_vccz .LBB189_180
; %bb.166:                              ;   in Loop: Header=BB189_31 Depth=1
	s_and_b64 s[8:9], s[64:65], 0xffffffff00000000
	s_delay_alu instid0(SALU_CYCLE_1)
	s_cmp_lg_u64 s[8:9], 0
	s_cbranch_scc0 .LBB189_209
; %bb.167:                              ;   in Loop: Header=BB189_31 Depth=1
	s_cvt_f32_u32 s4, s34
	s_sub_nc_u64 s[22:23], 0, s[34:35]
	s_delay_alu instid0(SALU_CYCLE_2) | instskip(NEXT) | instid1(SALU_CYCLE_3)
	s_fmamk_f32 s4, s100, 0x0, s4
	v_s_rcp_f32 s4, s4
	s_delay_alu instid0(TRANS32_DEP_1) | instskip(NEXT) | instid1(SALU_CYCLE_3)
	s_mul_f32 s4, s4, 0x5f7ffffc
	s_mul_f32 s8, s4, 0x2f800000
	s_delay_alu instid0(SALU_CYCLE_3) | instskip(NEXT) | instid1(SALU_CYCLE_3)
	s_trunc_f32 s8, s8
	s_fmamk_f32 s4, s8, 0xcf800000, s4
	s_cvt_u32_f32 s9, s8
	s_delay_alu instid0(SALU_CYCLE_2) | instskip(NEXT) | instid1(SALU_CYCLE_3)
	s_cvt_u32_f32 s8, s4
	s_mul_u64 s[46:47], s[22:23], s[8:9]
	s_delay_alu instid0(SALU_CYCLE_1)
	s_mul_hi_u32 s67, s8, s47
	s_mul_i32 s66, s8, s47
	s_mul_hi_u32 s26, s8, s46
	s_mul_i32 s25, s9, s46
	s_add_nc_u64 s[66:67], s[26:27], s[66:67]
	s_mul_hi_u32 s4, s9, s46
	s_mul_hi_u32 s57, s9, s47
	s_add_co_u32 s25, s66, s25
	s_add_co_ci_u32 s26, s67, s4
	s_mul_i32 s46, s9, s47
	s_add_co_ci_u32 s47, s57, 0
	s_delay_alu instid0(SALU_CYCLE_1) | instskip(NEXT) | instid1(SALU_CYCLE_1)
	s_add_nc_u64 s[46:47], s[26:27], s[46:47]
	s_add_co_u32 s8, s8, s46
	s_cselect_b32 s4, -1, 0
	s_delay_alu instid0(SALU_CYCLE_1) | instskip(SKIP_1) | instid1(SALU_CYCLE_1)
	s_cmp_lg_u32 s4, 0
	s_add_co_ci_u32 s9, s9, s47
	s_mul_u64 s[22:23], s[22:23], s[8:9]
	s_delay_alu instid0(SALU_CYCLE_1)
	s_mul_hi_u32 s47, s8, s23
	s_mul_i32 s46, s8, s23
	s_mul_hi_u32 s26, s8, s22
	s_mul_i32 s25, s9, s22
	s_add_nc_u64 s[46:47], s[26:27], s[46:47]
	s_mul_hi_u32 s4, s9, s22
	s_mul_hi_u32 s57, s9, s23
	s_mul_i32 s22, s9, s23
	s_add_co_u32 s23, s46, s25
	s_add_co_ci_u32 s26, s47, s4
	s_add_co_ci_u32 s23, s57, 0
	s_delay_alu instid0(SALU_CYCLE_1) | instskip(NEXT) | instid1(SALU_CYCLE_1)
	s_add_nc_u64 s[22:23], s[26:27], s[22:23]
	s_add_co_u32 s4, s8, s22
	s_cselect_b32 s8, -1, 0
	s_mul_hi_u32 s26, s64, s4
	s_cmp_lg_u32 s8, 0
	s_mul_hi_u32 s25, s65, s4
	s_add_co_ci_u32 s22, s9, s23
	s_mul_i32 s4, s65, s4
	s_mul_hi_u32 s9, s64, s22
	s_mul_i32 s8, s64, s22
	s_mul_hi_u32 s23, s65, s22
	s_add_nc_u64 s[8:9], s[26:27], s[8:9]
	s_mul_i32 s22, s65, s22
	s_add_co_u32 s4, s8, s4
	s_add_co_ci_u32 s26, s9, s25
	s_add_co_ci_u32 s23, s23, 0
	s_delay_alu instid0(SALU_CYCLE_1) | instskip(NEXT) | instid1(SALU_CYCLE_1)
	s_add_nc_u64 s[8:9], s[26:27], s[22:23]
	s_and_b64 s[22:23], s[8:9], 0xffffffff00000000
	s_delay_alu instid0(SALU_CYCLE_1) | instskip(NEXT) | instid1(SALU_CYCLE_1)
	s_or_b32 s22, s22, s8
	s_mul_u64 s[8:9], s[34:35], s[22:23]
	s_delay_alu instid0(SALU_CYCLE_1) | instskip(SKIP_1) | instid1(SALU_CYCLE_1)
	s_sub_co_u32 s4, s64, s8
	s_cselect_b32 s8, -1, 0
	s_cmp_lg_u32 s8, 0
	s_sub_co_ci_u32 s8, s65, s9
	s_sub_co_u32 s9, s4, s34
	s_cselect_b32 s22, -1, 0
	s_delay_alu instid0(SALU_CYCLE_1) | instskip(SKIP_3) | instid1(SALU_CYCLE_1)
	s_cmp_lg_u32 s22, 0
	s_sub_co_ci_u32 s22, s8, 0
	s_sub_co_u32 s23, s9, s34
	s_cselect_b32 s25, -1, 0
	s_cmp_lg_u32 s25, 0
	s_sub_co_ci_u32 s25, s22, 0
	s_cmp_ge_u32 s9, s34
	s_cselect_b32 s26, -1, 0
	s_cmp_eq_u32 s22, 0
	s_cselect_b32 s26, s26, -1
	s_delay_alu instid0(SALU_CYCLE_1)
	s_cmp_lg_u32 s26, 0
	s_cselect_b32 s22, s25, s22
	s_cselect_b32 s23, s23, s9
	s_cmp_ge_u32 s4, s34
	s_cselect_b32 s9, -1, 0
	s_cmp_eq_u32 s8, 0
	s_cselect_b32 s9, s9, -1
	s_delay_alu instid0(SALU_CYCLE_1)
	s_cmp_lg_u32 s9, 0
	s_cselect_b32 s9, s22, s8
	s_cselect_b32 s8, s23, s4
	s_cbranch_execnz .LBB189_169
.LBB189_168:                            ;   in Loop: Header=BB189_31 Depth=1
	v_cvt_f32_u32_e32 v2, s34
	s_sub_co_i32 s8, 0, s34
	s_delay_alu instid0(VALU_DEP_1) | instskip(SKIP_1) | instid1(TRANS32_DEP_1)
	v_rcp_iflag_f32_e32 v2, v2
	v_nop
	v_mul_f32_e32 v2, 0x4f7ffffe, v2
	s_delay_alu instid0(VALU_DEP_1) | instskip(NEXT) | instid1(VALU_DEP_1)
	v_cvt_u32_f32_e32 v2, v2
	v_readfirstlane_b32 s4, v2
	s_mul_i32 s8, s8, s4
	s_delay_alu instid0(SALU_CYCLE_1) | instskip(NEXT) | instid1(SALU_CYCLE_1)
	s_mul_hi_u32 s8, s4, s8
	s_add_co_i32 s4, s4, s8
	s_delay_alu instid0(SALU_CYCLE_1) | instskip(NEXT) | instid1(SALU_CYCLE_1)
	s_mul_hi_u32 s4, s64, s4
	s_mul_i32 s4, s4, s34
	s_delay_alu instid0(SALU_CYCLE_1) | instskip(NEXT) | instid1(SALU_CYCLE_1)
	s_sub_co_i32 s4, s64, s4
	s_sub_co_i32 s8, s4, s34
	s_cmp_ge_u32 s4, s34
	s_cselect_b32 s4, s8, s4
	s_delay_alu instid0(SALU_CYCLE_1) | instskip(SKIP_2) | instid1(SALU_CYCLE_1)
	s_sub_co_i32 s8, s4, s34
	s_cmp_ge_u32 s4, s34
	s_cselect_b32 s26, s8, s4
	s_mov_b64 s[8:9], s[26:27]
.LBB189_169:                            ;   in Loop: Header=BB189_31 Depth=1
	s_delay_alu instid0(SALU_CYCLE_1)
	s_sub_nc_u64 s[8:9], s[64:65], s[8:9]
	s_mov_b32 s22, exec_lo
                                        ; implicit-def: $vgpr10_vgpr11
	v_cmpx_gt_u64_e64 s[8:9], v[0:1]
	s_cbranch_execz .LBB189_179
; %bb.170:                              ;   in Loop: Header=BB189_31 Depth=1
	v_mov_b64_e32 v[44:45], v[34:35]
	v_mov_b64_e32 v[46:47], v[0:1]
	s_mov_b32 s4, 0
                                        ; implicit-def: $sgpr23
	s_branch .LBB189_174
.LBB189_171:                            ;   in Loop: Header=BB189_174 Depth=2
	s_or_b32 exec_lo, exec_lo, s25
	s_wait_dscnt 0x0
	s_barrier_signal -1
	s_barrier_wait -1
	ds_load_b128 v[8:11], v21 offset:3072
	s_wait_dscnt 0x0
	s_barrier_signal -1
	s_barrier_wait -1
	v_cmp_eq_f64_e32 vcc_lo, 0, v[8:9]
	s_cbranch_vccz .LBB189_177
; %bb.172:                              ;   in Loop: Header=BB189_174 Depth=2
	v_add_nc_u64_e32 v[46:47], s[34:35], v[46:47]
	v_add_nc_u64_e32 v[44:45], s[40:41], v[44:45]
	s_mov_b32 s25, 0
	s_delay_alu instid0(VALU_DEP_2)
	v_cmp_le_u64_e32 vcc_lo, s[8:9], v[46:47]
	s_or_not1_b32 s26, vcc_lo, exec_lo
.LBB189_173:                            ;   in Loop: Header=BB189_174 Depth=2
	s_delay_alu instid0(SALU_CYCLE_1) | instskip(NEXT) | instid1(SALU_CYCLE_1)
	s_and_b32 s26, exec_lo, s26
	s_or_b32 s4, s26, s4
	s_and_not1_b32 s23, s23, exec_lo
	s_and_b32 s25, s25, exec_lo
	s_delay_alu instid0(SALU_CYCLE_1)
	s_or_b32 s23, s23, s25
	s_and_not1_b32 exec_lo, exec_lo, s4
	s_cbranch_execz .LBB189_178
.LBB189_174:                            ;   Parent Loop BB189_31 Depth=1
                                        ; =>  This Inner Loop Header: Depth=2
	s_mov_b32 s25, exec_lo
	s_delay_alu instid0(VALU_DEP_1)
	v_cmpx_gt_u64_e64 s[36:37], v[46:47]
	s_cbranch_execz .LBB189_171
; %bb.175:                              ;   in Loop: Header=BB189_174 Depth=2
	global_load_b64 v[4:5], v[44:45], off
	s_wait_loadcnt 0x0
	v_cmp_o_f64_e32 vcc_lo, v[4:5], v[4:5]
	v_ashrrev_i32_e32 v2, 31, v5
	s_delay_alu instid0(VALU_DEP_1) | instskip(NEXT) | instid1(VALU_DEP_1)
	v_or_b32_e32 v8, 0x80000000, v2
	v_xor_b32_e32 v8, v8, v5
	v_xor_b32_e32 v2, v2, v4
	s_delay_alu instid0(VALU_DEP_1) | instskip(NEXT) | instid1(VALU_DEP_1)
	v_dual_cndmask_b32 v8, -1, v8, vcc_lo :: v_dual_cndmask_b32 v2, -1, v2, vcc_lo
	v_and_b32_e32 v9, v8, v13
	s_delay_alu instid0(VALU_DEP_2) | instskip(NEXT) | instid1(VALU_DEP_1)
	v_and_b32_e32 v8, v2, v12
	v_cmp_eq_u64_e32 vcc_lo, v[8:9], v[14:15]
	s_and_b32 exec_lo, exec_lo, vcc_lo
	s_cbranch_execz .LBB189_171
; %bb.176:                              ;   in Loop: Header=BB189_174 Depth=2
	v_mov_b32_e32 v2, v21
	ds_store_b128 v21, v[2:5] offset:3072
	s_branch .LBB189_171
.LBB189_177:                            ;   in Loop: Header=BB189_174 Depth=2
	s_mov_b32 s26, -1
	s_mov_b32 s25, -1
                                        ; implicit-def: $vgpr46_vgpr47
                                        ; implicit-def: $vgpr44_vgpr45
	s_branch .LBB189_173
.LBB189_178:                            ;   in Loop: Header=BB189_31 Depth=1
	s_or_b32 exec_lo, exec_lo, s4
	s_delay_alu instid0(SALU_CYCLE_1) | instskip(SKIP_1) | instid1(SALU_CYCLE_1)
	s_and_not1_b32 s4, s24, exec_lo
	s_and_b32 s8, s23, exec_lo
	s_or_b32 s24, s4, s8
.LBB189_179:                            ;   in Loop: Header=BB189_31 Depth=1
	s_or_b32 exec_lo, exec_lo, s22
	s_mov_b32 s78, 0
	s_mov_b32 s83, -1
.LBB189_180:                            ;   in Loop: Header=BB189_31 Depth=1
	s_or_not1_b32 s4, s24, exec_lo
.LBB189_181:                            ;   in Loop: Header=BB189_31 Depth=1
	s_or_b32 exec_lo, exec_lo, s56
	s_mov_b32 s8, 0
	s_and_saveexec_b32 s84, s4
	s_cbranch_execz .LBB189_294
; %bb.182:                              ;   in Loop: Header=BB189_31 Depth=1
	v_mov_b64_e32 v[44:45], 1
	v_mov_b32_e32 v20, 1
	s_xor_b32 s4, s85, -1
	s_mov_b32 s9, 0
	s_and_saveexec_b32 s8, s4
	s_cbranch_execz .LBB189_191
; %bb.183:                              ;   in Loop: Header=BB189_31 Depth=1
	s_mov_b32 s4, exec_lo
	v_cmpx_ge_u64_e64 s[16:17], v[42:43]
	s_xor_b32 s4, exec_lo, s4
	s_cbranch_execz .LBB189_188
; %bb.184:                              ;   in Loop: Header=BB189_31 Depth=1
	ds_load_b64 v[4:5], v21 offset:5120
	v_and_b32_e32 v2, s15, v15
	v_and_b32_e32 v8, s14, v14
	s_lshl_b64 s[22:23], 1, s98
	v_or_b32_e32 v13, s13, v13
	v_or_b32_e32 v12, s12, v12
	;; [unrolled: 1-line block ×4, first 2 shown]
	s_wait_dscnt 0x0
	v_cmp_ne_u64_e32 vcc_lo, 0, v[4:5]
	s_cbranch_vccnz .LBB189_188
; %bb.185:                              ;   in Loop: Header=BB189_31 Depth=1
	s_and_saveexec_b32 s9, s5
; %bb.186:                              ;   in Loop: Header=BB189_31 Depth=1
	v_mov_b64_e32 v[4:5], s[16:17]
	ds_store_b64 v21, v[4:5] offset:5128
; %bb.187:                              ;   in Loop: Header=BB189_31 Depth=1
	s_or_b32 exec_lo, exec_lo, s9
	s_wait_dscnt 0x0
	s_barrier_signal -1
	s_barrier_wait -1
.LBB189_188:                            ;   in Loop: Header=BB189_31 Depth=1
	s_or_saveexec_b32 s4, s4
	v_mov_b32_e32 v20, 8
	s_mov_b32 s9, 0
	s_xor_b32 exec_lo, exec_lo, s4
; %bb.189:                              ;   in Loop: Header=BB189_31 Depth=1
	v_sub_nc_u64_e64 v[42:43], v[42:43], s[16:17]
	v_mov_b32_e32 v20, 0
	s_mov_b32 s9, exec_lo
; %bb.190:                              ;   in Loop: Header=BB189_31 Depth=1
	s_or_b32 exec_lo, exec_lo, s4
	s_delay_alu instid0(VALU_DEP_2)
	v_mov_b64_e32 v[44:45], v[42:43]
	s_and_b32 s9, s9, exec_lo
.LBB189_191:                            ;   in Loop: Header=BB189_31 Depth=1
	s_or_b32 exec_lo, exec_lo, s8
	s_mov_b32 s4, -1
                                        ; implicit-def: $sgpr86
                                        ; implicit-def: $sgpr87
	s_and_saveexec_b32 s85, s9
	s_cbranch_execz .LBB189_293
; %bb.192:                              ;   in Loop: Header=BB189_31 Depth=1
	s_delay_alu instid0(VALU_DEP_1) | instskip(SKIP_2) | instid1(SALU_CYCLE_1)
	v_cmp_eq_u64_e32 vcc_lo, 1, v[44:45]
	s_cmp_eq_u64 s[18:19], 1
                                        ; implicit-def: $sgpr87
                                        ; implicit-def: $sgpr86
	s_cselect_b32 s4, -1, 0
	s_and_b32 s89, s4, vcc_lo
	s_mov_b32 s4, -1
	s_and_saveexec_b32 s56, s89
	s_cbranch_execz .LBB189_228
; %bb.193:                              ;   in Loop: Header=BB189_31 Depth=1
	ds_load_b64 v[4:5], v21 offset:5120
	s_wait_dscnt 0x0
	s_barrier_signal -1
	s_barrier_wait -1
	v_readfirstlane_b32 s8, v4
	v_readfirstlane_b32 s9, v5
	s_and_saveexec_b32 s4, s6
; %bb.194:                              ;   in Loop: Header=BB189_31 Depth=1
	ds_store_b64 v58, v[36:37]
; %bb.195:                              ;   in Loop: Header=BB189_31 Depth=1
	s_or_b32 exec_lo, exec_lo, s4
	v_and_b32_e32 v2, s15, v15
	v_and_b32_e32 v4, s14, v14
	s_lshl_b64 s[22:23], 2, s98
	v_or_b32_e32 v13, s13, v13
	v_or_b32_e32 v12, s12, v12
	;; [unrolled: 1-line block ×4, first 2 shown]
	s_mov_b32 s86, -1
	s_mov_b32 s87, 0
	s_cmp_eq_u64 s[8:9], 0
	s_mov_b32 s24, 0
	s_mov_b32 s25, -1
	s_wait_dscnt 0x0
	s_barrier_signal -1
	s_barrier_wait -1
                                        ; implicit-def: $vgpr10_vgpr11
	s_cbranch_scc1 .LBB189_212
; %bb.196:                              ;   in Loop: Header=BB189_31 Depth=1
	s_add_nc_u64 s[22:23], s[8:9], s[62:63]
	s_delay_alu instid0(SALU_CYCLE_1) | instskip(NEXT) | instid1(SALU_CYCLE_1)
	s_and_b64 s[24:25], s[22:23], 0xffffffff00000000
	s_cmp_lg_u64 s[24:25], 0
	s_cbranch_scc0 .LBB189_245
; %bb.197:                              ;   in Loop: Header=BB189_31 Depth=1
	s_cvt_f32_u32 s4, s34
	s_sub_nc_u64 s[46:47], 0, s[34:35]
	s_delay_alu instid0(SALU_CYCLE_2) | instskip(NEXT) | instid1(SALU_CYCLE_3)
	s_fmamk_f32 s4, s100, 0x0, s4
	v_s_rcp_f32 s4, s4
	s_delay_alu instid0(TRANS32_DEP_1) | instskip(NEXT) | instid1(SALU_CYCLE_3)
	s_mul_f32 s4, s4, 0x5f7ffffc
	s_mul_f32 s24, s4, 0x2f800000
	s_delay_alu instid0(SALU_CYCLE_3) | instskip(NEXT) | instid1(SALU_CYCLE_3)
	s_trunc_f32 s24, s24
	s_fmamk_f32 s4, s24, 0xcf800000, s4
	s_cvt_u32_f32 s25, s24
	s_delay_alu instid0(SALU_CYCLE_2) | instskip(NEXT) | instid1(SALU_CYCLE_3)
	s_cvt_u32_f32 s24, s4
	s_mul_u64 s[66:67], s[46:47], s[24:25]
	s_delay_alu instid0(SALU_CYCLE_1)
	s_mul_hi_u32 s71, s24, s67
	s_mul_i32 s70, s24, s67
	s_mul_hi_u32 s26, s24, s66
	s_mul_i32 s57, s25, s66
	s_add_nc_u64 s[70:71], s[26:27], s[70:71]
	s_mul_hi_u32 s4, s25, s66
	s_mul_hi_u32 s88, s25, s67
	s_add_co_u32 s26, s70, s57
	s_add_co_ci_u32 s26, s71, s4
	s_mul_i32 s66, s25, s67
	s_add_co_ci_u32 s67, s88, 0
	s_delay_alu instid0(SALU_CYCLE_1) | instskip(NEXT) | instid1(SALU_CYCLE_1)
	s_add_nc_u64 s[66:67], s[26:27], s[66:67]
	s_add_co_u32 s24, s24, s66
	s_cselect_b32 s4, -1, 0
	s_delay_alu instid0(SALU_CYCLE_1) | instskip(SKIP_1) | instid1(SALU_CYCLE_1)
	s_cmp_lg_u32 s4, 0
	s_add_co_ci_u32 s25, s25, s67
	s_mul_u64 s[46:47], s[46:47], s[24:25]
	s_delay_alu instid0(SALU_CYCLE_1)
	s_mul_hi_u32 s67, s24, s47
	s_mul_i32 s66, s24, s47
	s_mul_hi_u32 s26, s24, s46
	s_mul_i32 s57, s25, s46
	s_add_nc_u64 s[66:67], s[26:27], s[66:67]
	s_mul_hi_u32 s4, s25, s46
	s_mul_hi_u32 s70, s25, s47
	s_add_co_u32 s26, s66, s57
	s_add_co_ci_u32 s26, s67, s4
	s_mul_i32 s46, s25, s47
	s_add_co_ci_u32 s47, s70, 0
	s_delay_alu instid0(SALU_CYCLE_1) | instskip(NEXT) | instid1(SALU_CYCLE_1)
	s_add_nc_u64 s[46:47], s[26:27], s[46:47]
	s_add_co_u32 s4, s24, s46
	s_cselect_b32 s24, -1, 0
	s_mul_hi_u32 s26, s22, s4
	s_cmp_lg_u32 s24, 0
	s_mul_hi_u32 s57, s23, s4
	s_add_co_ci_u32 s46, s25, s47
	s_mul_i32 s4, s23, s4
	s_mul_hi_u32 s25, s22, s46
	s_mul_i32 s24, s22, s46
	s_mul_hi_u32 s47, s23, s46
	s_add_nc_u64 s[24:25], s[26:27], s[24:25]
	s_mul_i32 s46, s23, s46
	s_add_co_u32 s4, s24, s4
	s_add_co_ci_u32 s26, s25, s57
	s_add_co_ci_u32 s47, s47, 0
	s_delay_alu instid0(SALU_CYCLE_1) | instskip(NEXT) | instid1(SALU_CYCLE_1)
	s_add_nc_u64 s[24:25], s[26:27], s[46:47]
	s_and_b64 s[46:47], s[24:25], 0xffffffff00000000
	s_delay_alu instid0(SALU_CYCLE_1) | instskip(NEXT) | instid1(SALU_CYCLE_1)
	s_or_b32 s46, s46, s24
	s_mul_u64 s[24:25], s[34:35], s[46:47]
	s_delay_alu instid0(SALU_CYCLE_1) | instskip(SKIP_1) | instid1(SALU_CYCLE_1)
	s_sub_co_u32 s4, s22, s24
	s_cselect_b32 s24, -1, 0
	s_cmp_lg_u32 s24, 0
	s_sub_co_ci_u32 s24, s23, s25
	s_sub_co_u32 s25, s4, s34
	s_cselect_b32 s26, -1, 0
	s_delay_alu instid0(SALU_CYCLE_1) | instskip(SKIP_3) | instid1(SALU_CYCLE_1)
	s_cmp_lg_u32 s26, 0
	s_sub_co_ci_u32 s26, s24, 0
	s_sub_co_u32 s46, s25, s34
	s_cselect_b32 s47, -1, 0
	s_cmp_lg_u32 s47, 0
	s_sub_co_ci_u32 s47, s26, 0
	s_cmp_ge_u32 s25, s34
	s_cselect_b32 s57, -1, 0
	s_cmp_eq_u32 s26, 0
	s_cselect_b32 s57, s57, -1
	s_delay_alu instid0(SALU_CYCLE_1)
	s_cmp_lg_u32 s57, 0
	s_cselect_b32 s26, s47, s26
	s_cselect_b32 s46, s46, s25
	s_cmp_ge_u32 s4, s34
	s_cselect_b32 s25, -1, 0
	s_cmp_eq_u32 s24, 0
	s_cselect_b32 s25, s25, -1
	s_delay_alu instid0(SALU_CYCLE_1)
	s_cmp_lg_u32 s25, 0
	s_cselect_b32 s25, s26, s24
	s_cselect_b32 s24, s46, s4
	s_cbranch_execnz .LBB189_199
.LBB189_198:                            ;   in Loop: Header=BB189_31 Depth=1
	v_cvt_f32_u32_e32 v2, s34
	s_sub_co_i32 s24, 0, s34
	s_delay_alu instid0(VALU_DEP_1) | instskip(SKIP_1) | instid1(TRANS32_DEP_1)
	v_rcp_iflag_f32_e32 v2, v2
	v_nop
	v_mul_f32_e32 v2, 0x4f7ffffe, v2
	s_delay_alu instid0(VALU_DEP_1) | instskip(NEXT) | instid1(VALU_DEP_1)
	v_cvt_u32_f32_e32 v2, v2
	v_readfirstlane_b32 s4, v2
	s_mul_i32 s24, s24, s4
	s_delay_alu instid0(SALU_CYCLE_1) | instskip(NEXT) | instid1(SALU_CYCLE_1)
	s_mul_hi_u32 s24, s4, s24
	s_add_co_i32 s4, s4, s24
	s_delay_alu instid0(SALU_CYCLE_1) | instskip(NEXT) | instid1(SALU_CYCLE_1)
	s_mul_hi_u32 s4, s22, s4
	s_mul_i32 s4, s4, s34
	s_delay_alu instid0(SALU_CYCLE_1) | instskip(NEXT) | instid1(SALU_CYCLE_1)
	s_sub_co_i32 s4, s22, s4
	s_sub_co_i32 s24, s4, s34
	s_cmp_ge_u32 s4, s34
	s_cselect_b32 s4, s24, s4
	s_delay_alu instid0(SALU_CYCLE_1) | instskip(SKIP_2) | instid1(SALU_CYCLE_1)
	s_sub_co_i32 s24, s4, s34
	s_cmp_ge_u32 s4, s34
	s_cselect_b32 s26, s24, s4
	s_mov_b64 s[24:25], s[26:27]
.LBB189_199:                            ;   in Loop: Header=BB189_31 Depth=1
	s_delay_alu instid0(SALU_CYCLE_1)
	s_sub_nc_u64 s[22:23], s[22:23], s[24:25]
	s_mov_b32 s25, 0
	s_mov_b32 s24, 0
	s_mov_b32 s26, exec_lo
                                        ; implicit-def: $vgpr10_vgpr11
	v_cmpx_gt_u64_e64 s[22:23], v[0:1]
	s_cbranch_execz .LBB189_211
; %bb.200:                              ;   in Loop: Header=BB189_31 Depth=1
	v_mov_b64_e32 v[42:43], v[0:1]
	v_mov_b32_e32 v46, v56
                                        ; implicit-def: $sgpr46
	s_branch .LBB189_204
.LBB189_201:                            ;   in Loop: Header=BB189_204 Depth=2
	s_or_b32 exec_lo, exec_lo, s4
	s_wait_dscnt 0x0
	s_barrier_signal -1
	s_barrier_wait -1
	ds_load_b128 v[8:11], v21 offset:3072
	s_wait_dscnt 0x0
	s_barrier_signal -1
	s_barrier_wait -1
	v_cmp_neq_f64_e32 vcc_lo, 0, v[8:9]
	s_cbranch_vccnz .LBB189_207
; %bb.202:                              ;   in Loop: Header=BB189_204 Depth=2
	v_add_nc_u64_e32 v[42:43], s[34:35], v[42:43]
	v_add_nc_u32_e32 v46, s97, v46
	s_mov_b32 s4, 0
	s_delay_alu instid0(VALU_DEP_2)
	v_cmp_le_u64_e32 vcc_lo, s[22:23], v[42:43]
	s_or_not1_b32 s47, vcc_lo, exec_lo
.LBB189_203:                            ;   in Loop: Header=BB189_204 Depth=2
	s_delay_alu instid0(SALU_CYCLE_1) | instskip(NEXT) | instid1(SALU_CYCLE_1)
	s_and_b32 s47, exec_lo, s47
	s_or_b32 s24, s47, s24
	s_and_not1_b32 s46, s46, exec_lo
	s_and_b32 s4, s4, exec_lo
	s_delay_alu instid0(SALU_CYCLE_1)
	s_or_b32 s46, s46, s4
	s_and_not1_b32 exec_lo, exec_lo, s24
	s_cbranch_execz .LBB189_210
.LBB189_204:                            ;   Parent Loop BB189_31 Depth=1
                                        ; =>  This Inner Loop Header: Depth=2
	s_mov_b32 s4, exec_lo
	s_delay_alu instid0(VALU_DEP_2)
	v_cmpx_gt_u64_e64 s[8:9], v[42:43]
	s_cbranch_execz .LBB189_201
; %bb.205:                              ;   in Loop: Header=BB189_204 Depth=2
	ds_load_b64 v[4:5], v46
	s_wait_dscnt 0x0
	v_cmp_o_f64_e32 vcc_lo, v[4:5], v[4:5]
	v_ashrrev_i32_e32 v2, 31, v5
	s_delay_alu instid0(VALU_DEP_1) | instskip(NEXT) | instid1(VALU_DEP_1)
	v_or_b32_e32 v8, 0x80000000, v2
	v_xor_b32_e32 v8, v8, v5
	v_xor_b32_e32 v2, v2, v4
	s_delay_alu instid0(VALU_DEP_1) | instskip(NEXT) | instid1(VALU_DEP_1)
	v_dual_cndmask_b32 v8, -1, v8, vcc_lo :: v_dual_cndmask_b32 v2, -1, v2, vcc_lo
	v_and_b32_e32 v9, v8, v13
	s_delay_alu instid0(VALU_DEP_2) | instskip(NEXT) | instid1(VALU_DEP_1)
	v_and_b32_e32 v8, v2, v12
	v_cmp_eq_u64_e32 vcc_lo, v[8:9], v[14:15]
	s_and_b32 exec_lo, exec_lo, vcc_lo
	s_cbranch_execz .LBB189_201
; %bb.206:                              ;   in Loop: Header=BB189_204 Depth=2
	v_mov_b32_e32 v2, v21
	ds_store_b128 v21, v[2:5] offset:3072
	s_branch .LBB189_201
.LBB189_207:                            ;   in Loop: Header=BB189_204 Depth=2
	s_mov_b32 s47, -1
	s_mov_b32 s4, -1
                                        ; implicit-def: $vgpr42_vgpr43
                                        ; implicit-def: $vgpr46
	s_branch .LBB189_203
.LBB189_208:                            ;   in Loop: Header=BB189_31 Depth=1
                                        ; implicit-def: $sgpr24_sgpr25
	s_branch .LBB189_151
.LBB189_209:                            ;   in Loop: Header=BB189_31 Depth=1
                                        ; implicit-def: $sgpr8_sgpr9
	s_branch .LBB189_168
.LBB189_210:                            ;   in Loop: Header=BB189_31 Depth=1
	s_or_b32 exec_lo, exec_lo, s24
	s_delay_alu instid0(SALU_CYCLE_1)
	s_and_b32 s24, s46, exec_lo
.LBB189_211:                            ;   in Loop: Header=BB189_31 Depth=1
	s_or_b32 exec_lo, exec_lo, s26
.LBB189_212:                            ;   in Loop: Header=BB189_31 Depth=1
	s_delay_alu instid0(SALU_CYCLE_1)
	s_and_b32 vcc_lo, exec_lo, s25
	s_cbranch_vccz .LBB189_227
; %bb.213:                              ;   in Loop: Header=BB189_31 Depth=1
	s_and_b64 s[8:9], s[64:65], 0xffffffff00000000
	s_delay_alu instid0(SALU_CYCLE_1)
	s_cmp_lg_u64 s[8:9], 0
	s_cbranch_scc0 .LBB189_246
; %bb.214:                              ;   in Loop: Header=BB189_31 Depth=1
	s_cvt_f32_u32 s4, s34
	s_sub_nc_u64 s[22:23], 0, s[34:35]
	s_delay_alu instid0(SALU_CYCLE_2) | instskip(NEXT) | instid1(SALU_CYCLE_3)
	s_fmamk_f32 s4, s100, 0x0, s4
	v_s_rcp_f32 s4, s4
	s_delay_alu instid0(TRANS32_DEP_1) | instskip(NEXT) | instid1(SALU_CYCLE_3)
	s_mul_f32 s4, s4, 0x5f7ffffc
	s_mul_f32 s8, s4, 0x2f800000
	s_delay_alu instid0(SALU_CYCLE_3) | instskip(NEXT) | instid1(SALU_CYCLE_3)
	s_trunc_f32 s8, s8
	s_fmamk_f32 s4, s8, 0xcf800000, s4
	s_cvt_u32_f32 s9, s8
	s_delay_alu instid0(SALU_CYCLE_2) | instskip(NEXT) | instid1(SALU_CYCLE_3)
	s_cvt_u32_f32 s8, s4
	s_mul_u64 s[46:47], s[22:23], s[8:9]
	s_delay_alu instid0(SALU_CYCLE_1)
	s_mul_hi_u32 s67, s8, s47
	s_mul_i32 s66, s8, s47
	s_mul_hi_u32 s26, s8, s46
	s_mul_i32 s25, s9, s46
	s_add_nc_u64 s[66:67], s[26:27], s[66:67]
	s_mul_hi_u32 s4, s9, s46
	s_mul_hi_u32 s57, s9, s47
	s_add_co_u32 s25, s66, s25
	s_add_co_ci_u32 s26, s67, s4
	s_mul_i32 s46, s9, s47
	s_add_co_ci_u32 s47, s57, 0
	s_delay_alu instid0(SALU_CYCLE_1) | instskip(NEXT) | instid1(SALU_CYCLE_1)
	s_add_nc_u64 s[46:47], s[26:27], s[46:47]
	s_add_co_u32 s8, s8, s46
	s_cselect_b32 s4, -1, 0
	s_delay_alu instid0(SALU_CYCLE_1) | instskip(SKIP_1) | instid1(SALU_CYCLE_1)
	s_cmp_lg_u32 s4, 0
	s_add_co_ci_u32 s9, s9, s47
	s_mul_u64 s[22:23], s[22:23], s[8:9]
	s_delay_alu instid0(SALU_CYCLE_1)
	s_mul_hi_u32 s47, s8, s23
	s_mul_i32 s46, s8, s23
	s_mul_hi_u32 s26, s8, s22
	s_mul_i32 s25, s9, s22
	s_add_nc_u64 s[46:47], s[26:27], s[46:47]
	s_mul_hi_u32 s4, s9, s22
	s_mul_hi_u32 s57, s9, s23
	s_mul_i32 s22, s9, s23
	s_add_co_u32 s23, s46, s25
	s_add_co_ci_u32 s26, s47, s4
	s_add_co_ci_u32 s23, s57, 0
	s_delay_alu instid0(SALU_CYCLE_1) | instskip(NEXT) | instid1(SALU_CYCLE_1)
	s_add_nc_u64 s[22:23], s[26:27], s[22:23]
	s_add_co_u32 s4, s8, s22
	s_cselect_b32 s8, -1, 0
	s_mul_hi_u32 s26, s64, s4
	s_cmp_lg_u32 s8, 0
	s_mul_hi_u32 s25, s65, s4
	s_add_co_ci_u32 s22, s9, s23
	s_mul_i32 s4, s65, s4
	s_mul_hi_u32 s9, s64, s22
	s_mul_i32 s8, s64, s22
	s_mul_hi_u32 s23, s65, s22
	s_add_nc_u64 s[8:9], s[26:27], s[8:9]
	s_mul_i32 s22, s65, s22
	s_add_co_u32 s4, s8, s4
	s_add_co_ci_u32 s26, s9, s25
	s_add_co_ci_u32 s23, s23, 0
	s_delay_alu instid0(SALU_CYCLE_1) | instskip(NEXT) | instid1(SALU_CYCLE_1)
	s_add_nc_u64 s[8:9], s[26:27], s[22:23]
	s_and_b64 s[22:23], s[8:9], 0xffffffff00000000
	s_delay_alu instid0(SALU_CYCLE_1) | instskip(NEXT) | instid1(SALU_CYCLE_1)
	s_or_b32 s22, s22, s8
	s_mul_u64 s[8:9], s[34:35], s[22:23]
	s_delay_alu instid0(SALU_CYCLE_1) | instskip(SKIP_1) | instid1(SALU_CYCLE_1)
	s_sub_co_u32 s4, s64, s8
	s_cselect_b32 s8, -1, 0
	s_cmp_lg_u32 s8, 0
	s_sub_co_ci_u32 s8, s65, s9
	s_sub_co_u32 s9, s4, s34
	s_cselect_b32 s22, -1, 0
	s_delay_alu instid0(SALU_CYCLE_1) | instskip(SKIP_3) | instid1(SALU_CYCLE_1)
	s_cmp_lg_u32 s22, 0
	s_sub_co_ci_u32 s22, s8, 0
	s_sub_co_u32 s23, s9, s34
	s_cselect_b32 s25, -1, 0
	s_cmp_lg_u32 s25, 0
	s_sub_co_ci_u32 s25, s22, 0
	s_cmp_ge_u32 s9, s34
	s_cselect_b32 s26, -1, 0
	s_cmp_eq_u32 s22, 0
	s_cselect_b32 s26, s26, -1
	s_delay_alu instid0(SALU_CYCLE_1)
	s_cmp_lg_u32 s26, 0
	s_cselect_b32 s22, s25, s22
	s_cselect_b32 s23, s23, s9
	s_cmp_ge_u32 s4, s34
	s_cselect_b32 s9, -1, 0
	s_cmp_eq_u32 s8, 0
	s_cselect_b32 s9, s9, -1
	s_delay_alu instid0(SALU_CYCLE_1)
	s_cmp_lg_u32 s9, 0
	s_cselect_b32 s9, s22, s8
	s_cselect_b32 s8, s23, s4
	s_cbranch_execnz .LBB189_216
.LBB189_215:                            ;   in Loop: Header=BB189_31 Depth=1
	v_cvt_f32_u32_e32 v2, s34
	s_sub_co_i32 s8, 0, s34
	s_delay_alu instid0(VALU_DEP_1) | instskip(SKIP_1) | instid1(TRANS32_DEP_1)
	v_rcp_iflag_f32_e32 v2, v2
	v_nop
	v_mul_f32_e32 v2, 0x4f7ffffe, v2
	s_delay_alu instid0(VALU_DEP_1) | instskip(NEXT) | instid1(VALU_DEP_1)
	v_cvt_u32_f32_e32 v2, v2
	v_readfirstlane_b32 s4, v2
	s_mul_i32 s8, s8, s4
	s_delay_alu instid0(SALU_CYCLE_1) | instskip(NEXT) | instid1(SALU_CYCLE_1)
	s_mul_hi_u32 s8, s4, s8
	s_add_co_i32 s4, s4, s8
	s_delay_alu instid0(SALU_CYCLE_1) | instskip(NEXT) | instid1(SALU_CYCLE_1)
	s_mul_hi_u32 s4, s64, s4
	s_mul_i32 s4, s4, s34
	s_delay_alu instid0(SALU_CYCLE_1) | instskip(NEXT) | instid1(SALU_CYCLE_1)
	s_sub_co_i32 s4, s64, s4
	s_sub_co_i32 s8, s4, s34
	s_cmp_ge_u32 s4, s34
	s_cselect_b32 s4, s8, s4
	s_delay_alu instid0(SALU_CYCLE_1) | instskip(SKIP_2) | instid1(SALU_CYCLE_1)
	s_sub_co_i32 s8, s4, s34
	s_cmp_ge_u32 s4, s34
	s_cselect_b32 s26, s8, s4
	s_mov_b64 s[8:9], s[26:27]
.LBB189_216:                            ;   in Loop: Header=BB189_31 Depth=1
	s_delay_alu instid0(SALU_CYCLE_1)
	s_sub_nc_u64 s[8:9], s[64:65], s[8:9]
	s_mov_b32 s22, exec_lo
                                        ; implicit-def: $vgpr10_vgpr11
	v_cmpx_gt_u64_e64 s[8:9], v[0:1]
	s_cbranch_execz .LBB189_226
; %bb.217:                              ;   in Loop: Header=BB189_31 Depth=1
	v_mov_b64_e32 v[42:43], v[34:35]
	v_mov_b64_e32 v[46:47], v[0:1]
	s_mov_b32 s23, 0
                                        ; implicit-def: $sgpr25
	s_branch .LBB189_221
.LBB189_218:                            ;   in Loop: Header=BB189_221 Depth=2
	s_or_b32 exec_lo, exec_lo, s4
	s_wait_dscnt 0x0
	s_barrier_signal -1
	s_barrier_wait -1
	ds_load_b128 v[8:11], v21 offset:3072
	s_wait_dscnt 0x0
	s_barrier_signal -1
	s_barrier_wait -1
	v_cmp_eq_f64_e32 vcc_lo, 0, v[8:9]
	s_cbranch_vccz .LBB189_224
; %bb.219:                              ;   in Loop: Header=BB189_221 Depth=2
	v_add_nc_u64_e32 v[46:47], s[34:35], v[46:47]
	v_add_nc_u64_e32 v[42:43], s[40:41], v[42:43]
	s_mov_b32 s4, 0
	s_delay_alu instid0(VALU_DEP_2)
	v_cmp_le_u64_e32 vcc_lo, s[8:9], v[46:47]
	s_or_not1_b32 s26, vcc_lo, exec_lo
.LBB189_220:                            ;   in Loop: Header=BB189_221 Depth=2
	s_delay_alu instid0(SALU_CYCLE_1) | instskip(NEXT) | instid1(SALU_CYCLE_1)
	s_and_b32 s26, exec_lo, s26
	s_or_b32 s23, s26, s23
	s_and_not1_b32 s25, s25, exec_lo
	s_and_b32 s4, s4, exec_lo
	s_delay_alu instid0(SALU_CYCLE_1)
	s_or_b32 s25, s25, s4
	s_and_not1_b32 exec_lo, exec_lo, s23
	s_cbranch_execz .LBB189_225
.LBB189_221:                            ;   Parent Loop BB189_31 Depth=1
                                        ; =>  This Inner Loop Header: Depth=2
	s_mov_b32 s4, exec_lo
	s_delay_alu instid0(VALU_DEP_1)
	v_cmpx_gt_u64_e64 s[36:37], v[46:47]
	s_cbranch_execz .LBB189_218
; %bb.222:                              ;   in Loop: Header=BB189_221 Depth=2
	global_load_b64 v[4:5], v[42:43], off
	s_wait_loadcnt 0x0
	v_cmp_o_f64_e32 vcc_lo, v[4:5], v[4:5]
	v_ashrrev_i32_e32 v2, 31, v5
	s_delay_alu instid0(VALU_DEP_1) | instskip(NEXT) | instid1(VALU_DEP_1)
	v_or_b32_e32 v8, 0x80000000, v2
	v_xor_b32_e32 v8, v8, v5
	v_xor_b32_e32 v2, v2, v4
	s_delay_alu instid0(VALU_DEP_1) | instskip(NEXT) | instid1(VALU_DEP_1)
	v_dual_cndmask_b32 v8, -1, v8, vcc_lo :: v_dual_cndmask_b32 v2, -1, v2, vcc_lo
	v_and_b32_e32 v9, v8, v13
	s_delay_alu instid0(VALU_DEP_2) | instskip(NEXT) | instid1(VALU_DEP_1)
	v_and_b32_e32 v8, v2, v12
	v_cmp_eq_u64_e32 vcc_lo, v[8:9], v[14:15]
	s_and_b32 exec_lo, exec_lo, vcc_lo
	s_cbranch_execz .LBB189_218
; %bb.223:                              ;   in Loop: Header=BB189_221 Depth=2
	v_mov_b32_e32 v2, v21
	ds_store_b128 v21, v[2:5] offset:3072
	s_branch .LBB189_218
.LBB189_224:                            ;   in Loop: Header=BB189_221 Depth=2
	s_mov_b32 s26, -1
	s_mov_b32 s4, -1
                                        ; implicit-def: $vgpr46_vgpr47
                                        ; implicit-def: $vgpr42_vgpr43
	s_branch .LBB189_220
.LBB189_225:                            ;   in Loop: Header=BB189_31 Depth=1
	s_or_b32 exec_lo, exec_lo, s23
	s_delay_alu instid0(SALU_CYCLE_1) | instskip(SKIP_1) | instid1(SALU_CYCLE_1)
	s_and_not1_b32 s4, s24, exec_lo
	s_and_b32 s8, s25, exec_lo
	s_or_b32 s24, s4, s8
.LBB189_226:                            ;   in Loop: Header=BB189_31 Depth=1
	s_or_b32 exec_lo, exec_lo, s22
	s_mov_b32 s86, 0
	s_mov_b32 s87, -1
.LBB189_227:                            ;   in Loop: Header=BB189_31 Depth=1
	s_or_not1_b32 s4, s24, exec_lo
.LBB189_228:                            ;   in Loop: Header=BB189_31 Depth=1
	s_or_b32 exec_lo, exec_lo, s56
	s_mov_b32 s8, 0
	s_and_saveexec_b32 s88, s4
	s_cbranch_execz .LBB189_292
; %bb.229:                              ;   in Loop: Header=BB189_31 Depth=1
	v_mov_b64_e32 v[42:43], 1
	v_mov_b32_e32 v20, 1
	s_xor_b32 s4, s89, -1
	s_mov_b32 s9, 0
	s_and_saveexec_b32 s8, s4
	s_cbranch_execz .LBB189_238
; %bb.230:                              ;   in Loop: Header=BB189_31 Depth=1
	s_mov_b32 s4, exec_lo
	v_cmpx_ge_u64_e64 s[18:19], v[44:45]
	s_xor_b32 s4, exec_lo, s4
	s_cbranch_execz .LBB189_235
; %bb.231:                              ;   in Loop: Header=BB189_31 Depth=1
	ds_load_b64 v[4:5], v21 offset:5120
	v_and_b32_e32 v2, s15, v15
	v_and_b32_e32 v8, s14, v14
	s_lshl_b64 s[22:23], 2, s98
	v_or_b32_e32 v13, s13, v13
	v_or_b32_e32 v12, s12, v12
	;; [unrolled: 1-line block ×4, first 2 shown]
	s_wait_dscnt 0x0
	v_cmp_ne_u64_e32 vcc_lo, 0, v[4:5]
	s_cbranch_vccnz .LBB189_235
; %bb.232:                              ;   in Loop: Header=BB189_31 Depth=1
	s_and_saveexec_b32 s9, s5
; %bb.233:                              ;   in Loop: Header=BB189_31 Depth=1
	v_mov_b64_e32 v[4:5], s[18:19]
	ds_store_b64 v21, v[4:5] offset:5128
; %bb.234:                              ;   in Loop: Header=BB189_31 Depth=1
	s_or_b32 exec_lo, exec_lo, s9
	s_wait_dscnt 0x0
	s_barrier_signal -1
	s_barrier_wait -1
.LBB189_235:                            ;   in Loop: Header=BB189_31 Depth=1
	s_or_saveexec_b32 s4, s4
	v_mov_b32_e32 v20, 8
	s_mov_b32 s9, 0
	s_xor_b32 exec_lo, exec_lo, s4
; %bb.236:                              ;   in Loop: Header=BB189_31 Depth=1
	v_sub_nc_u64_e64 v[44:45], v[44:45], s[18:19]
	v_mov_b32_e32 v20, 0
	s_mov_b32 s9, exec_lo
; %bb.237:                              ;   in Loop: Header=BB189_31 Depth=1
	s_or_b32 exec_lo, exec_lo, s4
	s_delay_alu instid0(VALU_DEP_2)
	v_mov_b64_e32 v[42:43], v[44:45]
	s_and_b32 s9, s9, exec_lo
.LBB189_238:                            ;   in Loop: Header=BB189_31 Depth=1
	s_or_b32 exec_lo, exec_lo, s8
	s_mov_b32 s4, -1
                                        ; implicit-def: $sgpr47
                                        ; implicit-def: $sgpr46
	s_and_saveexec_b32 s89, s9
	s_cbranch_execz .LBB189_291
; %bb.239:                              ;   in Loop: Header=BB189_31 Depth=1
	s_delay_alu instid0(VALU_DEP_1) | instskip(SKIP_2) | instid1(SALU_CYCLE_1)
	v_cmp_eq_u64_e32 vcc_lo, 1, v[42:43]
	s_cmp_eq_u64 s[20:21], 1
                                        ; implicit-def: $sgpr47
                                        ; implicit-def: $sgpr46
	s_cselect_b32 s4, -1, 0
	s_and_b32 s70, s4, vcc_lo
	s_mov_b32 s4, -1
	s_and_saveexec_b32 s94, s70
	s_cbranch_execz .LBB189_279
; %bb.240:                              ;   in Loop: Header=BB189_31 Depth=1
	ds_load_b64 v[4:5], v21 offset:5120
	s_wait_dscnt 0x0
	s_barrier_signal -1
	s_barrier_wait -1
	v_readfirstlane_b32 s8, v4
	v_readfirstlane_b32 s9, v5
	s_and_saveexec_b32 s4, s6
; %bb.241:                              ;   in Loop: Header=BB189_31 Depth=1
	ds_store_b64 v58, v[36:37]
; %bb.242:                              ;   in Loop: Header=BB189_31 Depth=1
	s_or_b32 exec_lo, exec_lo, s4
	v_or_b32_e32 v15, s13, v15
	v_or_b32_e32 v14, s12, v14
	;; [unrolled: 1-line block ×4, first 2 shown]
	s_mov_b32 s46, -1
	s_mov_b32 s47, 0
	s_cmp_eq_u64 s[8:9], 0
	s_mov_b32 s24, 0
	s_mov_b32 s25, -1
	s_wait_dscnt 0x0
	s_barrier_signal -1
	s_barrier_wait -1
                                        ; implicit-def: $vgpr10_vgpr11
	s_cbranch_scc1 .LBB189_261
; %bb.243:                              ;   in Loop: Header=BB189_31 Depth=1
	s_add_nc_u64 s[22:23], s[8:9], s[62:63]
	v_writelane_b32 v74, s70, 16
	s_and_b64 s[24:25], s[22:23], 0xffffffff00000000
	s_delay_alu instid0(SALU_CYCLE_1)
	s_cmp_lg_u64 s[24:25], 0
	v_writelane_b32 v74, s93, 17
	s_cbranch_scc0 .LBB189_247
; %bb.244:                              ;   in Loop: Header=BB189_31 Depth=1
	s_cvt_f32_u32 s4, s34
	s_sub_nc_u64 s[66:67], 0, s[34:35]
	s_delay_alu instid0(SALU_CYCLE_2) | instskip(NEXT) | instid1(SALU_CYCLE_3)
	s_fmamk_f32 s4, s100, 0x0, s4
	v_s_rcp_f32 s4, s4
	s_delay_alu instid0(TRANS32_DEP_1) | instskip(NEXT) | instid1(SALU_CYCLE_3)
	s_mul_f32 s4, s4, 0x5f7ffffc
	s_mul_f32 s24, s4, 0x2f800000
	s_delay_alu instid0(SALU_CYCLE_3) | instskip(NEXT) | instid1(SALU_CYCLE_3)
	s_trunc_f32 s24, s24
	s_fmamk_f32 s4, s24, 0xcf800000, s4
	s_cvt_u32_f32 s25, s24
	s_delay_alu instid0(SALU_CYCLE_2) | instskip(NEXT) | instid1(SALU_CYCLE_3)
	s_cvt_u32_f32 s24, s4
	s_mul_u64 s[70:71], s[66:67], s[24:25]
	s_delay_alu instid0(SALU_CYCLE_1)
	s_mul_hi_u32 s57, s24, s71
	s_mul_i32 s56, s24, s71
	s_mul_hi_u32 s26, s24, s70
	s_mul_i32 vcc_lo, s25, s70
	s_add_nc_u64 s[56:57], s[26:27], s[56:57]
	s_mul_hi_u32 s4, s25, s70
	s_mul_hi_u32 s93, s25, s71
	s_add_co_u32 s26, s56, vcc_lo
	s_add_co_ci_u32 s26, s57, s4
	s_mul_i32 s70, s25, s71
	s_add_co_ci_u32 s71, s93, 0
	s_delay_alu instid0(SALU_CYCLE_1) | instskip(NEXT) | instid1(SALU_CYCLE_1)
	s_add_nc_u64 s[56:57], s[26:27], s[70:71]
	s_add_co_u32 s24, s24, s56
	s_cselect_b32 s4, -1, 0
	s_delay_alu instid0(SALU_CYCLE_1) | instskip(SKIP_1) | instid1(SALU_CYCLE_1)
	s_cmp_lg_u32 s4, 0
	s_add_co_ci_u32 s25, s25, s57
	s_mul_u64 s[56:57], s[66:67], s[24:25]
	s_delay_alu instid0(SALU_CYCLE_1)
	s_mul_hi_u32 s67, s24, s57
	s_mul_i32 s66, s24, s57
	s_mul_hi_u32 s26, s24, s56
	s_mul_i32 s70, s25, s56
	s_add_nc_u64 s[66:67], s[26:27], s[66:67]
	s_mul_hi_u32 s4, s25, s56
	s_mul_hi_u32 s71, s25, s57
	s_add_co_u32 s26, s66, s70
	s_add_co_ci_u32 s26, s67, s4
	s_mul_i32 s56, s25, s57
	s_add_co_ci_u32 s57, s71, 0
	s_delay_alu instid0(SALU_CYCLE_1) | instskip(NEXT) | instid1(SALU_CYCLE_1)
	s_add_nc_u64 s[56:57], s[26:27], s[56:57]
	s_add_co_u32 s4, s24, s56
	s_cselect_b32 s24, -1, 0
	s_mul_hi_u32 s26, s22, s4
	s_cmp_lg_u32 s24, 0
	s_mul_hi_u32 s66, s23, s4
	s_add_co_ci_u32 s56, s25, s57
	s_mul_i32 s4, s23, s4
	s_mul_hi_u32 s25, s22, s56
	s_mul_i32 s24, s22, s56
	s_mul_hi_u32 s57, s23, s56
	s_add_nc_u64 s[24:25], s[26:27], s[24:25]
	s_mul_i32 s56, s23, s56
	s_add_co_u32 s4, s24, s4
	s_add_co_ci_u32 s26, s25, s66
	s_add_co_ci_u32 s57, s57, 0
	s_delay_alu instid0(SALU_CYCLE_1) | instskip(NEXT) | instid1(SALU_CYCLE_1)
	s_add_nc_u64 s[24:25], s[26:27], s[56:57]
	s_and_b64 s[56:57], s[24:25], 0xffffffff00000000
	s_delay_alu instid0(SALU_CYCLE_1) | instskip(NEXT) | instid1(SALU_CYCLE_1)
	s_or_b32 s56, s56, s24
	s_mul_u64 s[24:25], s[34:35], s[56:57]
	s_delay_alu instid0(SALU_CYCLE_1) | instskip(SKIP_1) | instid1(SALU_CYCLE_1)
	s_sub_co_u32 s4, s22, s24
	s_cselect_b32 s24, -1, 0
	s_cmp_lg_u32 s24, 0
	s_sub_co_ci_u32 s24, s23, s25
	s_sub_co_u32 s25, s4, s34
	s_cselect_b32 s26, -1, 0
	s_delay_alu instid0(SALU_CYCLE_1) | instskip(SKIP_3) | instid1(SALU_CYCLE_1)
	s_cmp_lg_u32 s26, 0
	s_sub_co_ci_u32 s26, s24, 0
	s_sub_co_u32 s56, s25, s34
	s_cselect_b32 s57, -1, 0
	s_cmp_lg_u32 s57, 0
	s_sub_co_ci_u32 s57, s26, 0
	s_cmp_ge_u32 s25, s34
	s_cselect_b32 s66, -1, 0
	s_cmp_eq_u32 s26, 0
	s_cselect_b32 s66, s66, -1
	s_delay_alu instid0(SALU_CYCLE_1)
	s_cmp_lg_u32 s66, 0
	s_cselect_b32 s26, s57, s26
	s_cselect_b32 s56, s56, s25
	s_cmp_ge_u32 s4, s34
	s_cselect_b32 s25, -1, 0
	s_cmp_eq_u32 s24, 0
	s_cselect_b32 s25, s25, -1
	s_delay_alu instid0(SALU_CYCLE_1)
	s_cmp_lg_u32 s25, 0
	s_cselect_b32 s25, s26, s24
	s_cselect_b32 s24, s56, s4
	s_mov_b32 s4, 0
	s_branch .LBB189_248
.LBB189_245:                            ;   in Loop: Header=BB189_31 Depth=1
                                        ; implicit-def: $sgpr24_sgpr25
	s_branch .LBB189_198
.LBB189_246:                            ;   in Loop: Header=BB189_31 Depth=1
                                        ; implicit-def: $sgpr8_sgpr9
	s_branch .LBB189_215
.LBB189_247:                            ;   in Loop: Header=BB189_31 Depth=1
	s_mov_b32 s4, -1
                                        ; implicit-def: $sgpr24_sgpr25
.LBB189_248:                            ;   in Loop: Header=BB189_31 Depth=1
	s_delay_alu instid0(SALU_CYCLE_1)
	s_and_not1_b32 vcc_lo, exec_lo, s4
	s_cbranch_vccnz .LBB189_250
; %bb.249:                              ;   in Loop: Header=BB189_31 Depth=1
	v_cvt_f32_u32_e32 v2, s34
	s_sub_co_i32 s24, 0, s34
	s_delay_alu instid0(VALU_DEP_1) | instskip(SKIP_1) | instid1(TRANS32_DEP_1)
	v_rcp_iflag_f32_e32 v2, v2
	v_nop
	v_mul_f32_e32 v2, 0x4f7ffffe, v2
	s_delay_alu instid0(VALU_DEP_1) | instskip(NEXT) | instid1(VALU_DEP_1)
	v_cvt_u32_f32_e32 v2, v2
	v_readfirstlane_b32 s4, v2
	s_mul_i32 s24, s24, s4
	s_delay_alu instid0(SALU_CYCLE_1) | instskip(NEXT) | instid1(SALU_CYCLE_1)
	s_mul_hi_u32 s24, s4, s24
	s_add_co_i32 s4, s4, s24
	s_delay_alu instid0(SALU_CYCLE_1) | instskip(NEXT) | instid1(SALU_CYCLE_1)
	s_mul_hi_u32 s4, s22, s4
	s_mul_i32 s4, s4, s34
	s_delay_alu instid0(SALU_CYCLE_1) | instskip(NEXT) | instid1(SALU_CYCLE_1)
	s_sub_co_i32 s4, s22, s4
	s_sub_co_i32 s24, s4, s34
	s_cmp_ge_u32 s4, s34
	s_cselect_b32 s4, s24, s4
	s_delay_alu instid0(SALU_CYCLE_1) | instskip(SKIP_2) | instid1(SALU_CYCLE_1)
	s_sub_co_i32 s24, s4, s34
	s_cmp_ge_u32 s4, s34
	s_cselect_b32 s26, s24, s4
	s_mov_b64 s[24:25], s[26:27]
.LBB189_250:                            ;   in Loop: Header=BB189_31 Depth=1
	s_delay_alu instid0(SALU_CYCLE_1)
	s_sub_nc_u64 s[22:23], s[22:23], s[24:25]
	s_mov_b32 s25, 0
	s_mov_b32 s24, 0
	s_mov_b32 s26, exec_lo
                                        ; implicit-def: $vgpr10_vgpr11
	v_cmpx_gt_u64_e64 s[22:23], v[0:1]
	v_readlane_b32 s93, v74, 17
	v_readlane_b32 s70, v74, 16
	s_cbranch_execz .LBB189_260
; %bb.251:                              ;   in Loop: Header=BB189_31 Depth=1
	v_mov_b64_e32 v[44:45], v[0:1]
	v_mov_b32_e32 v46, v56
                                        ; implicit-def: $sgpr4
	s_branch .LBB189_255
.LBB189_252:                            ;   in Loop: Header=BB189_255 Depth=2
	s_or_b32 exec_lo, exec_lo, s66
	s_wait_dscnt 0x0
	s_barrier_signal -1
	s_barrier_wait -1
	ds_load_b128 v[8:11], v21 offset:3072
	s_wait_dscnt 0x0
	s_barrier_signal -1
	s_barrier_wait -1
	v_cmp_neq_f64_e32 vcc_lo, 0, v[8:9]
	s_cbranch_vccnz .LBB189_258
; %bb.253:                              ;   in Loop: Header=BB189_255 Depth=2
	v_add_nc_u64_e32 v[44:45], s[34:35], v[44:45]
	v_add_nc_u32_e32 v46, s97, v46
	s_mov_b32 s66, 0
	s_delay_alu instid0(VALU_DEP_2)
	v_cmp_le_u64_e32 vcc_lo, s[22:23], v[44:45]
	s_or_not1_b32 s67, vcc_lo, exec_lo
.LBB189_254:                            ;   in Loop: Header=BB189_255 Depth=2
	s_delay_alu instid0(SALU_CYCLE_1) | instskip(NEXT) | instid1(SALU_CYCLE_1)
	s_and_b32 s56, exec_lo, s67
	s_or_b32 s24, s56, s24
	s_and_not1_b32 s4, s4, exec_lo
	s_and_b32 s56, s66, exec_lo
	s_delay_alu instid0(SALU_CYCLE_1)
	s_or_b32 s4, s4, s56
	s_and_not1_b32 exec_lo, exec_lo, s24
	s_cbranch_execz .LBB189_259
.LBB189_255:                            ;   Parent Loop BB189_31 Depth=1
                                        ; =>  This Inner Loop Header: Depth=2
	s_mov_b32 s66, exec_lo
	s_delay_alu instid0(VALU_DEP_2)
	v_cmpx_gt_u64_e64 s[8:9], v[44:45]
	s_cbranch_execz .LBB189_252
; %bb.256:                              ;   in Loop: Header=BB189_255 Depth=2
	ds_load_b64 v[4:5], v46
	s_wait_dscnt 0x0
	v_cmp_o_f64_e32 vcc_lo, v[4:5], v[4:5]
	v_ashrrev_i32_e32 v2, 31, v5
	s_delay_alu instid0(VALU_DEP_1) | instskip(NEXT) | instid1(VALU_DEP_1)
	v_or_b32_e32 v8, 0x80000000, v2
	v_xor_b32_e32 v8, v8, v5
	v_xor_b32_e32 v2, v2, v4
	s_delay_alu instid0(VALU_DEP_1) | instskip(NEXT) | instid1(VALU_DEP_1)
	v_dual_cndmask_b32 v8, -1, v8, vcc_lo :: v_dual_cndmask_b32 v2, -1, v2, vcc_lo
	v_and_b32_e32 v9, v8, v13
	s_delay_alu instid0(VALU_DEP_2) | instskip(NEXT) | instid1(VALU_DEP_1)
	v_and_b32_e32 v8, v2, v12
	v_cmp_eq_u64_e32 vcc_lo, v[8:9], v[14:15]
	s_and_b32 exec_lo, exec_lo, vcc_lo
	s_cbranch_execz .LBB189_252
; %bb.257:                              ;   in Loop: Header=BB189_255 Depth=2
	v_mov_b32_e32 v2, v21
	ds_store_b128 v21, v[2:5] offset:3072
	s_branch .LBB189_252
.LBB189_258:                            ;   in Loop: Header=BB189_255 Depth=2
	s_mov_b32 s67, -1
	s_mov_b32 s66, -1
                                        ; implicit-def: $vgpr44_vgpr45
                                        ; implicit-def: $vgpr46
	s_branch .LBB189_254
.LBB189_259:                            ;   in Loop: Header=BB189_31 Depth=1
	s_or_b32 exec_lo, exec_lo, s24
	s_delay_alu instid0(SALU_CYCLE_1)
	s_and_b32 s24, s4, exec_lo
.LBB189_260:                            ;   in Loop: Header=BB189_31 Depth=1
	s_or_b32 exec_lo, exec_lo, s26
.LBB189_261:                            ;   in Loop: Header=BB189_31 Depth=1
	s_delay_alu instid0(SALU_CYCLE_1)
	s_and_b32 vcc_lo, exec_lo, s25
	s_cbranch_vccz .LBB189_278
; %bb.262:                              ;   in Loop: Header=BB189_31 Depth=1
	s_and_b64 s[8:9], s[64:65], 0xffffffff00000000
	s_delay_alu instid0(SALU_CYCLE_1)
	s_cmp_lg_u64 s[8:9], 0
	s_cbranch_scc0 .LBB189_264
; %bb.263:                              ;   in Loop: Header=BB189_31 Depth=1
	s_cvt_f32_u32 s4, s34
	s_sub_nc_u64 s[22:23], 0, s[34:35]
	s_delay_alu instid0(SALU_CYCLE_2) | instskip(NEXT) | instid1(SALU_CYCLE_3)
	s_fmamk_f32 s4, s100, 0x0, s4
	v_s_rcp_f32 s4, s4
	s_delay_alu instid0(TRANS32_DEP_1) | instskip(NEXT) | instid1(SALU_CYCLE_3)
	s_mul_f32 s4, s4, 0x5f7ffffc
	s_mul_f32 s8, s4, 0x2f800000
	s_delay_alu instid0(SALU_CYCLE_3) | instskip(NEXT) | instid1(SALU_CYCLE_3)
	s_trunc_f32 s8, s8
	s_fmamk_f32 s4, s8, 0xcf800000, s4
	s_cvt_u32_f32 s9, s8
	s_delay_alu instid0(SALU_CYCLE_2) | instskip(NEXT) | instid1(SALU_CYCLE_3)
	s_cvt_u32_f32 s8, s4
	s_mul_u64 s[46:47], s[22:23], s[8:9]
	s_delay_alu instid0(SALU_CYCLE_1)
	s_mul_hi_u32 s57, s8, s47
	s_mul_i32 s56, s8, s47
	s_mul_hi_u32 s26, s8, s46
	s_mul_i32 s25, s9, s46
	s_add_nc_u64 s[56:57], s[26:27], s[56:57]
	s_mul_hi_u32 s4, s9, s46
	s_mul_hi_u32 s66, s9, s47
	s_add_co_u32 s25, s56, s25
	s_add_co_ci_u32 s26, s57, s4
	s_mul_i32 s46, s9, s47
	s_add_co_ci_u32 s47, s66, 0
	s_delay_alu instid0(SALU_CYCLE_1) | instskip(NEXT) | instid1(SALU_CYCLE_1)
	s_add_nc_u64 s[46:47], s[26:27], s[46:47]
	s_add_co_u32 s8, s8, s46
	s_cselect_b32 s4, -1, 0
	s_delay_alu instid0(SALU_CYCLE_1) | instskip(SKIP_1) | instid1(SALU_CYCLE_1)
	s_cmp_lg_u32 s4, 0
	s_add_co_ci_u32 s9, s9, s47
	s_mul_u64 s[22:23], s[22:23], s[8:9]
	s_delay_alu instid0(SALU_CYCLE_1)
	s_mul_hi_u32 s47, s8, s23
	s_mul_i32 s46, s8, s23
	s_mul_hi_u32 s26, s8, s22
	s_mul_i32 s25, s9, s22
	s_add_nc_u64 s[46:47], s[26:27], s[46:47]
	s_mul_hi_u32 s4, s9, s22
	s_mul_hi_u32 s56, s9, s23
	s_mul_i32 s22, s9, s23
	s_add_co_u32 s23, s46, s25
	s_add_co_ci_u32 s26, s47, s4
	s_add_co_ci_u32 s23, s56, 0
	s_delay_alu instid0(SALU_CYCLE_1) | instskip(NEXT) | instid1(SALU_CYCLE_1)
	s_add_nc_u64 s[22:23], s[26:27], s[22:23]
	s_add_co_u32 s4, s8, s22
	s_cselect_b32 s8, -1, 0
	s_mul_hi_u32 s26, s64, s4
	s_cmp_lg_u32 s8, 0
	s_mul_hi_u32 s25, s65, s4
	s_add_co_ci_u32 s22, s9, s23
	s_mul_i32 s4, s65, s4
	s_mul_hi_u32 s9, s64, s22
	s_mul_i32 s8, s64, s22
	s_mul_hi_u32 s23, s65, s22
	s_add_nc_u64 s[8:9], s[26:27], s[8:9]
	s_mul_i32 s22, s65, s22
	s_add_co_u32 s4, s8, s4
	s_add_co_ci_u32 s26, s9, s25
	s_add_co_ci_u32 s23, s23, 0
	s_delay_alu instid0(SALU_CYCLE_1) | instskip(NEXT) | instid1(SALU_CYCLE_1)
	s_add_nc_u64 s[8:9], s[26:27], s[22:23]
	s_and_b64 s[22:23], s[8:9], 0xffffffff00000000
	s_delay_alu instid0(SALU_CYCLE_1) | instskip(NEXT) | instid1(SALU_CYCLE_1)
	s_or_b32 s22, s22, s8
	s_mul_u64 s[8:9], s[34:35], s[22:23]
	s_delay_alu instid0(SALU_CYCLE_1) | instskip(SKIP_1) | instid1(SALU_CYCLE_1)
	s_sub_co_u32 s4, s64, s8
	s_cselect_b32 s8, -1, 0
	s_cmp_lg_u32 s8, 0
	s_sub_co_ci_u32 s8, s65, s9
	s_sub_co_u32 s9, s4, s34
	s_cselect_b32 s22, -1, 0
	s_delay_alu instid0(SALU_CYCLE_1) | instskip(SKIP_3) | instid1(SALU_CYCLE_1)
	s_cmp_lg_u32 s22, 0
	s_sub_co_ci_u32 s22, s8, 0
	s_sub_co_u32 s23, s9, s34
	s_cselect_b32 s25, -1, 0
	s_cmp_lg_u32 s25, 0
	s_sub_co_ci_u32 s25, s22, 0
	s_cmp_ge_u32 s9, s34
	s_cselect_b32 s26, -1, 0
	s_cmp_eq_u32 s22, 0
	s_cselect_b32 s26, s26, -1
	s_delay_alu instid0(SALU_CYCLE_1)
	s_cmp_lg_u32 s26, 0
	s_cselect_b32 s22, s25, s22
	s_cselect_b32 s23, s23, s9
	s_cmp_ge_u32 s4, s34
	s_cselect_b32 s9, -1, 0
	s_cmp_eq_u32 s8, 0
	s_cselect_b32 s9, s9, -1
	s_delay_alu instid0(SALU_CYCLE_1)
	s_cmp_lg_u32 s9, 0
	s_cselect_b32 s9, s22, s8
	s_cselect_b32 s8, s23, s4
	s_mov_b32 s4, 0
	s_branch .LBB189_265
.LBB189_264:                            ;   in Loop: Header=BB189_31 Depth=1
	s_mov_b32 s4, -1
                                        ; implicit-def: $sgpr8_sgpr9
.LBB189_265:                            ;   in Loop: Header=BB189_31 Depth=1
	s_delay_alu instid0(SALU_CYCLE_1)
	s_and_not1_b32 vcc_lo, exec_lo, s4
	s_cbranch_vccnz .LBB189_267
; %bb.266:                              ;   in Loop: Header=BB189_31 Depth=1
	v_cvt_f32_u32_e32 v2, s34
	s_sub_co_i32 s8, 0, s34
	s_delay_alu instid0(VALU_DEP_1) | instskip(SKIP_1) | instid1(TRANS32_DEP_1)
	v_rcp_iflag_f32_e32 v2, v2
	v_nop
	v_mul_f32_e32 v2, 0x4f7ffffe, v2
	s_delay_alu instid0(VALU_DEP_1) | instskip(NEXT) | instid1(VALU_DEP_1)
	v_cvt_u32_f32_e32 v2, v2
	v_readfirstlane_b32 s4, v2
	s_mul_i32 s8, s8, s4
	s_delay_alu instid0(SALU_CYCLE_1) | instskip(NEXT) | instid1(SALU_CYCLE_1)
	s_mul_hi_u32 s8, s4, s8
	s_add_co_i32 s4, s4, s8
	s_delay_alu instid0(SALU_CYCLE_1) | instskip(NEXT) | instid1(SALU_CYCLE_1)
	s_mul_hi_u32 s4, s64, s4
	s_mul_i32 s4, s4, s34
	s_delay_alu instid0(SALU_CYCLE_1) | instskip(NEXT) | instid1(SALU_CYCLE_1)
	s_sub_co_i32 s4, s64, s4
	s_sub_co_i32 s8, s4, s34
	s_cmp_ge_u32 s4, s34
	s_cselect_b32 s4, s8, s4
	s_delay_alu instid0(SALU_CYCLE_1) | instskip(SKIP_2) | instid1(SALU_CYCLE_1)
	s_sub_co_i32 s8, s4, s34
	s_cmp_ge_u32 s4, s34
	s_cselect_b32 s26, s8, s4
	s_mov_b64 s[8:9], s[26:27]
.LBB189_267:                            ;   in Loop: Header=BB189_31 Depth=1
	s_delay_alu instid0(SALU_CYCLE_1)
	s_sub_nc_u64 s[8:9], s[64:65], s[8:9]
	s_mov_b32 s22, exec_lo
                                        ; implicit-def: $vgpr10_vgpr11
	v_cmpx_gt_u64_e64 s[8:9], v[0:1]
	s_cbranch_execz .LBB189_277
; %bb.268:                              ;   in Loop: Header=BB189_31 Depth=1
	v_mov_b64_e32 v[44:45], v[34:35]
	v_mov_b64_e32 v[46:47], v[0:1]
	s_mov_b32 s23, 0
                                        ; implicit-def: $sgpr25
	s_branch .LBB189_272
.LBB189_269:                            ;   in Loop: Header=BB189_272 Depth=2
	s_or_b32 exec_lo, exec_lo, s4
	s_wait_dscnt 0x0
	s_barrier_signal -1
	s_barrier_wait -1
	ds_load_b128 v[8:11], v21 offset:3072
	s_wait_dscnt 0x0
	s_barrier_signal -1
	s_barrier_wait -1
	v_cmp_eq_f64_e32 vcc_lo, 0, v[8:9]
	s_cbranch_vccz .LBB189_275
; %bb.270:                              ;   in Loop: Header=BB189_272 Depth=2
	v_add_nc_u64_e32 v[46:47], s[34:35], v[46:47]
	v_add_nc_u64_e32 v[44:45], s[40:41], v[44:45]
	s_mov_b32 s4, 0
	s_delay_alu instid0(VALU_DEP_2)
	v_cmp_le_u64_e32 vcc_lo, s[8:9], v[46:47]
	s_or_not1_b32 s26, vcc_lo, exec_lo
.LBB189_271:                            ;   in Loop: Header=BB189_272 Depth=2
	s_delay_alu instid0(SALU_CYCLE_1) | instskip(NEXT) | instid1(SALU_CYCLE_1)
	s_and_b32 s26, exec_lo, s26
	s_or_b32 s23, s26, s23
	s_and_not1_b32 s25, s25, exec_lo
	s_and_b32 s4, s4, exec_lo
	s_delay_alu instid0(SALU_CYCLE_1)
	s_or_b32 s25, s25, s4
	s_and_not1_b32 exec_lo, exec_lo, s23
	s_cbranch_execz .LBB189_276
.LBB189_272:                            ;   Parent Loop BB189_31 Depth=1
                                        ; =>  This Inner Loop Header: Depth=2
	s_mov_b32 s4, exec_lo
	s_delay_alu instid0(VALU_DEP_1)
	v_cmpx_gt_u64_e64 s[36:37], v[46:47]
	s_cbranch_execz .LBB189_269
; %bb.273:                              ;   in Loop: Header=BB189_272 Depth=2
	global_load_b64 v[4:5], v[44:45], off
	s_wait_loadcnt 0x0
	v_cmp_o_f64_e32 vcc_lo, v[4:5], v[4:5]
	v_ashrrev_i32_e32 v2, 31, v5
	s_delay_alu instid0(VALU_DEP_1) | instskip(NEXT) | instid1(VALU_DEP_1)
	v_or_b32_e32 v8, 0x80000000, v2
	v_xor_b32_e32 v8, v8, v5
	v_xor_b32_e32 v2, v2, v4
	s_delay_alu instid0(VALU_DEP_1) | instskip(NEXT) | instid1(VALU_DEP_1)
	v_dual_cndmask_b32 v8, -1, v8, vcc_lo :: v_dual_cndmask_b32 v2, -1, v2, vcc_lo
	v_and_b32_e32 v9, v8, v13
	s_delay_alu instid0(VALU_DEP_2) | instskip(NEXT) | instid1(VALU_DEP_1)
	v_and_b32_e32 v8, v2, v12
	v_cmp_eq_u64_e32 vcc_lo, v[8:9], v[14:15]
	s_and_b32 exec_lo, exec_lo, vcc_lo
	s_cbranch_execz .LBB189_269
; %bb.274:                              ;   in Loop: Header=BB189_272 Depth=2
	v_mov_b32_e32 v2, v21
	ds_store_b128 v21, v[2:5] offset:3072
	s_branch .LBB189_269
.LBB189_275:                            ;   in Loop: Header=BB189_272 Depth=2
	s_mov_b32 s26, -1
	s_mov_b32 s4, -1
                                        ; implicit-def: $vgpr46_vgpr47
                                        ; implicit-def: $vgpr44_vgpr45
	s_branch .LBB189_271
.LBB189_276:                            ;   in Loop: Header=BB189_31 Depth=1
	s_or_b32 exec_lo, exec_lo, s23
	s_delay_alu instid0(SALU_CYCLE_1) | instskip(SKIP_1) | instid1(SALU_CYCLE_1)
	s_and_not1_b32 s4, s24, exec_lo
	s_and_b32 s8, s25, exec_lo
	s_or_b32 s24, s4, s8
.LBB189_277:                            ;   in Loop: Header=BB189_31 Depth=1
	s_or_b32 exec_lo, exec_lo, s22
	s_mov_b32 s46, 0
	s_mov_b32 s47, -1
.LBB189_278:                            ;   in Loop: Header=BB189_31 Depth=1
	s_or_not1_b32 s4, s24, exec_lo
.LBB189_279:                            ;   in Loop: Header=BB189_31 Depth=1
	s_or_b32 exec_lo, exec_lo, s94
	s_mov_b32 s9, 0
	s_and_saveexec_b32 s8, s4
	s_cbranch_execz .LBB189_290
; %bb.280:                              ;   in Loop: Header=BB189_31 Depth=1
	v_mov_b64_e32 v[4:5], 1
	v_mov_b32_e32 v20, 1
	s_xor_b32 s9, s70, -1
	s_delay_alu instid0(SALU_CYCLE_1)
	s_and_saveexec_b32 s4, s9
	s_cbranch_execz .LBB189_289
; %bb.281:                              ;   in Loop: Header=BB189_31 Depth=1
	s_mov_b32 s9, exec_lo
	v_cmpx_ge_u64_e64 s[20:21], v[42:43]
	s_xor_b32 s9, exec_lo, s9
	s_cbranch_execz .LBB189_286
; %bb.282:                              ;   in Loop: Header=BB189_31 Depth=1
	ds_load_b64 v[4:5], v21 offset:5120
	v_or_b32_e32 v15, s13, v15
	v_or_b32_e32 v14, s12, v14
	;; [unrolled: 1-line block ×4, first 2 shown]
	s_wait_dscnt 0x0
	v_cmp_ne_u64_e32 vcc_lo, 0, v[4:5]
	s_cbranch_vccnz .LBB189_286
; %bb.283:                              ;   in Loop: Header=BB189_31 Depth=1
	s_and_saveexec_b32 s22, s5
; %bb.284:                              ;   in Loop: Header=BB189_31 Depth=1
	v_mov_b64_e32 v[4:5], s[20:21]
	ds_store_b64 v21, v[4:5] offset:5128
; %bb.285:                              ;   in Loop: Header=BB189_31 Depth=1
	s_or_b32 exec_lo, exec_lo, s22
	s_wait_dscnt 0x0
	s_barrier_signal -1
	s_barrier_wait -1
.LBB189_286:                            ;   in Loop: Header=BB189_31 Depth=1
	s_and_not1_saveexec_b32 s9, s9
; %bb.287:                              ;   in Loop: Header=BB189_31 Depth=1
	v_sub_nc_u64_e64 v[42:43], v[42:43], s[20:21]
; %bb.288:                              ;   in Loop: Header=BB189_31 Depth=1
	s_or_b32 exec_lo, exec_lo, s9
	s_delay_alu instid0(VALU_DEP_1)
	v_mov_b64_e32 v[4:5], v[42:43]
	v_mov_b32_e32 v20, 8
.LBB189_289:                            ;   in Loop: Header=BB189_31 Depth=1
	s_or_b32 exec_lo, exec_lo, s4
	s_delay_alu instid0(VALU_DEP_2)
	v_mov_b64_e32 v[42:43], v[4:5]
	s_mov_b32 s9, exec_lo
.LBB189_290:                            ;   in Loop: Header=BB189_31 Depth=1
	s_or_b32 exec_lo, exec_lo, s8
	s_delay_alu instid0(SALU_CYCLE_1)
	s_or_not1_b32 s4, s9, exec_lo
.LBB189_291:                            ;   in Loop: Header=BB189_31 Depth=1
	s_or_b32 exec_lo, exec_lo, s89
	s_delay_alu instid0(VALU_DEP_1)
	v_mov_b64_e32 v[44:45], v[42:43]
	s_and_not1_b32 s8, s87, exec_lo
	s_and_b32 s9, s47, exec_lo
	s_and_not1_b32 s22, s86, exec_lo
	s_and_b32 s23, s46, exec_lo
	s_or_b32 s87, s8, s9
	s_or_b32 s86, s22, s23
	s_and_b32 s8, s4, exec_lo
.LBB189_292:                            ;   in Loop: Header=BB189_31 Depth=1
	s_or_b32 exec_lo, exec_lo, s88
	s_delay_alu instid0(SALU_CYCLE_1)
	s_or_not1_b32 s4, s8, exec_lo
.LBB189_293:                            ;   in Loop: Header=BB189_31 Depth=1
	s_or_b32 exec_lo, exec_lo, s85
	v_mov_b64_e32 v[42:43], v[44:45]
	s_and_not1_b32 s8, s83, exec_lo
	s_and_b32 s9, s87, exec_lo
	s_and_not1_b32 s22, s78, exec_lo
	s_and_b32 s23, s86, exec_lo
	s_or_b32 s83, s8, s9
	s_or_b32 s78, s22, s23
	s_and_b32 s8, s4, exec_lo
.LBB189_294:                            ;   in Loop: Header=BB189_31 Depth=1
	s_or_b32 exec_lo, exec_lo, s84
	s_delay_alu instid0(SALU_CYCLE_1)
	s_or_not1_b32 s4, s8, exec_lo
.LBB189_295:                            ;   in Loop: Header=BB189_31 Depth=1
	s_or_b32 exec_lo, exec_lo, s77
	s_mov_b32 s8, 0
	s_mov_b32 s9, 0
	s_and_saveexec_b32 s22, s4
	s_delay_alu instid0(SALU_CYCLE_1)
	s_xor_b32 s4, exec_lo, s22
; %bb.296:                              ;   in Loop: Header=BB189_31 Depth=1
	v_cmp_ne_u32_e32 vcc_lo, 8, v20
	v_cmp_eq_u32_e64 s8, 8, v20
	s_and_b32 s9, vcc_lo, exec_lo
	s_and_b32 s8, s8, exec_lo
; %bb.297:                              ;   in Loop: Header=BB189_31 Depth=1
	s_or_b32 exec_lo, exec_lo, s4
	s_delay_alu instid0(SALU_CYCLE_1)
	s_and_not1_b32 s4, s80, exec_lo
	s_and_b32 s22, s83, exec_lo
	s_and_not1_b32 s23, s79, exec_lo
	s_and_b32 s24, s78, exec_lo
	s_or_b32 s80, s4, s22
	s_or_b32 s79, s23, s24
	s_and_b32 s77, s9, exec_lo
	s_and_b32 s78, s8, exec_lo
.LBB189_298:                            ;   in Loop: Header=BB189_31 Depth=1
	s_or_b32 exec_lo, exec_lo, s82
.LBB189_299:                            ;   in Loop: Header=BB189_31 Depth=1
	s_delay_alu instid0(SALU_CYCLE_1)
	s_and_b32 vcc_lo, exec_lo, s81
	s_cbranch_vccz .LBB189_316
; %bb.300:                              ;   in Loop: Header=BB189_31 Depth=1
	s_cmp_eq_u64 s[20:21], 1
                                        ; implicit-def: $sgpr81
                                        ; implicit-def: $sgpr76
	s_cselect_b32 s4, -1, 0
	s_delay_alu instid0(SALU_CYCLE_1)
	s_and_b32 s7, s4, s7
	s_mov_b32 s4, -1
	s_and_saveexec_b32 s56, s7
	s_cbranch_execz .LBB189_335
; %bb.301:                              ;   in Loop: Header=BB189_31 Depth=1
	ds_load_b64 v[4:5], v21 offset:5120
	s_wait_dscnt 0x0
	s_barrier_signal -1
	s_barrier_wait -1
	v_readfirstlane_b32 s8, v4
	v_readfirstlane_b32 s9, v5
	s_and_saveexec_b32 s4, s6
; %bb.302:                              ;   in Loop: Header=BB189_31 Depth=1
	ds_store_b64 v58, v[36:37]
; %bb.303:                              ;   in Loop: Header=BB189_31 Depth=1
	s_or_b32 exec_lo, exec_lo, s4
	v_or_b32_e32 v33, s13, v33
	v_or_b32_e32 v32, s12, v32
	;; [unrolled: 1-line block ×4, first 2 shown]
	s_mov_b32 s76, -1
	s_mov_b32 s81, 0
	s_cmp_eq_u64 s[8:9], 0
	s_mov_b32 s24, 0
	s_mov_b32 s25, -1
	s_wait_dscnt 0x0
	s_barrier_signal -1
	s_barrier_wait -1
                                        ; implicit-def: $vgpr6_vgpr7
	s_cbranch_scc1 .LBB189_319
; %bb.304:                              ;   in Loop: Header=BB189_31 Depth=1
	s_add_nc_u64 s[22:23], s[8:9], s[62:63]
	s_delay_alu instid0(SALU_CYCLE_1) | instskip(NEXT) | instid1(SALU_CYCLE_1)
	s_and_b64 s[24:25], s[22:23], 0xffffffff00000000
	s_cmp_lg_u64 s[24:25], 0
	s_cbranch_scc0 .LBB189_362
; %bb.305:                              ;   in Loop: Header=BB189_31 Depth=1
	s_cvt_f32_u32 s4, s34
	s_sub_nc_u64 s[46:47], 0, s[34:35]
	s_delay_alu instid0(SALU_CYCLE_2) | instskip(NEXT) | instid1(SALU_CYCLE_3)
	s_fmamk_f32 s4, s100, 0x0, s4
	v_s_rcp_f32 s4, s4
	s_delay_alu instid0(TRANS32_DEP_1) | instskip(NEXT) | instid1(SALU_CYCLE_3)
	s_mul_f32 s4, s4, 0x5f7ffffc
	s_mul_f32 s24, s4, 0x2f800000
	s_delay_alu instid0(SALU_CYCLE_3) | instskip(NEXT) | instid1(SALU_CYCLE_3)
	s_trunc_f32 s24, s24
	s_fmamk_f32 s4, s24, 0xcf800000, s4
	s_cvt_u32_f32 s25, s24
	s_delay_alu instid0(SALU_CYCLE_2) | instskip(NEXT) | instid1(SALU_CYCLE_3)
	s_cvt_u32_f32 s24, s4
	s_mul_u64 s[66:67], s[46:47], s[24:25]
	s_delay_alu instid0(SALU_CYCLE_1)
	s_mul_hi_u32 s83, s24, s67
	s_mul_i32 s82, s24, s67
	s_mul_hi_u32 s26, s24, s66
	s_mul_i32 s57, s25, s66
	s_add_nc_u64 s[82:83], s[26:27], s[82:83]
	s_mul_hi_u32 s4, s25, s66
	s_mul_hi_u32 s70, s25, s67
	s_add_co_u32 s26, s82, s57
	s_add_co_ci_u32 s26, s83, s4
	s_mul_i32 s66, s25, s67
	s_add_co_ci_u32 s67, s70, 0
	s_delay_alu instid0(SALU_CYCLE_1) | instskip(NEXT) | instid1(SALU_CYCLE_1)
	s_add_nc_u64 s[66:67], s[26:27], s[66:67]
	s_add_co_u32 s24, s24, s66
	s_cselect_b32 s4, -1, 0
	s_delay_alu instid0(SALU_CYCLE_1) | instskip(SKIP_1) | instid1(SALU_CYCLE_1)
	s_cmp_lg_u32 s4, 0
	s_add_co_ci_u32 s25, s25, s67
	s_mul_u64 s[46:47], s[46:47], s[24:25]
	s_delay_alu instid0(SALU_CYCLE_1)
	s_mul_hi_u32 s67, s24, s47
	s_mul_i32 s66, s24, s47
	s_mul_hi_u32 s26, s24, s46
	s_mul_i32 s57, s25, s46
	s_add_nc_u64 s[66:67], s[26:27], s[66:67]
	s_mul_hi_u32 s4, s25, s46
	s_mul_hi_u32 s70, s25, s47
	s_add_co_u32 s26, s66, s57
	s_add_co_ci_u32 s26, s67, s4
	s_mul_i32 s46, s25, s47
	s_add_co_ci_u32 s47, s70, 0
	s_delay_alu instid0(SALU_CYCLE_1) | instskip(NEXT) | instid1(SALU_CYCLE_1)
	s_add_nc_u64 s[46:47], s[26:27], s[46:47]
	s_add_co_u32 s4, s24, s46
	s_cselect_b32 s24, -1, 0
	s_mul_hi_u32 s26, s22, s4
	s_cmp_lg_u32 s24, 0
	s_mul_hi_u32 s57, s23, s4
	s_add_co_ci_u32 s46, s25, s47
	s_mul_i32 s4, s23, s4
	s_mul_hi_u32 s25, s22, s46
	s_mul_i32 s24, s22, s46
	s_mul_hi_u32 s47, s23, s46
	s_add_nc_u64 s[24:25], s[26:27], s[24:25]
	s_mul_i32 s46, s23, s46
	s_add_co_u32 s4, s24, s4
	s_add_co_ci_u32 s26, s25, s57
	s_add_co_ci_u32 s47, s47, 0
	s_delay_alu instid0(SALU_CYCLE_1) | instskip(NEXT) | instid1(SALU_CYCLE_1)
	s_add_nc_u64 s[24:25], s[26:27], s[46:47]
	s_and_b64 s[46:47], s[24:25], 0xffffffff00000000
	s_delay_alu instid0(SALU_CYCLE_1) | instskip(NEXT) | instid1(SALU_CYCLE_1)
	s_or_b32 s46, s46, s24
	s_mul_u64 s[24:25], s[34:35], s[46:47]
	s_delay_alu instid0(SALU_CYCLE_1) | instskip(SKIP_1) | instid1(SALU_CYCLE_1)
	s_sub_co_u32 s4, s22, s24
	s_cselect_b32 s24, -1, 0
	s_cmp_lg_u32 s24, 0
	s_sub_co_ci_u32 s24, s23, s25
	s_sub_co_u32 s25, s4, s34
	s_cselect_b32 s26, -1, 0
	s_delay_alu instid0(SALU_CYCLE_1) | instskip(SKIP_3) | instid1(SALU_CYCLE_1)
	s_cmp_lg_u32 s26, 0
	s_sub_co_ci_u32 s26, s24, 0
	s_sub_co_u32 s46, s25, s34
	s_cselect_b32 s47, -1, 0
	s_cmp_lg_u32 s47, 0
	s_sub_co_ci_u32 s47, s26, 0
	s_cmp_ge_u32 s25, s34
	s_cselect_b32 s57, -1, 0
	s_cmp_eq_u32 s26, 0
	s_cselect_b32 s57, s57, -1
	s_delay_alu instid0(SALU_CYCLE_1)
	s_cmp_lg_u32 s57, 0
	s_cselect_b32 s26, s47, s26
	s_cselect_b32 s46, s46, s25
	s_cmp_ge_u32 s4, s34
	s_cselect_b32 s25, -1, 0
	s_cmp_eq_u32 s24, 0
	s_cselect_b32 s25, s25, -1
	s_delay_alu instid0(SALU_CYCLE_1)
	s_cmp_lg_u32 s25, 0
	s_cselect_b32 s25, s26, s24
	s_cselect_b32 s24, s46, s4
	s_cbranch_execnz .LBB189_307
.LBB189_306:                            ;   in Loop: Header=BB189_31 Depth=1
	v_cvt_f32_u32_e32 v2, s34
	s_sub_co_i32 s24, 0, s34
	s_delay_alu instid0(VALU_DEP_1) | instskip(SKIP_1) | instid1(TRANS32_DEP_1)
	v_rcp_iflag_f32_e32 v2, v2
	v_nop
	v_mul_f32_e32 v2, 0x4f7ffffe, v2
	s_delay_alu instid0(VALU_DEP_1) | instskip(NEXT) | instid1(VALU_DEP_1)
	v_cvt_u32_f32_e32 v2, v2
	v_readfirstlane_b32 s4, v2
	s_mul_i32 s24, s24, s4
	s_delay_alu instid0(SALU_CYCLE_1) | instskip(NEXT) | instid1(SALU_CYCLE_1)
	s_mul_hi_u32 s24, s4, s24
	s_add_co_i32 s4, s4, s24
	s_delay_alu instid0(SALU_CYCLE_1) | instskip(NEXT) | instid1(SALU_CYCLE_1)
	s_mul_hi_u32 s4, s22, s4
	s_mul_i32 s4, s4, s34
	s_delay_alu instid0(SALU_CYCLE_1) | instskip(NEXT) | instid1(SALU_CYCLE_1)
	s_sub_co_i32 s4, s22, s4
	s_sub_co_i32 s24, s4, s34
	s_cmp_ge_u32 s4, s34
	s_cselect_b32 s4, s24, s4
	s_delay_alu instid0(SALU_CYCLE_1) | instskip(SKIP_2) | instid1(SALU_CYCLE_1)
	s_sub_co_i32 s24, s4, s34
	s_cmp_ge_u32 s4, s34
	s_cselect_b32 s26, s24, s4
	s_mov_b64 s[24:25], s[26:27]
.LBB189_307:                            ;   in Loop: Header=BB189_31 Depth=1
	s_delay_alu instid0(SALU_CYCLE_1)
	s_sub_nc_u64 s[22:23], s[22:23], s[24:25]
	s_mov_b32 s25, 0
	s_mov_b32 s24, 0
	s_mov_b32 s26, exec_lo
                                        ; implicit-def: $vgpr6_vgpr7
	v_cmpx_gt_u64_e64 s[22:23], v[0:1]
	s_cbranch_execz .LBB189_318
; %bb.308:                              ;   in Loop: Header=BB189_31 Depth=1
	v_mov_b64_e32 v[8:9], v[0:1]
	v_mov_b32_e32 v10, v56
	s_mov_b32 s4, 0
                                        ; implicit-def: $sgpr24
	s_branch .LBB189_312
.LBB189_309:                            ;   in Loop: Header=BB189_312 Depth=2
	s_or_b32 exec_lo, exec_lo, s46
	s_wait_dscnt 0x0
	s_barrier_signal -1
	s_barrier_wait -1
	ds_load_b128 v[4:7], v21 offset:3072
	s_wait_dscnt 0x0
	s_barrier_signal -1
	s_barrier_wait -1
	v_cmp_neq_f64_e32 vcc_lo, 0, v[4:5]
	s_cbranch_vccnz .LBB189_315
; %bb.310:                              ;   in Loop: Header=BB189_312 Depth=2
	v_add_nc_u64_e32 v[8:9], s[34:35], v[8:9]
	v_add_nc_u32_e32 v10, s97, v10
	s_mov_b32 s46, 0
	s_delay_alu instid0(VALU_DEP_2)
	v_cmp_le_u64_e32 vcc_lo, s[22:23], v[8:9]
	s_or_not1_b32 s47, vcc_lo, exec_lo
.LBB189_311:                            ;   in Loop: Header=BB189_312 Depth=2
	s_delay_alu instid0(SALU_CYCLE_1) | instskip(NEXT) | instid1(SALU_CYCLE_1)
	s_and_b32 s47, exec_lo, s47
	s_or_b32 s4, s47, s4
	s_and_not1_b32 s24, s24, exec_lo
	s_and_b32 s46, s46, exec_lo
	s_delay_alu instid0(SALU_CYCLE_1)
	s_or_b32 s24, s24, s46
	s_and_not1_b32 exec_lo, exec_lo, s4
	s_cbranch_execz .LBB189_317
.LBB189_312:                            ;   Parent Loop BB189_31 Depth=1
                                        ; =>  This Inner Loop Header: Depth=2
	s_mov_b32 s46, exec_lo
	s_delay_alu instid0(VALU_DEP_2)
	v_cmpx_gt_u64_e64 s[8:9], v[8:9]
	s_cbranch_execz .LBB189_309
; %bb.313:                              ;   in Loop: Header=BB189_312 Depth=2
	ds_load_b64 v[4:5], v10
	s_wait_dscnt 0x0
	v_cmp_o_f64_e32 vcc_lo, v[4:5], v[4:5]
	v_ashrrev_i32_e32 v2, 31, v5
	s_delay_alu instid0(VALU_DEP_1) | instskip(NEXT) | instid1(VALU_DEP_1)
	v_or_b32_e32 v6, 0x80000000, v2
	v_xor_b32_e32 v6, v6, v5
	s_delay_alu instid0(VALU_DEP_1) | instskip(NEXT) | instid1(VALU_DEP_1)
	v_dual_cndmask_b32 v6, -1, v6, vcc_lo :: v_dual_bitop2_b32 v2, v2, v4 bitop3:0x14
	v_dual_cndmask_b32 v2, -1, v2, vcc_lo :: v_dual_bitop2_b32 v7, v6, v39 bitop3:0x40
	s_delay_alu instid0(VALU_DEP_1) | instskip(NEXT) | instid1(VALU_DEP_1)
	v_and_b32_e32 v6, v2, v38
	v_cmp_eq_u64_e32 vcc_lo, v[6:7], v[32:33]
	s_and_b32 exec_lo, exec_lo, vcc_lo
	s_cbranch_execz .LBB189_309
; %bb.314:                              ;   in Loop: Header=BB189_312 Depth=2
	v_mov_b32_e32 v2, v21
	ds_store_b128 v21, v[2:5] offset:3072
	s_branch .LBB189_309
.LBB189_315:                            ;   in Loop: Header=BB189_312 Depth=2
	s_mov_b32 s47, -1
	s_mov_b32 s46, -1
                                        ; implicit-def: $vgpr8_vgpr9
                                        ; implicit-def: $vgpr10
	s_branch .LBB189_311
.LBB189_316:                            ;   in Loop: Header=BB189_31 Depth=1
	v_mov_b64_e32 v[32:33], v[14:15]
	v_mov_b64_e32 v[38:39], v[12:13]
	;; [unrolled: 1-line block ×3, first 2 shown]
	s_mov_b32 s81, 0
	s_and_saveexec_b32 s4, s78
	s_cbranch_execnz .LBB189_500
	s_branch .LBB189_501
.LBB189_317:                            ;   in Loop: Header=BB189_31 Depth=1
	s_or_b32 exec_lo, exec_lo, s4
	s_delay_alu instid0(SALU_CYCLE_1)
	s_and_b32 s24, s24, exec_lo
.LBB189_318:                            ;   in Loop: Header=BB189_31 Depth=1
	s_or_b32 exec_lo, exec_lo, s26
.LBB189_319:                            ;   in Loop: Header=BB189_31 Depth=1
	s_delay_alu instid0(SALU_CYCLE_1)
	s_and_b32 vcc_lo, exec_lo, s25
	s_cbranch_vccz .LBB189_334
; %bb.320:                              ;   in Loop: Header=BB189_31 Depth=1
	s_and_b64 s[8:9], s[64:65], 0xffffffff00000000
	s_delay_alu instid0(SALU_CYCLE_1)
	s_cmp_lg_u64 s[8:9], 0
	s_cbranch_scc0 .LBB189_363
; %bb.321:                              ;   in Loop: Header=BB189_31 Depth=1
	s_cvt_f32_u32 s4, s34
	s_sub_nc_u64 s[22:23], 0, s[34:35]
	s_delay_alu instid0(SALU_CYCLE_2) | instskip(NEXT) | instid1(SALU_CYCLE_3)
	s_fmamk_f32 s4, s100, 0x0, s4
	v_s_rcp_f32 s4, s4
	s_delay_alu instid0(TRANS32_DEP_1) | instskip(NEXT) | instid1(SALU_CYCLE_3)
	s_mul_f32 s4, s4, 0x5f7ffffc
	s_mul_f32 s8, s4, 0x2f800000
	s_delay_alu instid0(SALU_CYCLE_3) | instskip(NEXT) | instid1(SALU_CYCLE_3)
	s_trunc_f32 s8, s8
	s_fmamk_f32 s4, s8, 0xcf800000, s4
	s_cvt_u32_f32 s9, s8
	s_delay_alu instid0(SALU_CYCLE_2) | instskip(NEXT) | instid1(SALU_CYCLE_3)
	s_cvt_u32_f32 s8, s4
	s_mul_u64 s[46:47], s[22:23], s[8:9]
	s_delay_alu instid0(SALU_CYCLE_1)
	s_mul_hi_u32 s67, s8, s47
	s_mul_i32 s66, s8, s47
	s_mul_hi_u32 s26, s8, s46
	s_mul_i32 s25, s9, s46
	s_add_nc_u64 s[66:67], s[26:27], s[66:67]
	s_mul_hi_u32 s4, s9, s46
	s_mul_hi_u32 s57, s9, s47
	s_add_co_u32 s25, s66, s25
	s_add_co_ci_u32 s26, s67, s4
	s_mul_i32 s46, s9, s47
	s_add_co_ci_u32 s47, s57, 0
	s_delay_alu instid0(SALU_CYCLE_1) | instskip(NEXT) | instid1(SALU_CYCLE_1)
	s_add_nc_u64 s[46:47], s[26:27], s[46:47]
	s_add_co_u32 s8, s8, s46
	s_cselect_b32 s4, -1, 0
	s_delay_alu instid0(SALU_CYCLE_1) | instskip(SKIP_1) | instid1(SALU_CYCLE_1)
	s_cmp_lg_u32 s4, 0
	s_add_co_ci_u32 s9, s9, s47
	s_mul_u64 s[22:23], s[22:23], s[8:9]
	s_delay_alu instid0(SALU_CYCLE_1)
	s_mul_hi_u32 s47, s8, s23
	s_mul_i32 s46, s8, s23
	s_mul_hi_u32 s26, s8, s22
	s_mul_i32 s25, s9, s22
	s_add_nc_u64 s[46:47], s[26:27], s[46:47]
	s_mul_hi_u32 s4, s9, s22
	s_mul_hi_u32 s57, s9, s23
	s_mul_i32 s22, s9, s23
	s_add_co_u32 s23, s46, s25
	s_add_co_ci_u32 s26, s47, s4
	s_add_co_ci_u32 s23, s57, 0
	s_delay_alu instid0(SALU_CYCLE_1) | instskip(NEXT) | instid1(SALU_CYCLE_1)
	s_add_nc_u64 s[22:23], s[26:27], s[22:23]
	s_add_co_u32 s4, s8, s22
	s_cselect_b32 s8, -1, 0
	s_mul_hi_u32 s26, s64, s4
	s_cmp_lg_u32 s8, 0
	s_mul_hi_u32 s25, s65, s4
	s_add_co_ci_u32 s22, s9, s23
	s_mul_i32 s4, s65, s4
	s_mul_hi_u32 s9, s64, s22
	s_mul_i32 s8, s64, s22
	s_mul_hi_u32 s23, s65, s22
	s_add_nc_u64 s[8:9], s[26:27], s[8:9]
	s_mul_i32 s22, s65, s22
	s_add_co_u32 s4, s8, s4
	s_add_co_ci_u32 s26, s9, s25
	s_add_co_ci_u32 s23, s23, 0
	s_delay_alu instid0(SALU_CYCLE_1) | instskip(NEXT) | instid1(SALU_CYCLE_1)
	s_add_nc_u64 s[8:9], s[26:27], s[22:23]
	s_and_b64 s[22:23], s[8:9], 0xffffffff00000000
	s_delay_alu instid0(SALU_CYCLE_1) | instskip(NEXT) | instid1(SALU_CYCLE_1)
	s_or_b32 s22, s22, s8
	s_mul_u64 s[8:9], s[34:35], s[22:23]
	s_delay_alu instid0(SALU_CYCLE_1) | instskip(SKIP_1) | instid1(SALU_CYCLE_1)
	s_sub_co_u32 s4, s64, s8
	s_cselect_b32 s8, -1, 0
	s_cmp_lg_u32 s8, 0
	s_sub_co_ci_u32 s8, s65, s9
	s_sub_co_u32 s9, s4, s34
	s_cselect_b32 s22, -1, 0
	s_delay_alu instid0(SALU_CYCLE_1) | instskip(SKIP_3) | instid1(SALU_CYCLE_1)
	s_cmp_lg_u32 s22, 0
	s_sub_co_ci_u32 s22, s8, 0
	s_sub_co_u32 s23, s9, s34
	s_cselect_b32 s25, -1, 0
	s_cmp_lg_u32 s25, 0
	s_sub_co_ci_u32 s25, s22, 0
	s_cmp_ge_u32 s9, s34
	s_cselect_b32 s26, -1, 0
	s_cmp_eq_u32 s22, 0
	s_cselect_b32 s26, s26, -1
	s_delay_alu instid0(SALU_CYCLE_1)
	s_cmp_lg_u32 s26, 0
	s_cselect_b32 s22, s25, s22
	s_cselect_b32 s23, s23, s9
	s_cmp_ge_u32 s4, s34
	s_cselect_b32 s9, -1, 0
	s_cmp_eq_u32 s8, 0
	s_cselect_b32 s9, s9, -1
	s_delay_alu instid0(SALU_CYCLE_1)
	s_cmp_lg_u32 s9, 0
	s_cselect_b32 s9, s22, s8
	s_cselect_b32 s8, s23, s4
	s_cbranch_execnz .LBB189_323
.LBB189_322:                            ;   in Loop: Header=BB189_31 Depth=1
	v_cvt_f32_u32_e32 v2, s34
	s_sub_co_i32 s8, 0, s34
	s_delay_alu instid0(VALU_DEP_1) | instskip(SKIP_1) | instid1(TRANS32_DEP_1)
	v_rcp_iflag_f32_e32 v2, v2
	v_nop
	v_mul_f32_e32 v2, 0x4f7ffffe, v2
	s_delay_alu instid0(VALU_DEP_1) | instskip(NEXT) | instid1(VALU_DEP_1)
	v_cvt_u32_f32_e32 v2, v2
	v_readfirstlane_b32 s4, v2
	s_mul_i32 s8, s8, s4
	s_delay_alu instid0(SALU_CYCLE_1) | instskip(NEXT) | instid1(SALU_CYCLE_1)
	s_mul_hi_u32 s8, s4, s8
	s_add_co_i32 s4, s4, s8
	s_delay_alu instid0(SALU_CYCLE_1) | instskip(NEXT) | instid1(SALU_CYCLE_1)
	s_mul_hi_u32 s4, s64, s4
	s_mul_i32 s4, s4, s34
	s_delay_alu instid0(SALU_CYCLE_1) | instskip(NEXT) | instid1(SALU_CYCLE_1)
	s_sub_co_i32 s4, s64, s4
	s_sub_co_i32 s8, s4, s34
	s_cmp_ge_u32 s4, s34
	s_cselect_b32 s4, s8, s4
	s_delay_alu instid0(SALU_CYCLE_1) | instskip(SKIP_2) | instid1(SALU_CYCLE_1)
	s_sub_co_i32 s8, s4, s34
	s_cmp_ge_u32 s4, s34
	s_cselect_b32 s26, s8, s4
	s_mov_b64 s[8:9], s[26:27]
.LBB189_323:                            ;   in Loop: Header=BB189_31 Depth=1
	s_delay_alu instid0(SALU_CYCLE_1)
	s_sub_nc_u64 s[8:9], s[64:65], s[8:9]
	s_mov_b32 s22, exec_lo
                                        ; implicit-def: $vgpr6_vgpr7
	v_cmpx_gt_u64_e64 s[8:9], v[0:1]
	s_cbranch_execz .LBB189_333
; %bb.324:                              ;   in Loop: Header=BB189_31 Depth=1
	v_mov_b64_e32 v[8:9], v[34:35]
	v_mov_b64_e32 v[10:11], v[0:1]
	s_mov_b32 s23, 0
                                        ; implicit-def: $sgpr4
	s_branch .LBB189_328
.LBB189_325:                            ;   in Loop: Header=BB189_328 Depth=2
	s_or_b32 exec_lo, exec_lo, s25
	s_wait_dscnt 0x0
	s_barrier_signal -1
	s_barrier_wait -1
	ds_load_b128 v[4:7], v21 offset:3072
	s_wait_dscnt 0x0
	s_barrier_signal -1
	s_barrier_wait -1
	v_cmp_neq_f64_e32 vcc_lo, 0, v[4:5]
	s_cbranch_vccnz .LBB189_331
; %bb.326:                              ;   in Loop: Header=BB189_328 Depth=2
	v_add_nc_u64_e32 v[10:11], s[34:35], v[10:11]
	v_add_nc_u64_e32 v[8:9], s[40:41], v[8:9]
	s_mov_b32 s25, 0
	s_delay_alu instid0(VALU_DEP_2)
	v_cmp_le_u64_e32 vcc_lo, s[8:9], v[10:11]
	s_or_not1_b32 s26, vcc_lo, exec_lo
.LBB189_327:                            ;   in Loop: Header=BB189_328 Depth=2
	s_delay_alu instid0(SALU_CYCLE_1) | instskip(NEXT) | instid1(SALU_CYCLE_1)
	s_and_b32 s26, exec_lo, s26
	s_or_b32 s23, s26, s23
	s_and_not1_b32 s4, s4, exec_lo
	s_and_b32 s25, s25, exec_lo
	s_delay_alu instid0(SALU_CYCLE_1)
	s_or_b32 s4, s4, s25
	s_and_not1_b32 exec_lo, exec_lo, s23
	s_cbranch_execz .LBB189_332
.LBB189_328:                            ;   Parent Loop BB189_31 Depth=1
                                        ; =>  This Inner Loop Header: Depth=2
	s_mov_b32 s25, exec_lo
	s_delay_alu instid0(VALU_DEP_1)
	v_cmpx_gt_u64_e64 s[36:37], v[10:11]
	s_cbranch_execz .LBB189_325
; %bb.329:                              ;   in Loop: Header=BB189_328 Depth=2
	global_load_b64 v[4:5], v[8:9], off
	s_wait_loadcnt 0x0
	v_cmp_o_f64_e32 vcc_lo, v[4:5], v[4:5]
	v_ashrrev_i32_e32 v2, 31, v5
	s_delay_alu instid0(VALU_DEP_1) | instskip(NEXT) | instid1(VALU_DEP_1)
	v_or_b32_e32 v6, 0x80000000, v2
	v_xor_b32_e32 v6, v6, v5
	s_delay_alu instid0(VALU_DEP_1) | instskip(NEXT) | instid1(VALU_DEP_1)
	v_dual_cndmask_b32 v6, -1, v6, vcc_lo :: v_dual_bitop2_b32 v2, v2, v4 bitop3:0x14
	v_dual_cndmask_b32 v2, -1, v2, vcc_lo :: v_dual_bitop2_b32 v7, v6, v39 bitop3:0x40
	s_delay_alu instid0(VALU_DEP_1) | instskip(NEXT) | instid1(VALU_DEP_1)
	v_and_b32_e32 v6, v2, v38
	v_cmp_eq_u64_e32 vcc_lo, v[6:7], v[32:33]
	s_and_b32 exec_lo, exec_lo, vcc_lo
	s_cbranch_execz .LBB189_325
; %bb.330:                              ;   in Loop: Header=BB189_328 Depth=2
	v_mov_b32_e32 v2, v21
	ds_store_b128 v21, v[2:5] offset:3072
	s_branch .LBB189_325
.LBB189_331:                            ;   in Loop: Header=BB189_328 Depth=2
	s_mov_b32 s26, -1
	s_mov_b32 s25, -1
                                        ; implicit-def: $vgpr10_vgpr11
                                        ; implicit-def: $vgpr8_vgpr9
	s_branch .LBB189_327
.LBB189_332:                            ;   in Loop: Header=BB189_31 Depth=1
	s_or_b32 exec_lo, exec_lo, s23
	s_delay_alu instid0(SALU_CYCLE_1) | instskip(SKIP_1) | instid1(SALU_CYCLE_1)
	s_and_not1_b32 s8, s24, exec_lo
	s_and_b32 s4, s4, exec_lo
	s_or_b32 s24, s8, s4
.LBB189_333:                            ;   in Loop: Header=BB189_31 Depth=1
	s_or_b32 exec_lo, exec_lo, s22
	s_mov_b32 s76, 0
	s_mov_b32 s81, -1
.LBB189_334:                            ;   in Loop: Header=BB189_31 Depth=1
	s_or_not1_b32 s4, s24, exec_lo
.LBB189_335:                            ;   in Loop: Header=BB189_31 Depth=1
	s_or_b32 exec_lo, exec_lo, s56
                                        ; implicit-def: $vgpr42_vgpr43
                                        ; implicit-def: $vgpr20
	s_and_saveexec_b32 s24, s4
	s_cbranch_execz .LBB189_499
; %bb.336:                              ;   in Loop: Header=BB189_31 Depth=1
	v_mov_b64_e32 v[42:43], 1
	v_mov_b32_e32 v20, 1
	s_xor_b32 s4, s7, -1
	s_mov_b32 s8, 0
	s_and_saveexec_b32 s7, s4
	s_cbranch_execz .LBB189_345
; %bb.337:                              ;   in Loop: Header=BB189_31 Depth=1
	s_mov_b32 s4, exec_lo
	v_cmpx_ge_u64_e64 s[20:21], v[40:41]
	s_xor_b32 s4, exec_lo, s4
	s_cbranch_execz .LBB189_342
; %bb.338:                              ;   in Loop: Header=BB189_31 Depth=1
	ds_load_b64 v[4:5], v21 offset:5120
	v_or_b32_e32 v33, s13, v33
	v_or_b32_e32 v32, s12, v32
	v_or_b32_e32 v39, s13, v39
	v_or_b32_e32 v38, s12, v38
	s_wait_dscnt 0x0
	v_cmp_ne_u64_e32 vcc_lo, 0, v[4:5]
	s_cbranch_vccnz .LBB189_342
; %bb.339:                              ;   in Loop: Header=BB189_31 Depth=1
	s_and_saveexec_b32 s8, s5
; %bb.340:                              ;   in Loop: Header=BB189_31 Depth=1
	v_mov_b64_e32 v[4:5], s[20:21]
	ds_store_b64 v21, v[4:5] offset:5128
; %bb.341:                              ;   in Loop: Header=BB189_31 Depth=1
	s_or_b32 exec_lo, exec_lo, s8
	s_wait_dscnt 0x0
	s_barrier_signal -1
	s_barrier_wait -1
.LBB189_342:                            ;   in Loop: Header=BB189_31 Depth=1
	s_or_saveexec_b32 s4, s4
	v_mov_b32_e32 v20, 5
	s_mov_b32 s8, 0
	s_xor_b32 exec_lo, exec_lo, s4
; %bb.343:                              ;   in Loop: Header=BB189_31 Depth=1
	v_sub_nc_u64_e64 v[40:41], v[40:41], s[20:21]
	v_mov_b32_e32 v20, 0
	s_mov_b32 s8, exec_lo
; %bb.344:                              ;   in Loop: Header=BB189_31 Depth=1
	s_or_b32 exec_lo, exec_lo, s4
	s_delay_alu instid0(VALU_DEP_2)
	v_mov_b64_e32 v[42:43], v[40:41]
	s_and_b32 s8, s8, exec_lo
.LBB189_345:                            ;   in Loop: Header=BB189_31 Depth=1
	s_or_b32 exec_lo, exec_lo, s7
	s_mov_b32 s4, -1
                                        ; implicit-def: $sgpr25
                                        ; implicit-def: $sgpr79
	s_and_saveexec_b32 s7, s8
	s_delay_alu instid0(SALU_CYCLE_1)
	s_xor_b32 s7, exec_lo, s7
	s_cbranch_execz .LBB189_496
; %bb.346:                              ;   in Loop: Header=BB189_31 Depth=1
	v_cmp_eq_u64_e32 vcc_lo, 1, v[42:43]
	s_cmp_eq_u64 s[18:19], 1
                                        ; implicit-def: $sgpr79
                                        ; implicit-def: $sgpr25
	s_cselect_b32 s4, -1, 0
	s_delay_alu instid0(SALU_CYCLE_1)
	s_and_b32 s80, s4, vcc_lo
	s_mov_b32 s4, -1
	s_and_saveexec_b32 s56, s80
	s_cbranch_execz .LBB189_382
; %bb.347:                              ;   in Loop: Header=BB189_31 Depth=1
	ds_load_b64 v[4:5], v21 offset:5120
	s_wait_dscnt 0x0
	s_barrier_signal -1
	s_barrier_wait -1
	v_readfirstlane_b32 s8, v4
	v_readfirstlane_b32 s9, v5
	s_and_saveexec_b32 s4, s6
; %bb.348:                              ;   in Loop: Header=BB189_31 Depth=1
	ds_store_b64 v58, v[36:37]
; %bb.349:                              ;   in Loop: Header=BB189_31 Depth=1
	s_or_b32 exec_lo, exec_lo, s4
	v_and_b32_e32 v2, s15, v33
	v_and_b32_e32 v4, s14, v32
	s_lshl_b64 s[20:21], 2, s98
	v_or_b32_e32 v39, s13, v39
	v_or_b32_e32 v38, s12, v38
	;; [unrolled: 1-line block ×4, first 2 shown]
	s_mov_b32 s25, -1
	s_mov_b32 s79, 0
	s_cmp_eq_u64 s[8:9], 0
	s_mov_b32 s22, 0
	s_mov_b32 s23, -1
	s_wait_dscnt 0x0
	s_barrier_signal -1
	s_barrier_wait -1
                                        ; implicit-def: $vgpr6_vgpr7
	s_cbranch_scc1 .LBB189_366
; %bb.350:                              ;   in Loop: Header=BB189_31 Depth=1
	s_add_nc_u64 s[20:21], s[8:9], s[62:63]
	s_delay_alu instid0(SALU_CYCLE_1) | instskip(NEXT) | instid1(SALU_CYCLE_1)
	s_and_b64 s[22:23], s[20:21], 0xffffffff00000000
	s_cmp_lg_u64 s[22:23], 0
	s_cbranch_scc0 .LBB189_409
; %bb.351:                              ;   in Loop: Header=BB189_31 Depth=1
	s_cvt_f32_u32 s4, s34
	s_sub_nc_u64 s[46:47], 0, s[34:35]
	s_delay_alu instid0(SALU_CYCLE_2) | instskip(NEXT) | instid1(SALU_CYCLE_3)
	s_fmamk_f32 s4, s100, 0x0, s4
	v_s_rcp_f32 s4, s4
	s_delay_alu instid0(TRANS32_DEP_1) | instskip(NEXT) | instid1(SALU_CYCLE_3)
	s_mul_f32 s4, s4, 0x5f7ffffc
	s_mul_f32 s22, s4, 0x2f800000
	s_delay_alu instid0(SALU_CYCLE_3) | instskip(NEXT) | instid1(SALU_CYCLE_3)
	s_trunc_f32 s22, s22
	s_fmamk_f32 s4, s22, 0xcf800000, s4
	s_cvt_u32_f32 s23, s22
	s_delay_alu instid0(SALU_CYCLE_2) | instskip(NEXT) | instid1(SALU_CYCLE_3)
	s_cvt_u32_f32 s22, s4
	s_mul_u64 s[66:67], s[46:47], s[22:23]
	s_delay_alu instid0(SALU_CYCLE_1)
	s_mul_hi_u32 s83, s22, s67
	s_mul_i32 s82, s22, s67
	s_mul_hi_u32 s26, s22, s66
	s_mul_i32 s57, s23, s66
	s_add_nc_u64 s[82:83], s[26:27], s[82:83]
	s_mul_hi_u32 s4, s23, s66
	s_mul_hi_u32 s70, s23, s67
	s_add_co_u32 s26, s82, s57
	s_add_co_ci_u32 s26, s83, s4
	s_mul_i32 s66, s23, s67
	s_add_co_ci_u32 s67, s70, 0
	s_delay_alu instid0(SALU_CYCLE_1) | instskip(NEXT) | instid1(SALU_CYCLE_1)
	s_add_nc_u64 s[66:67], s[26:27], s[66:67]
	s_add_co_u32 s22, s22, s66
	s_cselect_b32 s4, -1, 0
	s_delay_alu instid0(SALU_CYCLE_1) | instskip(SKIP_1) | instid1(SALU_CYCLE_1)
	s_cmp_lg_u32 s4, 0
	s_add_co_ci_u32 s23, s23, s67
	s_mul_u64 s[46:47], s[46:47], s[22:23]
	s_delay_alu instid0(SALU_CYCLE_1)
	s_mul_hi_u32 s67, s22, s47
	s_mul_i32 s66, s22, s47
	s_mul_hi_u32 s26, s22, s46
	s_mul_i32 s57, s23, s46
	s_add_nc_u64 s[66:67], s[26:27], s[66:67]
	s_mul_hi_u32 s4, s23, s46
	s_mul_hi_u32 s70, s23, s47
	s_add_co_u32 s26, s66, s57
	s_add_co_ci_u32 s26, s67, s4
	s_mul_i32 s46, s23, s47
	s_add_co_ci_u32 s47, s70, 0
	s_delay_alu instid0(SALU_CYCLE_1) | instskip(NEXT) | instid1(SALU_CYCLE_1)
	s_add_nc_u64 s[46:47], s[26:27], s[46:47]
	s_add_co_u32 s4, s22, s46
	s_cselect_b32 s22, -1, 0
	s_mul_hi_u32 s26, s20, s4
	s_cmp_lg_u32 s22, 0
	s_mul_hi_u32 s57, s21, s4
	s_add_co_ci_u32 s46, s23, s47
	s_mul_i32 s4, s21, s4
	s_mul_hi_u32 s23, s20, s46
	s_mul_i32 s22, s20, s46
	s_mul_hi_u32 s47, s21, s46
	s_add_nc_u64 s[22:23], s[26:27], s[22:23]
	s_mul_i32 s46, s21, s46
	s_add_co_u32 s4, s22, s4
	s_add_co_ci_u32 s26, s23, s57
	s_add_co_ci_u32 s47, s47, 0
	s_delay_alu instid0(SALU_CYCLE_1) | instskip(NEXT) | instid1(SALU_CYCLE_1)
	s_add_nc_u64 s[22:23], s[26:27], s[46:47]
	s_and_b64 s[46:47], s[22:23], 0xffffffff00000000
	s_delay_alu instid0(SALU_CYCLE_1) | instskip(NEXT) | instid1(SALU_CYCLE_1)
	s_or_b32 s46, s46, s22
	s_mul_u64 s[22:23], s[34:35], s[46:47]
	s_delay_alu instid0(SALU_CYCLE_1) | instskip(SKIP_1) | instid1(SALU_CYCLE_1)
	s_sub_co_u32 s4, s20, s22
	s_cselect_b32 s22, -1, 0
	s_cmp_lg_u32 s22, 0
	s_sub_co_ci_u32 s22, s21, s23
	s_sub_co_u32 s23, s4, s34
	s_cselect_b32 s26, -1, 0
	s_delay_alu instid0(SALU_CYCLE_1) | instskip(SKIP_3) | instid1(SALU_CYCLE_1)
	s_cmp_lg_u32 s26, 0
	s_sub_co_ci_u32 s26, s22, 0
	s_sub_co_u32 s46, s23, s34
	s_cselect_b32 s47, -1, 0
	s_cmp_lg_u32 s47, 0
	s_sub_co_ci_u32 s47, s26, 0
	s_cmp_ge_u32 s23, s34
	s_cselect_b32 s57, -1, 0
	s_cmp_eq_u32 s26, 0
	s_cselect_b32 s57, s57, -1
	s_delay_alu instid0(SALU_CYCLE_1)
	s_cmp_lg_u32 s57, 0
	s_cselect_b32 s26, s47, s26
	s_cselect_b32 s46, s46, s23
	s_cmp_ge_u32 s4, s34
	s_cselect_b32 s23, -1, 0
	s_cmp_eq_u32 s22, 0
	s_cselect_b32 s23, s23, -1
	s_delay_alu instid0(SALU_CYCLE_1)
	s_cmp_lg_u32 s23, 0
	s_cselect_b32 s23, s26, s22
	s_cselect_b32 s22, s46, s4
	s_cbranch_execnz .LBB189_353
.LBB189_352:                            ;   in Loop: Header=BB189_31 Depth=1
	v_cvt_f32_u32_e32 v2, s34
	s_sub_co_i32 s22, 0, s34
	s_delay_alu instid0(VALU_DEP_1) | instskip(SKIP_1) | instid1(TRANS32_DEP_1)
	v_rcp_iflag_f32_e32 v2, v2
	v_nop
	v_mul_f32_e32 v2, 0x4f7ffffe, v2
	s_delay_alu instid0(VALU_DEP_1) | instskip(NEXT) | instid1(VALU_DEP_1)
	v_cvt_u32_f32_e32 v2, v2
	v_readfirstlane_b32 s4, v2
	s_mul_i32 s22, s22, s4
	s_delay_alu instid0(SALU_CYCLE_1) | instskip(NEXT) | instid1(SALU_CYCLE_1)
	s_mul_hi_u32 s22, s4, s22
	s_add_co_i32 s4, s4, s22
	s_delay_alu instid0(SALU_CYCLE_1) | instskip(NEXT) | instid1(SALU_CYCLE_1)
	s_mul_hi_u32 s4, s20, s4
	s_mul_i32 s4, s4, s34
	s_delay_alu instid0(SALU_CYCLE_1) | instskip(NEXT) | instid1(SALU_CYCLE_1)
	s_sub_co_i32 s4, s20, s4
	s_sub_co_i32 s22, s4, s34
	s_cmp_ge_u32 s4, s34
	s_cselect_b32 s4, s22, s4
	s_delay_alu instid0(SALU_CYCLE_1) | instskip(SKIP_2) | instid1(SALU_CYCLE_1)
	s_sub_co_i32 s22, s4, s34
	s_cmp_ge_u32 s4, s34
	s_cselect_b32 s26, s22, s4
	s_mov_b64 s[22:23], s[26:27]
.LBB189_353:                            ;   in Loop: Header=BB189_31 Depth=1
	s_delay_alu instid0(SALU_CYCLE_1)
	s_sub_nc_u64 s[20:21], s[20:21], s[22:23]
	s_mov_b32 s23, 0
	s_mov_b32 s22, 0
	s_mov_b32 s26, exec_lo
                                        ; implicit-def: $vgpr6_vgpr7
	v_cmpx_gt_u64_e64 s[20:21], v[0:1]
	s_cbranch_execz .LBB189_365
; %bb.354:                              ;   in Loop: Header=BB189_31 Depth=1
	v_mov_b64_e32 v[8:9], v[0:1]
	v_mov_b32_e32 v10, v56
                                        ; implicit-def: $sgpr46
	s_branch .LBB189_358
.LBB189_355:                            ;   in Loop: Header=BB189_358 Depth=2
	s_or_b32 exec_lo, exec_lo, s4
	s_wait_dscnt 0x0
	s_barrier_signal -1
	s_barrier_wait -1
	ds_load_b128 v[4:7], v21 offset:3072
	s_wait_dscnt 0x0
	s_barrier_signal -1
	s_barrier_wait -1
	v_cmp_neq_f64_e32 vcc_lo, 0, v[4:5]
	s_cbranch_vccnz .LBB189_361
; %bb.356:                              ;   in Loop: Header=BB189_358 Depth=2
	v_add_nc_u64_e32 v[8:9], s[34:35], v[8:9]
	v_add_nc_u32_e32 v10, s97, v10
	s_mov_b32 s4, 0
	s_delay_alu instid0(VALU_DEP_2)
	v_cmp_le_u64_e32 vcc_lo, s[20:21], v[8:9]
	s_or_not1_b32 s47, vcc_lo, exec_lo
.LBB189_357:                            ;   in Loop: Header=BB189_358 Depth=2
	s_delay_alu instid0(SALU_CYCLE_1) | instskip(NEXT) | instid1(SALU_CYCLE_1)
	s_and_b32 s47, exec_lo, s47
	s_or_b32 s22, s47, s22
	s_and_not1_b32 s46, s46, exec_lo
	s_and_b32 s4, s4, exec_lo
	s_delay_alu instid0(SALU_CYCLE_1)
	s_or_b32 s46, s46, s4
	s_and_not1_b32 exec_lo, exec_lo, s22
	s_cbranch_execz .LBB189_364
.LBB189_358:                            ;   Parent Loop BB189_31 Depth=1
                                        ; =>  This Inner Loop Header: Depth=2
	s_mov_b32 s4, exec_lo
	s_delay_alu instid0(VALU_DEP_2)
	v_cmpx_gt_u64_e64 s[8:9], v[8:9]
	s_cbranch_execz .LBB189_355
; %bb.359:                              ;   in Loop: Header=BB189_358 Depth=2
	ds_load_b64 v[4:5], v10
	s_wait_dscnt 0x0
	v_cmp_o_f64_e32 vcc_lo, v[4:5], v[4:5]
	v_ashrrev_i32_e32 v2, 31, v5
	s_delay_alu instid0(VALU_DEP_1) | instskip(NEXT) | instid1(VALU_DEP_1)
	v_or_b32_e32 v6, 0x80000000, v2
	v_xor_b32_e32 v6, v6, v5
	s_delay_alu instid0(VALU_DEP_1) | instskip(NEXT) | instid1(VALU_DEP_1)
	v_dual_cndmask_b32 v6, -1, v6, vcc_lo :: v_dual_bitop2_b32 v2, v2, v4 bitop3:0x14
	v_dual_cndmask_b32 v2, -1, v2, vcc_lo :: v_dual_bitop2_b32 v7, v6, v39 bitop3:0x40
	s_delay_alu instid0(VALU_DEP_1) | instskip(NEXT) | instid1(VALU_DEP_1)
	v_and_b32_e32 v6, v2, v38
	v_cmp_eq_u64_e32 vcc_lo, v[6:7], v[32:33]
	s_and_b32 exec_lo, exec_lo, vcc_lo
	s_cbranch_execz .LBB189_355
; %bb.360:                              ;   in Loop: Header=BB189_358 Depth=2
	v_mov_b32_e32 v2, v21
	ds_store_b128 v21, v[2:5] offset:3072
	s_branch .LBB189_355
.LBB189_361:                            ;   in Loop: Header=BB189_358 Depth=2
	s_mov_b32 s47, -1
	s_mov_b32 s4, -1
                                        ; implicit-def: $vgpr8_vgpr9
                                        ; implicit-def: $vgpr10
	s_branch .LBB189_357
.LBB189_362:                            ;   in Loop: Header=BB189_31 Depth=1
                                        ; implicit-def: $sgpr24_sgpr25
	s_branch .LBB189_306
.LBB189_363:                            ;   in Loop: Header=BB189_31 Depth=1
                                        ; implicit-def: $sgpr8_sgpr9
	s_branch .LBB189_322
.LBB189_364:                            ;   in Loop: Header=BB189_31 Depth=1
	s_or_b32 exec_lo, exec_lo, s22
	s_delay_alu instid0(SALU_CYCLE_1)
	s_and_b32 s22, s46, exec_lo
.LBB189_365:                            ;   in Loop: Header=BB189_31 Depth=1
	s_or_b32 exec_lo, exec_lo, s26
.LBB189_366:                            ;   in Loop: Header=BB189_31 Depth=1
	s_delay_alu instid0(SALU_CYCLE_1)
	s_and_b32 vcc_lo, exec_lo, s23
	s_cbranch_vccz .LBB189_381
; %bb.367:                              ;   in Loop: Header=BB189_31 Depth=1
	s_and_b64 s[8:9], s[64:65], 0xffffffff00000000
	s_delay_alu instid0(SALU_CYCLE_1)
	s_cmp_lg_u64 s[8:9], 0
	s_cbranch_scc0 .LBB189_410
; %bb.368:                              ;   in Loop: Header=BB189_31 Depth=1
	s_cvt_f32_u32 s4, s34
	s_sub_nc_u64 s[20:21], 0, s[34:35]
	s_delay_alu instid0(SALU_CYCLE_2) | instskip(NEXT) | instid1(SALU_CYCLE_3)
	s_fmamk_f32 s4, s100, 0x0, s4
	v_s_rcp_f32 s4, s4
	s_delay_alu instid0(TRANS32_DEP_1) | instskip(NEXT) | instid1(SALU_CYCLE_3)
	s_mul_f32 s4, s4, 0x5f7ffffc
	s_mul_f32 s8, s4, 0x2f800000
	s_delay_alu instid0(SALU_CYCLE_3) | instskip(NEXT) | instid1(SALU_CYCLE_3)
	s_trunc_f32 s8, s8
	s_fmamk_f32 s4, s8, 0xcf800000, s4
	s_cvt_u32_f32 s9, s8
	s_delay_alu instid0(SALU_CYCLE_2) | instskip(NEXT) | instid1(SALU_CYCLE_3)
	s_cvt_u32_f32 s8, s4
	s_mul_u64 s[46:47], s[20:21], s[8:9]
	s_delay_alu instid0(SALU_CYCLE_1)
	s_mul_hi_u32 s67, s8, s47
	s_mul_i32 s66, s8, s47
	s_mul_hi_u32 s26, s8, s46
	s_mul_i32 s23, s9, s46
	s_add_nc_u64 s[66:67], s[26:27], s[66:67]
	s_mul_hi_u32 s4, s9, s46
	s_mul_hi_u32 s25, s9, s47
	s_add_co_u32 s23, s66, s23
	s_add_co_ci_u32 s26, s67, s4
	s_mul_i32 s46, s9, s47
	s_add_co_ci_u32 s47, s25, 0
	s_delay_alu instid0(SALU_CYCLE_1) | instskip(NEXT) | instid1(SALU_CYCLE_1)
	s_add_nc_u64 s[46:47], s[26:27], s[46:47]
	s_add_co_u32 s8, s8, s46
	s_cselect_b32 s4, -1, 0
	s_delay_alu instid0(SALU_CYCLE_1) | instskip(SKIP_1) | instid1(SALU_CYCLE_1)
	s_cmp_lg_u32 s4, 0
	s_add_co_ci_u32 s9, s9, s47
	s_mul_u64 s[20:21], s[20:21], s[8:9]
	s_delay_alu instid0(SALU_CYCLE_1)
	s_mul_hi_u32 s47, s8, s21
	s_mul_i32 s46, s8, s21
	s_mul_hi_u32 s26, s8, s20
	s_mul_i32 s23, s9, s20
	s_add_nc_u64 s[46:47], s[26:27], s[46:47]
	s_mul_hi_u32 s4, s9, s20
	s_mul_hi_u32 s25, s9, s21
	s_mul_i32 s20, s9, s21
	s_add_co_u32 s21, s46, s23
	s_add_co_ci_u32 s26, s47, s4
	s_add_co_ci_u32 s21, s25, 0
	s_delay_alu instid0(SALU_CYCLE_1) | instskip(NEXT) | instid1(SALU_CYCLE_1)
	s_add_nc_u64 s[20:21], s[26:27], s[20:21]
	s_add_co_u32 s4, s8, s20
	s_cselect_b32 s8, -1, 0
	s_mul_hi_u32 s26, s64, s4
	s_cmp_lg_u32 s8, 0
	s_mul_hi_u32 s23, s65, s4
	s_add_co_ci_u32 s20, s9, s21
	s_mul_i32 s4, s65, s4
	s_mul_hi_u32 s9, s64, s20
	s_mul_i32 s8, s64, s20
	s_mul_hi_u32 s21, s65, s20
	s_add_nc_u64 s[8:9], s[26:27], s[8:9]
	s_mul_i32 s20, s65, s20
	s_add_co_u32 s4, s8, s4
	s_add_co_ci_u32 s26, s9, s23
	s_add_co_ci_u32 s21, s21, 0
	s_delay_alu instid0(SALU_CYCLE_1) | instskip(NEXT) | instid1(SALU_CYCLE_1)
	s_add_nc_u64 s[8:9], s[26:27], s[20:21]
	s_and_b64 s[20:21], s[8:9], 0xffffffff00000000
	s_delay_alu instid0(SALU_CYCLE_1) | instskip(NEXT) | instid1(SALU_CYCLE_1)
	s_or_b32 s20, s20, s8
	s_mul_u64 s[8:9], s[34:35], s[20:21]
	s_delay_alu instid0(SALU_CYCLE_1) | instskip(SKIP_1) | instid1(SALU_CYCLE_1)
	s_sub_co_u32 s4, s64, s8
	s_cselect_b32 s8, -1, 0
	s_cmp_lg_u32 s8, 0
	s_sub_co_ci_u32 s8, s65, s9
	s_sub_co_u32 s9, s4, s34
	s_cselect_b32 s20, -1, 0
	s_delay_alu instid0(SALU_CYCLE_1) | instskip(SKIP_3) | instid1(SALU_CYCLE_1)
	s_cmp_lg_u32 s20, 0
	s_sub_co_ci_u32 s20, s8, 0
	s_sub_co_u32 s21, s9, s34
	s_cselect_b32 s23, -1, 0
	s_cmp_lg_u32 s23, 0
	s_sub_co_ci_u32 s23, s20, 0
	s_cmp_ge_u32 s9, s34
	s_cselect_b32 s25, -1, 0
	s_cmp_eq_u32 s20, 0
	s_cselect_b32 s25, s25, -1
	s_delay_alu instid0(SALU_CYCLE_1)
	s_cmp_lg_u32 s25, 0
	s_cselect_b32 s20, s23, s20
	s_cselect_b32 s21, s21, s9
	s_cmp_ge_u32 s4, s34
	s_cselect_b32 s9, -1, 0
	s_cmp_eq_u32 s8, 0
	s_cselect_b32 s9, s9, -1
	s_delay_alu instid0(SALU_CYCLE_1)
	s_cmp_lg_u32 s9, 0
	s_cselect_b32 s9, s20, s8
	s_cselect_b32 s8, s21, s4
	s_cbranch_execnz .LBB189_370
.LBB189_369:                            ;   in Loop: Header=BB189_31 Depth=1
	v_cvt_f32_u32_e32 v2, s34
	s_sub_co_i32 s8, 0, s34
	s_delay_alu instid0(VALU_DEP_1) | instskip(SKIP_1) | instid1(TRANS32_DEP_1)
	v_rcp_iflag_f32_e32 v2, v2
	v_nop
	v_mul_f32_e32 v2, 0x4f7ffffe, v2
	s_delay_alu instid0(VALU_DEP_1) | instskip(NEXT) | instid1(VALU_DEP_1)
	v_cvt_u32_f32_e32 v2, v2
	v_readfirstlane_b32 s4, v2
	s_mul_i32 s8, s8, s4
	s_delay_alu instid0(SALU_CYCLE_1) | instskip(NEXT) | instid1(SALU_CYCLE_1)
	s_mul_hi_u32 s8, s4, s8
	s_add_co_i32 s4, s4, s8
	s_delay_alu instid0(SALU_CYCLE_1) | instskip(NEXT) | instid1(SALU_CYCLE_1)
	s_mul_hi_u32 s4, s64, s4
	s_mul_i32 s4, s4, s34
	s_delay_alu instid0(SALU_CYCLE_1) | instskip(NEXT) | instid1(SALU_CYCLE_1)
	s_sub_co_i32 s4, s64, s4
	s_sub_co_i32 s8, s4, s34
	s_cmp_ge_u32 s4, s34
	s_cselect_b32 s4, s8, s4
	s_delay_alu instid0(SALU_CYCLE_1) | instskip(SKIP_2) | instid1(SALU_CYCLE_1)
	s_sub_co_i32 s8, s4, s34
	s_cmp_ge_u32 s4, s34
	s_cselect_b32 s26, s8, s4
	s_mov_b64 s[8:9], s[26:27]
.LBB189_370:                            ;   in Loop: Header=BB189_31 Depth=1
	s_delay_alu instid0(SALU_CYCLE_1)
	s_sub_nc_u64 s[8:9], s[64:65], s[8:9]
	s_mov_b32 s20, exec_lo
                                        ; implicit-def: $vgpr6_vgpr7
	v_cmpx_gt_u64_e64 s[8:9], v[0:1]
	s_cbranch_execz .LBB189_380
; %bb.371:                              ;   in Loop: Header=BB189_31 Depth=1
	v_mov_b64_e32 v[8:9], v[34:35]
	v_mov_b64_e32 v[10:11], v[0:1]
	s_mov_b32 s4, 0
                                        ; implicit-def: $sgpr21
	s_branch .LBB189_375
.LBB189_372:                            ;   in Loop: Header=BB189_375 Depth=2
	s_or_b32 exec_lo, exec_lo, s23
	s_wait_dscnt 0x0
	s_barrier_signal -1
	s_barrier_wait -1
	ds_load_b128 v[4:7], v21 offset:3072
	s_wait_dscnt 0x0
	s_barrier_signal -1
	s_barrier_wait -1
	v_cmp_eq_f64_e32 vcc_lo, 0, v[4:5]
	s_cbranch_vccz .LBB189_378
; %bb.373:                              ;   in Loop: Header=BB189_375 Depth=2
	v_add_nc_u64_e32 v[10:11], s[34:35], v[10:11]
	v_add_nc_u64_e32 v[8:9], s[40:41], v[8:9]
	s_mov_b32 s23, 0
	s_delay_alu instid0(VALU_DEP_2)
	v_cmp_le_u64_e32 vcc_lo, s[8:9], v[10:11]
	s_or_not1_b32 s25, vcc_lo, exec_lo
.LBB189_374:                            ;   in Loop: Header=BB189_375 Depth=2
	s_delay_alu instid0(SALU_CYCLE_1) | instskip(NEXT) | instid1(SALU_CYCLE_1)
	s_and_b32 s25, exec_lo, s25
	s_or_b32 s4, s25, s4
	s_and_not1_b32 s21, s21, exec_lo
	s_and_b32 s23, s23, exec_lo
	s_delay_alu instid0(SALU_CYCLE_1)
	s_or_b32 s21, s21, s23
	s_and_not1_b32 exec_lo, exec_lo, s4
	s_cbranch_execz .LBB189_379
.LBB189_375:                            ;   Parent Loop BB189_31 Depth=1
                                        ; =>  This Inner Loop Header: Depth=2
	s_mov_b32 s23, exec_lo
	s_delay_alu instid0(VALU_DEP_1)
	v_cmpx_gt_u64_e64 s[36:37], v[10:11]
	s_cbranch_execz .LBB189_372
; %bb.376:                              ;   in Loop: Header=BB189_375 Depth=2
	global_load_b64 v[4:5], v[8:9], off
	s_wait_loadcnt 0x0
	v_cmp_o_f64_e32 vcc_lo, v[4:5], v[4:5]
	v_ashrrev_i32_e32 v2, 31, v5
	s_delay_alu instid0(VALU_DEP_1) | instskip(NEXT) | instid1(VALU_DEP_1)
	v_or_b32_e32 v6, 0x80000000, v2
	v_xor_b32_e32 v6, v6, v5
	s_delay_alu instid0(VALU_DEP_1) | instskip(NEXT) | instid1(VALU_DEP_1)
	v_dual_cndmask_b32 v6, -1, v6, vcc_lo :: v_dual_bitop2_b32 v2, v2, v4 bitop3:0x14
	v_dual_cndmask_b32 v2, -1, v2, vcc_lo :: v_dual_bitop2_b32 v7, v6, v39 bitop3:0x40
	s_delay_alu instid0(VALU_DEP_1) | instskip(NEXT) | instid1(VALU_DEP_1)
	v_and_b32_e32 v6, v2, v38
	v_cmp_eq_u64_e32 vcc_lo, v[6:7], v[32:33]
	s_and_b32 exec_lo, exec_lo, vcc_lo
	s_cbranch_execz .LBB189_372
; %bb.377:                              ;   in Loop: Header=BB189_375 Depth=2
	v_mov_b32_e32 v2, v21
	ds_store_b128 v21, v[2:5] offset:3072
	s_branch .LBB189_372
.LBB189_378:                            ;   in Loop: Header=BB189_375 Depth=2
	s_mov_b32 s25, -1
	s_mov_b32 s23, -1
                                        ; implicit-def: $vgpr10_vgpr11
                                        ; implicit-def: $vgpr8_vgpr9
	s_branch .LBB189_374
.LBB189_379:                            ;   in Loop: Header=BB189_31 Depth=1
	s_or_b32 exec_lo, exec_lo, s4
	s_delay_alu instid0(SALU_CYCLE_1) | instskip(SKIP_1) | instid1(SALU_CYCLE_1)
	s_and_not1_b32 s4, s22, exec_lo
	s_and_b32 s8, s21, exec_lo
	s_or_b32 s22, s4, s8
.LBB189_380:                            ;   in Loop: Header=BB189_31 Depth=1
	s_or_b32 exec_lo, exec_lo, s20
	s_mov_b32 s25, 0
	s_mov_b32 s79, -1
.LBB189_381:                            ;   in Loop: Header=BB189_31 Depth=1
	s_or_not1_b32 s4, s22, exec_lo
.LBB189_382:                            ;   in Loop: Header=BB189_31 Depth=1
	s_or_b32 exec_lo, exec_lo, s56
	s_mov_b32 s8, 0
	s_and_saveexec_b32 s22, s4
	s_cbranch_execz .LBB189_495
; %bb.383:                              ;   in Loop: Header=BB189_31 Depth=1
	v_mov_b64_e32 v[8:9], 1
	v_mov_b32_e32 v20, 1
	s_xor_b32 s4, s80, -1
	s_mov_b32 s9, 0
	s_and_saveexec_b32 s8, s4
	s_cbranch_execz .LBB189_392
; %bb.384:                              ;   in Loop: Header=BB189_31 Depth=1
	s_mov_b32 s4, exec_lo
	v_cmpx_ge_u64_e64 s[18:19], v[42:43]
	s_xor_b32 s4, exec_lo, s4
	s_cbranch_execz .LBB189_389
; %bb.385:                              ;   in Loop: Header=BB189_31 Depth=1
	ds_load_b64 v[4:5], v21 offset:5120
	v_and_b32_e32 v2, s15, v33
	v_and_b32_e32 v8, s14, v32
	s_lshl_b64 s[20:21], 2, s98
	v_or_b32_e32 v39, s13, v39
	v_or_b32_e32 v38, s12, v38
	;; [unrolled: 1-line block ×4, first 2 shown]
	s_wait_dscnt 0x0
	v_cmp_ne_u64_e32 vcc_lo, 0, v[4:5]
	s_cbranch_vccnz .LBB189_389
; %bb.386:                              ;   in Loop: Header=BB189_31 Depth=1
	s_and_saveexec_b32 s9, s5
; %bb.387:                              ;   in Loop: Header=BB189_31 Depth=1
	v_mov_b64_e32 v[4:5], s[18:19]
	ds_store_b64 v21, v[4:5] offset:5128
; %bb.388:                              ;   in Loop: Header=BB189_31 Depth=1
	s_or_b32 exec_lo, exec_lo, s9
	s_wait_dscnt 0x0
	s_barrier_signal -1
	s_barrier_wait -1
.LBB189_389:                            ;   in Loop: Header=BB189_31 Depth=1
	s_or_saveexec_b32 s4, s4
	v_mov_b32_e32 v20, 5
	s_mov_b32 s9, 0
	s_xor_b32 exec_lo, exec_lo, s4
; %bb.390:                              ;   in Loop: Header=BB189_31 Depth=1
	v_sub_nc_u64_e64 v[42:43], v[42:43], s[18:19]
	v_mov_b32_e32 v20, 0
	s_mov_b32 s9, exec_lo
; %bb.391:                              ;   in Loop: Header=BB189_31 Depth=1
	s_or_b32 exec_lo, exec_lo, s4
	s_delay_alu instid0(VALU_DEP_2)
	v_mov_b64_e32 v[8:9], v[42:43]
	s_and_b32 s9, s9, exec_lo
.LBB189_392:                            ;   in Loop: Header=BB189_31 Depth=1
	s_or_b32 exec_lo, exec_lo, s8
	s_mov_b32 s4, -1
                                        ; implicit-def: $sgpr80
                                        ; implicit-def: $sgpr82
	s_and_saveexec_b32 s23, s9
	s_cbranch_execz .LBB189_494
; %bb.393:                              ;   in Loop: Header=BB189_31 Depth=1
	s_delay_alu instid0(VALU_DEP_1) | instskip(SKIP_2) | instid1(SALU_CYCLE_1)
	v_cmp_eq_u64_e32 vcc_lo, 1, v[8:9]
	s_cmp_eq_u64 s[16:17], 1
                                        ; implicit-def: $sgpr82
                                        ; implicit-def: $sgpr80
	s_cselect_b32 s4, -1, 0
	s_and_b32 s83, s4, vcc_lo
	s_mov_b32 s4, -1
	s_and_saveexec_b32 s56, s83
	s_cbranch_execz .LBB189_429
; %bb.394:                              ;   in Loop: Header=BB189_31 Depth=1
	ds_load_b64 v[4:5], v21 offset:5120
	s_wait_dscnt 0x0
	s_barrier_signal -1
	s_barrier_wait -1
	v_readfirstlane_b32 s8, v4
	v_readfirstlane_b32 s9, v5
	s_and_saveexec_b32 s4, s6
; %bb.395:                              ;   in Loop: Header=BB189_31 Depth=1
	ds_store_b64 v58, v[36:37]
; %bb.396:                              ;   in Loop: Header=BB189_31 Depth=1
	s_or_b32 exec_lo, exec_lo, s4
	v_and_b32_e32 v2, s15, v33
	v_and_b32_e32 v4, s14, v32
	s_lshl_b64 s[18:19], 1, s98
	v_or_b32_e32 v39, s13, v39
	v_or_b32_e32 v38, s12, v38
	;; [unrolled: 1-line block ×4, first 2 shown]
	s_mov_b32 s80, -1
	s_mov_b32 s82, 0
	s_cmp_eq_u64 s[8:9], 0
	s_mov_b32 s20, 0
	s_mov_b32 s21, -1
	s_wait_dscnt 0x0
	s_barrier_signal -1
	s_barrier_wait -1
                                        ; implicit-def: $vgpr6_vgpr7
	s_cbranch_scc1 .LBB189_413
; %bb.397:                              ;   in Loop: Header=BB189_31 Depth=1
	s_add_nc_u64 s[18:19], s[8:9], s[62:63]
	s_delay_alu instid0(SALU_CYCLE_1) | instskip(NEXT) | instid1(SALU_CYCLE_1)
	s_and_b64 s[20:21], s[18:19], 0xffffffff00000000
	s_cmp_lg_u64 s[20:21], 0
	s_cbranch_scc0 .LBB189_446
; %bb.398:                              ;   in Loop: Header=BB189_31 Depth=1
	s_cvt_f32_u32 s4, s34
	s_sub_nc_u64 s[46:47], 0, s[34:35]
	s_delay_alu instid0(SALU_CYCLE_2) | instskip(NEXT) | instid1(SALU_CYCLE_3)
	s_fmamk_f32 s4, s100, 0x0, s4
	v_s_rcp_f32 s4, s4
	s_delay_alu instid0(TRANS32_DEP_1) | instskip(NEXT) | instid1(SALU_CYCLE_3)
	s_mul_f32 s4, s4, 0x5f7ffffc
	s_mul_f32 s20, s4, 0x2f800000
	s_delay_alu instid0(SALU_CYCLE_3) | instskip(NEXT) | instid1(SALU_CYCLE_3)
	s_trunc_f32 s20, s20
	s_fmamk_f32 s4, s20, 0xcf800000, s4
	s_cvt_u32_f32 s21, s20
	s_delay_alu instid0(SALU_CYCLE_2) | instskip(NEXT) | instid1(SALU_CYCLE_3)
	s_cvt_u32_f32 s20, s4
	s_mul_u64 s[66:67], s[46:47], s[20:21]
	s_delay_alu instid0(SALU_CYCLE_1)
	s_mul_hi_u32 s85, s20, s67
	s_mul_i32 s84, s20, s67
	s_mul_hi_u32 s26, s20, s66
	s_mul_i32 s57, s21, s66
	s_add_nc_u64 s[84:85], s[26:27], s[84:85]
	s_mul_hi_u32 s4, s21, s66
	s_mul_hi_u32 s70, s21, s67
	s_add_co_u32 s26, s84, s57
	s_add_co_ci_u32 s26, s85, s4
	s_mul_i32 s66, s21, s67
	s_add_co_ci_u32 s67, s70, 0
	s_delay_alu instid0(SALU_CYCLE_1) | instskip(NEXT) | instid1(SALU_CYCLE_1)
	s_add_nc_u64 s[66:67], s[26:27], s[66:67]
	s_add_co_u32 s20, s20, s66
	s_cselect_b32 s4, -1, 0
	s_delay_alu instid0(SALU_CYCLE_1) | instskip(SKIP_1) | instid1(SALU_CYCLE_1)
	s_cmp_lg_u32 s4, 0
	s_add_co_ci_u32 s21, s21, s67
	s_mul_u64 s[46:47], s[46:47], s[20:21]
	s_delay_alu instid0(SALU_CYCLE_1)
	s_mul_hi_u32 s67, s20, s47
	s_mul_i32 s66, s20, s47
	s_mul_hi_u32 s26, s20, s46
	s_mul_i32 s57, s21, s46
	s_add_nc_u64 s[66:67], s[26:27], s[66:67]
	s_mul_hi_u32 s4, s21, s46
	s_mul_hi_u32 s70, s21, s47
	s_add_co_u32 s26, s66, s57
	s_add_co_ci_u32 s26, s67, s4
	s_mul_i32 s46, s21, s47
	s_add_co_ci_u32 s47, s70, 0
	s_delay_alu instid0(SALU_CYCLE_1) | instskip(NEXT) | instid1(SALU_CYCLE_1)
	s_add_nc_u64 s[46:47], s[26:27], s[46:47]
	s_add_co_u32 s4, s20, s46
	s_cselect_b32 s20, -1, 0
	s_mul_hi_u32 s26, s18, s4
	s_cmp_lg_u32 s20, 0
	s_mul_hi_u32 s57, s19, s4
	s_add_co_ci_u32 s46, s21, s47
	s_mul_i32 s4, s19, s4
	s_mul_hi_u32 s21, s18, s46
	s_mul_i32 s20, s18, s46
	s_mul_hi_u32 s47, s19, s46
	s_add_nc_u64 s[20:21], s[26:27], s[20:21]
	s_mul_i32 s46, s19, s46
	s_add_co_u32 s4, s20, s4
	s_add_co_ci_u32 s26, s21, s57
	s_add_co_ci_u32 s47, s47, 0
	s_delay_alu instid0(SALU_CYCLE_1) | instskip(NEXT) | instid1(SALU_CYCLE_1)
	s_add_nc_u64 s[20:21], s[26:27], s[46:47]
	s_and_b64 s[46:47], s[20:21], 0xffffffff00000000
	s_delay_alu instid0(SALU_CYCLE_1) | instskip(NEXT) | instid1(SALU_CYCLE_1)
	s_or_b32 s46, s46, s20
	s_mul_u64 s[20:21], s[34:35], s[46:47]
	s_delay_alu instid0(SALU_CYCLE_1) | instskip(SKIP_1) | instid1(SALU_CYCLE_1)
	s_sub_co_u32 s4, s18, s20
	s_cselect_b32 s20, -1, 0
	s_cmp_lg_u32 s20, 0
	s_sub_co_ci_u32 s20, s19, s21
	s_sub_co_u32 s21, s4, s34
	s_cselect_b32 s26, -1, 0
	s_delay_alu instid0(SALU_CYCLE_1) | instskip(SKIP_3) | instid1(SALU_CYCLE_1)
	s_cmp_lg_u32 s26, 0
	s_sub_co_ci_u32 s26, s20, 0
	s_sub_co_u32 s46, s21, s34
	s_cselect_b32 s47, -1, 0
	s_cmp_lg_u32 s47, 0
	s_sub_co_ci_u32 s47, s26, 0
	s_cmp_ge_u32 s21, s34
	s_cselect_b32 s57, -1, 0
	s_cmp_eq_u32 s26, 0
	s_cselect_b32 s57, s57, -1
	s_delay_alu instid0(SALU_CYCLE_1)
	s_cmp_lg_u32 s57, 0
	s_cselect_b32 s26, s47, s26
	s_cselect_b32 s46, s46, s21
	s_cmp_ge_u32 s4, s34
	s_cselect_b32 s21, -1, 0
	s_cmp_eq_u32 s20, 0
	s_cselect_b32 s21, s21, -1
	s_delay_alu instid0(SALU_CYCLE_1)
	s_cmp_lg_u32 s21, 0
	s_cselect_b32 s21, s26, s20
	s_cselect_b32 s20, s46, s4
	s_cbranch_execnz .LBB189_400
.LBB189_399:                            ;   in Loop: Header=BB189_31 Depth=1
	v_cvt_f32_u32_e32 v2, s34
	s_sub_co_i32 s20, 0, s34
	s_delay_alu instid0(VALU_DEP_1) | instskip(SKIP_1) | instid1(TRANS32_DEP_1)
	v_rcp_iflag_f32_e32 v2, v2
	v_nop
	v_mul_f32_e32 v2, 0x4f7ffffe, v2
	s_delay_alu instid0(VALU_DEP_1) | instskip(NEXT) | instid1(VALU_DEP_1)
	v_cvt_u32_f32_e32 v2, v2
	v_readfirstlane_b32 s4, v2
	s_mul_i32 s20, s20, s4
	s_delay_alu instid0(SALU_CYCLE_1) | instskip(NEXT) | instid1(SALU_CYCLE_1)
	s_mul_hi_u32 s20, s4, s20
	s_add_co_i32 s4, s4, s20
	s_delay_alu instid0(SALU_CYCLE_1) | instskip(NEXT) | instid1(SALU_CYCLE_1)
	s_mul_hi_u32 s4, s18, s4
	s_mul_i32 s4, s4, s34
	s_delay_alu instid0(SALU_CYCLE_1) | instskip(NEXT) | instid1(SALU_CYCLE_1)
	s_sub_co_i32 s4, s18, s4
	s_sub_co_i32 s20, s4, s34
	s_cmp_ge_u32 s4, s34
	s_cselect_b32 s4, s20, s4
	s_delay_alu instid0(SALU_CYCLE_1) | instskip(SKIP_2) | instid1(SALU_CYCLE_1)
	s_sub_co_i32 s20, s4, s34
	s_cmp_ge_u32 s4, s34
	s_cselect_b32 s26, s20, s4
	s_mov_b64 s[20:21], s[26:27]
.LBB189_400:                            ;   in Loop: Header=BB189_31 Depth=1
	s_delay_alu instid0(SALU_CYCLE_1)
	s_sub_nc_u64 s[18:19], s[18:19], s[20:21]
	s_mov_b32 s21, 0
	s_mov_b32 s20, 0
	s_mov_b32 s26, exec_lo
                                        ; implicit-def: $vgpr6_vgpr7
	v_cmpx_gt_u64_e64 s[18:19], v[0:1]
	s_cbranch_execz .LBB189_412
; %bb.401:                              ;   in Loop: Header=BB189_31 Depth=1
	v_mov_b64_e32 v[10:11], v[0:1]
	v_mov_b32_e32 v12, v56
                                        ; implicit-def: $sgpr46
	s_branch .LBB189_405
.LBB189_402:                            ;   in Loop: Header=BB189_405 Depth=2
	s_or_b32 exec_lo, exec_lo, s4
	s_wait_dscnt 0x0
	s_barrier_signal -1
	s_barrier_wait -1
	ds_load_b128 v[4:7], v21 offset:3072
	s_wait_dscnt 0x0
	s_barrier_signal -1
	s_barrier_wait -1
	v_cmp_neq_f64_e32 vcc_lo, 0, v[4:5]
	s_cbranch_vccnz .LBB189_408
; %bb.403:                              ;   in Loop: Header=BB189_405 Depth=2
	v_add_nc_u64_e32 v[10:11], s[34:35], v[10:11]
	v_add_nc_u32_e32 v12, s97, v12
	s_mov_b32 s4, 0
	s_delay_alu instid0(VALU_DEP_2)
	v_cmp_le_u64_e32 vcc_lo, s[18:19], v[10:11]
	s_or_not1_b32 s47, vcc_lo, exec_lo
.LBB189_404:                            ;   in Loop: Header=BB189_405 Depth=2
	s_delay_alu instid0(SALU_CYCLE_1) | instskip(NEXT) | instid1(SALU_CYCLE_1)
	s_and_b32 s47, exec_lo, s47
	s_or_b32 s20, s47, s20
	s_and_not1_b32 s46, s46, exec_lo
	s_and_b32 s4, s4, exec_lo
	s_delay_alu instid0(SALU_CYCLE_1)
	s_or_b32 s46, s46, s4
	s_and_not1_b32 exec_lo, exec_lo, s20
	s_cbranch_execz .LBB189_411
.LBB189_405:                            ;   Parent Loop BB189_31 Depth=1
                                        ; =>  This Inner Loop Header: Depth=2
	s_mov_b32 s4, exec_lo
	s_delay_alu instid0(VALU_DEP_2)
	v_cmpx_gt_u64_e64 s[8:9], v[10:11]
	s_cbranch_execz .LBB189_402
; %bb.406:                              ;   in Loop: Header=BB189_405 Depth=2
	ds_load_b64 v[4:5], v12
	s_wait_dscnt 0x0
	v_cmp_o_f64_e32 vcc_lo, v[4:5], v[4:5]
	v_ashrrev_i32_e32 v2, 31, v5
	s_delay_alu instid0(VALU_DEP_1) | instskip(NEXT) | instid1(VALU_DEP_1)
	v_or_b32_e32 v6, 0x80000000, v2
	v_xor_b32_e32 v6, v6, v5
	s_delay_alu instid0(VALU_DEP_1) | instskip(NEXT) | instid1(VALU_DEP_1)
	v_dual_cndmask_b32 v6, -1, v6, vcc_lo :: v_dual_bitop2_b32 v2, v2, v4 bitop3:0x14
	v_dual_cndmask_b32 v2, -1, v2, vcc_lo :: v_dual_bitop2_b32 v7, v6, v39 bitop3:0x40
	s_delay_alu instid0(VALU_DEP_1) | instskip(NEXT) | instid1(VALU_DEP_1)
	v_and_b32_e32 v6, v2, v38
	v_cmp_eq_u64_e32 vcc_lo, v[6:7], v[32:33]
	s_and_b32 exec_lo, exec_lo, vcc_lo
	s_cbranch_execz .LBB189_402
; %bb.407:                              ;   in Loop: Header=BB189_405 Depth=2
	v_mov_b32_e32 v2, v21
	ds_store_b128 v21, v[2:5] offset:3072
	s_branch .LBB189_402
.LBB189_408:                            ;   in Loop: Header=BB189_405 Depth=2
	s_mov_b32 s47, -1
	s_mov_b32 s4, -1
                                        ; implicit-def: $vgpr10_vgpr11
                                        ; implicit-def: $vgpr12
	s_branch .LBB189_404
.LBB189_409:                            ;   in Loop: Header=BB189_31 Depth=1
                                        ; implicit-def: $sgpr22_sgpr23
	s_branch .LBB189_352
.LBB189_410:                            ;   in Loop: Header=BB189_31 Depth=1
                                        ; implicit-def: $sgpr8_sgpr9
	s_branch .LBB189_369
.LBB189_411:                            ;   in Loop: Header=BB189_31 Depth=1
	s_or_b32 exec_lo, exec_lo, s20
	s_delay_alu instid0(SALU_CYCLE_1)
	s_and_b32 s20, s46, exec_lo
.LBB189_412:                            ;   in Loop: Header=BB189_31 Depth=1
	s_or_b32 exec_lo, exec_lo, s26
.LBB189_413:                            ;   in Loop: Header=BB189_31 Depth=1
	s_delay_alu instid0(SALU_CYCLE_1)
	s_and_b32 vcc_lo, exec_lo, s21
	s_cbranch_vccz .LBB189_428
; %bb.414:                              ;   in Loop: Header=BB189_31 Depth=1
	s_and_b64 s[8:9], s[64:65], 0xffffffff00000000
	s_delay_alu instid0(SALU_CYCLE_1)
	s_cmp_lg_u64 s[8:9], 0
	s_cbranch_scc0 .LBB189_447
; %bb.415:                              ;   in Loop: Header=BB189_31 Depth=1
	s_cvt_f32_u32 s4, s34
	s_sub_nc_u64 s[18:19], 0, s[34:35]
	s_delay_alu instid0(SALU_CYCLE_2) | instskip(NEXT) | instid1(SALU_CYCLE_3)
	s_fmamk_f32 s4, s100, 0x0, s4
	v_s_rcp_f32 s4, s4
	s_delay_alu instid0(TRANS32_DEP_1) | instskip(NEXT) | instid1(SALU_CYCLE_3)
	s_mul_f32 s4, s4, 0x5f7ffffc
	s_mul_f32 s8, s4, 0x2f800000
	s_delay_alu instid0(SALU_CYCLE_3) | instskip(NEXT) | instid1(SALU_CYCLE_3)
	s_trunc_f32 s8, s8
	s_fmamk_f32 s4, s8, 0xcf800000, s4
	s_cvt_u32_f32 s9, s8
	s_delay_alu instid0(SALU_CYCLE_2) | instskip(NEXT) | instid1(SALU_CYCLE_3)
	s_cvt_u32_f32 s8, s4
	s_mul_u64 s[46:47], s[18:19], s[8:9]
	s_delay_alu instid0(SALU_CYCLE_1)
	s_mul_hi_u32 s67, s8, s47
	s_mul_i32 s66, s8, s47
	s_mul_hi_u32 s26, s8, s46
	s_mul_i32 s21, s9, s46
	s_add_nc_u64 s[66:67], s[26:27], s[66:67]
	s_mul_hi_u32 s4, s9, s46
	s_mul_hi_u32 s57, s9, s47
	s_add_co_u32 s21, s66, s21
	s_add_co_ci_u32 s26, s67, s4
	s_mul_i32 s46, s9, s47
	s_add_co_ci_u32 s47, s57, 0
	s_delay_alu instid0(SALU_CYCLE_1) | instskip(NEXT) | instid1(SALU_CYCLE_1)
	s_add_nc_u64 s[46:47], s[26:27], s[46:47]
	s_add_co_u32 s8, s8, s46
	s_cselect_b32 s4, -1, 0
	s_delay_alu instid0(SALU_CYCLE_1) | instskip(SKIP_1) | instid1(SALU_CYCLE_1)
	s_cmp_lg_u32 s4, 0
	s_add_co_ci_u32 s9, s9, s47
	s_mul_u64 s[18:19], s[18:19], s[8:9]
	s_delay_alu instid0(SALU_CYCLE_1)
	s_mul_hi_u32 s47, s8, s19
	s_mul_i32 s46, s8, s19
	s_mul_hi_u32 s26, s8, s18
	s_mul_i32 s21, s9, s18
	s_add_nc_u64 s[46:47], s[26:27], s[46:47]
	s_mul_hi_u32 s4, s9, s18
	s_mul_hi_u32 s57, s9, s19
	s_mul_i32 s18, s9, s19
	s_add_co_u32 s19, s46, s21
	s_add_co_ci_u32 s26, s47, s4
	s_add_co_ci_u32 s19, s57, 0
	s_delay_alu instid0(SALU_CYCLE_1) | instskip(NEXT) | instid1(SALU_CYCLE_1)
	s_add_nc_u64 s[18:19], s[26:27], s[18:19]
	s_add_co_u32 s4, s8, s18
	s_cselect_b32 s8, -1, 0
	s_mul_hi_u32 s26, s64, s4
	s_cmp_lg_u32 s8, 0
	s_mul_hi_u32 s21, s65, s4
	s_add_co_ci_u32 s18, s9, s19
	s_mul_i32 s4, s65, s4
	s_mul_hi_u32 s9, s64, s18
	s_mul_i32 s8, s64, s18
	s_mul_hi_u32 s19, s65, s18
	s_add_nc_u64 s[8:9], s[26:27], s[8:9]
	s_mul_i32 s18, s65, s18
	s_add_co_u32 s4, s8, s4
	s_add_co_ci_u32 s26, s9, s21
	s_add_co_ci_u32 s19, s19, 0
	s_delay_alu instid0(SALU_CYCLE_1) | instskip(NEXT) | instid1(SALU_CYCLE_1)
	s_add_nc_u64 s[8:9], s[26:27], s[18:19]
	s_and_b64 s[18:19], s[8:9], 0xffffffff00000000
	s_delay_alu instid0(SALU_CYCLE_1) | instskip(NEXT) | instid1(SALU_CYCLE_1)
	s_or_b32 s18, s18, s8
	s_mul_u64 s[8:9], s[34:35], s[18:19]
	s_delay_alu instid0(SALU_CYCLE_1) | instskip(SKIP_1) | instid1(SALU_CYCLE_1)
	s_sub_co_u32 s4, s64, s8
	s_cselect_b32 s8, -1, 0
	s_cmp_lg_u32 s8, 0
	s_sub_co_ci_u32 s8, s65, s9
	s_sub_co_u32 s9, s4, s34
	s_cselect_b32 s18, -1, 0
	s_delay_alu instid0(SALU_CYCLE_1) | instskip(SKIP_3) | instid1(SALU_CYCLE_1)
	s_cmp_lg_u32 s18, 0
	s_sub_co_ci_u32 s18, s8, 0
	s_sub_co_u32 s19, s9, s34
	s_cselect_b32 s21, -1, 0
	s_cmp_lg_u32 s21, 0
	s_sub_co_ci_u32 s21, s18, 0
	s_cmp_ge_u32 s9, s34
	s_cselect_b32 s26, -1, 0
	s_cmp_eq_u32 s18, 0
	s_cselect_b32 s26, s26, -1
	s_delay_alu instid0(SALU_CYCLE_1)
	s_cmp_lg_u32 s26, 0
	s_cselect_b32 s18, s21, s18
	s_cselect_b32 s19, s19, s9
	s_cmp_ge_u32 s4, s34
	s_cselect_b32 s9, -1, 0
	s_cmp_eq_u32 s8, 0
	s_cselect_b32 s9, s9, -1
	s_delay_alu instid0(SALU_CYCLE_1)
	s_cmp_lg_u32 s9, 0
	s_cselect_b32 s9, s18, s8
	s_cselect_b32 s8, s19, s4
	s_cbranch_execnz .LBB189_417
.LBB189_416:                            ;   in Loop: Header=BB189_31 Depth=1
	v_cvt_f32_u32_e32 v2, s34
	s_sub_co_i32 s8, 0, s34
	s_delay_alu instid0(VALU_DEP_1) | instskip(SKIP_1) | instid1(TRANS32_DEP_1)
	v_rcp_iflag_f32_e32 v2, v2
	v_nop
	v_mul_f32_e32 v2, 0x4f7ffffe, v2
	s_delay_alu instid0(VALU_DEP_1) | instskip(NEXT) | instid1(VALU_DEP_1)
	v_cvt_u32_f32_e32 v2, v2
	v_readfirstlane_b32 s4, v2
	s_mul_i32 s8, s8, s4
	s_delay_alu instid0(SALU_CYCLE_1) | instskip(NEXT) | instid1(SALU_CYCLE_1)
	s_mul_hi_u32 s8, s4, s8
	s_add_co_i32 s4, s4, s8
	s_delay_alu instid0(SALU_CYCLE_1) | instskip(NEXT) | instid1(SALU_CYCLE_1)
	s_mul_hi_u32 s4, s64, s4
	s_mul_i32 s4, s4, s34
	s_delay_alu instid0(SALU_CYCLE_1) | instskip(NEXT) | instid1(SALU_CYCLE_1)
	s_sub_co_i32 s4, s64, s4
	s_sub_co_i32 s8, s4, s34
	s_cmp_ge_u32 s4, s34
	s_cselect_b32 s4, s8, s4
	s_delay_alu instid0(SALU_CYCLE_1) | instskip(SKIP_2) | instid1(SALU_CYCLE_1)
	s_sub_co_i32 s8, s4, s34
	s_cmp_ge_u32 s4, s34
	s_cselect_b32 s26, s8, s4
	s_mov_b64 s[8:9], s[26:27]
.LBB189_417:                            ;   in Loop: Header=BB189_31 Depth=1
	s_delay_alu instid0(SALU_CYCLE_1)
	s_sub_nc_u64 s[8:9], s[64:65], s[8:9]
	s_mov_b32 s18, exec_lo
                                        ; implicit-def: $vgpr6_vgpr7
	v_cmpx_gt_u64_e64 s[8:9], v[0:1]
	s_cbranch_execz .LBB189_427
; %bb.418:                              ;   in Loop: Header=BB189_31 Depth=1
	v_mov_b64_e32 v[10:11], v[34:35]
	v_mov_b64_e32 v[12:13], v[0:1]
	s_mov_b32 s4, 0
                                        ; implicit-def: $sgpr19
	s_branch .LBB189_422
.LBB189_419:                            ;   in Loop: Header=BB189_422 Depth=2
	s_or_b32 exec_lo, exec_lo, s21
	s_wait_dscnt 0x0
	s_barrier_signal -1
	s_barrier_wait -1
	ds_load_b128 v[4:7], v21 offset:3072
	s_wait_dscnt 0x0
	s_barrier_signal -1
	s_barrier_wait -1
	v_cmp_eq_f64_e32 vcc_lo, 0, v[4:5]
	s_cbranch_vccz .LBB189_425
; %bb.420:                              ;   in Loop: Header=BB189_422 Depth=2
	v_add_nc_u64_e32 v[12:13], s[34:35], v[12:13]
	v_add_nc_u64_e32 v[10:11], s[40:41], v[10:11]
	s_mov_b32 s21, 0
	s_delay_alu instid0(VALU_DEP_2)
	v_cmp_le_u64_e32 vcc_lo, s[8:9], v[12:13]
	s_or_not1_b32 s26, vcc_lo, exec_lo
.LBB189_421:                            ;   in Loop: Header=BB189_422 Depth=2
	s_delay_alu instid0(SALU_CYCLE_1) | instskip(NEXT) | instid1(SALU_CYCLE_1)
	s_and_b32 s26, exec_lo, s26
	s_or_b32 s4, s26, s4
	s_and_not1_b32 s19, s19, exec_lo
	s_and_b32 s21, s21, exec_lo
	s_delay_alu instid0(SALU_CYCLE_1)
	s_or_b32 s19, s19, s21
	s_and_not1_b32 exec_lo, exec_lo, s4
	s_cbranch_execz .LBB189_426
.LBB189_422:                            ;   Parent Loop BB189_31 Depth=1
                                        ; =>  This Inner Loop Header: Depth=2
	s_mov_b32 s21, exec_lo
	s_delay_alu instid0(VALU_DEP_1)
	v_cmpx_gt_u64_e64 s[36:37], v[12:13]
	s_cbranch_execz .LBB189_419
; %bb.423:                              ;   in Loop: Header=BB189_422 Depth=2
	global_load_b64 v[4:5], v[10:11], off
	s_wait_loadcnt 0x0
	v_cmp_o_f64_e32 vcc_lo, v[4:5], v[4:5]
	v_ashrrev_i32_e32 v2, 31, v5
	s_delay_alu instid0(VALU_DEP_1) | instskip(NEXT) | instid1(VALU_DEP_1)
	v_or_b32_e32 v6, 0x80000000, v2
	v_xor_b32_e32 v6, v6, v5
	s_delay_alu instid0(VALU_DEP_1) | instskip(NEXT) | instid1(VALU_DEP_1)
	v_dual_cndmask_b32 v6, -1, v6, vcc_lo :: v_dual_bitop2_b32 v2, v2, v4 bitop3:0x14
	v_dual_cndmask_b32 v2, -1, v2, vcc_lo :: v_dual_bitop2_b32 v7, v6, v39 bitop3:0x40
	s_delay_alu instid0(VALU_DEP_1) | instskip(NEXT) | instid1(VALU_DEP_1)
	v_and_b32_e32 v6, v2, v38
	v_cmp_eq_u64_e32 vcc_lo, v[6:7], v[32:33]
	s_and_b32 exec_lo, exec_lo, vcc_lo
	s_cbranch_execz .LBB189_419
; %bb.424:                              ;   in Loop: Header=BB189_422 Depth=2
	v_mov_b32_e32 v2, v21
	ds_store_b128 v21, v[2:5] offset:3072
	s_branch .LBB189_419
.LBB189_425:                            ;   in Loop: Header=BB189_422 Depth=2
	s_mov_b32 s26, -1
	s_mov_b32 s21, -1
                                        ; implicit-def: $vgpr12_vgpr13
                                        ; implicit-def: $vgpr10_vgpr11
	s_branch .LBB189_421
.LBB189_426:                            ;   in Loop: Header=BB189_31 Depth=1
	s_or_b32 exec_lo, exec_lo, s4
	s_delay_alu instid0(SALU_CYCLE_1) | instskip(SKIP_1) | instid1(SALU_CYCLE_1)
	s_and_not1_b32 s4, s20, exec_lo
	s_and_b32 s8, s19, exec_lo
	s_or_b32 s20, s4, s8
.LBB189_427:                            ;   in Loop: Header=BB189_31 Depth=1
	s_or_b32 exec_lo, exec_lo, s18
	s_mov_b32 s80, 0
	s_mov_b32 s82, -1
.LBB189_428:                            ;   in Loop: Header=BB189_31 Depth=1
	s_or_not1_b32 s4, s20, exec_lo
.LBB189_429:                            ;   in Loop: Header=BB189_31 Depth=1
	s_or_b32 exec_lo, exec_lo, s56
	s_mov_b32 s8, 0
	s_and_saveexec_b32 s20, s4
	s_cbranch_execz .LBB189_493
; %bb.430:                              ;   in Loop: Header=BB189_31 Depth=1
	v_mov_b64_e32 v[10:11], 1
	v_mov_b32_e32 v20, 1
	s_xor_b32 s4, s83, -1
	s_mov_b32 s9, 0
	s_and_saveexec_b32 s8, s4
	s_cbranch_execz .LBB189_439
; %bb.431:                              ;   in Loop: Header=BB189_31 Depth=1
	s_mov_b32 s4, exec_lo
	v_cmpx_ge_u64_e64 s[16:17], v[8:9]
	s_xor_b32 s4, exec_lo, s4
	s_cbranch_execz .LBB189_436
; %bb.432:                              ;   in Loop: Header=BB189_31 Depth=1
	ds_load_b64 v[4:5], v21 offset:5120
	v_and_b32_e32 v2, s15, v33
	v_and_b32_e32 v10, s14, v32
	s_lshl_b64 s[18:19], 1, s98
	v_or_b32_e32 v39, s13, v39
	v_or_b32_e32 v38, s12, v38
	;; [unrolled: 1-line block ×4, first 2 shown]
	s_wait_dscnt 0x0
	v_cmp_ne_u64_e32 vcc_lo, 0, v[4:5]
	s_cbranch_vccnz .LBB189_436
; %bb.433:                              ;   in Loop: Header=BB189_31 Depth=1
	s_and_saveexec_b32 s9, s5
; %bb.434:                              ;   in Loop: Header=BB189_31 Depth=1
	v_mov_b64_e32 v[4:5], s[16:17]
	ds_store_b64 v21, v[4:5] offset:5128
; %bb.435:                              ;   in Loop: Header=BB189_31 Depth=1
	s_or_b32 exec_lo, exec_lo, s9
	s_wait_dscnt 0x0
	s_barrier_signal -1
	s_barrier_wait -1
.LBB189_436:                            ;   in Loop: Header=BB189_31 Depth=1
	s_or_saveexec_b32 s4, s4
	v_mov_b32_e32 v20, 5
	s_mov_b32 s9, 0
	s_xor_b32 exec_lo, exec_lo, s4
; %bb.437:                              ;   in Loop: Header=BB189_31 Depth=1
	v_sub_nc_u64_e64 v[8:9], v[8:9], s[16:17]
	v_mov_b32_e32 v20, 0
	s_mov_b32 s9, exec_lo
; %bb.438:                              ;   in Loop: Header=BB189_31 Depth=1
	s_or_b32 exec_lo, exec_lo, s4
	s_delay_alu instid0(VALU_DEP_2)
	v_mov_b64_e32 v[10:11], v[8:9]
	s_and_b32 s9, s9, exec_lo
.LBB189_439:                            ;   in Loop: Header=BB189_31 Depth=1
	s_or_b32 exec_lo, exec_lo, s8
	s_mov_b32 s4, -1
                                        ; implicit-def: $sgpr46
                                        ; implicit-def: $sgpr83
	s_and_saveexec_b32 s21, s9
	s_cbranch_execz .LBB189_492
; %bb.440:                              ;   in Loop: Header=BB189_31 Depth=1
	s_delay_alu instid0(VALU_DEP_1) | instskip(SKIP_2) | instid1(SALU_CYCLE_1)
	v_cmp_eq_u64_e32 vcc_lo, 1, v[10:11]
	s_cmp_eq_u64 s[10:11], 1
                                        ; implicit-def: $sgpr46
                                        ; implicit-def: $sgpr83
	s_cselect_b32 s4, -1, 0
	s_and_b32 s56, s4, vcc_lo
	s_mov_b32 s4, -1
	s_and_saveexec_b32 s57, s56
	s_cbranch_execz .LBB189_480
; %bb.441:                              ;   in Loop: Header=BB189_31 Depth=1
	ds_load_b64 v[4:5], v21 offset:5120
	s_wait_dscnt 0x0
	s_barrier_signal -1
	s_barrier_wait -1
	v_readfirstlane_b32 s8, v4
	v_readfirstlane_b32 s9, v5
	s_and_saveexec_b32 s4, s6
; %bb.442:                              ;   in Loop: Header=BB189_31 Depth=1
	ds_store_b64 v58, v[36:37]
; %bb.443:                              ;   in Loop: Header=BB189_31 Depth=1
	s_or_b32 exec_lo, exec_lo, s4
	v_and_b32_e32 v33, s15, v33
	v_and_b32_e32 v32, s14, v32
	v_or_b32_e32 v39, s13, v39
	v_or_b32_e32 v38, s12, v38
	s_mov_b32 s83, -1
	s_mov_b32 s46, 0
	s_cmp_eq_u64 s[8:9], 0
	s_mov_b32 s18, 0
	s_mov_b32 s19, -1
	s_wait_dscnt 0x0
	s_barrier_signal -1
	s_barrier_wait -1
                                        ; implicit-def: $vgpr6_vgpr7
	s_cbranch_scc1 .LBB189_462
; %bb.444:                              ;   in Loop: Header=BB189_31 Depth=1
	s_add_nc_u64 s[16:17], s[8:9], s[62:63]
	s_delay_alu instid0(SALU_CYCLE_1) | instskip(NEXT) | instid1(SALU_CYCLE_1)
	s_and_b64 s[18:19], s[16:17], 0xffffffff00000000
	s_cmp_lg_u64 s[18:19], 0
	s_cbranch_scc0 .LBB189_448
; %bb.445:                              ;   in Loop: Header=BB189_31 Depth=1
	s_cvt_f32_u32 s4, s34
	s_sub_nc_u64 s[66:67], 0, s[34:35]
	s_delay_alu instid0(SALU_CYCLE_2) | instskip(NEXT) | instid1(SALU_CYCLE_3)
	s_fmamk_f32 s4, s100, 0x0, s4
	v_s_rcp_f32 s4, s4
	s_delay_alu instid0(TRANS32_DEP_1) | instskip(NEXT) | instid1(SALU_CYCLE_3)
	s_mul_f32 s4, s4, 0x5f7ffffc
	s_mul_f32 s18, s4, 0x2f800000
	s_delay_alu instid0(SALU_CYCLE_3) | instskip(NEXT) | instid1(SALU_CYCLE_3)
	s_trunc_f32 s18, s18
	s_fmamk_f32 s4, s18, 0xcf800000, s4
	s_cvt_u32_f32 s19, s18
	s_delay_alu instid0(SALU_CYCLE_2) | instskip(NEXT) | instid1(SALU_CYCLE_3)
	s_cvt_u32_f32 s18, s4
	s_mul_u64 s[84:85], s[66:67], s[18:19]
	s_delay_alu instid0(SALU_CYCLE_1)
	s_mul_hi_u32 s87, s18, s85
	s_mul_i32 s86, s18, s85
	s_mul_hi_u32 s26, s18, s84
	s_mul_i32 s47, s19, s84
	s_add_nc_u64 s[86:87], s[26:27], s[86:87]
	s_mul_hi_u32 s4, s19, s84
	s_mul_hi_u32 s70, s19, s85
	s_add_co_u32 s26, s86, s47
	s_add_co_ci_u32 s26, s87, s4
	s_mul_i32 s84, s19, s85
	s_add_co_ci_u32 s85, s70, 0
	s_delay_alu instid0(SALU_CYCLE_1) | instskip(NEXT) | instid1(SALU_CYCLE_1)
	s_add_nc_u64 s[84:85], s[26:27], s[84:85]
	s_add_co_u32 s18, s18, s84
	s_cselect_b32 s4, -1, 0
	s_delay_alu instid0(SALU_CYCLE_1) | instskip(SKIP_1) | instid1(SALU_CYCLE_1)
	s_cmp_lg_u32 s4, 0
	s_add_co_ci_u32 s19, s19, s85
	s_mul_u64 s[66:67], s[66:67], s[18:19]
	s_delay_alu instid0(SALU_CYCLE_1)
	s_mul_hi_u32 s85, s18, s67
	s_mul_i32 s84, s18, s67
	s_mul_hi_u32 s26, s18, s66
	s_mul_i32 s47, s19, s66
	s_add_nc_u64 s[84:85], s[26:27], s[84:85]
	s_mul_hi_u32 s4, s19, s66
	s_mul_hi_u32 s70, s19, s67
	s_add_co_u32 s26, s84, s47
	s_add_co_ci_u32 s26, s85, s4
	s_mul_i32 s66, s19, s67
	s_add_co_ci_u32 s67, s70, 0
	s_delay_alu instid0(SALU_CYCLE_1) | instskip(NEXT) | instid1(SALU_CYCLE_1)
	s_add_nc_u64 s[66:67], s[26:27], s[66:67]
	s_add_co_u32 s4, s18, s66
	s_cselect_b32 s18, -1, 0
	s_mul_hi_u32 s26, s16, s4
	s_cmp_lg_u32 s18, 0
	s_mul_hi_u32 s47, s17, s4
	s_add_co_ci_u32 s66, s19, s67
	s_mul_i32 s4, s17, s4
	s_mul_hi_u32 s19, s16, s66
	s_mul_i32 s18, s16, s66
	s_mul_hi_u32 s67, s17, s66
	s_add_nc_u64 s[18:19], s[26:27], s[18:19]
	s_mul_i32 s66, s17, s66
	s_add_co_u32 s4, s18, s4
	s_add_co_ci_u32 s26, s19, s47
	s_add_co_ci_u32 s67, s67, 0
	s_delay_alu instid0(SALU_CYCLE_1) | instskip(NEXT) | instid1(SALU_CYCLE_1)
	s_add_nc_u64 s[18:19], s[26:27], s[66:67]
	s_and_b64 s[66:67], s[18:19], 0xffffffff00000000
	s_delay_alu instid0(SALU_CYCLE_1) | instskip(NEXT) | instid1(SALU_CYCLE_1)
	s_or_b32 s66, s66, s18
	s_mul_u64 s[18:19], s[34:35], s[66:67]
	s_delay_alu instid0(SALU_CYCLE_1) | instskip(SKIP_1) | instid1(SALU_CYCLE_1)
	s_sub_co_u32 s4, s16, s18
	s_cselect_b32 s18, -1, 0
	s_cmp_lg_u32 s18, 0
	s_sub_co_ci_u32 s18, s17, s19
	s_sub_co_u32 s19, s4, s34
	s_cselect_b32 s26, -1, 0
	s_delay_alu instid0(SALU_CYCLE_1) | instskip(SKIP_3) | instid1(SALU_CYCLE_1)
	s_cmp_lg_u32 s26, 0
	s_sub_co_ci_u32 s26, s18, 0
	s_sub_co_u32 s47, s19, s34
	s_cselect_b32 s66, -1, 0
	s_cmp_lg_u32 s66, 0
	s_sub_co_ci_u32 s66, s26, 0
	s_cmp_ge_u32 s19, s34
	s_cselect_b32 s67, -1, 0
	s_cmp_eq_u32 s26, 0
	s_cselect_b32 s67, s67, -1
	s_delay_alu instid0(SALU_CYCLE_1)
	s_cmp_lg_u32 s67, 0
	s_cselect_b32 s26, s66, s26
	s_cselect_b32 s47, s47, s19
	s_cmp_ge_u32 s4, s34
	s_cselect_b32 s19, -1, 0
	s_cmp_eq_u32 s18, 0
	s_cselect_b32 s19, s19, -1
	s_delay_alu instid0(SALU_CYCLE_1)
	s_cmp_lg_u32 s19, 0
	s_cselect_b32 s19, s26, s18
	s_cselect_b32 s18, s47, s4
	s_mov_b32 s4, 0
	s_branch .LBB189_449
.LBB189_446:                            ;   in Loop: Header=BB189_31 Depth=1
                                        ; implicit-def: $sgpr20_sgpr21
	s_branch .LBB189_399
.LBB189_447:                            ;   in Loop: Header=BB189_31 Depth=1
                                        ; implicit-def: $sgpr8_sgpr9
	s_branch .LBB189_416
.LBB189_448:                            ;   in Loop: Header=BB189_31 Depth=1
	s_mov_b32 s4, -1
                                        ; implicit-def: $sgpr18_sgpr19
.LBB189_449:                            ;   in Loop: Header=BB189_31 Depth=1
	s_delay_alu instid0(SALU_CYCLE_1)
	s_and_not1_b32 vcc_lo, exec_lo, s4
	s_cbranch_vccnz .LBB189_451
; %bb.450:                              ;   in Loop: Header=BB189_31 Depth=1
	v_cvt_f32_u32_e32 v2, s34
	s_sub_co_i32 s18, 0, s34
	s_delay_alu instid0(VALU_DEP_1) | instskip(SKIP_1) | instid1(TRANS32_DEP_1)
	v_rcp_iflag_f32_e32 v2, v2
	v_nop
	v_mul_f32_e32 v2, 0x4f7ffffe, v2
	s_delay_alu instid0(VALU_DEP_1) | instskip(NEXT) | instid1(VALU_DEP_1)
	v_cvt_u32_f32_e32 v2, v2
	v_readfirstlane_b32 s4, v2
	s_mul_i32 s18, s18, s4
	s_delay_alu instid0(SALU_CYCLE_1) | instskip(NEXT) | instid1(SALU_CYCLE_1)
	s_mul_hi_u32 s18, s4, s18
	s_add_co_i32 s4, s4, s18
	s_delay_alu instid0(SALU_CYCLE_1) | instskip(NEXT) | instid1(SALU_CYCLE_1)
	s_mul_hi_u32 s4, s16, s4
	s_mul_i32 s4, s4, s34
	s_delay_alu instid0(SALU_CYCLE_1) | instskip(NEXT) | instid1(SALU_CYCLE_1)
	s_sub_co_i32 s4, s16, s4
	s_sub_co_i32 s18, s4, s34
	s_cmp_ge_u32 s4, s34
	s_cselect_b32 s4, s18, s4
	s_delay_alu instid0(SALU_CYCLE_1) | instskip(SKIP_2) | instid1(SALU_CYCLE_1)
	s_sub_co_i32 s18, s4, s34
	s_cmp_ge_u32 s4, s34
	s_cselect_b32 s26, s18, s4
	s_mov_b64 s[18:19], s[26:27]
.LBB189_451:                            ;   in Loop: Header=BB189_31 Depth=1
	s_delay_alu instid0(SALU_CYCLE_1)
	s_sub_nc_u64 s[16:17], s[16:17], s[18:19]
	s_mov_b32 s19, 0
	s_mov_b32 s18, 0
	s_mov_b32 s26, exec_lo
                                        ; implicit-def: $vgpr6_vgpr7
	v_cmpx_gt_u64_e64 s[16:17], v[0:1]
	s_cbranch_execz .LBB189_461
; %bb.452:                              ;   in Loop: Header=BB189_31 Depth=1
	v_mov_b64_e32 v[8:9], v[0:1]
	v_mov_b32_e32 v12, v56
                                        ; implicit-def: $sgpr47
	s_branch .LBB189_456
.LBB189_453:                            ;   in Loop: Header=BB189_456 Depth=2
	s_or_b32 exec_lo, exec_lo, s4
	s_wait_dscnt 0x0
	s_barrier_signal -1
	s_barrier_wait -1
	ds_load_b128 v[4:7], v21 offset:3072
	s_wait_dscnt 0x0
	s_barrier_signal -1
	s_barrier_wait -1
	v_cmp_neq_f64_e32 vcc_lo, 0, v[4:5]
	s_cbranch_vccnz .LBB189_459
; %bb.454:                              ;   in Loop: Header=BB189_456 Depth=2
	v_add_nc_u64_e32 v[8:9], s[34:35], v[8:9]
	v_add_nc_u32_e32 v12, s97, v12
	s_mov_b32 s4, 0
	s_delay_alu instid0(VALU_DEP_2)
	v_cmp_le_u64_e32 vcc_lo, s[16:17], v[8:9]
	s_or_not1_b32 s66, vcc_lo, exec_lo
.LBB189_455:                            ;   in Loop: Header=BB189_456 Depth=2
	s_delay_alu instid0(SALU_CYCLE_1) | instskip(NEXT) | instid1(SALU_CYCLE_1)
	s_and_b32 s66, exec_lo, s66
	s_or_b32 s18, s66, s18
	s_and_not1_b32 s47, s47, exec_lo
	s_and_b32 s4, s4, exec_lo
	s_delay_alu instid0(SALU_CYCLE_1)
	s_or_b32 s47, s47, s4
	s_and_not1_b32 exec_lo, exec_lo, s18
	s_cbranch_execz .LBB189_460
.LBB189_456:                            ;   Parent Loop BB189_31 Depth=1
                                        ; =>  This Inner Loop Header: Depth=2
	s_mov_b32 s4, exec_lo
	s_delay_alu instid0(VALU_DEP_2)
	v_cmpx_gt_u64_e64 s[8:9], v[8:9]
	s_cbranch_execz .LBB189_453
; %bb.457:                              ;   in Loop: Header=BB189_456 Depth=2
	ds_load_b64 v[4:5], v12
	s_wait_dscnt 0x0
	v_cmp_o_f64_e32 vcc_lo, v[4:5], v[4:5]
	v_ashrrev_i32_e32 v2, 31, v5
	s_delay_alu instid0(VALU_DEP_1) | instskip(NEXT) | instid1(VALU_DEP_1)
	v_or_b32_e32 v6, 0x80000000, v2
	v_xor_b32_e32 v6, v6, v5
	s_delay_alu instid0(VALU_DEP_1) | instskip(NEXT) | instid1(VALU_DEP_1)
	v_dual_cndmask_b32 v6, -1, v6, vcc_lo :: v_dual_bitop2_b32 v2, v2, v4 bitop3:0x14
	v_dual_cndmask_b32 v2, -1, v2, vcc_lo :: v_dual_bitop2_b32 v7, v6, v39 bitop3:0x40
	s_delay_alu instid0(VALU_DEP_1) | instskip(NEXT) | instid1(VALU_DEP_1)
	v_and_b32_e32 v6, v2, v38
	v_cmp_eq_u64_e32 vcc_lo, v[6:7], v[32:33]
	s_and_b32 exec_lo, exec_lo, vcc_lo
	s_cbranch_execz .LBB189_453
; %bb.458:                              ;   in Loop: Header=BB189_456 Depth=2
	v_mov_b32_e32 v2, v21
	ds_store_b128 v21, v[2:5] offset:3072
	s_branch .LBB189_453
.LBB189_459:                            ;   in Loop: Header=BB189_456 Depth=2
	s_mov_b32 s66, -1
	s_mov_b32 s4, -1
                                        ; implicit-def: $vgpr8_vgpr9
                                        ; implicit-def: $vgpr12
	s_branch .LBB189_455
.LBB189_460:                            ;   in Loop: Header=BB189_31 Depth=1
	s_or_b32 exec_lo, exec_lo, s18
	s_delay_alu instid0(SALU_CYCLE_1)
	s_and_b32 s18, s47, exec_lo
.LBB189_461:                            ;   in Loop: Header=BB189_31 Depth=1
	s_or_b32 exec_lo, exec_lo, s26
.LBB189_462:                            ;   in Loop: Header=BB189_31 Depth=1
	s_delay_alu instid0(SALU_CYCLE_1)
	s_and_b32 vcc_lo, exec_lo, s19
	s_cbranch_vccz .LBB189_479
; %bb.463:                              ;   in Loop: Header=BB189_31 Depth=1
	s_and_b64 s[8:9], s[64:65], 0xffffffff00000000
	s_delay_alu instid0(SALU_CYCLE_1)
	s_cmp_lg_u64 s[8:9], 0
	s_cbranch_scc0 .LBB189_465
; %bb.464:                              ;   in Loop: Header=BB189_31 Depth=1
	s_cvt_f32_u32 s4, s34
	s_sub_nc_u64 s[16:17], 0, s[34:35]
	s_delay_alu instid0(SALU_CYCLE_2) | instskip(NEXT) | instid1(SALU_CYCLE_3)
	s_fmamk_f32 s4, s100, 0x0, s4
	v_s_rcp_f32 s4, s4
	s_delay_alu instid0(TRANS32_DEP_1) | instskip(NEXT) | instid1(SALU_CYCLE_3)
	s_mul_f32 s4, s4, 0x5f7ffffc
	s_mul_f32 s8, s4, 0x2f800000
	s_delay_alu instid0(SALU_CYCLE_3) | instskip(NEXT) | instid1(SALU_CYCLE_3)
	s_trunc_f32 s8, s8
	s_fmamk_f32 s4, s8, 0xcf800000, s4
	s_cvt_u32_f32 s9, s8
	s_delay_alu instid0(SALU_CYCLE_2) | instskip(NEXT) | instid1(SALU_CYCLE_3)
	s_cvt_u32_f32 s8, s4
	s_mul_u64 s[46:47], s[16:17], s[8:9]
	s_delay_alu instid0(SALU_CYCLE_1)
	s_mul_hi_u32 s67, s8, s47
	s_mul_i32 s66, s8, s47
	s_mul_hi_u32 s26, s8, s46
	s_mul_i32 s19, s9, s46
	s_add_nc_u64 s[66:67], s[26:27], s[66:67]
	s_mul_hi_u32 s4, s9, s46
	s_mul_hi_u32 s70, s9, s47
	s_add_co_u32 s19, s66, s19
	s_add_co_ci_u32 s26, s67, s4
	s_mul_i32 s46, s9, s47
	s_add_co_ci_u32 s47, s70, 0
	s_delay_alu instid0(SALU_CYCLE_1) | instskip(NEXT) | instid1(SALU_CYCLE_1)
	s_add_nc_u64 s[46:47], s[26:27], s[46:47]
	s_add_co_u32 s8, s8, s46
	s_cselect_b32 s4, -1, 0
	s_delay_alu instid0(SALU_CYCLE_1) | instskip(SKIP_1) | instid1(SALU_CYCLE_1)
	s_cmp_lg_u32 s4, 0
	s_add_co_ci_u32 s9, s9, s47
	s_mul_u64 s[16:17], s[16:17], s[8:9]
	s_delay_alu instid0(SALU_CYCLE_1)
	s_mul_hi_u32 s47, s8, s17
	s_mul_i32 s46, s8, s17
	s_mul_hi_u32 s26, s8, s16
	s_mul_i32 s19, s9, s16
	s_add_nc_u64 s[46:47], s[26:27], s[46:47]
	s_mul_hi_u32 s4, s9, s16
	s_mul_hi_u32 s66, s9, s17
	s_mul_i32 s16, s9, s17
	s_add_co_u32 s17, s46, s19
	s_add_co_ci_u32 s26, s47, s4
	s_add_co_ci_u32 s17, s66, 0
	s_delay_alu instid0(SALU_CYCLE_1) | instskip(NEXT) | instid1(SALU_CYCLE_1)
	s_add_nc_u64 s[16:17], s[26:27], s[16:17]
	s_add_co_u32 s4, s8, s16
	s_cselect_b32 s8, -1, 0
	s_mul_hi_u32 s26, s64, s4
	s_cmp_lg_u32 s8, 0
	s_mul_hi_u32 s19, s65, s4
	s_add_co_ci_u32 s16, s9, s17
	s_mul_i32 s4, s65, s4
	s_mul_hi_u32 s9, s64, s16
	s_mul_i32 s8, s64, s16
	s_mul_hi_u32 s17, s65, s16
	s_add_nc_u64 s[8:9], s[26:27], s[8:9]
	s_mul_i32 s16, s65, s16
	s_add_co_u32 s4, s8, s4
	s_add_co_ci_u32 s26, s9, s19
	s_add_co_ci_u32 s17, s17, 0
	s_delay_alu instid0(SALU_CYCLE_1) | instskip(NEXT) | instid1(SALU_CYCLE_1)
	s_add_nc_u64 s[8:9], s[26:27], s[16:17]
	s_and_b64 s[16:17], s[8:9], 0xffffffff00000000
	s_delay_alu instid0(SALU_CYCLE_1) | instskip(NEXT) | instid1(SALU_CYCLE_1)
	s_or_b32 s16, s16, s8
	s_mul_u64 s[8:9], s[34:35], s[16:17]
	s_delay_alu instid0(SALU_CYCLE_1) | instskip(SKIP_1) | instid1(SALU_CYCLE_1)
	s_sub_co_u32 s4, s64, s8
	s_cselect_b32 s8, -1, 0
	s_cmp_lg_u32 s8, 0
	s_sub_co_ci_u32 s8, s65, s9
	s_sub_co_u32 s9, s4, s34
	s_cselect_b32 s16, -1, 0
	s_delay_alu instid0(SALU_CYCLE_1) | instskip(SKIP_3) | instid1(SALU_CYCLE_1)
	s_cmp_lg_u32 s16, 0
	s_sub_co_ci_u32 s16, s8, 0
	s_sub_co_u32 s17, s9, s34
	s_cselect_b32 s19, -1, 0
	s_cmp_lg_u32 s19, 0
	s_sub_co_ci_u32 s19, s16, 0
	s_cmp_ge_u32 s9, s34
	s_cselect_b32 s26, -1, 0
	s_cmp_eq_u32 s16, 0
	s_cselect_b32 s26, s26, -1
	s_delay_alu instid0(SALU_CYCLE_1)
	s_cmp_lg_u32 s26, 0
	s_cselect_b32 s16, s19, s16
	s_cselect_b32 s17, s17, s9
	s_cmp_ge_u32 s4, s34
	s_cselect_b32 s9, -1, 0
	s_cmp_eq_u32 s8, 0
	s_cselect_b32 s9, s9, -1
	s_delay_alu instid0(SALU_CYCLE_1)
	s_cmp_lg_u32 s9, 0
	s_cselect_b32 s9, s16, s8
	s_cselect_b32 s8, s17, s4
	s_mov_b32 s4, 0
	s_branch .LBB189_466
.LBB189_465:                            ;   in Loop: Header=BB189_31 Depth=1
	s_mov_b32 s4, -1
                                        ; implicit-def: $sgpr8_sgpr9
.LBB189_466:                            ;   in Loop: Header=BB189_31 Depth=1
	s_delay_alu instid0(SALU_CYCLE_1)
	s_and_not1_b32 vcc_lo, exec_lo, s4
	s_cbranch_vccnz .LBB189_468
; %bb.467:                              ;   in Loop: Header=BB189_31 Depth=1
	v_cvt_f32_u32_e32 v2, s34
	s_sub_co_i32 s8, 0, s34
	s_delay_alu instid0(VALU_DEP_1) | instskip(SKIP_1) | instid1(TRANS32_DEP_1)
	v_rcp_iflag_f32_e32 v2, v2
	v_nop
	v_mul_f32_e32 v2, 0x4f7ffffe, v2
	s_delay_alu instid0(VALU_DEP_1) | instskip(NEXT) | instid1(VALU_DEP_1)
	v_cvt_u32_f32_e32 v2, v2
	v_readfirstlane_b32 s4, v2
	s_mul_i32 s8, s8, s4
	s_delay_alu instid0(SALU_CYCLE_1) | instskip(NEXT) | instid1(SALU_CYCLE_1)
	s_mul_hi_u32 s8, s4, s8
	s_add_co_i32 s4, s4, s8
	s_delay_alu instid0(SALU_CYCLE_1) | instskip(NEXT) | instid1(SALU_CYCLE_1)
	s_mul_hi_u32 s4, s64, s4
	s_mul_i32 s4, s4, s34
	s_delay_alu instid0(SALU_CYCLE_1) | instskip(NEXT) | instid1(SALU_CYCLE_1)
	s_sub_co_i32 s4, s64, s4
	s_sub_co_i32 s8, s4, s34
	s_cmp_ge_u32 s4, s34
	s_cselect_b32 s4, s8, s4
	s_delay_alu instid0(SALU_CYCLE_1) | instskip(SKIP_2) | instid1(SALU_CYCLE_1)
	s_sub_co_i32 s8, s4, s34
	s_cmp_ge_u32 s4, s34
	s_cselect_b32 s26, s8, s4
	s_mov_b64 s[8:9], s[26:27]
.LBB189_468:                            ;   in Loop: Header=BB189_31 Depth=1
	s_delay_alu instid0(SALU_CYCLE_1)
	s_sub_nc_u64 s[8:9], s[64:65], s[8:9]
	s_mov_b32 s16, exec_lo
                                        ; implicit-def: $vgpr6_vgpr7
	v_cmpx_gt_u64_e64 s[8:9], v[0:1]
	s_cbranch_execz .LBB189_478
; %bb.469:                              ;   in Loop: Header=BB189_31 Depth=1
	v_mov_b64_e32 v[8:9], v[34:35]
	v_mov_b64_e32 v[12:13], v[0:1]
	s_mov_b32 s17, 0
                                        ; implicit-def: $sgpr19
	s_branch .LBB189_473
.LBB189_470:                            ;   in Loop: Header=BB189_473 Depth=2
	s_or_b32 exec_lo, exec_lo, s4
	s_wait_dscnt 0x0
	s_barrier_signal -1
	s_barrier_wait -1
	ds_load_b128 v[4:7], v21 offset:3072
	s_wait_dscnt 0x0
	s_barrier_signal -1
	s_barrier_wait -1
	v_cmp_eq_f64_e32 vcc_lo, 0, v[4:5]
	s_cbranch_vccz .LBB189_476
; %bb.471:                              ;   in Loop: Header=BB189_473 Depth=2
	v_add_nc_u64_e32 v[12:13], s[34:35], v[12:13]
	v_add_nc_u64_e32 v[8:9], s[40:41], v[8:9]
	s_mov_b32 s4, 0
	s_delay_alu instid0(VALU_DEP_2)
	v_cmp_le_u64_e32 vcc_lo, s[8:9], v[12:13]
	s_or_not1_b32 s26, vcc_lo, exec_lo
.LBB189_472:                            ;   in Loop: Header=BB189_473 Depth=2
	s_delay_alu instid0(SALU_CYCLE_1) | instskip(NEXT) | instid1(SALU_CYCLE_1)
	s_and_b32 s26, exec_lo, s26
	s_or_b32 s17, s26, s17
	s_and_not1_b32 s19, s19, exec_lo
	s_and_b32 s4, s4, exec_lo
	s_delay_alu instid0(SALU_CYCLE_1)
	s_or_b32 s19, s19, s4
	s_and_not1_b32 exec_lo, exec_lo, s17
	s_cbranch_execz .LBB189_477
.LBB189_473:                            ;   Parent Loop BB189_31 Depth=1
                                        ; =>  This Inner Loop Header: Depth=2
	s_mov_b32 s4, exec_lo
	s_delay_alu instid0(VALU_DEP_1)
	v_cmpx_gt_u64_e64 s[36:37], v[12:13]
	s_cbranch_execz .LBB189_470
; %bb.474:                              ;   in Loop: Header=BB189_473 Depth=2
	global_load_b64 v[4:5], v[8:9], off
	s_wait_loadcnt 0x0
	v_cmp_o_f64_e32 vcc_lo, v[4:5], v[4:5]
	v_ashrrev_i32_e32 v2, 31, v5
	s_delay_alu instid0(VALU_DEP_1) | instskip(NEXT) | instid1(VALU_DEP_1)
	v_or_b32_e32 v6, 0x80000000, v2
	v_xor_b32_e32 v6, v6, v5
	s_delay_alu instid0(VALU_DEP_1) | instskip(NEXT) | instid1(VALU_DEP_1)
	v_dual_cndmask_b32 v6, -1, v6, vcc_lo :: v_dual_bitop2_b32 v2, v2, v4 bitop3:0x14
	v_dual_cndmask_b32 v2, -1, v2, vcc_lo :: v_dual_bitop2_b32 v7, v6, v39 bitop3:0x40
	s_delay_alu instid0(VALU_DEP_1) | instskip(NEXT) | instid1(VALU_DEP_1)
	v_and_b32_e32 v6, v2, v38
	v_cmp_eq_u64_e32 vcc_lo, v[6:7], v[32:33]
	s_and_b32 exec_lo, exec_lo, vcc_lo
	s_cbranch_execz .LBB189_470
; %bb.475:                              ;   in Loop: Header=BB189_473 Depth=2
	v_mov_b32_e32 v2, v21
	ds_store_b128 v21, v[2:5] offset:3072
	s_branch .LBB189_470
.LBB189_476:                            ;   in Loop: Header=BB189_473 Depth=2
	s_mov_b32 s26, -1
	s_mov_b32 s4, -1
                                        ; implicit-def: $vgpr12_vgpr13
                                        ; implicit-def: $vgpr8_vgpr9
	s_branch .LBB189_472
.LBB189_477:                            ;   in Loop: Header=BB189_31 Depth=1
	s_or_b32 exec_lo, exec_lo, s17
	s_delay_alu instid0(SALU_CYCLE_1) | instskip(SKIP_1) | instid1(SALU_CYCLE_1)
	s_and_not1_b32 s4, s18, exec_lo
	s_and_b32 s8, s19, exec_lo
	s_or_b32 s18, s4, s8
.LBB189_478:                            ;   in Loop: Header=BB189_31 Depth=1
	s_or_b32 exec_lo, exec_lo, s16
	s_mov_b32 s83, 0
	s_mov_b32 s46, -1
.LBB189_479:                            ;   in Loop: Header=BB189_31 Depth=1
	s_or_not1_b32 s4, s18, exec_lo
.LBB189_480:                            ;   in Loop: Header=BB189_31 Depth=1
	s_or_b32 exec_lo, exec_lo, s57
	s_mov_b32 s9, 0
	s_and_saveexec_b32 s8, s4
	s_cbranch_execz .LBB189_491
; %bb.481:                              ;   in Loop: Header=BB189_31 Depth=1
	v_mov_b64_e32 v[4:5], 1
	v_mov_b32_e32 v20, 1
	s_xor_b32 s9, s56, -1
	s_delay_alu instid0(SALU_CYCLE_1)
	s_and_saveexec_b32 s4, s9
	s_cbranch_execz .LBB189_490
; %bb.482:                              ;   in Loop: Header=BB189_31 Depth=1
	s_mov_b32 s9, exec_lo
	v_cmpx_ge_u64_e64 s[10:11], v[10:11]
	s_xor_b32 s9, exec_lo, s9
	s_cbranch_execz .LBB189_487
; %bb.483:                              ;   in Loop: Header=BB189_31 Depth=1
	ds_load_b64 v[4:5], v21 offset:5120
	v_and_b32_e32 v33, s15, v33
	v_and_b32_e32 v32, s14, v32
	v_or_b32_e32 v39, s13, v39
	v_or_b32_e32 v38, s12, v38
	s_wait_dscnt 0x0
	v_cmp_ne_u64_e32 vcc_lo, 0, v[4:5]
	s_cbranch_vccnz .LBB189_487
; %bb.484:                              ;   in Loop: Header=BB189_31 Depth=1
	s_and_saveexec_b32 s12, s5
; %bb.485:                              ;   in Loop: Header=BB189_31 Depth=1
	v_mov_b64_e32 v[4:5], s[10:11]
	ds_store_b64 v21, v[4:5] offset:5128
; %bb.486:                              ;   in Loop: Header=BB189_31 Depth=1
	s_or_b32 exec_lo, exec_lo, s12
	s_wait_dscnt 0x0
	s_barrier_signal -1
	s_barrier_wait -1
.LBB189_487:                            ;   in Loop: Header=BB189_31 Depth=1
	s_and_not1_saveexec_b32 s9, s9
; %bb.488:                              ;   in Loop: Header=BB189_31 Depth=1
	v_sub_nc_u64_e64 v[10:11], v[10:11], s[10:11]
; %bb.489:                              ;   in Loop: Header=BB189_31 Depth=1
	s_or_b32 exec_lo, exec_lo, s9
	s_delay_alu instid0(VALU_DEP_1)
	v_mov_b64_e32 v[4:5], v[10:11]
	v_mov_b32_e32 v20, 5
.LBB189_490:                            ;   in Loop: Header=BB189_31 Depth=1
	s_or_b32 exec_lo, exec_lo, s4
	s_delay_alu instid0(VALU_DEP_2)
	v_mov_b64_e32 v[10:11], v[4:5]
	s_mov_b32 s9, exec_lo
.LBB189_491:                            ;   in Loop: Header=BB189_31 Depth=1
	s_or_b32 exec_lo, exec_lo, s8
	s_delay_alu instid0(SALU_CYCLE_1)
	s_or_not1_b32 s4, s9, exec_lo
.LBB189_492:                            ;   in Loop: Header=BB189_31 Depth=1
	s_or_b32 exec_lo, exec_lo, s21
	s_delay_alu instid0(SALU_CYCLE_1)
	s_and_not1_b32 s8, s82, exec_lo
	s_and_b32 s9, s46, exec_lo
	s_and_not1_b32 s10, s80, exec_lo
	s_and_b32 s11, s83, exec_lo
	v_mov_b64_e32 v[8:9], v[10:11]
	s_or_b32 s82, s8, s9
	s_or_b32 s80, s10, s11
	s_and_b32 s8, s4, exec_lo
.LBB189_493:                            ;   in Loop: Header=BB189_31 Depth=1
	s_or_b32 exec_lo, exec_lo, s20
	s_delay_alu instid0(SALU_CYCLE_1)
	s_or_not1_b32 s4, s8, exec_lo
.LBB189_494:                            ;   in Loop: Header=BB189_31 Depth=1
	s_or_b32 exec_lo, exec_lo, s23
	s_delay_alu instid0(SALU_CYCLE_1)
	s_and_not1_b32 s8, s79, exec_lo
	s_and_b32 s9, s82, exec_lo
	s_and_not1_b32 s10, s25, exec_lo
	s_and_b32 s11, s80, exec_lo
	v_mov_b64_e32 v[42:43], v[8:9]
	s_or_b32 s79, s8, s9
	s_or_b32 s25, s10, s11
	s_and_b32 s8, s4, exec_lo
.LBB189_495:                            ;   in Loop: Header=BB189_31 Depth=1
	s_or_b32 exec_lo, exec_lo, s22
	s_delay_alu instid0(SALU_CYCLE_1)
	s_or_not1_b32 s4, s8, exec_lo
.LBB189_496:                            ;   in Loop: Header=BB189_31 Depth=1
	s_or_b32 exec_lo, exec_lo, s7
	s_mov_b32 s7, s78
	s_mov_b32 s8, s77
	s_and_saveexec_b32 s9, s4
; %bb.497:                              ;   in Loop: Header=BB189_31 Depth=1
	v_cmp_ne_u32_e32 vcc_lo, 5, v20
	v_cmp_eq_u32_e64 s7, 5, v20
	s_and_not1_b32 s4, s77, exec_lo
	s_and_not1_b32 s10, s78, exec_lo
	s_and_b32 s8, vcc_lo, exec_lo
	s_and_b32 s7, s7, exec_lo
	s_or_b32 s8, s4, s8
	s_or_b32 s7, s10, s7
; %bb.498:                              ;   in Loop: Header=BB189_31 Depth=1
	s_or_b32 exec_lo, exec_lo, s9
	s_delay_alu instid0(SALU_CYCLE_1)
	s_and_not1_b32 s4, s81, exec_lo
	s_and_b32 s9, s79, exec_lo
	s_and_not1_b32 s10, s76, exec_lo
	s_and_b32 s11, s25, exec_lo
	s_or_b32 s81, s4, s9
	s_and_not1_b32 s4, s77, exec_lo
	s_and_b32 s8, s8, exec_lo
	s_and_not1_b32 s9, s78, exec_lo
	s_and_b32 s7, s7, exec_lo
	s_or_b32 s76, s10, s11
	s_or_b32 s77, s4, s8
	;; [unrolled: 1-line block ×3, first 2 shown]
.LBB189_499:                            ;   in Loop: Header=BB189_31 Depth=1
	s_or_b32 exec_lo, exec_lo, s24
	s_mov_b32 s79, 0
	s_mov_b32 s80, 0
	s_and_saveexec_b32 s4, s78
.LBB189_500:                            ;   in Loop: Header=BB189_31 Depth=1
	v_mov_b32_e32 v20, 0
	s_or_b32 s77, s77, exec_lo
.LBB189_501:                            ;   in Loop: Header=BB189_31 Depth=1
	s_or_b32 exec_lo, exec_lo, s4
	v_mov_b64_e32 v[40:41], v[42:43]
	s_and_not1_b32 s4, s53, exec_lo
	s_and_b32 s8, s81, exec_lo
	s_and_not1_b32 s9, s51, exec_lo
	s_and_b32 s10, s76, exec_lo
	s_or_b32 s53, s4, s8
	s_or_b32 s51, s9, s10
	s_and_not1_b32 s4, s55, exec_lo
	s_and_b32 s8, s80, exec_lo
	s_and_not1_b32 s9, s54, exec_lo
	s_and_b32 s10, s79, exec_lo
	s_mov_b32 s7, -1
	s_and_not1_b32 s52, s52, exec_lo
	s_or_b32 s55, s4, s8
	s_or_b32 s54, s9, s10
	s_and_saveexec_b32 s4, s77
	s_delay_alu instid0(SALU_CYCLE_1)
	s_xor_b32 s4, exec_lo, s4
	s_cbranch_execz .LBB189_30
; %bb.502:                              ;   in Loop: Header=BB189_31 Depth=1
	s_mov_b32 s8, -1
	s_mov_b32 s9, exec_lo
	v_cmpx_eq_u32_e32 0, v20
	s_cbranch_execz .LBB189_29
; %bb.503:                              ;   in Loop: Header=BB189_31 Depth=1
	s_xor_b32 s102, s102, 1
	s_add_co_i32 s10, s98, -2
	s_cmp_eq_u32 s98, 0
	s_mov_b32 s98, s10
	s_cselect_b32 s7, -1, 0
	s_xor_b32 s8, exec_lo, -1
	s_or_not1_b32 s7, s7, exec_lo
	s_branch .LBB189_29
.LBB189_504:
	s_or_b32 exec_lo, exec_lo, s99
	s_xor_b32 s6, s50, -1
	s_xor_b32 s8, s104, -1
	s_xor_b32 s9, vcc_hi, -1
	s_xor_b32 s10, s101, -1
	s_xor_b32 s4, s103, -1
	s_mov_b32 s7, 0
	s_and_saveexec_b32 s11, s10
	s_delay_alu instid0(SALU_CYCLE_1)
	s_xor_b32 s16, exec_lo, s11
	s_cbranch_execnz .LBB189_509
; %bb.505:
	s_and_not1_saveexec_b32 s0, s16
	s_cbranch_execnz .LBB189_528
.LBB189_506:
	s_or_b32 exec_lo, exec_lo, s0
	s_and_saveexec_b32 s0, s7
.LBB189_507:
	; divergent unreachable
.LBB189_508:
	s_sendmsg sendmsg(MSG_DEALLOC_VGPRS)
	s_endpgm
.LBB189_509:
	s_and_saveexec_b32 s10, s9
	s_delay_alu instid0(SALU_CYCLE_1)
	s_xor_b32 s17, exec_lo, s10
	s_cbranch_execz .LBB189_526
; %bb.510:
	s_and_saveexec_b32 s9, s8
	s_delay_alu instid0(SALU_CYCLE_1)
	s_xor_b32 s18, exec_lo, s9
	s_cbranch_execz .LBB189_524
; %bb.511:
	;; [unrolled: 5-line block ×3, first 2 shown]
	s_and_saveexec_b32 s6, s4
	s_delay_alu instid0(SALU_CYCLE_1)
	s_xor_b32 s4, exec_lo, s6
; %bb.513:
	v_dual_mov_b32 v3, 0 :: v_dual_lshrrev_b32 v2, 31, v33
	s_delay_alu instid0(VALU_DEP_1) | instskip(NEXT) | instid1(VALU_DEP_1)
	v_add_nc_u64_e32 v[2:3], -1, v[2:3]
	v_or_b32_e32 v3, 0x80000000, v3
	s_delay_alu instid0(VALU_DEP_2) | instskip(NEXT) | instid1(VALU_DEP_2)
	v_xor_b32_e32 v6, v2, v32
	v_xor_b32_e32 v7, v3, v33
; %bb.514:
	s_or_b32 exec_lo, exec_lo, s4
	s_and_saveexec_b32 s4, s5
; %bb.515:
	v_mov_b64_e32 v[2:3], 0
	v_mov_b32_e32 v4, 0
	ds_store_b64 v4, v[2:3] offset:5136
; %bb.516:
	s_or_b32 exec_lo, exec_lo, s4
	v_mov_b64_e32 v[4:5], 0
	s_wait_dscnt 0x0
	s_barrier_signal -1
	s_barrier_wait -1
	s_and_saveexec_b32 s4, s3
	s_cbranch_execz .LBB189_518
; %bb.517:
	global_load_b64 v[4:5], v[18:19], off
.LBB189_518:
	s_wait_xcnt 0x0
	s_or_b32 exec_lo, exec_lo, s4
	v_cmp_o_f64_e64 s5, v[6:7], v[6:7]
	v_readlane_b32 s14, v74, 0
	v_readlane_b32 s20, v74, 2
	;; [unrolled: 1-line block ×4, first 2 shown]
	v_ashrrev_i32_e32 v2, 31, v7
	s_clause 0x1
	s_load_b64 s[6:7], s[0:1], 0x368
	s_load_b64 s[8:9], s[0:1], 0x510
	s_add_nc_u64 s[10:11], s[36:37], 31
	s_mov_b64 s[12:13], 0xffffffffffffffe0
	s_mul_u64 s[14:15], s[14:15], s[42:43]
	s_mul_u64 s[20:21], s[20:21], s[48:49]
	s_and_b64 s[10:11], s[10:11], s[12:13]
	s_lshl_b64 s[12:13], s[14:15], 3
	s_lshl_b64 s[14:15], s[20:21], 3
	v_readlane_b32 s20, v74, 4
	v_or_b32_e32 v3, 0x80000000, v2
	v_readlane_b32 s21, v74, 5
	v_cmp_gt_u64_e32 vcc_lo, s[10:11], v[0:1]
	s_lshl_b64 s[22:23], s[28:29], 3
	s_lshl_b64 s[24:25], s[44:45], 3
	v_xor_b32_e32 v3, v3, v7
	v_xor_b32_e32 v2, v2, v6
	s_add_nc_u64 s[12:13], s[20:21], s[12:13]
	v_readlane_b32 s20, v74, 6
	v_readlane_b32 s21, v74, 7
	s_wait_xcnt 0x0
	s_mov_b32 s0, -1
	s_add_nc_u64 s[12:13], s[12:13], s[22:23]
	s_mov_b32 s1, 0
	s_add_nc_u64 s[14:15], s[20:21], s[14:15]
	s_delay_alu instid0(SALU_CYCLE_1)
	s_add_nc_u64 s[14:15], s[14:15], s[24:25]
	v_dual_cndmask_b32 v3, -1, v3, s5 :: v_dual_cndmask_b32 v2, -1, v2, s5
	s_mov_b32 s5, 0
	s_and_saveexec_b32 s20, vcc_lo
	s_cbranch_execnz .LBB189_529
; %bb.519:
	s_or_b32 exec_lo, exec_lo, s20
	s_and_saveexec_b32 s4, s0
	s_cbranch_execnz .LBB189_546
.LBB189_520:
	s_or_b32 exec_lo, exec_lo, s4
	s_and_saveexec_b32 s0, s1
	s_delay_alu instid0(SALU_CYCLE_1)
	s_xor_b32 s0, exec_lo, s0
	s_cbranch_execnz .LBB189_571
.LBB189_521:
	s_or_b32 exec_lo, exec_lo, s0
	s_wait_kmcnt 0x0
	s_and_b32 s7, s5, exec_lo
.LBB189_522:
	s_and_not1_saveexec_b32 s0, s19
	s_cbranch_execnz .LBB189_573
.LBB189_523:
	s_or_b32 exec_lo, exec_lo, s0
	s_delay_alu instid0(SALU_CYCLE_1)
	s_and_b32 s7, s7, exec_lo
.LBB189_524:
	s_and_not1_saveexec_b32 s0, s18
	s_cbranch_execnz .LBB189_572
.LBB189_525:
	s_or_b32 exec_lo, exec_lo, s0
	s_delay_alu instid0(SALU_CYCLE_1)
	s_and_b32 s7, s7, exec_lo
.LBB189_526:
	s_and_not1_saveexec_b32 s0, s17
	s_cbranch_execnz .LBB189_567
.LBB189_527:
	s_or_b32 exec_lo, exec_lo, s0
	s_delay_alu instid0(SALU_CYCLE_1)
	s_and_b32 s7, s7, exec_lo
	s_and_not1_saveexec_b32 s0, s16
	s_cbranch_execz .LBB189_506
.LBB189_528:
	s_or_b32 s7, s7, exec_lo
	s_trap 2
	s_or_b32 exec_lo, exec_lo, s0
	s_and_saveexec_b32 s0, s7
	s_cbranch_execnz .LBB189_507
	s_branch .LBB189_508
.LBB189_529:
	v_add_nc_u64_e32 v[6:7], s[34:35], v[0:1]
	v_readlane_b32 s0, v74, 14
	v_readlane_b32 s1, v74, 15
	v_mov_b64_e32 v[20:21], v[0:1]
	s_mov_b32 s21, 0
                                        ; implicit-def: $sgpr22
                                        ; implicit-def: $vgpr14_vgpr15
	v_mul_u64_e32 v[8:9], s[30:31], v[6:7]
	v_mov_b32_e32 v7, 0
	s_delay_alu instid0(VALU_DEP_2)
	v_lshl_add_u64 v[8:9], v[8:9], 3, s[0:1]
	s_branch .LBB189_531
.LBB189_530:                            ;   in Loop: Header=BB189_531 Depth=1
	s_or_b32 exec_lo, exec_lo, s23
	s_xor_b32 s0, s4, -1
	s_and_b32 s1, exec_lo, s1
	s_wait_loadcnt 0x0
	v_mov_b64_e32 v[4:5], v[12:13]
	v_mov_b64_e32 v[20:21], v[10:11]
	s_or_b32 s21, s1, s21
	s_and_not1_b32 s1, s22, exec_lo
	s_and_b32 s0, s0, exec_lo
	s_delay_alu instid0(SALU_CYCLE_1)
	s_or_b32 s22, s1, s0
	s_and_not1_b32 exec_lo, exec_lo, s21
	s_cbranch_execz .LBB189_545
.LBB189_531:                            ; =>This Inner Loop Header: Depth=1
	s_delay_alu instid0(VALU_DEP_4) | instskip(SKIP_2) | instid1(VALU_DEP_2)
	v_add_nc_u64_e32 v[10:11], s[34:35], v[20:21]
	v_mov_b64_e32 v[12:13], 0
	s_mov_b32 s1, exec_lo
	v_cmpx_gt_u64_e64 s[36:37], v[10:11]
	s_cbranch_execz .LBB189_533
; %bb.532:                              ;   in Loop: Header=BB189_531 Depth=1
	global_load_b64 v[12:13], v[8:9], off
.LBB189_533:                            ;   in Loop: Header=BB189_531 Depth=1
	s_wait_xcnt 0x0
	s_or_b32 exec_lo, exec_lo, s1
	s_mov_b32 s4, 0
	s_mov_b32 s1, exec_lo
	v_cmpx_gt_u64_e64 s[36:37], v[20:21]
	s_cbranch_execz .LBB189_535
; %bb.534:                              ;   in Loop: Header=BB189_531 Depth=1
	s_wait_loadcnt 0x0
	v_cmp_o_f64_e64 s0, v[4:5], v[4:5]
	v_ashrrev_i32_e32 v6, 31, v5
	s_delay_alu instid0(VALU_DEP_1) | instskip(NEXT) | instid1(VALU_DEP_1)
	v_or_b32_e32 v17, 0x80000000, v6
	v_xor_b32_e32 v17, v17, v5
	s_delay_alu instid0(VALU_DEP_1) | instskip(NEXT) | instid1(VALU_DEP_1)
	v_dual_cndmask_b32 v23, -1, v17, s0 :: v_dual_bitop2_b32 v6, v6, v4 bitop3:0x14
	v_cndmask_b32_e64 v22, -1, v6, s0
	s_delay_alu instid0(VALU_DEP_1) | instskip(NEXT) | instid1(VALU_DEP_1)
	v_cmp_gt_u64_e64 s0, v[22:23], v[2:3]
	v_cndmask_b32_e64 v6, 0, 1, s0
	v_cmp_lt_u64_e64 s0, v[22:23], v[2:3]
	s_delay_alu instid0(VALU_DEP_1) | instskip(NEXT) | instid1(VALU_DEP_1)
	v_cndmask_b32_e64 v17, 0, 1, s0
	v_cndmask_b32_e64 v6, v17, v6, s93
	s_delay_alu instid0(VALU_DEP_1) | instskip(NEXT) | instid1(VALU_DEP_1)
	v_and_b32_e32 v6, 1, v6
	v_cmp_eq_u32_e64 s0, 1, v6
	s_and_b32 s4, s0, exec_lo
.LBB189_535:                            ;   in Loop: Header=BB189_531 Depth=1
	s_or_b32 exec_lo, exec_lo, s1
	v_cndmask_b32_e64 v6, 0, 1, s4
	s_delay_alu instid0(VALU_DEP_1) | instskip(SKIP_2) | instid1(SALU_CYCLE_1)
	v_cmp_ne_u32_e64 s0, 0, v6
	s_cmp_lg_u32 s0, 0
	s_cselect_b32 s1, -1, 0
	s_and_b32 s1, s2, s1
	s_delay_alu instid0(SALU_CYCLE_1)
	s_and_saveexec_b32 s23, s1
	s_cbranch_execz .LBB189_539
; %bb.536:                              ;   in Loop: Header=BB189_531 Depth=1
	s_mov_b32 s26, exec_lo
	s_bcnt1_i32_b32 s24, s0
	v_mbcnt_lo_u32_b32 v17, s26, 0
	s_mov_b32 s25, exec_lo
                                        ; implicit-def: $vgpr14_vgpr15
	s_delay_alu instid0(VALU_DEP_1)
	v_cmpx_eq_u32_e32 0, v17
	s_cbranch_execz .LBB189_538
; %bb.537:                              ;   in Loop: Header=BB189_531 Depth=1
	s_bcnt1_i32_b32 s1, s26
	s_delay_alu instid0(SALU_CYCLE_1) | instskip(NEXT) | instid1(SALU_CYCLE_1)
	s_mul_i32 s1, s24, s1
	v_mov_b32_e32 v6, s1
	s_wait_dscnt 0x0
	ds_add_rtn_u64 v[14:15], v7, v[6:7] offset:5136
.LBB189_538:                            ;   in Loop: Header=BB189_531 Depth=1
	s_or_b32 exec_lo, exec_lo, s25
	s_wait_dscnt 0x0
	v_readfirstlane_b32 s27, v15
	v_readfirstlane_b32 s26, v14
	s_delay_alu instid0(VALU_DEP_1)
	v_mad_nc_u64_u32 v[14:15], s24, v17, s[26:27]
.LBB189_539:                            ;   in Loop: Header=BB189_531 Depth=1
	s_or_b32 exec_lo, exec_lo, s23
	s_wait_dscnt 0x1
	ds_bpermute_b32 v14, v7, v14
	s_wait_dscnt 0x1
	ds_bpermute_b32 v15, v7, v15
	s_mov_b32 s1, -1
	s_mov_b32 s24, -1
	s_and_saveexec_b32 s23, s4
	s_cbranch_execz .LBB189_543
; %bb.540:                              ;   in Loop: Header=BB189_531 Depth=1
	v_and_b32_e32 v6, s0, v16
	s_mov_b32 s4, 0
	s_mov_b32 s24, exec_lo
	s_delay_alu instid0(VALU_DEP_1) | instskip(SKIP_1) | instid1(VALU_DEP_1)
	v_bcnt_u32_b32 v6, v6, 0
	s_wait_dscnt 0x0
	v_add_nc_u64_e32 v[22:23], v[14:15], v[6:7]
	s_delay_alu instid0(VALU_DEP_1)
	v_cmpx_gt_u64_e64 s[38:39], v[22:23]
	s_cbranch_execz .LBB189_542
; %bb.541:                              ;   in Loop: Header=BB189_531 Depth=1
	s_wait_kmcnt 0x0
	v_mul_u64_e32 v[24:25], s[6:7], v[22:23]
	v_mul_u64_e32 v[22:23], s[8:9], v[22:23]
	s_mov_b32 s4, exec_lo
	s_delay_alu instid0(VALU_DEP_2) | instskip(NEXT) | instid1(VALU_DEP_2)
	v_lshl_add_u64 v[24:25], v[24:25], 3, s[12:13]
	v_lshl_add_u64 v[22:23], v[22:23], 3, s[14:15]
	s_wait_loadcnt 0x0
	global_store_b64 v[24:25], v[4:5], off
	global_store_b64 v[22:23], v[20:21], off
.LBB189_542:                            ;   in Loop: Header=BB189_531 Depth=1
	s_wait_xcnt 0x0
	s_or_b32 exec_lo, exec_lo, s24
	s_delay_alu instid0(SALU_CYCLE_1)
	s_or_not1_b32 s24, s4, exec_lo
.LBB189_543:                            ;   in Loop: Header=BB189_531 Depth=1
	s_or_b32 exec_lo, exec_lo, s23
	s_mov_b32 s4, -1
	s_and_saveexec_b32 s23, s24
	s_cbranch_execz .LBB189_530
; %bb.544:                              ;   in Loop: Header=BB189_531 Depth=1
	v_cmp_le_u64_e64 s0, s[10:11], v[10:11]
	v_add_nc_u64_e32 v[8:9], s[40:41], v[8:9]
	s_xor_b32 s4, exec_lo, -1
	s_or_not1_b32 s1, s0, exec_lo
	s_branch .LBB189_530
.LBB189_545:
	s_or_b32 exec_lo, exec_lo, s21
	s_delay_alu instid0(SALU_CYCLE_1)
	s_mov_b32 s1, exec_lo
	s_or_not1_b32 s0, s22, exec_lo
	s_or_b32 exec_lo, exec_lo, s20
	s_and_saveexec_b32 s4, s0
	s_cbranch_execz .LBB189_520
.LBB189_546:
	v_mov_b64_e32 v[12:13], 0
	s_wait_storecnt 0x0
	s_wait_loadcnt_dscnt 0x0
	s_barrier_signal -1
	s_barrier_wait -1
	s_and_saveexec_b32 s0, s3
	s_cbranch_execz .LBB189_548
; %bb.547:
	global_load_b64 v[12:13], v[18:19], off
.LBB189_548:
	s_wait_xcnt 0x0
	s_or_b32 exec_lo, exec_lo, s0
	s_mov_b32 s0, 0
	s_and_saveexec_b32 s3, vcc_lo
	s_cbranch_execz .LBB189_570
; %bb.549:
	v_add_nc_u64_e32 v[4:5], s[34:35], v[0:1]
	v_readlane_b32 s20, v74, 14
	v_readlane_b32 s21, v74, 15
	v_mov_b32_e32 v7, 0
	s_mov_b32 s5, 0
                                        ; implicit-def: $vgpr14_vgpr15
	v_mul_u64_e32 v[4:5], s[30:31], v[4:5]
	s_delay_alu instid0(VALU_DEP_1)
	v_lshl_add_u64 v[4:5], v[4:5], 3, s[20:21]
                                        ; implicit-def: $sgpr20
	s_branch .LBB189_552
.LBB189_550:                            ;   in Loop: Header=BB189_552 Depth=1
	s_or_b32 exec_lo, exec_lo, s23
	s_delay_alu instid0(SALU_CYCLE_1)
	s_or_not1_b32 s23, s21, exec_lo
	s_or_not1_b32 s22, s22, exec_lo
.LBB189_551:                            ;   in Loop: Header=BB189_552 Depth=1
	s_or_b32 exec_lo, exec_lo, s0
	s_xor_b32 s0, s23, -1
	s_and_b32 s21, exec_lo, s22
	v_mov_b64_e32 v[0:1], v[8:9]
	s_wait_loadcnt 0x0
	v_mov_b64_e32 v[12:13], v[10:11]
	s_or_b32 s5, s21, s5
	s_and_not1_b32 s20, s20, exec_lo
	s_and_b32 s0, s0, exec_lo
	s_delay_alu instid0(SALU_CYCLE_1)
	s_or_b32 s20, s20, s0
	s_and_not1_b32 exec_lo, exec_lo, s5
	s_cbranch_execz .LBB189_568
.LBB189_552:                            ; =>This Inner Loop Header: Depth=1
	v_add_nc_u64_e32 v[8:9], s[34:35], v[0:1]
	v_mov_b64_e32 v[10:11], 0
	s_mov_b32 s0, exec_lo
	s_delay_alu instid0(VALU_DEP_2)
	v_cmpx_gt_u64_e64 s[36:37], v[8:9]
	s_cbranch_execz .LBB189_554
; %bb.553:                              ;   in Loop: Header=BB189_552 Depth=1
	global_load_b64 v[10:11], v[4:5], off
.LBB189_554:                            ;   in Loop: Header=BB189_552 Depth=1
	s_wait_xcnt 0x0
	s_or_b32 exec_lo, exec_lo, s0
	s_mov_b32 s21, 0
	s_mov_b32 s0, exec_lo
	v_cmpx_gt_u64_e64 s[36:37], v[0:1]
	s_cbranch_execz .LBB189_556
; %bb.555:                              ;   in Loop: Header=BB189_552 Depth=1
	s_wait_loadcnt 0x0
	v_cmp_o_f64_e32 vcc_lo, v[12:13], v[12:13]
	v_ashrrev_i32_e32 v6, 31, v13
	s_delay_alu instid0(VALU_DEP_1) | instskip(NEXT) | instid1(VALU_DEP_1)
	v_or_b32_e32 v17, 0x80000000, v6
	v_xor_b32_e32 v17, v17, v13
	s_delay_alu instid0(VALU_DEP_1) | instskip(NEXT) | instid1(VALU_DEP_1)
	v_dual_cndmask_b32 v19, -1, v17, vcc_lo :: v_dual_bitop2_b32 v6, v6, v12 bitop3:0x14
	v_cndmask_b32_e32 v18, -1, v6, vcc_lo
	s_delay_alu instid0(VALU_DEP_1)
	v_cmp_eq_u64_e32 vcc_lo, v[18:19], v[2:3]
	s_and_b32 s21, vcc_lo, exec_lo
.LBB189_556:                            ;   in Loop: Header=BB189_552 Depth=1
	s_or_b32 exec_lo, exec_lo, s0
	v_cndmask_b32_e64 v6, 0, 1, s21
	s_delay_alu instid0(VALU_DEP_1) | instskip(SKIP_2) | instid1(SALU_CYCLE_1)
	v_cmp_ne_u32_e32 vcc_lo, 0, v6
	s_cmp_lg_u32 vcc_lo, 0
	s_cselect_b32 s0, -1, 0
	s_and_b32 s0, s2, s0
	s_delay_alu instid0(SALU_CYCLE_1)
	s_and_saveexec_b32 s22, s0
	s_cbranch_execz .LBB189_560
; %bb.557:                              ;   in Loop: Header=BB189_552 Depth=1
	s_mov_b32 s25, exec_lo
	s_bcnt1_i32_b32 s23, vcc_lo
	v_mbcnt_lo_u32_b32 v17, s25, 0
	s_mov_b32 s24, exec_lo
                                        ; implicit-def: $vgpr14_vgpr15
	s_delay_alu instid0(VALU_DEP_1)
	v_cmpx_eq_u32_e32 0, v17
; %bb.558:                              ;   in Loop: Header=BB189_552 Depth=1
	s_bcnt1_i32_b32 s0, s25
	s_delay_alu instid0(SALU_CYCLE_1) | instskip(NEXT) | instid1(SALU_CYCLE_1)
	s_mul_i32 s0, s23, s0
	v_mov_b32_e32 v6, s0
	ds_add_rtn_u64 v[14:15], v7, v[6:7] offset:5136
; %bb.559:                              ;   in Loop: Header=BB189_552 Depth=1
	s_or_b32 exec_lo, exec_lo, s24
	s_wait_dscnt 0x0
	v_readfirstlane_b32 s25, v15
	v_readfirstlane_b32 s24, v14
	s_delay_alu instid0(VALU_DEP_1)
	v_mad_nc_u64_u32 v[14:15], s23, v17, s[24:25]
.LBB189_560:                            ;   in Loop: Header=BB189_552 Depth=1
	s_or_b32 exec_lo, exec_lo, s22
	ds_bpermute_b32 v14, v7, v14
	ds_bpermute_b32 v15, v7, v15
	s_cmp_eq_u32 vcc_lo, 0
	s_mov_b32 s22, -1
	s_cselect_b32 s23, -1, 0
	s_wait_dscnt 0x0
	v_cmp_gt_u64_e64 s0, s[38:39], v[14:15]
	s_or_b32 s24, s23, s0
	s_mov_b32 s23, -1
	s_and_saveexec_b32 s0, s24
	s_cbranch_execz .LBB189_551
; %bb.561:                              ;   in Loop: Header=BB189_552 Depth=1
	v_and_b32_e32 v6, vcc_lo, v16
	v_sub_nc_u64_e32 v[18:19], s[38:39], v[14:15]
	s_mov_b32 s24, -1
	s_delay_alu instid0(VALU_DEP_2) | instskip(NEXT) | instid1(VALU_DEP_1)
	v_bcnt_u32_b32 v6, v6, 0
	v_bcnt_u32_b32 v6, 0, v6
	s_delay_alu instid0(VALU_DEP_1)
	v_cmp_gt_u64_e32 vcc_lo, v[18:19], v[6:7]
	s_and_b32 s25, s21, vcc_lo
	s_mov_b32 s21, -1
	s_and_saveexec_b32 s23, s25
	s_cbranch_execz .LBB189_565
; %bb.562:                              ;   in Loop: Header=BB189_552 Depth=1
	v_add_nc_u64_e32 v[18:19], v[14:15], v[6:7]
	s_mov_b32 s24, 0
	s_mov_b32 s21, exec_lo
	s_delay_alu instid0(VALU_DEP_1)
	v_cmpx_gt_u64_e64 s[38:39], v[18:19]
	s_cbranch_execz .LBB189_564
; %bb.563:                              ;   in Loop: Header=BB189_552 Depth=1
	s_wait_kmcnt 0x0
	v_mul_u64_e32 v[20:21], s[6:7], v[18:19]
	v_mul_u64_e32 v[18:19], s[8:9], v[18:19]
	s_mov_b32 s24, exec_lo
	s_delay_alu instid0(VALU_DEP_2) | instskip(NEXT) | instid1(VALU_DEP_2)
	v_lshl_add_u64 v[20:21], v[20:21], 3, s[12:13]
	v_lshl_add_u64 v[18:19], v[18:19], 3, s[14:15]
	s_wait_loadcnt 0x0
	global_store_b64 v[20:21], v[12:13], off
	global_store_b64 v[18:19], v[0:1], off
.LBB189_564:                            ;   in Loop: Header=BB189_552 Depth=1
	s_wait_xcnt 0x0
	s_or_b32 exec_lo, exec_lo, s21
	s_delay_alu instid0(SALU_CYCLE_1)
	s_xor_b32 s21, exec_lo, -1
	s_or_not1_b32 s24, s24, exec_lo
.LBB189_565:                            ;   in Loop: Header=BB189_552 Depth=1
	s_or_b32 exec_lo, exec_lo, s23
	s_and_saveexec_b32 s23, s24
	s_cbranch_execz .LBB189_550
; %bb.566:                              ;   in Loop: Header=BB189_552 Depth=1
	v_cmp_le_u64_e32 vcc_lo, s[10:11], v[8:9]
	v_add_nc_u64_e32 v[4:5], s[40:41], v[4:5]
	s_or_b32 s21, s21, exec_lo
	s_or_not1_b32 s22, vcc_lo, exec_lo
	s_branch .LBB189_550
.LBB189_567:
	s_or_b32 s7, s7, exec_lo
	s_trap 2
	s_branch .LBB189_527
.LBB189_568:
	s_or_b32 exec_lo, exec_lo, s5
	s_mov_b32 s0, 0
	s_and_saveexec_b32 s2, s20
	s_delay_alu instid0(SALU_CYCLE_1)
	s_xor_b32 s2, exec_lo, s2
	s_cbranch_execnz .LBB189_574
.LBB189_569:
	s_or_b32 exec_lo, exec_lo, s2
	s_delay_alu instid0(SALU_CYCLE_1)
	s_and_b32 s0, s0, exec_lo
.LBB189_570:
	s_or_b32 exec_lo, exec_lo, s3
	s_delay_alu instid0(SALU_CYCLE_1) | instskip(SKIP_3) | instid1(SALU_CYCLE_1)
	s_and_b32 s5, s0, exec_lo
	s_and_not1_b32 s1, s1, exec_lo
	s_or_b32 exec_lo, exec_lo, s4
	s_and_saveexec_b32 s0, s1
	s_xor_b32 s0, exec_lo, s0
	s_cbranch_execz .LBB189_521
.LBB189_571:
	s_or_b32 s5, s5, exec_lo
	s_trap 2
	s_branch .LBB189_521
.LBB189_572:
	s_or_b32 s7, s7, exec_lo
	s_trap 2
	s_branch .LBB189_525
.LBB189_573:
	s_or_b32 s7, s7, exec_lo
	s_trap 2
	s_branch .LBB189_523
.LBB189_574:
	s_mov_b32 s0, exec_lo
	s_trap 2
	s_branch .LBB189_569
	.section	.rodata,"a",@progbits
	.p2align	6, 0x0
	.amdhsa_kernel _ZN2at6native6sbtopk10gatherTopKIdmLin1ELb0EEEvNS_4cuda6detail10TensorInfoIKT_T0_EES8_S8_bS8_S8_NS5_IS6_S8_EES8_NS5_IlS8_EES8_PS6_
		.amdhsa_group_segment_fixed_size 5152
		.amdhsa_private_segment_fixed_size 0
		.amdhsa_kernarg_size 1568
		.amdhsa_user_sgpr_count 2
		.amdhsa_user_sgpr_dispatch_ptr 0
		.amdhsa_user_sgpr_queue_ptr 0
		.amdhsa_user_sgpr_kernarg_segment_ptr 1
		.amdhsa_user_sgpr_dispatch_id 0
		.amdhsa_user_sgpr_kernarg_preload_length 0
		.amdhsa_user_sgpr_kernarg_preload_offset 0
		.amdhsa_user_sgpr_private_segment_size 0
		.amdhsa_wavefront_size32 1
		.amdhsa_uses_dynamic_stack 0
		.amdhsa_enable_private_segment 0
		.amdhsa_system_sgpr_workgroup_id_x 1
		.amdhsa_system_sgpr_workgroup_id_y 1
		.amdhsa_system_sgpr_workgroup_id_z 1
		.amdhsa_system_sgpr_workgroup_info 0
		.amdhsa_system_vgpr_workitem_id 0
		.amdhsa_next_free_vgpr 75
		.amdhsa_next_free_sgpr 105
		.amdhsa_named_barrier_count 0
		.amdhsa_reserve_vcc 1
		.amdhsa_float_round_mode_32 0
		.amdhsa_float_round_mode_16_64 0
		.amdhsa_float_denorm_mode_32 3
		.amdhsa_float_denorm_mode_16_64 3
		.amdhsa_fp16_overflow 0
		.amdhsa_memory_ordered 1
		.amdhsa_forward_progress 1
		.amdhsa_inst_pref_size 219
		.amdhsa_round_robin_scheduling 0
		.amdhsa_exception_fp_ieee_invalid_op 0
		.amdhsa_exception_fp_denorm_src 0
		.amdhsa_exception_fp_ieee_div_zero 0
		.amdhsa_exception_fp_ieee_overflow 0
		.amdhsa_exception_fp_ieee_underflow 0
		.amdhsa_exception_fp_ieee_inexact 0
		.amdhsa_exception_int_div_zero 0
	.end_amdhsa_kernel
	.section	.text._ZN2at6native6sbtopk10gatherTopKIdmLin1ELb0EEEvNS_4cuda6detail10TensorInfoIKT_T0_EES8_S8_bS8_S8_NS5_IS6_S8_EES8_NS5_IlS8_EES8_PS6_,"axG",@progbits,_ZN2at6native6sbtopk10gatherTopKIdmLin1ELb0EEEvNS_4cuda6detail10TensorInfoIKT_T0_EES8_S8_bS8_S8_NS5_IS6_S8_EES8_NS5_IlS8_EES8_PS6_,comdat
.Lfunc_end189:
	.size	_ZN2at6native6sbtopk10gatherTopKIdmLin1ELb0EEEvNS_4cuda6detail10TensorInfoIKT_T0_EES8_S8_bS8_S8_NS5_IS6_S8_EES8_NS5_IlS8_EES8_PS6_, .Lfunc_end189-_ZN2at6native6sbtopk10gatherTopKIdmLin1ELb0EEEvNS_4cuda6detail10TensorInfoIKT_T0_EES8_S8_bS8_S8_NS5_IS6_S8_EES8_NS5_IlS8_EES8_PS6_
                                        ; -- End function
	.set _ZN2at6native6sbtopk10gatherTopKIdmLin1ELb0EEEvNS_4cuda6detail10TensorInfoIKT_T0_EES8_S8_bS8_S8_NS5_IS6_S8_EES8_NS5_IlS8_EES8_PS6_.num_vgpr, 75
	.set _ZN2at6native6sbtopk10gatherTopKIdmLin1ELb0EEEvNS_4cuda6detail10TensorInfoIKT_T0_EES8_S8_bS8_S8_NS5_IS6_S8_EES8_NS5_IlS8_EES8_PS6_.num_agpr, 0
	.set _ZN2at6native6sbtopk10gatherTopKIdmLin1ELb0EEEvNS_4cuda6detail10TensorInfoIKT_T0_EES8_S8_bS8_S8_NS5_IS6_S8_EES8_NS5_IlS8_EES8_PS6_.numbered_sgpr, 105
	.set _ZN2at6native6sbtopk10gatherTopKIdmLin1ELb0EEEvNS_4cuda6detail10TensorInfoIKT_T0_EES8_S8_bS8_S8_NS5_IS6_S8_EES8_NS5_IlS8_EES8_PS6_.num_named_barrier, 0
	.set _ZN2at6native6sbtopk10gatherTopKIdmLin1ELb0EEEvNS_4cuda6detail10TensorInfoIKT_T0_EES8_S8_bS8_S8_NS5_IS6_S8_EES8_NS5_IlS8_EES8_PS6_.private_seg_size, 0
	.set _ZN2at6native6sbtopk10gatherTopKIdmLin1ELb0EEEvNS_4cuda6detail10TensorInfoIKT_T0_EES8_S8_bS8_S8_NS5_IS6_S8_EES8_NS5_IlS8_EES8_PS6_.uses_vcc, 1
	.set _ZN2at6native6sbtopk10gatherTopKIdmLin1ELb0EEEvNS_4cuda6detail10TensorInfoIKT_T0_EES8_S8_bS8_S8_NS5_IS6_S8_EES8_NS5_IlS8_EES8_PS6_.uses_flat_scratch, 0
	.set _ZN2at6native6sbtopk10gatherTopKIdmLin1ELb0EEEvNS_4cuda6detail10TensorInfoIKT_T0_EES8_S8_bS8_S8_NS5_IS6_S8_EES8_NS5_IlS8_EES8_PS6_.has_dyn_sized_stack, 0
	.set _ZN2at6native6sbtopk10gatherTopKIdmLin1ELb0EEEvNS_4cuda6detail10TensorInfoIKT_T0_EES8_S8_bS8_S8_NS5_IS6_S8_EES8_NS5_IlS8_EES8_PS6_.has_recursion, 0
	.set _ZN2at6native6sbtopk10gatherTopKIdmLin1ELb0EEEvNS_4cuda6detail10TensorInfoIKT_T0_EES8_S8_bS8_S8_NS5_IS6_S8_EES8_NS5_IlS8_EES8_PS6_.has_indirect_call, 0
	.section	.AMDGPU.csdata,"",@progbits
; Kernel info:
; codeLenInByte = 27952
; TotalNumSgprs: 107
; NumVgprs: 75
; ScratchSize: 0
; MemoryBound: 0
; FloatMode: 240
; IeeeMode: 1
; LDSByteSize: 5152 bytes/workgroup (compile time only)
; SGPRBlocks: 0
; VGPRBlocks: 4
; NumSGPRsForWavesPerEU: 107
; NumVGPRsForWavesPerEU: 75
; NamedBarCnt: 0
; Occupancy: 12
; WaveLimiterHint : 1
; COMPUTE_PGM_RSRC2:SCRATCH_EN: 0
; COMPUTE_PGM_RSRC2:USER_SGPR: 2
; COMPUTE_PGM_RSRC2:TRAP_HANDLER: 0
; COMPUTE_PGM_RSRC2:TGID_X_EN: 1
; COMPUTE_PGM_RSRC2:TGID_Y_EN: 1
; COMPUTE_PGM_RSRC2:TGID_Z_EN: 1
; COMPUTE_PGM_RSRC2:TIDIG_COMP_CNT: 0
	.section	.text._ZN2at6native6mbtopk23computeBlockDigitCountsIfmjLi1EEEvNS_4cuda6detail10TensorInfoIKT_T0_EEjPjjS8_iijT1_PSB_Ps,"axG",@progbits,_ZN2at6native6mbtopk23computeBlockDigitCountsIfmjLi1EEEvNS_4cuda6detail10TensorInfoIKT_T0_EEjPjjS8_iijT1_PSB_Ps,comdat
	.protected	_ZN2at6native6mbtopk23computeBlockDigitCountsIfmjLi1EEEvNS_4cuda6detail10TensorInfoIKT_T0_EEjPjjS8_iijT1_PSB_Ps ; -- Begin function _ZN2at6native6mbtopk23computeBlockDigitCountsIfmjLi1EEEvNS_4cuda6detail10TensorInfoIKT_T0_EEjPjjS8_iijT1_PSB_Ps
	.globl	_ZN2at6native6mbtopk23computeBlockDigitCountsIfmjLi1EEEvNS_4cuda6detail10TensorInfoIKT_T0_EEjPjjS8_iijT1_PSB_Ps
	.p2align	8
	.type	_ZN2at6native6mbtopk23computeBlockDigitCountsIfmjLi1EEEvNS_4cuda6detail10TensorInfoIKT_T0_EEjPjjS8_iijT1_PSB_Ps,@function
_ZN2at6native6mbtopk23computeBlockDigitCountsIfmjLi1EEEvNS_4cuda6detail10TensorInfoIKT_T0_EEjPjjS8_iijT1_PSB_Ps: ; @_ZN2at6native6mbtopk23computeBlockDigitCountsIfmjLi1EEEvNS_4cuda6detail10TensorInfoIKT_T0_EEjPjjS8_iijT1_PSB_Ps
; %bb.0:
	s_load_b128 s[4:7], s[0:1], 0x1c0
	s_bfe_u32 s2, ttmp6, 0x40010
	s_and_b32 s8, ttmp7, 0xffff
	s_add_co_i32 s9, s2, 1
	s_bfe_u32 s10, ttmp6, 0x40004
	s_mul_i32 s9, s8, s9
	s_load_b64 s[2:3], s[0:1], 0x1e0
	s_add_co_i32 s10, s10, s9
	s_bfe_u32 s11, ttmp6, 0x4000c
	s_bfe_u32 s13, ttmp6, 0x40014
	s_add_co_i32 s11, s11, 1
	s_and_b32 s12, ttmp6, 15
	s_mul_i32 s11, ttmp9, s11
	s_add_co_i32 s13, s13, 1
	s_add_co_i32 s12, s12, s11
	s_getreg_b32 s14, hwreg(HW_REG_IB_STS2, 6, 4)
	s_wait_kmcnt 0x0
	s_cvt_f32_u32 s9, s6
	s_delay_alu instid0(SALU_CYCLE_3) | instskip(SKIP_1) | instid1(SALU_CYCLE_1)
	v_rcp_iflag_f32_e32 v1, s9
	s_lshr_b32 s9, ttmp7, 16
	s_mul_i32 s11, s9, s13
	s_bfe_u32 s13, ttmp6, 0x40008
	s_delay_alu instid0(SALU_CYCLE_1) | instskip(SKIP_1) | instid1(TRANS32_DEP_1)
	s_add_co_i32 s13, s13, s11
	v_nop
	v_readfirstlane_b32 s15, v1
	s_cmp_eq_u32 s14, 0
	s_cselect_b32 s9, s9, s13
	s_load_b32 s13, s[0:1], 0x1b0
	s_mul_f32 s11, s15, 0x4f7ffffe
	s_mul_i32 s3, s3, s9
	s_cselect_b32 s9, ttmp9, s12
	s_cselect_b32 s8, s8, s10
	s_cvt_u32_f32 s11, s11
	s_sub_co_i32 s10, 0, s6
	s_add_co_i32 s3, s3, s8
	s_delay_alu instid0(SALU_CYCLE_1) | instskip(SKIP_3) | instid1(SALU_CYCLE_1)
	s_mul_i32 s16, s3, s2
	s_mul_i32 s10, s10, s11
	s_add_co_i32 s16, s16, s9
	s_mul_hi_u32 s2, s11, s10
	s_add_co_i32 s11, s11, s2
	s_delay_alu instid0(SALU_CYCLE_1) | instskip(NEXT) | instid1(SALU_CYCLE_1)
	s_mul_hi_u32 s2, s16, s11
	s_mul_i32 s3, s2, s6
	s_add_co_i32 s8, s2, 1
	s_sub_co_i32 s3, s16, s3
	s_delay_alu instid0(SALU_CYCLE_1)
	s_sub_co_i32 s9, s3, s6
	s_cmp_ge_u32 s3, s6
	s_cselect_b32 s2, s8, s2
	s_cselect_b32 s3, s9, s3
	s_add_co_i32 s8, s2, 1
	s_cmp_ge_u32 s3, s6
	s_cselect_b32 s12, s8, s2
	s_wait_kmcnt 0x0
	s_cmp_ge_u32 s12, s13
	s_mov_b32 s13, 0
	s_cbranch_scc1 .LBB190_21
; %bb.1:
	v_cmp_gt_u32_e32 vcc_lo, 0x100, v0
	v_lshlrev_b32_e32 v1, 2, v0
	s_and_saveexec_b32 s2, vcc_lo
; %bb.2:
	v_mov_b32_e32 v2, 0
	ds_store_b32 v1, v2
; %bb.3:
	s_or_b32 exec_lo, exec_lo, s2
	s_clause 0x1
	s_load_b32 s17, s[0:1], 0x1a0
	s_load_b128 s[8:11], s[0:1], 0x1d0
	s_mul_i32 s2, s12, s6
	s_mov_b32 s15, 0
	s_sub_co_i32 s19, s16, s2
	s_wait_dscnt 0x0
	s_mul_i32 s2, s5, s19
	s_add_co_i32 s19, s19, 1
	s_lshl_b32 s18, s2, 8
	s_barrier_signal -1
	s_barrier_wait -1
	s_wait_kmcnt 0x0
	s_sub_co_i32 s14, s17, s18
	s_delay_alu instid0(SALU_CYCLE_1) | instskip(NEXT) | instid1(SALU_CYCLE_1)
	s_add_nc_u64 s[2:3], s[14:15], 0xff
	s_lshr_b64 s[2:3], s[2:3], 8
	s_cmp_lt_u32 s19, s6
	s_cselect_b32 s14, s5, s2
	s_delay_alu instid0(SALU_CYCLE_1)
	s_cmp_lt_i32 s14, 1
	s_cbranch_scc1 .LBB190_19
; %bb.4:
	s_clause 0x2
	s_load_b64 s[20:21], s[0:1], 0xd0
	s_load_b64 s[2:3], s[0:1], 0x1b8
	;; [unrolled: 1-line block ×3, first 2 shown]
	s_load_b32 s6, s[8:9], s12 offset:0x0 scale_offset
	v_add_nc_u32_e32 v6, s18, v0
	s_wait_kmcnt 0x0
	s_mul_u64 s[0:1], s[20:21], s[12:13]
	s_delay_alu instid0(SALU_CYCLE_1)
	s_lshl_b64 s[8:9], s[0:1], 2
	s_and_b32 s1, s4, 0xff
	s_cmp_eq_u32 s14, 1
	s_add_nc_u64 s[4:5], s[22:23], s[8:9]
	s_cbranch_scc1 .LBB190_14
; %bb.5:
	v_dual_mov_b32 v3, 0 :: v_dual_mov_b32 v7, 1
	v_mov_b32_e32 v2, v6
	s_and_b32 s8, s14, 0x7ffffffe
	s_mov_b32 s9, 0
	s_branch .LBB190_7
.LBB190_6:                              ;   in Loop: Header=BB190_7 Depth=1
	s_or_b32 exec_lo, exec_lo, s12
	v_add_nc_u32_e32 v2, 0x200, v2
	s_add_co_i32 s9, s9, 2
	s_delay_alu instid0(SALU_CYCLE_1)
	s_cmp_eq_u32 s8, s9
	s_cbranch_scc1 .LBB190_13
.LBB190_7:                              ; =>This Inner Loop Header: Depth=1
	s_mov_b32 s12, exec_lo
	v_cmpx_gt_u32_e64 s17, v2
	s_cbranch_execz .LBB190_10
; %bb.8:                                ;   in Loop: Header=BB190_7 Depth=1
	v_mul_u64_e32 v[4:5], s[2:3], v[2:3]
	s_delay_alu instid0(VALU_DEP_1) | instskip(SKIP_4) | instid1(VALU_DEP_1)
	v_lshl_add_u64 v[4:5], v[4:5], 2, s[4:5]
	global_load_b32 v4, v[4:5], off
	s_wait_loadcnt 0x0
	v_cmp_lt_i32_e64 s0, -1, v4
	s_wait_xcnt 0x0
	v_cndmask_b32_e64 v5, -1, 0x80000000, s0
	v_cmp_o_f32_e64 s0, v4, v4
	s_delay_alu instid0(VALU_DEP_2) | instskip(NEXT) | instid1(VALU_DEP_1)
	v_xor_b32_e32 v5, v5, v4
	v_cndmask_b32_e64 v4, -1, v5, s0
	s_delay_alu instid0(VALU_DEP_1) | instskip(NEXT) | instid1(VALU_DEP_1)
	v_bitop3_b32 v5, v4, s7, s6 bitop3:0x48
	v_cmp_eq_u32_e64 s0, 0, v5
	s_and_b32 exec_lo, exec_lo, s0
; %bb.9:                                ;   in Loop: Header=BB190_7 Depth=1
	v_bfe_u32 v4, v4, s1, 8
	s_delay_alu instid0(VALU_DEP_1)
	v_lshlrev_b32_e32 v4, 2, v4
	ds_add_u32 v4, v7
.LBB190_10:                             ;   in Loop: Header=BB190_7 Depth=1
	s_or_b32 exec_lo, exec_lo, s12
	v_add_nc_u32_e32 v4, 0x100, v2
	s_mov_b32 s12, exec_lo
	s_delay_alu instid0(VALU_DEP_1)
	v_cmpx_gt_u32_e64 s17, v4
	s_cbranch_execz .LBB190_6
; %bb.11:                               ;   in Loop: Header=BB190_7 Depth=1
	v_mov_b32_e32 v5, v3
	s_delay_alu instid0(VALU_DEP_1) | instskip(NEXT) | instid1(VALU_DEP_1)
	v_mul_u64_e32 v[4:5], s[2:3], v[4:5]
	v_lshl_add_u64 v[4:5], v[4:5], 2, s[4:5]
	global_load_b32 v4, v[4:5], off
	s_wait_loadcnt 0x0
	v_cmp_lt_i32_e64 s0, -1, v4
	s_delay_alu instid0(VALU_DEP_1) | instskip(SKIP_1) | instid1(VALU_DEP_2)
	v_cndmask_b32_e64 v5, -1, 0x80000000, s0
	v_cmp_o_f32_e64 s0, v4, v4
	v_xor_b32_e32 v5, v5, v4
	s_delay_alu instid0(VALU_DEP_1) | instskip(NEXT) | instid1(VALU_DEP_1)
	v_cndmask_b32_e64 v4, -1, v5, s0
	v_bitop3_b32 v5, v4, s7, s6 bitop3:0x48
	s_delay_alu instid0(VALU_DEP_1)
	v_cmp_eq_u32_e64 s0, 0, v5
	s_and_b32 exec_lo, exec_lo, s0
	s_cbranch_execz .LBB190_6
; %bb.12:                               ;   in Loop: Header=BB190_7 Depth=1
	v_bfe_u32 v4, v4, s1, 8
	s_delay_alu instid0(VALU_DEP_1)
	v_lshlrev_b32_e32 v4, 2, v4
	ds_add_u32 v4, v7
	s_branch .LBB190_6
.LBB190_13:
	s_lshl_b32 s15, s8, 8
.LBB190_14:
	s_bitcmp0_b32 s14, 0
	s_cbranch_scc1 .LBB190_19
; %bb.15:
	v_add_nc_u32_e32 v2, s15, v6
	s_mov_b32 s8, exec_lo
	s_delay_alu instid0(VALU_DEP_1)
	v_cmpx_gt_u32_e64 s17, v2
	s_cbranch_execz .LBB190_18
; %bb.16:
	v_mov_b32_e32 v3, 0
	s_delay_alu instid0(VALU_DEP_1) | instskip(NEXT) | instid1(VALU_DEP_1)
	v_mul_u64_e32 v[2:3], s[2:3], v[2:3]
	v_lshl_add_u64 v[2:3], v[2:3], 2, s[4:5]
	global_load_b32 v2, v[2:3], off
	s_wait_loadcnt 0x0
	v_cmp_lt_i32_e64 s0, -1, v2
	s_delay_alu instid0(VALU_DEP_1) | instskip(SKIP_1) | instid1(VALU_DEP_2)
	v_cndmask_b32_e64 v3, -1, 0x80000000, s0
	v_cmp_o_f32_e64 s0, v2, v2
	v_xor_b32_e32 v3, v3, v2
	s_delay_alu instid0(VALU_DEP_1) | instskip(NEXT) | instid1(VALU_DEP_1)
	v_cndmask_b32_e64 v2, -1, v3, s0
	v_bitop3_b32 v3, v2, s7, s6 bitop3:0x48
	s_delay_alu instid0(VALU_DEP_1)
	v_cmp_eq_u32_e64 s0, 0, v3
	s_and_b32 exec_lo, exec_lo, s0
; %bb.17:
	v_bfe_u32 v2, v2, s1, 8
	s_delay_alu instid0(VALU_DEP_1)
	v_dual_mov_b32 v3, 1 :: v_dual_lshlrev_b32 v2, 2, v2
	ds_add_u32 v2, v3
.LBB190_18:
	s_or_b32 exec_lo, exec_lo, s8
.LBB190_19:
	s_wait_dscnt 0x0
	s_barrier_signal -1
	s_barrier_wait -1
	s_and_saveexec_b32 s0, vcc_lo
	s_cbranch_execz .LBB190_21
; %bb.20:
	ds_load_b32 v1, v1
	v_lshl_or_b32 v0, s16, 8, v0
	s_wait_dscnt 0x0
	global_store_b16 v0, v1, s[10:11] scale_offset
.LBB190_21:
	s_endpgm
	.section	.rodata,"a",@progbits
	.p2align	6, 0x0
	.amdhsa_kernel _ZN2at6native6mbtopk23computeBlockDigitCountsIfmjLi1EEEvNS_4cuda6detail10TensorInfoIKT_T0_EEjPjjS8_iijT1_PSB_Ps
		.amdhsa_group_segment_fixed_size 1024
		.amdhsa_private_segment_fixed_size 0
		.amdhsa_kernarg_size 736
		.amdhsa_user_sgpr_count 2
		.amdhsa_user_sgpr_dispatch_ptr 0
		.amdhsa_user_sgpr_queue_ptr 0
		.amdhsa_user_sgpr_kernarg_segment_ptr 1
		.amdhsa_user_sgpr_dispatch_id 0
		.amdhsa_user_sgpr_kernarg_preload_length 0
		.amdhsa_user_sgpr_kernarg_preload_offset 0
		.amdhsa_user_sgpr_private_segment_size 0
		.amdhsa_wavefront_size32 1
		.amdhsa_uses_dynamic_stack 0
		.amdhsa_enable_private_segment 0
		.amdhsa_system_sgpr_workgroup_id_x 1
		.amdhsa_system_sgpr_workgroup_id_y 1
		.amdhsa_system_sgpr_workgroup_id_z 1
		.amdhsa_system_sgpr_workgroup_info 0
		.amdhsa_system_vgpr_workitem_id 0
		.amdhsa_next_free_vgpr 8
		.amdhsa_next_free_sgpr 24
		.amdhsa_named_barrier_count 0
		.amdhsa_reserve_vcc 1
		.amdhsa_float_round_mode_32 0
		.amdhsa_float_round_mode_16_64 0
		.amdhsa_float_denorm_mode_32 3
		.amdhsa_float_denorm_mode_16_64 3
		.amdhsa_fp16_overflow 0
		.amdhsa_memory_ordered 1
		.amdhsa_forward_progress 1
		.amdhsa_inst_pref_size 9
		.amdhsa_round_robin_scheduling 0
		.amdhsa_exception_fp_ieee_invalid_op 0
		.amdhsa_exception_fp_denorm_src 0
		.amdhsa_exception_fp_ieee_div_zero 0
		.amdhsa_exception_fp_ieee_overflow 0
		.amdhsa_exception_fp_ieee_underflow 0
		.amdhsa_exception_fp_ieee_inexact 0
		.amdhsa_exception_int_div_zero 0
	.end_amdhsa_kernel
	.section	.text._ZN2at6native6mbtopk23computeBlockDigitCountsIfmjLi1EEEvNS_4cuda6detail10TensorInfoIKT_T0_EEjPjjS8_iijT1_PSB_Ps,"axG",@progbits,_ZN2at6native6mbtopk23computeBlockDigitCountsIfmjLi1EEEvNS_4cuda6detail10TensorInfoIKT_T0_EEjPjjS8_iijT1_PSB_Ps,comdat
.Lfunc_end190:
	.size	_ZN2at6native6mbtopk23computeBlockDigitCountsIfmjLi1EEEvNS_4cuda6detail10TensorInfoIKT_T0_EEjPjjS8_iijT1_PSB_Ps, .Lfunc_end190-_ZN2at6native6mbtopk23computeBlockDigitCountsIfmjLi1EEEvNS_4cuda6detail10TensorInfoIKT_T0_EEjPjjS8_iijT1_PSB_Ps
                                        ; -- End function
	.set _ZN2at6native6mbtopk23computeBlockDigitCountsIfmjLi1EEEvNS_4cuda6detail10TensorInfoIKT_T0_EEjPjjS8_iijT1_PSB_Ps.num_vgpr, 8
	.set _ZN2at6native6mbtopk23computeBlockDigitCountsIfmjLi1EEEvNS_4cuda6detail10TensorInfoIKT_T0_EEjPjjS8_iijT1_PSB_Ps.num_agpr, 0
	.set _ZN2at6native6mbtopk23computeBlockDigitCountsIfmjLi1EEEvNS_4cuda6detail10TensorInfoIKT_T0_EEjPjjS8_iijT1_PSB_Ps.numbered_sgpr, 24
	.set _ZN2at6native6mbtopk23computeBlockDigitCountsIfmjLi1EEEvNS_4cuda6detail10TensorInfoIKT_T0_EEjPjjS8_iijT1_PSB_Ps.num_named_barrier, 0
	.set _ZN2at6native6mbtopk23computeBlockDigitCountsIfmjLi1EEEvNS_4cuda6detail10TensorInfoIKT_T0_EEjPjjS8_iijT1_PSB_Ps.private_seg_size, 0
	.set _ZN2at6native6mbtopk23computeBlockDigitCountsIfmjLi1EEEvNS_4cuda6detail10TensorInfoIKT_T0_EEjPjjS8_iijT1_PSB_Ps.uses_vcc, 1
	.set _ZN2at6native6mbtopk23computeBlockDigitCountsIfmjLi1EEEvNS_4cuda6detail10TensorInfoIKT_T0_EEjPjjS8_iijT1_PSB_Ps.uses_flat_scratch, 0
	.set _ZN2at6native6mbtopk23computeBlockDigitCountsIfmjLi1EEEvNS_4cuda6detail10TensorInfoIKT_T0_EEjPjjS8_iijT1_PSB_Ps.has_dyn_sized_stack, 0
	.set _ZN2at6native6mbtopk23computeBlockDigitCountsIfmjLi1EEEvNS_4cuda6detail10TensorInfoIKT_T0_EEjPjjS8_iijT1_PSB_Ps.has_recursion, 0
	.set _ZN2at6native6mbtopk23computeBlockDigitCountsIfmjLi1EEEvNS_4cuda6detail10TensorInfoIKT_T0_EEjPjjS8_iijT1_PSB_Ps.has_indirect_call, 0
	.section	.AMDGPU.csdata,"",@progbits
; Kernel info:
; codeLenInByte = 1096
; TotalNumSgprs: 26
; NumVgprs: 8
; ScratchSize: 0
; MemoryBound: 0
; FloatMode: 240
; IeeeMode: 1
; LDSByteSize: 1024 bytes/workgroup (compile time only)
; SGPRBlocks: 0
; VGPRBlocks: 0
; NumSGPRsForWavesPerEU: 26
; NumVGPRsForWavesPerEU: 8
; NamedBarCnt: 0
; Occupancy: 16
; WaveLimiterHint : 1
; COMPUTE_PGM_RSRC2:SCRATCH_EN: 0
; COMPUTE_PGM_RSRC2:USER_SGPR: 2
; COMPUTE_PGM_RSRC2:TRAP_HANDLER: 0
; COMPUTE_PGM_RSRC2:TGID_X_EN: 1
; COMPUTE_PGM_RSRC2:TGID_Y_EN: 1
; COMPUTE_PGM_RSRC2:TGID_Z_EN: 1
; COMPUTE_PGM_RSRC2:TIDIG_COMP_CNT: 0
	.section	.text._ZN2at6native6mbtopk10gatherTopKIfmLi1EEEvNS_4cuda6detail10TensorInfoIKT_T0_EES8_S8_bjS8_NS5_IS6_S8_EES8_NS5_IlS8_EES8_jjPS6_PjSD_j,"axG",@progbits,_ZN2at6native6mbtopk10gatherTopKIfmLi1EEEvNS_4cuda6detail10TensorInfoIKT_T0_EES8_S8_bjS8_NS5_IS6_S8_EES8_NS5_IlS8_EES8_jjPS6_PjSD_j,comdat
	.protected	_ZN2at6native6mbtopk10gatherTopKIfmLi1EEEvNS_4cuda6detail10TensorInfoIKT_T0_EES8_S8_bjS8_NS5_IS6_S8_EES8_NS5_IlS8_EES8_jjPS6_PjSD_j ; -- Begin function _ZN2at6native6mbtopk10gatherTopKIfmLi1EEEvNS_4cuda6detail10TensorInfoIKT_T0_EES8_S8_bjS8_NS5_IS6_S8_EES8_NS5_IlS8_EES8_jjPS6_PjSD_j
	.globl	_ZN2at6native6mbtopk10gatherTopKIfmLi1EEEvNS_4cuda6detail10TensorInfoIKT_T0_EES8_S8_bjS8_NS5_IS6_S8_EES8_NS5_IlS8_EES8_jjPS6_PjSD_j
	.p2align	8
	.type	_ZN2at6native6mbtopk10gatherTopKIfmLi1EEEvNS_4cuda6detail10TensorInfoIKT_T0_EES8_S8_bjS8_NS5_IS6_S8_EES8_NS5_IlS8_EES8_jjPS6_PjSD_j,@function
_ZN2at6native6mbtopk10gatherTopKIfmLi1EEEvNS_4cuda6detail10TensorInfoIKT_T0_EES8_S8_bjS8_NS5_IS6_S8_EES8_NS5_IlS8_EES8_jjPS6_PjSD_j: ; @_ZN2at6native6mbtopk10gatherTopKIfmLi1EEEvNS_4cuda6detail10TensorInfoIKT_T0_EES8_S8_bjS8_NS5_IS6_S8_EES8_NS5_IlS8_EES8_jjPS6_PjSD_j
; %bb.0:
	s_bfe_u32 s2, ttmp6, 0x40010
	s_and_b32 s4, ttmp7, 0xffff
	s_add_co_i32 s5, s2, 1
	s_clause 0x1
	s_load_b32 s6, s[0:1], 0x530
	s_load_b64 s[2:3], s[0:1], 0x538
	s_bfe_u32 s8, ttmp6, 0x4000c
	s_mul_i32 s5, s4, s5
	s_bfe_u32 s7, ttmp6, 0x40004
	s_add_co_i32 s8, s8, 1
	s_bfe_u32 s9, ttmp6, 0x40014
	s_add_co_i32 s7, s7, s5
	s_and_b32 s5, ttmp6, 15
	s_mul_i32 s8, ttmp9, s8
	s_lshr_b32 s10, ttmp7, 16
	s_add_co_i32 s9, s9, 1
	s_add_co_i32 s5, s5, s8
	s_mul_i32 s8, s10, s9
	s_bfe_u32 s9, ttmp6, 0x40008
	s_getreg_b32 s11, hwreg(HW_REG_IB_STS2, 6, 4)
	s_add_co_i32 s9, s9, s8
	s_cmp_eq_u32 s11, 0
	s_cselect_b32 s8, s10, s9
	s_cselect_b32 s4, s4, s7
	s_wait_kmcnt 0x0
	s_mul_i32 s3, s3, s8
	s_cselect_b32 s5, ttmp9, s5
	s_add_co_i32 s3, s3, s4
	s_delay_alu instid0(SALU_CYCLE_1) | instskip(NEXT) | instid1(SALU_CYCLE_1)
	s_mul_i32 s2, s3, s2
	s_add_co_i32 s2, s2, s5
	s_delay_alu instid0(SALU_CYCLE_1)
	s_cmp_ge_u32 s2, s6
	s_cbranch_scc1 .LBB191_42
; %bb.1:
	s_load_b64 s[16:17], s[0:1], 0x510
	s_wait_kmcnt 0x0
	s_cvt_f32_u32 s3, s17
	s_sub_co_i32 s4, 0, s17
	s_lshl_b32 s28, s16, 8
	s_delay_alu instid0(SALU_CYCLE_1) | instskip(SKIP_1) | instid1(TRANS32_DEP_1)
	v_rcp_iflag_f32_e32 v1, s3
	v_nop
	v_readfirstlane_b32 s3, v1
	s_mul_f32 s3, s3, 0x4f7ffffe
	s_delay_alu instid0(SALU_CYCLE_3) | instskip(NEXT) | instid1(SALU_CYCLE_3)
	s_cvt_u32_f32 s3, s3
	s_mul_i32 s4, s4, s3
	s_delay_alu instid0(SALU_CYCLE_1) | instskip(NEXT) | instid1(SALU_CYCLE_1)
	s_mul_hi_u32 s4, s3, s4
	s_add_co_i32 s3, s3, s4
	s_load_b128 s[4:7], s[0:1], 0x1a0
	s_mul_hi_u32 s3, s2, s3
	s_delay_alu instid0(SALU_CYCLE_1) | instskip(SKIP_2) | instid1(SALU_CYCLE_1)
	s_mul_i32 s8, s3, s17
	s_add_co_i32 s9, s3, 1
	s_sub_co_i32 s8, s2, s8
	s_sub_co_i32 s10, s8, s17
	s_cmp_ge_u32 s8, s17
	s_cselect_b32 s3, s9, s3
	s_cselect_b32 s8, s10, s8
	s_add_co_i32 s9, s3, 1
	s_cmp_ge_u32 s8, s17
	s_cselect_b32 s18, s9, s3
	s_delay_alu instid0(SALU_CYCLE_1) | instskip(NEXT) | instid1(SALU_CYCLE_1)
	s_mul_i32 s12, s18, s17
	s_sub_co_i32 s29, s2, s12
	s_delay_alu instid0(SALU_CYCLE_1) | instskip(NEXT) | instid1(SALU_CYCLE_1)
	s_add_co_i32 s2, s29, 1
	s_cmp_lt_u32 s2, s17
	s_cbranch_scc1 .LBB191_3
; %bb.2:
	s_mul_i32 s2, s29, s28
	s_mov_b32 s3, 0
	s_wait_kmcnt 0x0
	s_sub_nc_u64 s[8:9], s[4:5], s[2:3]
	s_delay_alu instid0(SALU_CYCLE_1) | instskip(NEXT) | instid1(SALU_CYCLE_1)
	s_add_nc_u64 s[8:9], s[8:9], 0xff
	s_ashr_i32 s2, s9, 31
	s_delay_alu instid0(SALU_CYCLE_1) | instskip(NEXT) | instid1(SALU_CYCLE_1)
	s_lshr_b32 s2, s2, 24
	s_add_nc_u64 s[2:3], s[8:9], s[2:3]
	s_delay_alu instid0(SALU_CYCLE_1) | instskip(NEXT) | instid1(SALU_CYCLE_1)
	s_lshr_b64 s[2:3], s[2:3], 8
	s_mov_b32 s16, s2
.LBB191_3:
	s_load_b128 s[8:11], s[0:1], 0x518
	v_cmp_ne_u32_e64 s2, 0, v0
	v_cmp_eq_u32_e64 s3, 0, v0
	s_mov_b32 s19, 0
	s_wait_kmcnt 0x0
	s_load_b32 s30, s[8:9], s18 offset:0x0 scale_offset
	s_and_saveexec_b32 s26, s3
	s_cbranch_execz .LBB191_19
; %bb.4:
	s_load_b64 s[20:21], s[0:1], 0x528
	s_mov_b32 s13, s19
	s_delay_alu instid0(SALU_CYCLE_1)
	s_lshl_b64 s[22:23], s[12:13], 2
	s_cmp_lt_u32 s17, 4
	s_cbranch_scc1 .LBB191_16
; %bb.5:
	s_mov_b32 s27, 0
	s_wait_xcnt 0x0
	s_mov_b64 s[8:9], 0
	s_mov_b32 s31, 0
.LBB191_6:                              ; =>This Inner Loop Header: Depth=1
	s_add_nc_u64 s[24:25], s[10:11], s[22:23]
	s_cmp_ge_u32 s31, s29
	s_load_b128 s[12:15], s[24:25], 0x0
	s_wait_kmcnt 0x0
	s_add_nc_u64 s[24:25], s[20:21], s[22:23]
	s_cbranch_scc0 .LBB191_13
; %bb.7:                                ;   in Loop: Header=BB191_6 Depth=1
	s_add_co_i32 s33, s31, 1
	s_delay_alu instid0(SALU_CYCLE_1)
	s_cmp_ge_u32 s33, s29
	s_cbranch_scc0 .LBB191_14
.LBB191_8:                              ;   in Loop: Header=BB191_6 Depth=1
	s_add_co_i32 s33, s33, 1
	s_delay_alu instid0(SALU_CYCLE_1)
	s_cmp_ge_u32 s33, s29
	s_cbranch_scc0 .LBB191_15
.LBB191_9:                              ;   in Loop: Header=BB191_6 Depth=1
	s_add_co_i32 s33, s33, 1
	s_delay_alu instid0(SALU_CYCLE_1)
	s_cmp_ge_u32 s33, s29
	s_cbranch_scc1 .LBB191_11
.LBB191_10:                             ;   in Loop: Header=BB191_6 Depth=1
	s_load_b32 s24, s[24:25], 0xc
	s_add_co_i32 s9, s15, s9
	s_wait_kmcnt 0x0
	s_add_co_i32 s8, s24, s8
.LBB191_11:                             ;   in Loop: Header=BB191_6 Depth=1
	s_add_co_i32 s12, s12, s27
	s_add_nc_u64 s[10:11], s[10:11], 16
	s_add_co_i32 s12, s12, s13
	s_add_co_i32 s13, s33, 4
	;; [unrolled: 1-line block ×3, first 2 shown]
	s_add_nc_u64 s[20:21], s[20:21], 16
	s_add_co_i32 s27, s12, s15
	s_add_co_i32 s12, s33, 1
	s_cmp_ge_u32 s13, s17
	s_cbranch_scc1 .LBB191_17
; %bb.12:                               ;   in Loop: Header=BB191_6 Depth=1
	s_mov_b32 s31, s12
	s_branch .LBB191_6
.LBB191_13:                             ;   in Loop: Header=BB191_6 Depth=1
	s_load_b32 s33, s[24:25], 0x0
	s_add_co_i32 s9, s12, s9
	s_wait_kmcnt 0x0
	s_add_co_i32 s8, s33, s8
	s_add_co_i32 s33, s31, 1
	s_delay_alu instid0(SALU_CYCLE_1)
	s_cmp_ge_u32 s33, s29
	s_cbranch_scc1 .LBB191_8
.LBB191_14:                             ;   in Loop: Header=BB191_6 Depth=1
	s_load_b32 s34, s[24:25], 0x4
	s_add_co_i32 s9, s13, s9
	s_wait_kmcnt 0x0
	s_add_co_i32 s8, s34, s8
	s_add_co_i32 s33, s33, 1
	s_delay_alu instid0(SALU_CYCLE_1)
	s_cmp_ge_u32 s33, s29
	s_cbranch_scc1 .LBB191_9
.LBB191_15:                             ;   in Loop: Header=BB191_6 Depth=1
	s_load_b32 s34, s[24:25], 0x8
	s_add_co_i32 s9, s14, s9
	s_wait_kmcnt 0x0
	s_add_co_i32 s8, s34, s8
	s_add_co_i32 s33, s33, 1
	s_delay_alu instid0(SALU_CYCLE_1)
	s_cmp_ge_u32 s33, s29
	s_cbranch_scc0 .LBB191_10
	s_branch .LBB191_11
.LBB191_16:
	s_wait_xcnt 0x0
	s_mov_b64 s[8:9], 0
	s_add_nc_u64 s[10:11], s[10:11], s[22:23]
	s_wait_kmcnt 0x0
	s_add_nc_u64 s[12:13], s[20:21], s[22:23]
	s_mov_b32 s27, s19
	s_mov_b32 s14, s19
	s_delay_alu instid0(SALU_CYCLE_1)
	s_cmp_ge_u32 s14, s17
	s_cbranch_scc0 .LBB191_40
	s_branch .LBB191_18
.LBB191_17:
	s_add_co_i32 s14, s31, 4
	s_add_nc_u64 s[12:13], s[20:21], s[22:23]
	s_add_nc_u64 s[10:11], s[10:11], s[22:23]
	s_cmp_ge_u32 s14, s17
	s_cbranch_scc0 .LBB191_40
.LBB191_18:
	v_dual_mov_b32 v2, s8 :: v_dual_mov_b32 v3, s27
	v_dual_mov_b32 v4, s9 :: v_dual_mov_b32 v1, 0
	ds_store_b96 v1, v[2:4] offset:1056
.LBB191_19:
	s_or_b32 exec_lo, exec_lo, s26
	s_clause 0x1
	s_load_b64 s[20:21], s[0:1], 0x0
	s_load_b64 s[22:23], s[0:1], 0xd0
	s_wait_xcnt 0x0
	s_clause 0x3
	s_load_b128 s[8:11], s[0:1], 0x1b8
	s_load_b64 s[24:25], s[0:1], 0x290
	s_load_b128 s[12:15], s[0:1], 0x360
	s_load_b64 s[26:27], s[0:1], 0x438
	s_cmp_eq_u32 s16, 0
	s_wait_dscnt 0x0
	s_barrier_signal -1
	s_barrier_wait -1
	s_cbranch_scc1 .LBB191_42
; %bb.20:
	v_dual_mov_b32 v7, 0 :: v_dual_lshrrev_b32 v1, 3, v0
	s_wait_kmcnt 0x0
	s_mul_u64 s[22:23], s[22:23], s[18:19]
	s_mul_u64 s[24:25], s[24:25], s[18:19]
	;; [unrolled: 1-line block ×3, first 2 shown]
	ds_load_b96 v[2:4], v7 offset:1056
	s_clause 0x1
	s_load_b32 s31, s[0:1], 0x1b0
	s_load_b64 s[18:19], s[0:1], 0x508
	v_dual_lshlrev_b32 v11, 5, v0 :: v_dual_add_nc_u32 v9, -1, v0
	v_and_b32_e32 v10, 0xfc, v0
	v_and_b32_e32 v1, 28, v1
	s_wait_xcnt 0x0
	s_lshl_b64 s[0:1], s[22:23], 2
	s_lshl_b64 s[22:23], s[24:25], 2
	v_dual_lshrrev_b32 v6, 3, v9 :: v_dual_add_nc_u32 v10, v10, v11
	s_lshl_b64 s[24:25], s[26:27], 3
	s_cmp_gt_i32 s30, -1
	s_add_nc_u64 s[20:21], s[20:21], s[0:1]
	s_cselect_b32 s0, 0x80000000, -1
	v_mbcnt_lo_u32_b32 v8, -1, 0
	s_xor_b32 s0, s0, s30
	s_cmp_o_f32 s30, s30
	s_add_nc_u64 s[10:11], s[10:11], s[22:23]
	s_add_nc_u64 s[14:15], s[14:15], s[24:25]
	v_dual_add_nc_u32 v13, -1, v8 :: v_dual_bitop2_b32 v11, 15, v8 bitop3:0x40
	s_wait_dscnt 0x0
	v_add_nc_u32_e32 v2, v2, v3
	v_lshl_add_u32 v5, v0, 2, v1
	v_and_b32_e32 v1, 0x1ffffffc, v6
	v_mad_u32 v6, s29, s28, v0
	s_cselect_b32 s17, s0, -1
	v_cmp_gt_u32_e64 s0, 32, v0
	v_bfe_i32 v12, v8, 4, 1
	v_lshl_add_u32 v9, v9, 2, v1
	s_wait_kmcnt 0x0
	s_bitcmp1_b32 s31, 0
                                        ; implicit-def: $vgpr14
	s_cselect_b32 s1, -1, 0
	s_branch .LBB191_23
.LBB191_21:                             ;   in Loop: Header=BB191_23 Depth=1
	s_wait_xcnt 0x0
	s_or_b32 exec_lo, exec_lo, s22
	v_add_nc_u32_e32 v2, v3, v2
.LBB191_22:                             ;   in Loop: Header=BB191_23 Depth=1
	v_add_nc_u32_e32 v4, v15, v4
	v_add_nc_u32_e32 v6, 0x100, v6
	s_add_co_i32 s16, s16, -1
	s_delay_alu instid0(SALU_CYCLE_1)
	s_cmp_lg_u32 s16, 0
	s_cbranch_scc0 .LBB191_42
.LBB191_23:                             ; =>This Inner Loop Header: Depth=1
	v_dual_mov_b32 v1, v7 :: v_dual_mov_b32 v0, v7
	s_mov_b32 s22, exec_lo
	v_cmpx_gt_u64_e64 s[4:5], v[6:7]
	s_cbranch_execz .LBB191_25
; %bb.24:                               ;   in Loop: Header=BB191_23 Depth=1
	v_mul_u64_e32 v[0:1], s[8:9], v[6:7]
	s_delay_alu instid0(VALU_DEP_1)
	v_lshl_add_u64 v[0:1], v[0:1], 2, s[20:21]
	global_load_b32 v14, v[0:1], off
	s_wait_loadcnt 0x0
	v_cmp_lt_i32_e32 vcc_lo, -1, v14
	s_wait_xcnt 0x0
	v_cndmask_b32_e64 v0, -1, 0x80000000, vcc_lo
	v_cmp_o_f32_e32 vcc_lo, v14, v14
	s_delay_alu instid0(VALU_DEP_2) | instskip(NEXT) | instid1(VALU_DEP_1)
	v_xor_b32_e32 v0, v0, v14
	v_cndmask_b32_e32 v0, -1, v0, vcc_lo
	s_delay_alu instid0(VALU_DEP_1) | instskip(SKIP_3) | instid1(VALU_DEP_1)
	v_cmp_lt_u32_e32 vcc_lo, s17, v0
	v_cndmask_b32_e64 v1, 0, 1, vcc_lo
	v_cmp_gt_u32_e32 vcc_lo, s17, v0
	v_cndmask_b32_e64 v3, 0, 1, vcc_lo
	v_cndmask_b32_e64 v1, v3, v1, s1
	s_delay_alu instid0(VALU_DEP_1)
	v_and_b32_e32 v1, 1, v1
	v_cmp_eq_u32_e32 vcc_lo, s17, v0
	v_cndmask_b32_e64 v0, 0, 1, vcc_lo
.LBB191_25:                             ;   in Loop: Header=BB191_23 Depth=1
	s_or_b32 exec_lo, exec_lo, s22
	ds_store_b32 v5, v1
	s_wait_dscnt 0x0
	s_barrier_signal -1
	s_barrier_wait -1
	s_and_saveexec_b32 s22, s0
	s_cbranch_execz .LBB191_27
; %bb.26:                               ;   in Loop: Header=BB191_23 Depth=1
	ds_load_2addr_b32 v[16:17], v10 offset1:1
	ds_load_2addr_b32 v[18:19], v10 offset0:2 offset1:3
	ds_load_2addr_b32 v[20:21], v10 offset0:4 offset1:5
	;; [unrolled: 1-line block ×3, first 2 shown]
	v_cmp_ne_u32_e32 vcc_lo, 0, v11
	; wave barrier
	s_wait_dscnt 0x3
	v_add_nc_u32_e32 v3, v17, v16
	s_wait_dscnt 0x2
	s_delay_alu instid0(VALU_DEP_1) | instskip(SKIP_1) | instid1(VALU_DEP_1)
	v_add3_u32 v3, v3, v18, v19
	s_wait_dscnt 0x1
	v_add3_u32 v3, v3, v20, v21
	s_wait_dscnt 0x0
	s_delay_alu instid0(VALU_DEP_1) | instskip(NEXT) | instid1(VALU_DEP_1)
	v_add3_u32 v3, v3, v22, v23
	v_mov_b32_dpp v15, v3 row_shr:1 row_mask:0xf bank_mask:0xf
	s_delay_alu instid0(VALU_DEP_1) | instskip(SKIP_1) | instid1(VALU_DEP_2)
	v_cndmask_b32_e32 v15, 0, v15, vcc_lo
	v_cmp_lt_u32_e32 vcc_lo, 1, v11
	v_add_nc_u32_e32 v3, v15, v3
	s_delay_alu instid0(VALU_DEP_1) | instskip(NEXT) | instid1(VALU_DEP_1)
	v_mov_b32_dpp v15, v3 row_shr:2 row_mask:0xf bank_mask:0xf
	v_cndmask_b32_e32 v15, 0, v15, vcc_lo
	v_cmp_lt_u32_e32 vcc_lo, 3, v11
	s_delay_alu instid0(VALU_DEP_2) | instskip(NEXT) | instid1(VALU_DEP_1)
	v_add_nc_u32_e32 v3, v3, v15
	v_mov_b32_dpp v15, v3 row_shr:4 row_mask:0xf bank_mask:0xf
	s_delay_alu instid0(VALU_DEP_1) | instskip(SKIP_1) | instid1(VALU_DEP_2)
	v_cndmask_b32_e32 v15, 0, v15, vcc_lo
	v_cmp_lt_u32_e32 vcc_lo, 7, v11
	v_add_nc_u32_e32 v3, v3, v15
	s_delay_alu instid0(VALU_DEP_1) | instskip(NEXT) | instid1(VALU_DEP_1)
	v_mov_b32_dpp v15, v3 row_shr:8 row_mask:0xf bank_mask:0xf
	v_cndmask_b32_e32 v15, 0, v15, vcc_lo
	v_cmp_gt_i32_e32 vcc_lo, 0, v13
	s_delay_alu instid0(VALU_DEP_2) | instskip(SKIP_3) | instid1(VALU_DEP_1)
	v_dual_add_nc_u32 v3, v3, v15 :: v_dual_cndmask_b32 v17, v13, v8, vcc_lo
	ds_swizzle_b32 v15, v3 offset:swizzle(BROADCAST,32,15)
	s_wait_dscnt 0x0
	v_dual_lshlrev_b32 v17, 2, v17 :: v_dual_bitop2_b32 v15, v12, v15 bitop3:0x40
	v_add_nc_u32_e32 v3, v3, v15
	ds_bpermute_b32 v3, v17, v3
	s_wait_dscnt 0x0
	v_add_nc_u32_e32 v3, v3, v16
	s_delay_alu instid0(VALU_DEP_1)
	v_cndmask_b32_e64 v3, v3, v1, s3
	ds_store_b32 v10, v3
	; wave barrier
	ds_load_2addr_b32 v[16:17], v10 offset0:1 offset1:2
	ds_load_2addr_b32 v[18:19], v10 offset0:3 offset1:4
	;; [unrolled: 1-line block ×3, first 2 shown]
	ds_load_b32 v15, v10 offset:28
	s_wait_dscnt 0x3
	v_add_nc_u32_e32 v3, v16, v3
	s_delay_alu instid0(VALU_DEP_1) | instskip(SKIP_1) | instid1(VALU_DEP_1)
	v_add_nc_u32_e32 v16, v17, v3
	s_wait_dscnt 0x2
	v_add_nc_u32_e32 v17, v18, v16
	s_delay_alu instid0(VALU_DEP_1) | instskip(SKIP_1) | instid1(VALU_DEP_1)
	v_add_nc_u32_e32 v18, v19, v17
	;; [unrolled: 4-line block ×3, first 2 shown]
	s_wait_dscnt 0x0
	v_add_nc_u32_e32 v15, v15, v20
	ds_store_2addr_b32 v10, v3, v16 offset0:1 offset1:2
	ds_store_2addr_b32 v10, v17, v18 offset0:3 offset1:4
	;; [unrolled: 1-line block ×3, first 2 shown]
	ds_store_b32 v10, v15 offset:28
.LBB191_27:                             ;   in Loop: Header=BB191_23 Depth=1
	s_or_b32 exec_lo, exec_lo, s22
	v_mov_b32_e32 v3, 0
	s_wait_dscnt 0x0
	s_barrier_signal -1
	s_barrier_wait -1
	s_and_saveexec_b32 s22, s2
; %bb.28:                               ;   in Loop: Header=BB191_23 Depth=1
	ds_load_b32 v3, v9
; %bb.29:                               ;   in Loop: Header=BB191_23 Depth=1
	s_or_b32 exec_lo, exec_lo, s22
	ds_load_b32 v15, v7 offset:1048
	s_mov_b32 s22, exec_lo
	s_wait_dscnt 0x0
	s_barrier_signal -1
	s_barrier_wait -1
	v_cmpx_ne_u32_e32 0, v1
	s_cbranch_execz .LBB191_31
; %bb.30:                               ;   in Loop: Header=BB191_23 Depth=1
	v_add_nc_u32_e32 v16, v3, v4
	v_mov_b32_e32 v17, v7
	s_delay_alu instid0(VALU_DEP_1) | instskip(SKIP_1) | instid1(VALU_DEP_2)
	v_mul_u64_e32 v[18:19], s[12:13], v[16:17]
	v_mul_u64_e32 v[16:17], s[18:19], v[16:17]
	v_lshl_add_u64 v[18:19], v[18:19], 2, s[10:11]
	s_delay_alu instid0(VALU_DEP_2)
	v_lshl_add_u64 v[16:17], v[16:17], 3, s[14:15]
	global_store_b32 v[18:19], v14, off
	global_store_b64 v[16:17], v[6:7], off
.LBB191_31:                             ;   in Loop: Header=BB191_23 Depth=1
	s_wait_xcnt 0x0
	s_or_b32 exec_lo, exec_lo, s22
	v_mov_b32_e32 v3, v7
	s_delay_alu instid0(VALU_DEP_1)
	v_cmp_le_u64_e32 vcc_lo, s[6:7], v[2:3]
	s_cbranch_vccnz .LBB191_22
; %bb.32:                               ;   in Loop: Header=BB191_23 Depth=1
	ds_store_b32 v5, v0
	s_wait_storecnt_dscnt 0x0
	s_barrier_signal -1
	s_barrier_wait -1
	s_and_saveexec_b32 s22, s0
	s_cbranch_execz .LBB191_34
; %bb.33:                               ;   in Loop: Header=BB191_23 Depth=1
	ds_load_2addr_b32 v[16:17], v10 offset1:1
	ds_load_2addr_b32 v[18:19], v10 offset0:2 offset1:3
	ds_load_2addr_b32 v[20:21], v10 offset0:4 offset1:5
	;; [unrolled: 1-line block ×3, first 2 shown]
	v_cmp_ne_u32_e32 vcc_lo, 0, v11
	; wave barrier
	s_wait_dscnt 0x3
	v_add_nc_u32_e32 v1, v17, v16
	s_wait_dscnt 0x2
	s_delay_alu instid0(VALU_DEP_1) | instskip(SKIP_1) | instid1(VALU_DEP_1)
	v_add3_u32 v1, v1, v18, v19
	s_wait_dscnt 0x1
	v_add3_u32 v1, v1, v20, v21
	s_wait_dscnt 0x0
	s_delay_alu instid0(VALU_DEP_1) | instskip(NEXT) | instid1(VALU_DEP_1)
	v_add3_u32 v1, v1, v22, v23
	v_mov_b32_dpp v3, v1 row_shr:1 row_mask:0xf bank_mask:0xf
	s_delay_alu instid0(VALU_DEP_1) | instskip(SKIP_1) | instid1(VALU_DEP_2)
	v_cndmask_b32_e32 v3, 0, v3, vcc_lo
	v_cmp_lt_u32_e32 vcc_lo, 1, v11
	v_add_nc_u32_e32 v1, v3, v1
	s_delay_alu instid0(VALU_DEP_1) | instskip(NEXT) | instid1(VALU_DEP_1)
	v_mov_b32_dpp v3, v1 row_shr:2 row_mask:0xf bank_mask:0xf
	v_cndmask_b32_e32 v3, 0, v3, vcc_lo
	v_cmp_lt_u32_e32 vcc_lo, 3, v11
	s_delay_alu instid0(VALU_DEP_2) | instskip(NEXT) | instid1(VALU_DEP_1)
	v_add_nc_u32_e32 v1, v1, v3
	v_mov_b32_dpp v3, v1 row_shr:4 row_mask:0xf bank_mask:0xf
	s_delay_alu instid0(VALU_DEP_1) | instskip(SKIP_1) | instid1(VALU_DEP_2)
	v_cndmask_b32_e32 v3, 0, v3, vcc_lo
	v_cmp_lt_u32_e32 vcc_lo, 7, v11
	v_add_nc_u32_e32 v1, v1, v3
	s_delay_alu instid0(VALU_DEP_1) | instskip(NEXT) | instid1(VALU_DEP_1)
	v_mov_b32_dpp v3, v1 row_shr:8 row_mask:0xf bank_mask:0xf
	v_cndmask_b32_e32 v3, 0, v3, vcc_lo
	v_cmp_gt_i32_e32 vcc_lo, 0, v13
	s_delay_alu instid0(VALU_DEP_2) | instskip(SKIP_4) | instid1(VALU_DEP_1)
	v_add_nc_u32_e32 v1, v1, v3
	v_cndmask_b32_e32 v17, v13, v8, vcc_lo
	ds_swizzle_b32 v3, v1 offset:swizzle(BROADCAST,32,15)
	s_wait_dscnt 0x0
	v_dual_lshlrev_b32 v17, 2, v17 :: v_dual_bitop2_b32 v3, v12, v3 bitop3:0x40
	v_add_nc_u32_e32 v1, v1, v3
	ds_bpermute_b32 v1, v17, v1
	s_wait_dscnt 0x0
	v_add_nc_u32_e32 v1, v1, v16
	s_delay_alu instid0(VALU_DEP_1)
	v_cndmask_b32_e64 v1, v1, v0, s3
	ds_store_b32 v10, v1
	; wave barrier
	ds_load_2addr_b32 v[16:17], v10 offset0:1 offset1:2
	ds_load_2addr_b32 v[18:19], v10 offset0:3 offset1:4
	;; [unrolled: 1-line block ×3, first 2 shown]
	ds_load_b32 v3, v10 offset:28
	s_wait_dscnt 0x3
	v_add_nc_u32_e32 v1, v16, v1
	s_delay_alu instid0(VALU_DEP_1) | instskip(SKIP_1) | instid1(VALU_DEP_1)
	v_add_nc_u32_e32 v16, v17, v1
	s_wait_dscnt 0x2
	v_add_nc_u32_e32 v17, v18, v16
	s_delay_alu instid0(VALU_DEP_1) | instskip(SKIP_1) | instid1(VALU_DEP_1)
	v_add_nc_u32_e32 v18, v19, v17
	;; [unrolled: 4-line block ×3, first 2 shown]
	s_wait_dscnt 0x0
	v_add_nc_u32_e32 v3, v3, v20
	ds_store_2addr_b32 v10, v1, v16 offset0:1 offset1:2
	ds_store_2addr_b32 v10, v17, v18 offset0:3 offset1:4
	;; [unrolled: 1-line block ×3, first 2 shown]
	ds_store_b32 v10, v3 offset:28
.LBB191_34:                             ;   in Loop: Header=BB191_23 Depth=1
	s_or_b32 exec_lo, exec_lo, s22
	v_mov_b32_e32 v1, 0
	s_wait_dscnt 0x0
	s_barrier_signal -1
	s_barrier_wait -1
	s_and_saveexec_b32 s22, s2
; %bb.35:                               ;   in Loop: Header=BB191_23 Depth=1
	ds_load_b32 v1, v9
; %bb.36:                               ;   in Loop: Header=BB191_23 Depth=1
	s_or_b32 exec_lo, exec_lo, s22
	ds_load_b32 v3, v7 offset:1048
	s_mov_b32 s22, exec_lo
	s_wait_dscnt 0x0
	s_barrier_signal -1
	s_barrier_wait -1
	v_cmpx_ne_u32_e32 0, v0
	s_cbranch_execz .LBB191_21
; %bb.37:                               ;   in Loop: Header=BB191_23 Depth=1
	v_dual_mov_b32 v1, v7 :: v_dual_add_nc_u32 v0, v1, v2
	s_delay_alu instid0(VALU_DEP_1)
	v_cmp_gt_u64_e32 vcc_lo, s[6:7], v[0:1]
	s_and_b32 exec_lo, exec_lo, vcc_lo
	s_cbranch_execz .LBB191_21
; %bb.38:                               ;   in Loop: Header=BB191_23 Depth=1
	v_mul_u64_e32 v[16:17], s[12:13], v[0:1]
	v_mul_u64_e32 v[0:1], s[18:19], v[0:1]
	s_delay_alu instid0(VALU_DEP_2) | instskip(NEXT) | instid1(VALU_DEP_2)
	v_lshl_add_u64 v[16:17], v[16:17], 2, s[10:11]
	v_lshl_add_u64 v[0:1], v[0:1], 3, s[14:15]
	global_store_b32 v[16:17], v14, off
	global_store_b64 v[0:1], v[6:7], off
	s_branch .LBB191_21
.LBB191_39:                             ;   in Loop: Header=BB191_40 Depth=1
	s_add_co_i32 s14, s14, 1
	s_wait_kmcnt 0x0
	s_add_co_i32 s27, s15, s27
	s_add_nc_u64 s[10:11], s[10:11], 4
	s_cmp_lt_u32 s14, s17
	s_add_nc_u64 s[12:13], s[12:13], 4
	s_cbranch_scc0 .LBB191_18
.LBB191_40:                             ; =>This Inner Loop Header: Depth=1
	s_load_b32 s15, s[10:11], 0x0
	s_cmp_ge_u32 s14, s29
	s_cbranch_scc1 .LBB191_39
; %bb.41:                               ;   in Loop: Header=BB191_40 Depth=1
	s_load_b32 s20, s[12:13], 0x0
	s_wait_kmcnt 0x0
	s_add_co_i32 s9, s15, s9
	s_add_co_i32 s8, s20, s8
	s_branch .LBB191_39
.LBB191_42:
	s_endpgm
	.section	.rodata,"a",@progbits
	.p2align	6, 0x0
	.amdhsa_kernel _ZN2at6native6mbtopk10gatherTopKIfmLi1EEEvNS_4cuda6detail10TensorInfoIKT_T0_EES8_S8_bjS8_NS5_IS6_S8_EES8_NS5_IlS8_EES8_jjPS6_PjSD_j
		.amdhsa_group_segment_fixed_size 1068
		.amdhsa_private_segment_fixed_size 0
		.amdhsa_kernarg_size 1592
		.amdhsa_user_sgpr_count 2
		.amdhsa_user_sgpr_dispatch_ptr 0
		.amdhsa_user_sgpr_queue_ptr 0
		.amdhsa_user_sgpr_kernarg_segment_ptr 1
		.amdhsa_user_sgpr_dispatch_id 0
		.amdhsa_user_sgpr_kernarg_preload_length 0
		.amdhsa_user_sgpr_kernarg_preload_offset 0
		.amdhsa_user_sgpr_private_segment_size 0
		.amdhsa_wavefront_size32 1
		.amdhsa_uses_dynamic_stack 0
		.amdhsa_enable_private_segment 0
		.amdhsa_system_sgpr_workgroup_id_x 1
		.amdhsa_system_sgpr_workgroup_id_y 1
		.amdhsa_system_sgpr_workgroup_id_z 1
		.amdhsa_system_sgpr_workgroup_info 0
		.amdhsa_system_vgpr_workitem_id 0
		.amdhsa_next_free_vgpr 24
		.amdhsa_next_free_sgpr 35
		.amdhsa_named_barrier_count 0
		.amdhsa_reserve_vcc 1
		.amdhsa_float_round_mode_32 0
		.amdhsa_float_round_mode_16_64 0
		.amdhsa_float_denorm_mode_32 3
		.amdhsa_float_denorm_mode_16_64 3
		.amdhsa_fp16_overflow 0
		.amdhsa_memory_ordered 1
		.amdhsa_forward_progress 1
		.amdhsa_inst_pref_size 20
		.amdhsa_round_robin_scheduling 0
		.amdhsa_exception_fp_ieee_invalid_op 0
		.amdhsa_exception_fp_denorm_src 0
		.amdhsa_exception_fp_ieee_div_zero 0
		.amdhsa_exception_fp_ieee_overflow 0
		.amdhsa_exception_fp_ieee_underflow 0
		.amdhsa_exception_fp_ieee_inexact 0
		.amdhsa_exception_int_div_zero 0
	.end_amdhsa_kernel
	.section	.text._ZN2at6native6mbtopk10gatherTopKIfmLi1EEEvNS_4cuda6detail10TensorInfoIKT_T0_EES8_S8_bjS8_NS5_IS6_S8_EES8_NS5_IlS8_EES8_jjPS6_PjSD_j,"axG",@progbits,_ZN2at6native6mbtopk10gatherTopKIfmLi1EEEvNS_4cuda6detail10TensorInfoIKT_T0_EES8_S8_bjS8_NS5_IS6_S8_EES8_NS5_IlS8_EES8_jjPS6_PjSD_j,comdat
.Lfunc_end191:
	.size	_ZN2at6native6mbtopk10gatherTopKIfmLi1EEEvNS_4cuda6detail10TensorInfoIKT_T0_EES8_S8_bjS8_NS5_IS6_S8_EES8_NS5_IlS8_EES8_jjPS6_PjSD_j, .Lfunc_end191-_ZN2at6native6mbtopk10gatherTopKIfmLi1EEEvNS_4cuda6detail10TensorInfoIKT_T0_EES8_S8_bjS8_NS5_IS6_S8_EES8_NS5_IlS8_EES8_jjPS6_PjSD_j
                                        ; -- End function
	.set _ZN2at6native6mbtopk10gatherTopKIfmLi1EEEvNS_4cuda6detail10TensorInfoIKT_T0_EES8_S8_bjS8_NS5_IS6_S8_EES8_NS5_IlS8_EES8_jjPS6_PjSD_j.num_vgpr, 24
	.set _ZN2at6native6mbtopk10gatherTopKIfmLi1EEEvNS_4cuda6detail10TensorInfoIKT_T0_EES8_S8_bjS8_NS5_IS6_S8_EES8_NS5_IlS8_EES8_jjPS6_PjSD_j.num_agpr, 0
	.set _ZN2at6native6mbtopk10gatherTopKIfmLi1EEEvNS_4cuda6detail10TensorInfoIKT_T0_EES8_S8_bjS8_NS5_IS6_S8_EES8_NS5_IlS8_EES8_jjPS6_PjSD_j.numbered_sgpr, 35
	.set _ZN2at6native6mbtopk10gatherTopKIfmLi1EEEvNS_4cuda6detail10TensorInfoIKT_T0_EES8_S8_bjS8_NS5_IS6_S8_EES8_NS5_IlS8_EES8_jjPS6_PjSD_j.num_named_barrier, 0
	.set _ZN2at6native6mbtopk10gatherTopKIfmLi1EEEvNS_4cuda6detail10TensorInfoIKT_T0_EES8_S8_bjS8_NS5_IS6_S8_EES8_NS5_IlS8_EES8_jjPS6_PjSD_j.private_seg_size, 0
	.set _ZN2at6native6mbtopk10gatherTopKIfmLi1EEEvNS_4cuda6detail10TensorInfoIKT_T0_EES8_S8_bjS8_NS5_IS6_S8_EES8_NS5_IlS8_EES8_jjPS6_PjSD_j.uses_vcc, 1
	.set _ZN2at6native6mbtopk10gatherTopKIfmLi1EEEvNS_4cuda6detail10TensorInfoIKT_T0_EES8_S8_bjS8_NS5_IS6_S8_EES8_NS5_IlS8_EES8_jjPS6_PjSD_j.uses_flat_scratch, 0
	.set _ZN2at6native6mbtopk10gatherTopKIfmLi1EEEvNS_4cuda6detail10TensorInfoIKT_T0_EES8_S8_bjS8_NS5_IS6_S8_EES8_NS5_IlS8_EES8_jjPS6_PjSD_j.has_dyn_sized_stack, 0
	.set _ZN2at6native6mbtopk10gatherTopKIfmLi1EEEvNS_4cuda6detail10TensorInfoIKT_T0_EES8_S8_bjS8_NS5_IS6_S8_EES8_NS5_IlS8_EES8_jjPS6_PjSD_j.has_recursion, 0
	.set _ZN2at6native6mbtopk10gatherTopKIfmLi1EEEvNS_4cuda6detail10TensorInfoIKT_T0_EES8_S8_bjS8_NS5_IS6_S8_EES8_NS5_IlS8_EES8_jjPS6_PjSD_j.has_indirect_call, 0
	.section	.AMDGPU.csdata,"",@progbits
; Kernel info:
; codeLenInByte = 2524
; TotalNumSgprs: 37
; NumVgprs: 24
; ScratchSize: 0
; MemoryBound: 0
; FloatMode: 240
; IeeeMode: 1
; LDSByteSize: 1068 bytes/workgroup (compile time only)
; SGPRBlocks: 0
; VGPRBlocks: 1
; NumSGPRsForWavesPerEU: 37
; NumVGPRsForWavesPerEU: 24
; NamedBarCnt: 0
; Occupancy: 16
; WaveLimiterHint : 1
; COMPUTE_PGM_RSRC2:SCRATCH_EN: 0
; COMPUTE_PGM_RSRC2:USER_SGPR: 2
; COMPUTE_PGM_RSRC2:TRAP_HANDLER: 0
; COMPUTE_PGM_RSRC2:TGID_X_EN: 1
; COMPUTE_PGM_RSRC2:TGID_Y_EN: 1
; COMPUTE_PGM_RSRC2:TGID_Z_EN: 1
; COMPUTE_PGM_RSRC2:TIDIG_COMP_CNT: 0
	.section	.text._ZN2at6native6sbtopk10gatherTopKIfmLi1ELb0EEEvNS_4cuda6detail10TensorInfoIKT_T0_EES8_S8_bS8_S8_NS5_IS6_S8_EES8_NS5_IlS8_EES8_PS6_,"axG",@progbits,_ZN2at6native6sbtopk10gatherTopKIfmLi1ELb0EEEvNS_4cuda6detail10TensorInfoIKT_T0_EES8_S8_bS8_S8_NS5_IS6_S8_EES8_NS5_IlS8_EES8_PS6_,comdat
	.protected	_ZN2at6native6sbtopk10gatherTopKIfmLi1ELb0EEEvNS_4cuda6detail10TensorInfoIKT_T0_EES8_S8_bS8_S8_NS5_IS6_S8_EES8_NS5_IlS8_EES8_PS6_ ; -- Begin function _ZN2at6native6sbtopk10gatherTopKIfmLi1ELb0EEEvNS_4cuda6detail10TensorInfoIKT_T0_EES8_S8_bS8_S8_NS5_IS6_S8_EES8_NS5_IlS8_EES8_PS6_
	.globl	_ZN2at6native6sbtopk10gatherTopKIfmLi1ELb0EEEvNS_4cuda6detail10TensorInfoIKT_T0_EES8_S8_bS8_S8_NS5_IS6_S8_EES8_NS5_IlS8_EES8_PS6_
	.p2align	8
	.type	_ZN2at6native6sbtopk10gatherTopKIfmLi1ELb0EEEvNS_4cuda6detail10TensorInfoIKT_T0_EES8_S8_bS8_S8_NS5_IS6_S8_EES8_NS5_IlS8_EES8_PS6_,@function
_ZN2at6native6sbtopk10gatherTopKIfmLi1ELb0EEEvNS_4cuda6detail10TensorInfoIKT_T0_EES8_S8_bS8_S8_NS5_IS6_S8_EES8_NS5_IlS8_EES8_PS6_: ; @_ZN2at6native6sbtopk10gatherTopKIfmLi1ELb0EEEvNS_4cuda6detail10TensorInfoIKT_T0_EES8_S8_bS8_S8_NS5_IS6_S8_EES8_NS5_IlS8_EES8_PS6_
; %bb.0:
	s_clause 0x1
	s_load_b128 s[28:31], s[0:1], 0x1b8
	s_load_b64 s[8:9], s[0:1], 0x520
	s_bfe_u32 s2, ttmp6, 0x40010
	s_and_b32 s3, ttmp7, 0xffff
	s_add_co_i32 s2, s2, 1
	s_bfe_u32 s5, ttmp6, 0x4000c
	s_mul_i32 s2, s3, s2
	s_bfe_u32 s4, ttmp6, 0x40004
	s_add_co_i32 s5, s5, 1
	s_bfe_u32 s6, ttmp6, 0x40014
	s_add_co_i32 s4, s4, s2
	s_and_b32 s2, ttmp6, 15
	s_mul_i32 s5, ttmp9, s5
	s_lshr_b32 s7, ttmp7, 16
	s_add_co_i32 s6, s6, 1
	s_add_co_i32 s2, s2, s5
	s_mul_i32 s5, s7, s6
	s_bfe_u32 s6, ttmp6, 0x40008
	s_getreg_b32 s10, hwreg(HW_REG_IB_STS2, 6, 4)
	s_add_co_i32 s6, s6, s5
	s_cmp_eq_u32 s10, 0
	s_mov_b32 s45, 0
	s_cselect_b32 s5, s7, s6
	s_cselect_b32 s3, s3, s4
	s_wait_kmcnt 0x0
	s_mul_i32 s5, s9, s5
	s_cselect_b32 s9, ttmp9, s2
	s_add_co_i32 s2, s5, s3
	s_delay_alu instid0(SALU_CYCLE_1) | instskip(NEXT) | instid1(SALU_CYCLE_1)
	s_mul_i32 s2, s2, s8
	s_add_co_i32 s44, s2, s9
	s_delay_alu instid0(SALU_CYCLE_1)
	v_cmp_le_u64_e64 s2, s[28:29], s[44:45]
	s_and_b32 vcc_lo, exec_lo, s2
	s_cbranch_vccnz .LBB192_489
; %bb.1:
	s_clause 0x2
	s_load_b128 s[36:39], s[0:1], 0x1a0
	s_load_b64 s[6:7], s[0:1], 0xd0
	s_load_b64 s[2:3], s[0:1], 0x0
	v_cmp_eq_u32_e64 s5, 0, v0
	s_add_nc_u64 s[10:11], s[0:1], 0x520
	s_and_saveexec_b32 s4, s5
	s_cbranch_execz .LBB192_3
; %bb.2:
	s_wait_kmcnt 0x0
	v_dual_mov_b32 v2, 0 :: v_dual_mov_b32 v4, s36
	s_delay_alu instid0(VALU_DEP_1)
	v_dual_mov_b32 v5, s37 :: v_dual_mov_b32 v3, v2
	ds_store_b32 v2, v2 offset:5144
	ds_store_b128 v2, v[2:5] offset:5120
.LBB192_3:
	s_or_b32 exec_lo, exec_lo, s4
	s_load_b64 s[12:13], s[0:1], 0x440
                                        ; implicit-def: $vgpr54 : SGPR spill to VGPR lane
	v_dual_mov_b32 v3, 0 :: v_dual_add_nc_u32 v2, 2, v0
	v_dual_mov_b32 v9, -1 :: v_dual_lshlrev_b32 v42, 4, v0
	v_not_b32_e32 v8, v0
	s_delay_alu instid0(VALU_DEP_3)
	v_mov_b32_e32 v17, v3
	s_wait_kmcnt 0x0
	v_max_u64 v[6:7], s[36:37], v[2:3]
	v_dual_mov_b32 v1, v3 :: v_dual_lshlrev_b32 v16, 2, v0
	v_or_b32_e32 v2, 12, v42
	s_wait_dscnt 0x0
	s_barrier_signal -1
	s_delay_alu instid0(VALU_DEP_2)
	v_mul_u64_e32 v[4:5], s[30:31], v[0:1]
	s_barrier_wait -1
	v_mul_u64_e32 v[18:19], s[30:31], v[2:3]
	s_load_b32 s14, s[10:11], 0xc
	v_mbcnt_lo_u32_b32 v13, -1, 0
	v_cmp_gt_u32_e32 vcc_lo, 32, v0
	v_writelane_b32 v54, s12, 0
	s_mov_b32 s29, 0
	v_cmp_lt_u64_e64 s33, 0x300, s[36:37]
	v_lshlrev_b64_e64 v[10:11], v13, -1
	v_mov_b64_e32 v[34:35], s[38:39]
	v_writelane_b32 v54, s13, 1
	s_mul_u64 s[12:13], s[6:7], s[44:45]
	s_load_b64 s[6:7], s[0:1], 0x370
	s_lshl_b64 s[12:13], s[12:13], 2
	s_mov_b32 s35, s29
	s_add_nc_u64 s[42:43], s[2:3], s[12:13]
	v_cmp_gt_u64_e64 s3, s[36:37], v[0:1]
	v_cmp_eq_u32_e64 s2, 0, v13
	v_dual_mov_b32 v30, 1.0 :: v_dual_add_nc_u32 v43, 0xc00, v16
	v_not_b32_e32 v12, v10
	v_lshl_or_b32 v46, v13, 3, 0xc00
	v_mov_b32_e32 v47, 0
	s_mov_b32 s58, s30
	v_add_nc_u64_e32 v[6:7], v[6:7], v[8:9]
	v_or_b32_e32 v2, 8, v42
	s_mov_b32 s59, s31
	s_mov_b32 s91, 30
	;; [unrolled: 1-line block ×3, first 2 shown]
	v_mov_b32_e32 v45, 0
	v_lshlrev_b64_e32 v[28:29], 4, v[4:5]
	v_mov_b32_e32 v21, v7
	s_wait_kmcnt 0x0
	v_writelane_b32 v54, s6, 2
	v_mul_u64_e32 v[22:23], s[30:31], v[2:3]
	v_or_b32_e32 v2, 4, v42
	v_dual_mov_b32 v33, 0 :: v_dual_bitop2_b32 v20, -2, v6 bitop3:0x40
	v_writelane_b32 v54, s7, 3
	s_load_b64 s[6:7], s[0:1], 0x298
	s_delay_alu instid0(VALU_DEP_3) | instskip(NEXT) | instid1(VALU_DEP_3)
	v_mul_u64_e32 v[24:25], s[30:31], v[2:3]
	v_add_nc_u64_e32 v[26:27], v[20:21], v[0:1]
	v_lshl_add_u64 v[14:15], v[4:5], 2, s[42:43]
	s_mov_b32 s92, 0
	s_mov_b32 s94, 0
                                        ; implicit-def: $sgpr93
                                        ; implicit-def: $sgpr97
                                        ; implicit-def: $sgpr96
                                        ; implicit-def: $sgpr98
                                        ; implicit-def: $sgpr95
                                        ; implicit-def: $sgpr102
                                        ; implicit-def: $sgpr103
                                        ; implicit-def: $sgpr99
                                        ; implicit-def: $sgpr101
                                        ; implicit-def: $sgpr100
	s_load_b32 s4, s[0:1], 0x1b0
	s_wait_kmcnt 0x0
	v_writelane_b32 v54, s6, 4
	v_writelane_b32 v54, s7, 5
	s_load_b64 s[6:7], s[0:1], 0x1c8
	s_bitcmp1_b32 s4, 0
	s_cselect_b32 s4, -1, 0
	s_and_b32 s34, s14, 0xffff
	s_bfe_u32 s12, s14, 0xb0005
	s_xor_b32 s83, s4, -1
	s_add_nc_u64 s[54:55], s[34:35], -1
	s_delay_alu instid0(SALU_CYCLE_1)
	s_add_nc_u64 s[56:57], s[54:55], s[36:37]
	s_wait_kmcnt 0x0
	v_writelane_b32 v54, s6, 6
	v_writelane_b32 v54, s7, 7
	v_cmp_gt_i32_e64 s7, 4, v13
	v_cmp_gt_u32_e64 s6, 2, v0
	s_and_b32 s82, vcc_lo, s7
	s_cmp_gt_u32 s34, 31
	s_movk_i32 s7, 0x3e0
	s_cselect_b32 s84, -1, 0
	s_cmp_lt_u32 s9, s8
	v_and_or_b32 v44, v0, s7, 0xc00
	s_cselect_b32 s28, 12, 18
	s_add_co_i32 s8, s12, -1
	s_bfe_u32 s85, s34, 0x30005
	s_and_b32 s8, s8, 0xffff
	v_cmp_lt_u64_e64 s7, 1, v[6:7]
	s_cmp_gt_u32 s8, 6
	v_cmp_ne_u64_e64 s8, v[6:7], v[20:21]
	s_cselect_b32 s86, -1, 0
	s_and_b32 s87, s12, 0x7f8
	s_cmp_lg_u32 s85, 0
	s_mul_u64 s[12:13], s[30:31], s[34:35]
	s_cselect_b32 s88, -1, 0
	s_lshl_b64 s[60:61], s[30:31], 2
	s_lshl_b64 s[62:63], s[30:31], 4
	s_lshl_b32 s89, s34, 2
	s_lshl_b64 s[40:41], s[12:13], 2
	s_and_b64 s[64:65], s[36:37], 0xffffffff00000000
	s_add_nc_u64 s[66:67], s[10:11], s[28:29]
	s_branch .LBB192_6
.LBB192_4:                              ;   in Loop: Header=BB192_6 Depth=1
	s_or_b32 exec_lo, exec_lo, s12
	v_mov_b64_e32 v[34:35], v[4:5]
	s_and_not1_b32 s12, s100, exec_lo
	s_and_b32 s11, s11, exec_lo
	s_and_not1_b32 s101, s101, exec_lo
	s_or_b32 s100, s12, s11
	s_and_not1_b32 s99, s99, exec_lo
	s_and_not1_b32 s103, s103, exec_lo
	;; [unrolled: 1-line block ×3, first 2 shown]
	s_or_not1_b32 s10, s10, exec_lo
.LBB192_5:                              ;   in Loop: Header=BB192_6 Depth=1
	s_or_b32 exec_lo, exec_lo, s9
	s_delay_alu instid0(SALU_CYCLE_1) | instskip(NEXT) | instid1(SALU_CYCLE_1)
	s_and_b32 s9, exec_lo, s10
	s_or_b32 s92, s9, s92
	s_and_not1_b32 s9, s95, exec_lo
	s_and_b32 s10, s100, exec_lo
	s_and_not1_b32 s11, s98, exec_lo
	s_or_b32 s95, s9, s10
	s_and_b32 s9, s101, exec_lo
	s_and_not1_b32 s10, s96, exec_lo
	s_and_b32 s12, s99, exec_lo
	s_or_b32 s98, s11, s9
	s_or_b32 s96, s10, s12
	s_and_not1_b32 s9, s97, exec_lo
	s_and_b32 s10, s103, exec_lo
	s_and_not1_b32 s11, s93, exec_lo
	s_and_b32 s12, s102, exec_lo
	s_or_b32 s97, s9, s10
	s_or_b32 s93, s11, s12
	s_and_not1_b32 exec_lo, exec_lo, s92
	s_cbranch_execz .LBB192_485
.LBB192_6:                              ; =>This Loop Header: Depth=1
                                        ;     Child Loop BB192_12 Depth 2
                                        ;     Child Loop BB192_26 Depth 2
	;; [unrolled: 1-line block ×25, first 2 shown]
	ds_load_b128 v[4:7], v3 offset:5120
	s_wait_dscnt 0x0
	v_readfirstlane_b32 s69, v5
	v_readfirstlane_b32 s68, v4
	s_cmp_lg_u64 s[68:69], 0
	s_cbranch_scc1 .LBB192_39
; %bb.7:                                ;   in Loop: Header=BB192_6 Depth=1
	s_and_b32 vcc_lo, exec_lo, s33
	s_cbranch_vccz .LBB192_20
; %bb.8:                                ;   in Loop: Header=BB192_6 Depth=1
	v_cmp_gt_u64_e32 vcc_lo, 0x301, v[6:7]
	s_mov_b32 s11, 0
	s_mov_b32 s9, 0
	s_cbranch_vccz .LBB192_21
; %bb.9:                                ;   in Loop: Header=BB192_6 Depth=1
	s_and_saveexec_b32 s12, s3
	s_cbranch_execz .LBB192_94
; %bb.10:                               ;   in Loop: Header=BB192_6 Depth=1
	global_load_u16 v2, v3, s[66:67]
	global_load_b32 v10, v[14:15], off
	s_mov_b32 s13, 0
	s_wait_loadcnt 0x1
	v_and_b32_e32 v2, 0xffff, v2
	s_delay_alu instid0(VALU_DEP_1) | instskip(SKIP_1) | instid1(VALU_DEP_1)
	v_mul_u64_e32 v[4:5], s[60:61], v[2:3]
	v_add_nc_u32_e32 v8, v0, v2
	v_mad_nc_u64_u32 v[6:7], s60, v8, s[42:43]
	s_delay_alu instid0(VALU_DEP_1)
	v_mad_u32 v7, s61, v8, v7
	v_mov_b64_e32 v[8:9], v[0:1]
	s_branch .LBB192_12
.LBB192_11:                             ;   in Loop: Header=BB192_12 Depth=2
	s_or_b32 exec_lo, exec_lo, s10
	v_add_nc_u64_e32 v[6:7], v[6:7], v[4:5]
	v_mov_b32_e32 v10, v11
	s_and_not1_b32 exec_lo, exec_lo, s13
	s_cbranch_execz .LBB192_94
.LBB192_12:                             ;   Parent Loop BB192_6 Depth=1
                                        ; =>  This Inner Loop Header: Depth=2
	s_delay_alu instid0(VALU_DEP_1) | instskip(SKIP_3) | instid1(VALU_DEP_2)
	v_add_nc_u64_e32 v[8:9], v[8:9], v[2:3]
	s_wait_dscnt 0x0
	v_dual_mov_b32 v31, 0 :: v_dual_mov_b32 v11, 0
	s_mov_b32 s10, exec_lo
	v_cmp_le_u64_e32 vcc_lo, s[36:37], v[8:9]
	s_wait_xcnt 0x0
	v_cmpx_gt_u64_e64 s[36:37], v[8:9]
	s_cbranch_execz .LBB192_14
; %bb.13:                               ;   in Loop: Header=BB192_12 Depth=2
	global_load_b32 v11, v[6:7], off
.LBB192_14:                             ;   in Loop: Header=BB192_12 Depth=2
	s_wait_xcnt 0x0
	s_or_b32 exec_lo, exec_lo, s10
	s_wait_loadcnt 0x0
	v_cmp_lt_i32_e64 s9, -1, v10
	s_delay_alu instid0(VALU_DEP_1) | instskip(SKIP_1) | instid1(VALU_DEP_2)
	v_cndmask_b32_e64 v32, -1, 0x80000000, s9
	v_cmp_o_f32_e64 s9, v10, v10
	v_xor_b32_e32 v32, v32, v10
	s_delay_alu instid0(VALU_DEP_1) | instskip(NEXT) | instid1(VALU_DEP_1)
	v_cndmask_b32_e64 v32, -1, v32, s9
	v_and_b32_e32 v32, v32, v47
	s_delay_alu instid0(VALU_DEP_1) | instskip(SKIP_2) | instid1(SALU_CYCLE_1)
	v_cmp_eq_u32_e64 s9, v32, v45
	s_cmp_lg_u32 s9, 0
	s_cselect_b32 s10, -1, 0
	s_and_b32 s10, s2, s10
	s_delay_alu instid0(SALU_CYCLE_1)
	s_and_saveexec_b32 s14, s10
	s_cbranch_execz .LBB192_18
; %bb.15:                               ;   in Loop: Header=BB192_12 Depth=2
	s_mov_b32 s17, exec_lo
	s_bcnt1_i32_b32 s15, s9
	v_mbcnt_lo_u32_b32 v31, s17, 0
	s_mov_b32 s16, exec_lo
                                        ; implicit-def: $vgpr32
	s_delay_alu instid0(VALU_DEP_1)
	v_cmpx_eq_u32_e32 0, v31
; %bb.16:                               ;   in Loop: Header=BB192_12 Depth=2
	s_bcnt1_i32_b32 s10, s17
	s_delay_alu instid0(SALU_CYCLE_1) | instskip(NEXT) | instid1(SALU_CYCLE_1)
	s_mul_i32 s10, s15, s10
	v_mov_b32_e32 v32, s10
	ds_add_rtn_u32 v32, v3, v32 offset:5144
; %bb.17:                               ;   in Loop: Header=BB192_12 Depth=2
	s_or_b32 exec_lo, exec_lo, s16
	s_wait_dscnt 0x0
	v_readfirstlane_b32 s10, v32
	s_delay_alu instid0(VALU_DEP_1)
	v_mad_u32_u24 v31, s15, v31, s10
.LBB192_18:                             ;   in Loop: Header=BB192_12 Depth=2
	s_or_b32 exec_lo, exec_lo, s14
	ds_bpermute_b32 v31, v3, v31
	s_and_b32 s10, exec_lo, vcc_lo
	s_delay_alu instid0(SALU_CYCLE_1)
	s_or_b32 s13, s10, s13
	s_and_saveexec_b32 s10, s9
	s_cbranch_execz .LBB192_11
; %bb.19:                               ;   in Loop: Header=BB192_12 Depth=2
	v_and_b32_e32 v32, s9, v12
	s_delay_alu instid0(VALU_DEP_1) | instskip(NEXT) | instid1(VALU_DEP_1)
	v_bcnt_u32_b32 v32, v32, 0
	v_lshlrev_b32_e32 v32, 2, v32
	s_wait_dscnt 0x0
	s_delay_alu instid0(VALU_DEP_1)
	v_lshl_add_u32 v31, v31, 2, v32
	ds_store_b32 v31, v10
	s_branch .LBB192_11
.LBB192_20:                             ;   in Loop: Header=BB192_6 Depth=1
	s_mov_b32 s11, -1
	s_mov_b32 s9, 0
.LBB192_21:                             ;   in Loop: Header=BB192_6 Depth=1
	s_and_b32 vcc_lo, exec_lo, s11
	s_cbranch_vccz .LBB192_37
.LBB192_22:                             ;   in Loop: Header=BB192_6 Depth=1
	s_and_saveexec_b32 s9, s3
	s_cbranch_execz .LBB192_34
; %bb.23:                               ;   in Loop: Header=BB192_6 Depth=1
	global_load_u16 v4, v3, s[66:67]
	global_load_b32 v10, v[14:15], off
	s_mov_b32 s14, exec_lo
	v_mov_b32_e32 v8, v0
	s_wait_loadcnt 0x1
	v_and_b32_e32 v2, 0xffff, v4
	v_readfirstlane_b32 s10, v4
	s_delay_alu instid0(VALU_DEP_2) | instskip(SKIP_1) | instid1(VALU_DEP_1)
	v_add_nc_u32_e32 v2, v2, v0
	s_wait_xcnt 0x0
	v_cmpx_gt_u64_e64 s[36:37], v[2:3]
	s_cbranch_execz .LBB192_33
; %bb.24:                               ;   in Loop: Header=BB192_6 Depth=1
	s_and_b32 s28, s10, 0xffff
	v_mov_b64_e32 v[6:7], v[0:1]
	v_mov_b64_e32 v[4:5], v[2:3]
	s_cmp_eq_u32 s28, 1
	s_mov_b32 s11, -1
	s_cselect_b32 s10, -1, 0
                                        ; implicit-def: $vgpr11
                                        ; implicit-def: $vgpr8_vgpr9
	s_delay_alu instid0(SALU_CYCLE_1) | instskip(NEXT) | instid1(SALU_CYCLE_1)
	s_and_b32 s12, s7, s10
	s_and_saveexec_b32 s10, s12
	s_cbranch_execz .LBB192_28
; %bb.25:                               ;   in Loop: Header=BB192_6 Depth=1
	v_add_nc_u64_e32 v[4:5], 1, v[2:3]
	v_mov_b64_e32 v[8:9], v[20:21]
	v_mov_b32_e32 v31, v16
	s_mov_b32 s11, 0
	s_delay_alu instid0(VALU_DEP_3)
	v_mov_b64_e32 v[6:7], v[4:5]
	v_mov_b64_e32 v[4:5], v[2:3]
.LBB192_26:                             ;   Parent Loop BB192_6 Depth=1
                                        ; =>  This Inner Loop Header: Depth=2
	s_delay_alu instid0(VALU_DEP_1) | instskip(NEXT) | instid1(VALU_DEP_3)
	v_mul_u64_e32 v[36:37], s[58:59], v[4:5]
	v_mul_u64_e32 v[38:39], s[30:31], v[6:7]
	v_add_nc_u64_e32 v[8:9], -2, v[8:9]
	v_add_nc_u64_e32 v[6:7], 2, v[6:7]
	v_add_nc_u64_e32 v[4:5], 2, v[4:5]
	s_delay_alu instid0(VALU_DEP_3)
	v_cmp_eq_u64_e32 vcc_lo, 0, v[8:9]
	s_or_b32 s11, vcc_lo, s11
	v_lshl_add_u64 v[36:37], v[36:37], 2, s[42:43]
	v_lshl_add_u64 v[38:39], v[38:39], 2, s[42:43]
	s_clause 0x1
	global_load_b32 v32, v[36:37], off
	global_load_b32 v11, v[38:39], off
	s_wait_loadcnt 0x1
	ds_store_2addr_b32 v31, v10, v32 offset1:1
	s_wait_loadcnt 0x0
	v_dual_mov_b32 v10, v11 :: v_dual_add_nc_u32 v31, 8, v31
	s_wait_xcnt 0x0
	s_and_not1_b32 exec_lo, exec_lo, s11
	s_cbranch_execnz .LBB192_26
; %bb.27:                               ;   in Loop: Header=BB192_6 Depth=1
	s_or_b32 exec_lo, exec_lo, s11
	v_add_nc_u64_e32 v[4:5], v[2:3], v[20:21]
	v_mov_b64_e32 v[6:7], v[26:27]
	v_mov_b32_e32 v10, v11
	s_or_not1_b32 s11, s8, exec_lo
	s_delay_alu instid0(VALU_DEP_3)
	v_add_nc_u64_e32 v[8:9], -1, v[4:5]
.LBB192_28:                             ;   in Loop: Header=BB192_6 Depth=1
	s_or_b32 exec_lo, exec_lo, s10
	s_and_saveexec_b32 s15, s11
	s_cbranch_execz .LBB192_32
; %bb.29:                               ;   in Loop: Header=BB192_6 Depth=1
	v_mad_nc_u64_u32 v[8:9], s60, v4, s[42:43]
	s_sub_nc_u64 s[10:11], 0, s[28:29]
	s_mul_u64 s[12:13], s[60:61], s[28:29]
	s_mov_b32 s16, 0
	s_delay_alu instid0(VALU_DEP_1) | instskip(NEXT) | instid1(VALU_DEP_1)
	v_mad_u32 v2, s61, v4, v9
	v_mad_u32 v9, s60, v5, v2
.LBB192_30:                             ;   Parent Loop BB192_6 Depth=1
                                        ; =>  This Inner Loop Header: Depth=2
	global_load_b32 v11, v[8:9], off
	v_mov_b64_e32 v[36:37], v[4:5]
	v_lshlrev_b32_e32 v2, 2, v6
	s_wait_xcnt 0x0
	v_add_nc_u64_e32 v[8:9], s[12:13], v[8:9]
	s_wait_loadcnt 0x1
	ds_store_b32 v2, v10
	v_add_nc_u64_e32 v[4:5], s[28:29], v[36:37]
	v_mov_b64_e32 v[6:7], v[36:37]
	s_delay_alu instid0(VALU_DEP_2)
	v_cmp_le_u64_e32 vcc_lo, s[36:37], v[4:5]
	s_or_b32 s16, vcc_lo, s16
	s_wait_loadcnt 0x0
	v_mov_b32_e32 v10, v11
	s_and_not1_b32 exec_lo, exec_lo, s16
	s_cbranch_execnz .LBB192_30
; %bb.31:                               ;   in Loop: Header=BB192_6 Depth=1
	s_or_b32 exec_lo, exec_lo, s16
	v_add_nc_u64_e32 v[8:9], s[10:11], v[4:5]
.LBB192_32:                             ;   in Loop: Header=BB192_6 Depth=1
	s_or_b32 exec_lo, exec_lo, s15
	s_wait_loadcnt 0x0
	v_mov_b32_e32 v10, v11
.LBB192_33:                             ;   in Loop: Header=BB192_6 Depth=1
	s_or_b32 exec_lo, exec_lo, s14
	s_delay_alu instid0(VALU_DEP_2)
	v_lshlrev_b32_e32 v2, 2, v8
	s_wait_loadcnt 0x0
	ds_store_b32 v2, v10
.LBB192_34:                             ;   in Loop: Header=BB192_6 Depth=1
	s_or_b32 exec_lo, exec_lo, s9
	s_wait_dscnt 0x0
	s_barrier_signal -1
	s_barrier_wait -1
	s_and_saveexec_b32 s9, s5
; %bb.35:                               ;   in Loop: Header=BB192_6 Depth=1
	v_mov_b64_e32 v[4:5], s[36:37]
	ds_store_b64 v3, v[4:5] offset:5120
; %bb.36:                               ;   in Loop: Header=BB192_6 Depth=1
	s_or_b32 exec_lo, exec_lo, s9
	s_mov_b32 s9, -1
	s_wait_dscnt 0x0
	s_barrier_signal -1
	s_barrier_wait -1
.LBB192_37:                             ;   in Loop: Header=BB192_6 Depth=1
	s_and_b32 vcc_lo, exec_lo, s9
	s_mov_b64 s[68:69], 0
	s_cbranch_vccz .LBB192_39
; %bb.38:                               ;   in Loop: Header=BB192_6 Depth=1
	ds_load_b64 v[4:5], v3 offset:5120
	s_wait_dscnt 0x0
	v_readfirstlane_b32 s68, v4
	v_readfirstlane_b32 s69, v5
.LBB192_39:                             ;   in Loop: Header=BB192_6 Depth=1
	s_delay_alu instid0(VALU_DEP_2)
	s_cmp_lt_i32 s68, 1
	s_mov_b32 s9, -1
                                        ; implicit-def: $vgpr4_vgpr5
                                        ; implicit-def: $vgpr8_vgpr9
	s_cbranch_scc1 .LBB192_49
; %bb.40:                               ;   in Loop: Header=BB192_6 Depth=1
	s_and_b32 vcc_lo, exec_lo, s9
	s_cbranch_vccnz .LBB192_63
.LBB192_41:                             ;   in Loop: Header=BB192_6 Depth=1
	s_lshl_b32 s9, s94, 7
	s_and_saveexec_b32 s10, s2
	s_cbranch_execz .LBB192_43
.LBB192_42:                             ;   in Loop: Header=BB192_6 Depth=1
	v_lshl_add_u32 v2, s9, 3, v44
	ds_store_b128 v2, v[4:7]
	ds_store_b128 v2, v[8:11] offset:16
.LBB192_43:                             ;   in Loop: Header=BB192_6 Depth=1
	s_or_b32 exec_lo, exec_lo, s10
	s_wait_dscnt 0x0
	s_barrier_signal -1
	s_barrier_wait -1
	s_and_saveexec_b32 s10, s82
	s_cbranch_execz .LBB192_77
; %bb.44:                               ;   in Loop: Header=BB192_6 Depth=1
	v_mov_b64_e32 v[4:5], 0
	s_and_not1_b32 vcc_lo, exec_lo, s84
	s_cbranch_vccnz .LBB192_76
; %bb.45:                               ;   in Loop: Header=BB192_6 Depth=1
	v_mov_b64_e32 v[4:5], 0
	s_and_not1_b32 vcc_lo, exec_lo, s86
	s_cbranch_vccnz .LBB192_73
; %bb.46:                               ;   in Loop: Header=BB192_6 Depth=1
	v_lshl_add_u32 v2, s94, 10, v46
	s_mov_b32 s11, 0
.LBB192_47:                             ;   Parent Loop BB192_6 Depth=1
                                        ; =>  This Inner Loop Header: Depth=2
	ds_load_2addr_b64 v[6:9], v2 offset1:4
	ds_load_2addr_b64 v[36:39], v2 offset0:8 offset1:12
	s_add_co_i32 s11, s11, 8
	s_delay_alu instid0(SALU_CYCLE_1) | instskip(SKIP_2) | instid1(VALU_DEP_1)
	s_cmp_eq_u32 s87, s11
	s_wait_dscnt 0x1
	v_add_nc_u64_e32 v[4:5], v[6:7], v[4:5]
	v_add_nc_u64_e32 v[8:9], v[8:9], v[4:5]
	ds_load_2addr_b64 v[4:7], v2 offset0:16 offset1:20
	s_wait_dscnt 0x1
	v_add_nc_u64_e32 v[8:9], v[36:37], v[8:9]
	s_delay_alu instid0(VALU_DEP_1) | instskip(SKIP_4) | instid1(VALU_DEP_1)
	v_add_nc_u64_e32 v[36:37], v[38:39], v[8:9]
	ds_load_2addr_b64 v[8:11], v2 offset0:24 offset1:28
	v_add_nc_u32_e32 v2, 0x100, v2
	s_wait_dscnt 0x1
	v_add_nc_u64_e32 v[4:5], v[4:5], v[36:37]
	v_add_nc_u64_e32 v[4:5], v[6:7], v[4:5]
	s_wait_dscnt 0x0
	s_delay_alu instid0(VALU_DEP_1) | instskip(NEXT) | instid1(VALU_DEP_1)
	v_add_nc_u64_e32 v[4:5], v[8:9], v[4:5]
	v_add_nc_u64_e32 v[4:5], v[10:11], v[4:5]
	s_cbranch_scc0 .LBB192_47
; %bb.48:                               ;   in Loop: Header=BB192_6 Depth=1
	s_mov_b32 s11, s87
	s_and_not1_b32 vcc_lo, exec_lo, s88
	s_cbranch_vccz .LBB192_74
	s_branch .LBB192_76
.LBB192_49:                             ;   in Loop: Header=BB192_6 Depth=1
	global_load_u16 v2, v3, s[66:67]
	s_mov_b32 s71, s29
	s_wait_loadcnt 0x0
	v_readfirstlane_b32 s9, v2
	s_and_b32 s9, 0xffff, s9
	s_delay_alu instid0(SALU_CYCLE_1)
	s_lshl_b32 s70, s9, 2
	s_cmp_lg_u64 s[64:65], 0
	s_cbranch_scc0 .LBB192_72
; %bb.50:                               ;   in Loop: Header=BB192_6 Depth=1
	s_cvt_f32_u32 s9, s70
	s_sub_nc_u64 s[12:13], 0, s[70:71]
	s_delay_alu instid0(SALU_CYCLE_2) | instskip(NEXT) | instid1(SALU_CYCLE_3)
	s_fmamk_f32 s9, s90, 0x0, s9
	v_s_rcp_f32 s9, s9
	s_delay_alu instid0(TRANS32_DEP_1) | instskip(NEXT) | instid1(SALU_CYCLE_3)
	s_mul_f32 s9, s9, 0x5f7ffffc
	s_mul_f32 s10, s9, 0x2f800000
	s_delay_alu instid0(SALU_CYCLE_3) | instskip(NEXT) | instid1(SALU_CYCLE_3)
	s_trunc_f32 s10, s10
	s_fmamk_f32 s9, s10, 0xcf800000, s9
	s_cvt_u32_f32 s11, s10
	s_delay_alu instid0(SALU_CYCLE_2) | instskip(NEXT) | instid1(SALU_CYCLE_3)
	s_cvt_u32_f32 s10, s9
	s_mul_u64 s[14:15], s[12:13], s[10:11]
	s_delay_alu instid0(SALU_CYCLE_1)
	s_mul_hi_u32 s17, s10, s15
	s_mul_i32 s16, s10, s15
	s_mul_hi_u32 s28, s10, s14
	s_mul_i32 s18, s11, s14
	s_add_nc_u64 s[16:17], s[28:29], s[16:17]
	s_mul_hi_u32 s9, s11, s14
	s_mul_hi_u32 s19, s11, s15
	s_mul_i32 s14, s11, s15
	s_add_co_u32 s15, s16, s18
	s_add_co_ci_u32 s28, s17, s9
	s_add_co_ci_u32 s15, s19, 0
	s_delay_alu instid0(SALU_CYCLE_1) | instskip(NEXT) | instid1(SALU_CYCLE_1)
	s_add_nc_u64 s[14:15], s[28:29], s[14:15]
	s_add_co_u32 s10, s10, s14
	s_cselect_b32 s9, -1, 0
	s_delay_alu instid0(SALU_CYCLE_1) | instskip(SKIP_1) | instid1(SALU_CYCLE_1)
	s_cmp_lg_u32 s9, 0
	s_add_co_ci_u32 s11, s11, s15
	s_mul_u64 s[12:13], s[12:13], s[10:11]
	s_delay_alu instid0(SALU_CYCLE_1)
	s_mul_hi_u32 s15, s10, s13
	s_mul_i32 s14, s10, s13
	s_mul_hi_u32 s28, s10, s12
	s_mul_i32 s16, s11, s12
	s_add_nc_u64 s[14:15], s[28:29], s[14:15]
	s_mul_hi_u32 s9, s11, s12
	s_mul_hi_u32 s17, s11, s13
	s_mul_i32 s12, s11, s13
	s_add_co_u32 s13, s14, s16
	s_add_co_ci_u32 s28, s15, s9
	s_add_co_ci_u32 s13, s17, 0
	s_delay_alu instid0(SALU_CYCLE_1) | instskip(NEXT) | instid1(SALU_CYCLE_1)
	s_add_nc_u64 s[12:13], s[28:29], s[12:13]
	s_add_co_u32 s9, s10, s12
	s_cselect_b32 s10, -1, 0
	s_mul_hi_u32 s28, s36, s9
	s_cmp_lg_u32 s10, 0
	s_mul_hi_u32 s14, s37, s9
	s_add_co_ci_u32 s12, s11, s13
	s_mul_i32 s9, s37, s9
	s_mul_hi_u32 s11, s36, s12
	s_mul_i32 s10, s36, s12
	s_mul_hi_u32 s13, s37, s12
	s_add_nc_u64 s[10:11], s[28:29], s[10:11]
	s_mul_i32 s12, s37, s12
	s_add_co_u32 s9, s10, s9
	s_add_co_ci_u32 s28, s11, s14
	s_add_co_ci_u32 s13, s13, 0
	s_delay_alu instid0(SALU_CYCLE_1) | instskip(NEXT) | instid1(SALU_CYCLE_1)
	s_add_nc_u64 s[10:11], s[28:29], s[12:13]
	s_and_b64 s[12:13], s[10:11], 0xffffffff00000000
	s_delay_alu instid0(SALU_CYCLE_1) | instskip(NEXT) | instid1(SALU_CYCLE_1)
	s_or_b32 s12, s12, s10
	s_mul_u64 s[10:11], s[70:71], s[12:13]
	s_delay_alu instid0(SALU_CYCLE_1) | instskip(SKIP_1) | instid1(SALU_CYCLE_1)
	s_sub_co_u32 s9, s36, s10
	s_cselect_b32 s10, -1, 0
	s_cmp_lg_u32 s10, 0
	s_sub_co_ci_u32 s10, s37, s11
	s_sub_co_u32 s11, s9, s70
	s_cselect_b32 s12, -1, 0
	s_delay_alu instid0(SALU_CYCLE_1) | instskip(SKIP_3) | instid1(SALU_CYCLE_1)
	s_cmp_lg_u32 s12, 0
	s_sub_co_ci_u32 s12, s10, 0
	s_sub_co_u32 s13, s11, s70
	s_cselect_b32 s14, -1, 0
	s_cmp_lg_u32 s14, 0
	s_sub_co_ci_u32 s14, s12, 0
	s_cmp_ge_u32 s11, s70
	s_cselect_b32 s15, -1, 0
	s_cmp_eq_u32 s12, 0
	s_cselect_b32 s15, s15, -1
	s_delay_alu instid0(SALU_CYCLE_1)
	s_cmp_lg_u32 s15, 0
	s_cselect_b32 s12, s14, s12
	s_cselect_b32 s13, s13, s11
	s_cmp_ge_u32 s9, s70
	s_cselect_b32 s11, -1, 0
	s_cmp_eq_u32 s10, 0
	s_cselect_b32 s11, s11, -1
	s_delay_alu instid0(SALU_CYCLE_1)
	s_cmp_lg_u32 s11, 0
	s_cselect_b32 s11, s12, s10
	s_cselect_b32 s10, s13, s9
	s_cbranch_execnz .LBB192_52
.LBB192_51:                             ;   in Loop: Header=BB192_6 Depth=1
	v_cvt_f32_u32_e32 v4, s70
	s_sub_co_i32 s10, 0, s70
	s_delay_alu instid0(VALU_DEP_1) | instskip(SKIP_1) | instid1(TRANS32_DEP_1)
	v_rcp_iflag_f32_e32 v4, v4
	v_nop
	v_mul_f32_e32 v4, 0x4f7ffffe, v4
	s_delay_alu instid0(VALU_DEP_1) | instskip(NEXT) | instid1(VALU_DEP_1)
	v_cvt_u32_f32_e32 v4, v4
	v_readfirstlane_b32 s9, v4
	s_mul_i32 s10, s10, s9
	s_delay_alu instid0(SALU_CYCLE_1) | instskip(NEXT) | instid1(SALU_CYCLE_1)
	s_mul_hi_u32 s10, s9, s10
	s_add_co_i32 s9, s9, s10
	s_delay_alu instid0(SALU_CYCLE_1) | instskip(NEXT) | instid1(SALU_CYCLE_1)
	s_mul_hi_u32 s9, s36, s9
	s_mul_i32 s9, s9, s70
	s_delay_alu instid0(SALU_CYCLE_1) | instskip(NEXT) | instid1(SALU_CYCLE_1)
	s_sub_co_i32 s9, s36, s9
	s_sub_co_i32 s10, s9, s70
	s_cmp_ge_u32 s9, s70
	s_cselect_b32 s9, s10, s9
	s_delay_alu instid0(SALU_CYCLE_1) | instskip(SKIP_2) | instid1(SALU_CYCLE_1)
	s_sub_co_i32 s10, s9, s70
	s_cmp_ge_u32 s9, s70
	s_cselect_b32 s28, s10, s9
	s_mov_b64 s[10:11], s[28:29]
.LBB192_52:                             ;   in Loop: Header=BB192_6 Depth=1
	v_mov_b64_e32 v[4:5], 0
	v_mov_b64_e32 v[6:7], 0
	;; [unrolled: 1-line block ×4, first 2 shown]
	v_and_b32_e32 v2, 0xffff, v2
	s_sub_nc_u64 s[72:73], s[36:37], s[10:11]
	s_mov_b32 s104, exec_lo
	v_cmpx_gt_u64_e64 s[72:73], v[16:17]
	s_cbranch_execz .LBB192_56
; %bb.53:                               ;   in Loop: Header=BB192_6 Depth=1
	v_mul_u64_e32 v[36:37], s[62:63], v[2:3]
	v_mov_b64_e32 v[38:39], s[42:43]
	v_mov_b64_e32 v[40:41], v[16:17]
	s_mov_b64 s[74:75], 0
	s_mov_b32 vcc_hi, 0
	s_mov_b64 s[76:77], 0
	s_mov_b64 s[78:79], 0
	;; [unrolled: 1-line block ×3, first 2 shown]
.LBB192_54:                             ;   Parent Loop BB192_6 Depth=1
                                        ; =>  This Inner Loop Header: Depth=2
	v_add_nc_u64_e32 v[4:5], v[38:39], v[28:29]
	v_add_nc_u64_e32 v[6:7], v[38:39], v[24:25]
	;; [unrolled: 1-line block ×6, first 2 shown]
	s_clause 0x3
	global_load_b32 v4, v[4:5], off
	global_load_b32 v5, v[6:7], off
	;; [unrolled: 1-line block ×4, first 2 shown]
	v_cmp_le_u64_e32 vcc_lo, s[72:73], v[40:41]
	s_wait_loadcnt 0x3
	v_cmp_lt_i32_e64 s9, -1, v4
	s_wait_loadcnt 0x2
	v_cmp_lt_i32_e64 s10, -1, v5
	;; [unrolled: 2-line block ×4, first 2 shown]
	v_cmp_o_f32_e64 s13, v5, v5
	v_cndmask_b32_e64 v8, -1, 0x80000000, s9
	v_cndmask_b32_e64 v9, -1, 0x80000000, s10
	;; [unrolled: 1-line block ×4, first 2 shown]
	v_cmp_o_f32_e64 s16, v4, v4
	v_cmp_o_f32_e64 s14, v6, v6
	v_xor_b32_e32 v5, v9, v5
	v_xor_b32_e32 v4, v8, v4
	v_cmp_o_f32_e64 s15, v7, v7
	v_xor_b32_e32 v7, v11, v7
	s_delay_alu instid0(VALU_DEP_4) | instskip(NEXT) | instid1(VALU_DEP_2)
	v_dual_cndmask_b32 v5, -1, v5, s13 :: v_dual_bitop2_b32 v6, v10, v6 bitop3:0x14
	v_dual_cndmask_b32 v4, -1, v4, s16 :: v_dual_cndmask_b32 v7, -1, v7, s15
	s_delay_alu instid0(VALU_DEP_2) | instskip(NEXT) | instid1(VALU_DEP_2)
	v_dual_cndmask_b32 v6, -1, v6, s14 :: v_dual_bitop2_b32 v9, v5, v47 bitop3:0x40
	v_and_b32_e32 v8, v4, v47
	v_bfe_u32 v4, v4, s91, 2
	v_bfe_u32 v5, v5, s91, 2
	s_delay_alu instid0(VALU_DEP_4)
	v_and_b32_e32 v10, v6, v47
	v_bfe_u32 v6, v6, s91, 2
	v_and_b32_e32 v11, v7, v47
	v_bfe_u32 v7, v7, s91, 2
	v_cmp_eq_u32_e64 s9, v8, v45
	v_cmp_eq_u32_e64 s10, v9, v45
	;; [unrolled: 1-line block ×15, first 2 shown]
	s_and_b32 s13, s9, s13
	s_and_b32 s14, s10, s14
	v_cmp_eq_u32_e64 s20, 1, v7
	v_cmp_eq_u32_e64 s23, 2, v6
	;; [unrolled: 1-line block ×3, first 2 shown]
	s_and_b32 s15, s11, s15
	s_and_b32 s17, s9, s17
	;; [unrolled: 1-line block ×3, first 2 shown]
	v_cndmask_b32_e64 v4, 0, 1, s13
	v_cndmask_b32_e64 v5, 0, 1, s14
	v_cmp_eq_u32_e64 s24, 2, v7
	v_cmp_eq_u32_e64 s28, 3, v7
	s_and_b32 s16, s12, s16
	s_and_b32 s19, s11, s19
	;; [unrolled: 1-line block ×4, first 2 shown]
	v_cndmask_b32_e64 v6, 0, 1, s15
	v_cndmask_b32_e64 v8, 0, 1, s17
	;; [unrolled: 1-line block ×3, first 2 shown]
	s_and_b32 s9, s9, s25
	s_and_b32 s10, s10, s26
	;; [unrolled: 1-line block ×4, first 2 shown]
	v_cndmask_b32_e64 v7, 0, 1, s16
	v_cndmask_b32_e64 v10, 0, 1, s19
	;; [unrolled: 1-line block ×4, first 2 shown]
	s_and_b32 s11, s11, s27
	v_cndmask_b32_e64 v50, 0, 1, s9
	v_cndmask_b32_e64 v51, 0, 1, s10
	v_cmp_ne_u32_e64 s9, 0, v4
	v_cmp_ne_u32_e64 s10, 0, v5
	s_and_b32 s24, s12, s24
	v_cndmask_b32_e64 v11, 0, 1, s20
	v_cndmask_b32_e64 v48, 0, 1, s23
	s_and_b32 s12, s12, s28
	v_cndmask_b32_e64 v52, 0, 1, s11
	v_cmp_ne_u32_e64 s11, 0, v6
	v_cmp_ne_u32_e64 s13, 0, v8
	;; [unrolled: 1-line block ×3, first 2 shown]
	v_cndmask_b32_e64 v49, 0, 1, s24
	v_cndmask_b32_e64 v53, 0, 1, s12
	v_cmp_ne_u32_e64 s12, 0, v7
	v_cmp_ne_u32_e64 s15, 0, v10
	;; [unrolled: 1-line block ×4, first 2 shown]
	s_bcnt1_i32_b32 s9, s9
	s_bcnt1_i32_b32 s10, s10
	v_cmp_ne_u32_e64 s16, 0, v11
	v_cmp_ne_u32_e64 s19, 0, v48
	;; [unrolled: 1-line block ×4, first 2 shown]
	s_bcnt1_i32_b32 s11, s11
	s_bcnt1_i32_b32 s13, s13
	;; [unrolled: 1-line block ×3, first 2 shown]
	s_add_co_i32 s9, s10, s9
	v_cmp_ne_u32_e64 s20, 0, v49
	v_cmp_ne_u32_e64 s23, 0, v52
	s_bcnt1_i32_b32 s12, s12
	s_bcnt1_i32_b32 s15, s15
	;; [unrolled: 1-line block ×4, first 2 shown]
	s_add_co_i32 s10, s14, s13
	s_add_co_i32 s9, s9, s11
	v_cmp_ne_u32_e64 s24, 0, v53
	s_bcnt1_i32_b32 s16, s16
	s_bcnt1_i32_b32 s19, s19
	;; [unrolled: 1-line block ×4, first 2 shown]
	s_add_co_i32 s13, s18, s17
	s_add_co_i32 s10, s10, s15
	;; [unrolled: 1-line block ×3, first 2 shown]
	s_bcnt1_i32_b32 s20, s20
	s_bcnt1_i32_b32 s23, s23
	s_add_co_i32 s14, s22, s21
	s_add_co_i32 s11, s13, s19
	s_add_nc_u64 s[80:81], s[80:81], s[28:29]
	s_add_co_i32 s28, s10, s16
	s_bcnt1_i32_b32 s24, s24
	s_add_co_i32 s13, s14, s23
	s_add_nc_u64 s[78:79], s[78:79], s[28:29]
	s_add_co_i32 s28, s11, s20
	v_mov_b64_e32 v[4:5], s[80:81]
	s_add_nc_u64 s[76:77], s[76:77], s[28:29]
	s_add_co_i32 s28, s13, s24
	v_mov_b64_e32 v[6:7], s[78:79]
	s_add_nc_u64 s[74:75], s[74:75], s[28:29]
	v_mov_b64_e32 v[8:9], s[76:77]
	v_mov_b64_e32 v[10:11], s[74:75]
	s_or_b32 vcc_hi, vcc_lo, vcc_hi
	s_delay_alu instid0(SALU_CYCLE_1)
	s_and_not1_b32 exec_lo, exec_lo, vcc_hi
	s_cbranch_execnz .LBB192_54
; %bb.55:                               ;   in Loop: Header=BB192_6 Depth=1
	s_or_b32 exec_lo, exec_lo, vcc_hi
.LBB192_56:                             ;   in Loop: Header=BB192_6 Depth=1
	s_delay_alu instid0(SALU_CYCLE_1) | instskip(SKIP_2) | instid1(VALU_DEP_1)
	s_or_b32 exec_lo, exec_lo, s104
	v_add_nc_u64_e32 v[36:37], s[72:73], v[0:1]
	s_mov_b32 s12, exec_lo
	v_cmpx_gt_u64_e64 s[36:37], v[36:37]
	s_cbranch_execz .LBB192_62
; %bb.57:                               ;   in Loop: Header=BB192_6 Depth=1
	v_mul_u64_e32 v[38:39], s[30:31], v[36:37]
	s_mov_b32 s13, 0
	s_delay_alu instid0(VALU_DEP_1)
	v_lshl_add_u64 v[38:39], v[38:39], 2, s[42:43]
	global_load_b32 v32, v[38:39], off
	s_branch .LBB192_59
.LBB192_58:                             ;   in Loop: Header=BB192_59 Depth=2
	s_wait_xcnt 0x0
	s_or_b32 exec_lo, exec_lo, s10
	s_wait_loadcnt 0x0
	v_cmp_lt_i32_e64 s9, -1, v32
	s_and_b32 s11, exec_lo, vcc_lo
	s_delay_alu instid0(SALU_CYCLE_1) | instskip(SKIP_2) | instid1(VALU_DEP_2)
	s_or_b32 s13, s11, s13
	v_cndmask_b32_e64 v38, -1, 0x80000000, s9
	v_cmp_o_f32_e64 s9, v32, v32
	v_xor_b32_e32 v38, v38, v32
	s_delay_alu instid0(VALU_DEP_1) | instskip(NEXT) | instid1(VALU_DEP_1)
	v_cndmask_b32_e64 v32, -1, v38, s9
	v_and_b32_e32 v38, v32, v47
	v_bfe_u32 v32, v32, s91, 2
	s_delay_alu instid0(VALU_DEP_2) | instskip(NEXT) | instid1(VALU_DEP_2)
	v_cmp_eq_u32_e64 s9, v38, v45
	v_cmp_eq_u32_e64 s10, 0, v32
	v_cmp_eq_u32_e32 vcc_lo, 1, v32
	s_and_b32 s10, s9, s10
	s_and_b32 s11, s9, vcc_lo
	v_cndmask_b32_e64 v38, 0, 1, s10
	v_cmp_eq_u32_e64 s10, 2, v32
	v_cmp_eq_u32_e32 vcc_lo, 3, v32
	v_cndmask_b32_e64 v39, 0, 1, s11
	s_delay_alu instid0(VALU_DEP_4)
	v_cmp_ne_u32_e64 s11, 0, v38
	s_and_b32 s10, s9, s10
	s_and_b32 s9, s9, vcc_lo
	v_cndmask_b32_e64 v32, 0, 1, s10
	v_cndmask_b32_e64 v38, 0, 1, s9
	v_cmp_ne_u32_e64 s10, 0, v39
	s_bcnt1_i32_b32 s28, s11
	v_cmp_ne_u32_e32 vcc_lo, 0, v32
	v_cmp_ne_u32_e64 s9, 0, v38
	v_add_nc_u64_e32 v[4:5], s[28:29], v[4:5]
	s_bcnt1_i32_b32 s28, s10
	v_mov_b32_e32 v32, v31
	v_add_nc_u64_e32 v[6:7], s[28:29], v[6:7]
	s_bcnt1_i32_b32 s28, vcc_lo
	s_delay_alu instid0(SALU_CYCLE_1) | instskip(SKIP_1) | instid1(SALU_CYCLE_1)
	v_add_nc_u64_e32 v[8:9], s[28:29], v[8:9]
	s_bcnt1_i32_b32 s28, s9
	v_add_nc_u64_e32 v[10:11], s[28:29], v[10:11]
	s_and_not1_b32 exec_lo, exec_lo, s13
	s_cbranch_execz .LBB192_61
.LBB192_59:                             ;   Parent Loop BB192_6 Depth=1
                                        ; =>  This Inner Loop Header: Depth=2
	v_add_nc_u64_e32 v[36:37], v[36:37], v[2:3]
	v_mov_b32_e32 v31, 0
	s_mov_b32 s10, exec_lo
	s_delay_alu instid0(VALU_DEP_2)
	v_cmp_le_u64_e32 vcc_lo, s[36:37], v[36:37]
	s_wait_xcnt 0x0
	v_cmpx_gt_u64_e64 s[36:37], v[36:37]
	s_cbranch_execz .LBB192_58
; %bb.60:                               ;   in Loop: Header=BB192_59 Depth=2
	v_mul_u64_e32 v[38:39], s[30:31], v[36:37]
	s_delay_alu instid0(VALU_DEP_1)
	v_lshl_add_u64 v[38:39], v[38:39], 2, s[42:43]
	global_load_b32 v31, v[38:39], off
	s_branch .LBB192_58
.LBB192_61:                             ;   in Loop: Header=BB192_6 Depth=1
	s_or_b32 exec_lo, exec_lo, s13
.LBB192_62:                             ;   in Loop: Header=BB192_6 Depth=1
	s_delay_alu instid0(SALU_CYCLE_1)
	s_or_b32 exec_lo, exec_lo, s12
	s_branch .LBB192_41
.LBB192_63:                             ;   in Loop: Header=BB192_6 Depth=1
	global_load_u16 v2, v3, s[66:67]
	s_mov_b32 s73, s29
	v_mov_b64_e32 v[6:7], 0
	v_mov_b64_e32 v[8:9], 0
	;; [unrolled: 1-line block ×3, first 2 shown]
	s_wait_loadcnt 0x0
	v_readfirstlane_b32 s9, v2
	v_and_b32_e32 v2, 0xffff, v2
	s_and_b32 s104, 0xffff, s9
	s_delay_alu instid0(SALU_CYCLE_1) | instskip(NEXT) | instid1(SALU_CYCLE_1)
	s_lshl_b32 s70, s104, 2
	s_cvt_f32_u32 s9, s70
	s_sub_co_i32 s10, 0, s70
	s_delay_alu instid0(SALU_CYCLE_2) | instskip(SKIP_1) | instid1(TRANS32_DEP_1)
	v_rcp_iflag_f32_e32 v4, s9
	v_nop
	v_readfirstlane_b32 s9, v4
	s_mul_f32 s9, s9, 0x4f7ffffe
	s_delay_alu instid0(SALU_CYCLE_3) | instskip(NEXT) | instid1(SALU_CYCLE_3)
	s_cvt_u32_f32 s9, s9
	s_mul_i32 s10, s10, s9
	s_delay_alu instid0(SALU_CYCLE_1) | instskip(NEXT) | instid1(SALU_CYCLE_1)
	s_mul_hi_u32 s10, s9, s10
	s_add_co_i32 s9, s9, s10
	s_delay_alu instid0(SALU_CYCLE_1) | instskip(NEXT) | instid1(SALU_CYCLE_1)
	s_mul_hi_u32 s9, s68, s9
	s_mul_i32 s10, s9, s70
	s_add_co_i32 s11, s9, 1
	s_sub_co_i32 s10, s68, s10
	s_delay_alu instid0(SALU_CYCLE_1)
	s_sub_co_i32 s12, s10, s70
	s_cmp_ge_u32 s10, s70
	s_cselect_b32 s9, s11, s9
	s_cselect_b32 s10, s12, s10
	s_add_co_i32 s11, s9, 1
	s_cmp_ge_u32 s10, s70
	s_cselect_b32 s72, s11, s9
	s_delay_alu instid0(SALU_CYCLE_1) | instskip(SKIP_1) | instid1(VALU_DEP_1)
	v_mul_u64_e32 v[4:5], s[72:73], v[2:3]
	s_mov_b32 s73, exec_lo
	v_lshlrev_b64_e32 v[36:37], 2, v[4:5]
	v_mov_b64_e32 v[4:5], 0
	s_delay_alu instid0(VALU_DEP_2)
	v_cmpx_gt_u64_e64 v[36:37], v[16:17]
	s_cbranch_execz .LBB192_67
; %bb.64:                               ;   in Loop: Header=BB192_6 Depth=1
	v_mov_b64_e32 v[38:39], v[16:17]
	v_mov_b32_e32 v31, v42
	s_mov_b32 s71, s29
	s_mov_b32 vcc_hi, s91
	s_lshl_b32 s46, s104, 4
	s_mov_b64 s[74:75], 0
	s_mov_b32 s47, 0
	s_mov_b64 s[76:77], 0
	s_mov_b64 s[78:79], 0
	;; [unrolled: 1-line block ×3, first 2 shown]
.LBB192_65:                             ;   Parent Loop BB192_6 Depth=1
                                        ; =>  This Inner Loop Header: Depth=2
	ds_load_b128 v[4:7], v31
	v_add_nc_u64_e32 v[38:39], s[70:71], v[38:39]
	s_delay_alu instid0(VALU_DEP_1)
	v_cmp_ge_u64_e32 vcc_lo, v[38:39], v[36:37]
	s_wait_dscnt 0x0
	v_cmp_lt_i32_e64 s9, -1, v5
	v_cmp_lt_i32_e64 s10, -1, v4
	;; [unrolled: 1-line block ×4, first 2 shown]
	v_cmp_o_f32_e64 s13, v5, v5
	v_cndmask_b32_e64 v9, -1, 0x80000000, s9
	v_cndmask_b32_e64 v8, -1, 0x80000000, s10
	v_add_nc_u32_e32 v31, s46, v31
	v_cmp_o_f32_e64 s16, v4, v4
	v_cndmask_b32_e64 v10, -1, 0x80000000, s12
	v_cndmask_b32_e64 v11, -1, 0x80000000, s11
	v_xor_b32_e32 v4, v8, v4
	v_xor_b32_e32 v5, v9, v5
	v_cmp_o_f32_e64 s14, v6, v6
	v_cmp_o_f32_e64 s15, v7, v7
	s_delay_alu instid0(VALU_DEP_4) | instskip(NEXT) | instid1(VALU_DEP_4)
	v_dual_cndmask_b32 v4, -1, v4, s16 :: v_dual_bitop2_b32 v7, v10, v7 bitop3:0x14
	v_dual_cndmask_b32 v5, -1, v5, s13 :: v_dual_bitop2_b32 v6, v11, v6 bitop3:0x14
	s_delay_alu instid0(VALU_DEP_2) | instskip(NEXT) | instid1(VALU_DEP_3)
	v_and_b32_e32 v8, v4, v47
	v_cndmask_b32_e64 v7, -1, v7, s15
	s_delay_alu instid0(VALU_DEP_3) | instskip(NEXT) | instid1(VALU_DEP_4)
	v_dual_lshrrev_b32 v5, vcc_hi, v5 :: v_dual_bitop2_b32 v9, v5, v47 bitop3:0x40
	v_dual_cndmask_b32 v6, -1, v6, s14 :: v_dual_lshrrev_b32 v4, s91, v4
	s_delay_alu instid0(VALU_DEP_3) | instskip(NEXT) | instid1(VALU_DEP_3)
	v_and_b32_e32 v11, v7, v47
	v_dual_lshrrev_b32 v7, vcc_hi, v7 :: v_dual_bitop2_b32 v5, 3, v5 bitop3:0x40
	s_delay_alu instid0(VALU_DEP_3) | instskip(NEXT) | instid1(VALU_DEP_4)
	v_dual_lshrrev_b32 v6, s91, v6 :: v_dual_bitop2_b32 v10, v6, v47 bitop3:0x40
	v_and_b32_e32 v4, 3, v4
	s_delay_alu instid0(VALU_DEP_3)
	v_and_b32_e32 v7, 3, v7
	v_cmp_eq_u32_e64 s9, v8, v45
	v_cmp_eq_u32_e64 s10, v9, v45
	v_and_b32_e32 v6, 3, v6
	v_cmp_eq_u32_e64 s13, 0, v4
	v_cmp_eq_u32_e64 s14, 0, v5
	;; [unrolled: 1-line block ×13, first 2 shown]
	s_and_b32 s13, s9, s13
	s_and_b32 s14, s10, s14
	v_cmp_eq_u32_e64 s24, 1, v7
	v_cmp_eq_u32_e64 s25, 2, v6
	;; [unrolled: 1-line block ×5, first 2 shown]
	s_and_b32 s15, s9, s15
	s_and_b32 s16, s10, s16
	;; [unrolled: 1-line block ×3, first 2 shown]
	v_cndmask_b32_e64 v4, 0, 1, s13
	v_cndmask_b32_e64 v5, 0, 1, s14
	s_and_b32 s17, s9, s17
	s_and_b32 s18, s10, s18
	;; [unrolled: 1-line block ×4, first 2 shown]
	v_cndmask_b32_e64 v6, 0, 1, s15
	v_cndmask_b32_e64 v7, 0, 1, s16
	;; [unrolled: 1-line block ×3, first 2 shown]
	s_and_b32 s9, s9, s20
	s_and_b32 s10, s10, s19
	;; [unrolled: 1-line block ×4, first 2 shown]
	v_cndmask_b32_e64 v8, 0, 1, s17
	v_cndmask_b32_e64 v9, 0, 1, s18
	;; [unrolled: 1-line block ×4, first 2 shown]
	s_and_b32 s26, s12, s26
	s_and_b32 s11, s11, s28
	;; [unrolled: 1-line block ×3, first 2 shown]
	v_cndmask_b32_e64 v49, 0, 1, s9
	v_cndmask_b32_e64 v50, 0, 1, s10
	v_cmp_ne_u32_e64 s9, 0, v4
	v_cmp_ne_u32_e64 s10, 0, v5
	v_cndmask_b32_e64 v40, 0, 1, s24
	v_cndmask_b32_e64 v41, 0, 1, s25
	;; [unrolled: 1-line block ×4, first 2 shown]
	v_cmp_ne_u32_e64 s11, 0, v6
	v_cmp_ne_u32_e64 s12, 0, v7
	;; [unrolled: 1-line block ×3, first 2 shown]
	v_cndmask_b32_e64 v48, 0, 1, s26
	v_cmp_ne_u32_e64 s13, 0, v8
	v_cmp_ne_u32_e64 s14, 0, v9
	;; [unrolled: 1-line block ×4, first 2 shown]
	s_bcnt1_i32_b32 s9, s9
	s_bcnt1_i32_b32 s10, s10
	v_cmp_ne_u32_e64 s18, 0, v40
	v_cmp_ne_u32_e64 s19, 0, v41
	;; [unrolled: 1-line block ×4, first 2 shown]
	s_bcnt1_i32_b32 s11, s11
	s_bcnt1_i32_b32 s12, s12
	;; [unrolled: 1-line block ×3, first 2 shown]
	s_add_co_i32 s9, s10, s9
	v_cmp_ne_u32_e64 s20, 0, v48
	v_cmp_ne_u32_e64 s23, 0, v51
	s_bcnt1_i32_b32 s13, s13
	s_bcnt1_i32_b32 s14, s14
	s_bcnt1_i32_b32 s16, s16
	s_bcnt1_i32_b32 s17, s17
	s_add_co_i32 s10, s12, s11
	s_add_co_i32 s9, s9, s15
	v_cmp_ne_u32_e64 s24, 0, v52
	s_bcnt1_i32_b32 s18, s18
	s_bcnt1_i32_b32 s19, s19
	;; [unrolled: 1-line block ×4, first 2 shown]
	s_add_co_i32 s11, s14, s13
	s_add_co_i32 s10, s10, s17
	;; [unrolled: 1-line block ×3, first 2 shown]
	s_bcnt1_i32_b32 s20, s20
	s_bcnt1_i32_b32 s23, s23
	s_add_co_i32 s12, s22, s21
	s_add_co_i32 s11, s11, s19
	s_add_nc_u64 s[80:81], s[80:81], s[28:29]
	s_add_co_i32 s28, s10, s18
	s_bcnt1_i32_b32 s24, s24
	s_add_co_i32 s12, s12, s23
	s_add_nc_u64 s[78:79], s[78:79], s[28:29]
	s_add_co_i32 s28, s11, s20
	v_mov_b64_e32 v[4:5], s[80:81]
	s_add_nc_u64 s[76:77], s[76:77], s[28:29]
	s_add_co_i32 s28, s12, s24
	v_mov_b64_e32 v[6:7], s[78:79]
	s_add_nc_u64 s[74:75], s[74:75], s[28:29]
	v_mov_b64_e32 v[8:9], s[76:77]
	v_mov_b64_e32 v[10:11], s[74:75]
	s_or_b32 s47, vcc_lo, s47
	s_delay_alu instid0(SALU_CYCLE_1)
	s_and_not1_b32 exec_lo, exec_lo, s47
	s_cbranch_execnz .LBB192_65
; %bb.66:                               ;   in Loop: Header=BB192_6 Depth=1
	s_or_b32 exec_lo, exec_lo, s47
.LBB192_67:                             ;   in Loop: Header=BB192_6 Depth=1
	s_delay_alu instid0(SALU_CYCLE_1) | instskip(SKIP_3) | instid1(VALU_DEP_1)
	s_or_b32 exec_lo, exec_lo, s73
	v_add_nc_u64_e32 v[36:37], v[36:37], v[0:1]
	s_and_b64 s[14:15], s[68:69], 0x7fffffff
	s_mov_b32 s16, exec_lo
	v_cmpx_gt_u64_e64 s[14:15], v[36:37]
	s_cbranch_execz .LBB192_71
; %bb.68:                               ;   in Loop: Header=BB192_6 Depth=1
	s_mul_i32 s9, s72, s104
	s_mov_b32 s17, 0
	v_lshl_add_u32 v31, s9, 4, v16
.LBB192_69:                             ;   Parent Loop BB192_6 Depth=1
                                        ; =>  This Inner Loop Header: Depth=2
	ds_load_b32 v32, v31
	v_add_nc_u64_e32 v[36:37], v[36:37], v[2:3]
	v_add_nc_u32_e32 v31, s70, v31
	s_delay_alu instid0(VALU_DEP_2) | instskip(SKIP_2) | instid1(VALU_DEP_1)
	v_cmp_le_u64_e32 vcc_lo, s[14:15], v[36:37]
	s_wait_dscnt 0x0
	v_cmp_lt_i32_e64 s9, -1, v32
	v_cndmask_b32_e64 v38, -1, 0x80000000, s9
	v_cmp_o_f32_e64 s9, v32, v32
	s_delay_alu instid0(VALU_DEP_2) | instskip(NEXT) | instid1(VALU_DEP_1)
	v_xor_b32_e32 v38, v38, v32
	v_cndmask_b32_e64 v32, -1, v38, s9
	s_delay_alu instid0(VALU_DEP_1) | instskip(SKIP_1) | instid1(VALU_DEP_2)
	v_and_b32_e32 v38, v32, v47
	v_bfe_u32 v32, v32, s91, 2
	v_cmp_eq_u32_e64 s9, v38, v45
	s_delay_alu instid0(VALU_DEP_2) | instskip(SKIP_4) | instid1(SALU_CYCLE_1)
	v_cmp_eq_u32_e64 s10, 0, v32
	v_cmp_eq_u32_e64 s11, 1, v32
	;; [unrolled: 1-line block ×4, first 2 shown]
	s_and_b32 s10, s9, s10
	v_cndmask_b32_e64 v32, 0, 1, s10
	s_and_b32 s10, s9, s11
	s_delay_alu instid0(SALU_CYCLE_1)
	v_cndmask_b32_e64 v38, 0, 1, s10
	s_and_b32 s10, s9, s12
	s_and_b32 s9, s9, s13
	v_cndmask_b32_e64 v39, 0, 1, s10
	v_cndmask_b32_e64 v40, 0, 1, s9
	v_cmp_ne_u32_e64 s9, 0, v32
	v_cmp_ne_u32_e64 s10, 0, v38
	s_delay_alu instid0(VALU_DEP_4) | instskip(NEXT) | instid1(VALU_DEP_4)
	v_cmp_ne_u32_e64 s11, 0, v39
	v_cmp_ne_u32_e64 s12, 0, v40
	s_bcnt1_i32_b32 s28, s9
	s_delay_alu instid0(SALU_CYCLE_1) | instskip(SKIP_1) | instid1(SALU_CYCLE_1)
	v_add_nc_u64_e32 v[4:5], s[28:29], v[4:5]
	s_bcnt1_i32_b32 s28, s10
	v_add_nc_u64_e32 v[6:7], s[28:29], v[6:7]
	s_bcnt1_i32_b32 s28, s11
	s_delay_alu instid0(SALU_CYCLE_1)
	v_add_nc_u64_e32 v[8:9], s[28:29], v[8:9]
	s_bcnt1_i32_b32 s28, s12
	s_or_b32 s17, vcc_lo, s17
	v_add_nc_u64_e32 v[10:11], s[28:29], v[10:11]
	s_and_not1_b32 exec_lo, exec_lo, s17
	s_cbranch_execnz .LBB192_69
; %bb.70:                               ;   in Loop: Header=BB192_6 Depth=1
	s_or_b32 exec_lo, exec_lo, s17
.LBB192_71:                             ;   in Loop: Header=BB192_6 Depth=1
	s_delay_alu instid0(SALU_CYCLE_1)
	s_or_b32 exec_lo, exec_lo, s16
	s_lshl_b32 s9, s94, 7
	s_and_saveexec_b32 s10, s2
	s_cbranch_execnz .LBB192_42
	s_branch .LBB192_43
.LBB192_72:                             ;   in Loop: Header=BB192_6 Depth=1
                                        ; implicit-def: $sgpr10_sgpr11
	s_branch .LBB192_51
.LBB192_73:                             ;   in Loop: Header=BB192_6 Depth=1
	s_mov_b32 s11, 0
	s_and_not1_b32 vcc_lo, exec_lo, s88
	s_cbranch_vccnz .LBB192_76
.LBB192_74:                             ;   in Loop: Header=BB192_6 Depth=1
	s_lshl_b32 s12, s94, 10
	s_lshl_b32 s11, s11, 5
	s_delay_alu instid0(SALU_CYCLE_1)
	v_add3_u32 v2, s12, s11, v46
	s_mov_b32 s11, s85
.LBB192_75:                             ;   Parent Loop BB192_6 Depth=1
                                        ; =>  This Inner Loop Header: Depth=2
	ds_load_b64 v[6:7], v2
	v_add_nc_u32_e32 v2, 32, v2
	s_add_co_i32 s11, s11, -1
	s_delay_alu instid0(SALU_CYCLE_1)
	s_cmp_lg_u32 s11, 0
	s_wait_dscnt 0x0
	v_add_nc_u64_e32 v[4:5], v[6:7], v[4:5]
	s_cbranch_scc1 .LBB192_75
.LBB192_76:                             ;   in Loop: Header=BB192_6 Depth=1
	v_add_lshl_u32 v2, s9, v13, 3
	ds_store_b64 v2, v[4:5] offset:3072
.LBB192_77:                             ;   in Loop: Header=BB192_6 Depth=1
	s_or_b32 exec_lo, exec_lo, s10
	s_lshl_b32 s9, s9, 3
	s_wait_dscnt 0x0
	v_mov_b32_e32 v2, s9
	s_barrier_signal -1
	s_barrier_wait -1
	v_cmp_eq_u64_e64 s9, 1, v[34:35]
	ds_load_b128 v[4:7], v2 offset:3072
	ds_load_b128 v[8:11], v2 offset:3088
	s_lshl_b32 s24, 3, s91
	s_mov_b32 s71, -1
	s_not_b32 s25, s24
	s_mov_b32 s26, 0
	s_and_not1_b32 vcc_lo, exec_lo, s83
	s_mov_b32 s68, 0
	s_mov_b32 s27, 0
                                        ; implicit-def: $sgpr69
                                        ; implicit-def: $sgpr70
                                        ; implicit-def: $vgpr2
                                        ; implicit-def: $vgpr32
                                        ; implicit-def: $vgpr36
	s_wait_dscnt 0x1
	v_readfirstlane_b32 s13, v5
	v_readfirstlane_b32 s12, v4
	;; [unrolled: 1-line block ×4, first 2 shown]
	s_wait_dscnt 0x0
	v_readfirstlane_b32 s17, v9
	v_readfirstlane_b32 s16, v8
	;; [unrolled: 1-line block ×4, first 2 shown]
                                        ; implicit-def: $vgpr4_vgpr5
                                        ; implicit-def: $vgpr7
	s_cbranch_vccnz .LBB192_280
; %bb.78:                               ;   in Loop: Header=BB192_6 Depth=1
	s_cmp_eq_u64 s[12:13], 1
	v_dual_mov_b32 v32, v45 :: v_dual_mov_b32 v36, v47
	v_mov_b32_e32 v7, v33
	s_cselect_b32 s10, -1, 0
                                        ; implicit-def: $sgpr70
                                        ; implicit-def: $sgpr69
	s_delay_alu instid0(SALU_CYCLE_1)
	s_and_b32 s73, s10, s9
	s_mov_b32 s10, -1
	s_and_saveexec_b32 s27, s73
	s_cbranch_execz .LBB192_115
; %bb.79:                               ;   in Loop: Header=BB192_6 Depth=1
	ds_load_b64 v[4:5], v3 offset:5120
	s_wait_dscnt 0x0
	s_barrier_signal -1
	s_barrier_wait -1
	v_readfirstlane_b32 s10, v4
	v_readfirstlane_b32 s11, v5
	s_and_saveexec_b32 s20, s6
; %bb.80:                               ;   in Loop: Header=BB192_6 Depth=1
	ds_store_b32 v43, v3
; %bb.81:                               ;   in Loop: Header=BB192_6 Depth=1
	s_or_b32 exec_lo, exec_lo, s20
	v_and_b32_e32 v32, s25, v45
	v_or_b32_e32 v36, s24, v47
	s_mov_b32 s69, -1
	s_mov_b32 s70, 0
	s_cmp_eq_u64 s[10:11], 0
	s_mov_b32 s22, 0
	s_mov_b32 s23, -1
	s_wait_dscnt 0x0
	s_barrier_signal -1
	s_barrier_wait -1
                                        ; implicit-def: $vgpr7
	s_cbranch_scc1 .LBB192_99
; %bb.82:                               ;   in Loop: Header=BB192_6 Depth=1
	s_add_nc_u64 s[20:21], s[10:11], s[54:55]
	s_delay_alu instid0(SALU_CYCLE_1) | instskip(NEXT) | instid1(SALU_CYCLE_1)
	s_and_b64 s[22:23], s[20:21], 0xffffffff00000000
	s_cmp_lg_u64 s[22:23], 0
	s_cbranch_scc0 .LBB192_142
; %bb.83:                               ;   in Loop: Header=BB192_6 Depth=1
	s_cvt_f32_u32 s22, s34
	s_sub_nc_u64 s[46:47], 0, s[34:35]
	s_delay_alu instid0(SALU_CYCLE_2) | instskip(NEXT) | instid1(SALU_CYCLE_3)
	s_fmamk_f32 s22, s90, 0x0, s22
	v_s_rcp_f32 s22, s22
	s_delay_alu instid0(TRANS32_DEP_1) | instskip(NEXT) | instid1(SALU_CYCLE_3)
	s_mul_f32 s22, s22, 0x5f7ffffc
	s_mul_f32 s23, s22, 0x2f800000
	s_delay_alu instid0(SALU_CYCLE_3) | instskip(NEXT) | instid1(SALU_CYCLE_3)
	s_trunc_f32 s23, s23
	s_fmamk_f32 s22, s23, 0xcf800000, s22
	s_cvt_u32_f32 s23, s23
	s_delay_alu instid0(SALU_CYCLE_2) | instskip(NEXT) | instid1(SALU_CYCLE_3)
	s_cvt_u32_f32 s22, s22
	s_mul_u64 s[48:49], s[46:47], s[22:23]
	s_delay_alu instid0(SALU_CYCLE_1)
	s_mul_hi_u32 s51, s22, s49
	s_mul_i32 s50, s22, s49
	s_mul_hi_u32 s28, s22, s48
	s_mul_i32 s53, s23, s48
	s_add_nc_u64 s[50:51], s[28:29], s[50:51]
	s_mul_hi_u32 s52, s23, s48
	s_mul_hi_u32 s68, s23, s49
	s_add_co_u32 s28, s50, s53
	s_add_co_ci_u32 s28, s51, s52
	s_mul_i32 s48, s23, s49
	s_add_co_ci_u32 s49, s68, 0
	s_delay_alu instid0(SALU_CYCLE_1) | instskip(NEXT) | instid1(SALU_CYCLE_1)
	s_add_nc_u64 s[48:49], s[28:29], s[48:49]
	s_add_co_u32 s22, s22, s48
	s_cselect_b32 s28, -1, 0
	s_delay_alu instid0(SALU_CYCLE_1) | instskip(SKIP_1) | instid1(SALU_CYCLE_1)
	s_cmp_lg_u32 s28, 0
	s_add_co_ci_u32 s23, s23, s49
	s_mul_u64 s[46:47], s[46:47], s[22:23]
	s_delay_alu instid0(SALU_CYCLE_1)
	s_mul_hi_u32 s49, s22, s47
	s_mul_i32 s48, s22, s47
	s_mul_hi_u32 s28, s22, s46
	s_mul_i32 s51, s23, s46
	s_add_nc_u64 s[48:49], s[28:29], s[48:49]
	s_mul_hi_u32 s50, s23, s46
	s_mul_hi_u32 s52, s23, s47
	s_add_co_u32 s28, s48, s51
	s_add_co_ci_u32 s28, s49, s50
	s_mul_i32 s46, s23, s47
	s_add_co_ci_u32 s47, s52, 0
	s_delay_alu instid0(SALU_CYCLE_1) | instskip(NEXT) | instid1(SALU_CYCLE_1)
	s_add_nc_u64 s[46:47], s[28:29], s[46:47]
	s_add_co_u32 s22, s22, s46
	s_cselect_b32 s46, -1, 0
	s_mul_hi_u32 s28, s20, s22
	s_cmp_lg_u32 s46, 0
	s_mul_hi_u32 s48, s21, s22
	s_add_co_ci_u32 s46, s23, s47
	s_mul_i32 s47, s21, s22
	s_mul_hi_u32 s23, s20, s46
	s_mul_i32 s22, s20, s46
	s_mul_hi_u32 s49, s21, s46
	s_add_nc_u64 s[22:23], s[28:29], s[22:23]
	s_mul_i32 s46, s21, s46
	s_add_co_u32 s22, s22, s47
	s_add_co_ci_u32 s28, s23, s48
	s_add_co_ci_u32 s47, s49, 0
	s_delay_alu instid0(SALU_CYCLE_1) | instskip(NEXT) | instid1(SALU_CYCLE_1)
	s_add_nc_u64 s[22:23], s[28:29], s[46:47]
	s_and_b64 s[46:47], s[22:23], 0xffffffff00000000
	s_delay_alu instid0(SALU_CYCLE_1) | instskip(NEXT) | instid1(SALU_CYCLE_1)
	s_or_b32 s46, s46, s22
	s_mul_u64 s[22:23], s[34:35], s[46:47]
	s_delay_alu instid0(SALU_CYCLE_1) | instskip(SKIP_1) | instid1(SALU_CYCLE_1)
	s_sub_co_u32 s22, s20, s22
	s_cselect_b32 s28, -1, 0
	s_cmp_lg_u32 s28, 0
	s_sub_co_ci_u32 s23, s21, s23
	s_sub_co_u32 s28, s22, s34
	s_cselect_b32 s46, -1, 0
	s_delay_alu instid0(SALU_CYCLE_1) | instskip(SKIP_3) | instid1(SALU_CYCLE_1)
	s_cmp_lg_u32 s46, 0
	s_sub_co_ci_u32 s46, s23, 0
	s_sub_co_u32 s47, s28, s34
	s_cselect_b32 s48, -1, 0
	s_cmp_lg_u32 s48, 0
	s_sub_co_ci_u32 s48, s46, 0
	s_cmp_ge_u32 s28, s34
	s_cselect_b32 s49, -1, 0
	s_cmp_eq_u32 s46, 0
	s_cselect_b32 s49, s49, -1
	s_delay_alu instid0(SALU_CYCLE_1)
	s_cmp_lg_u32 s49, 0
	s_cselect_b32 s46, s48, s46
	s_cselect_b32 s28, s47, s28
	s_cmp_ge_u32 s22, s34
	s_cselect_b32 s47, -1, 0
	s_cmp_eq_u32 s23, 0
	s_cselect_b32 s47, s47, -1
	s_delay_alu instid0(SALU_CYCLE_1)
	s_cmp_lg_u32 s47, 0
	s_cselect_b32 s23, s46, s23
	s_cselect_b32 s22, s28, s22
	s_cbranch_execnz .LBB192_85
.LBB192_84:                             ;   in Loop: Header=BB192_6 Depth=1
	v_cvt_f32_u32_e32 v2, s34
	s_sub_co_i32 s23, 0, s34
	s_delay_alu instid0(VALU_DEP_1) | instskip(SKIP_1) | instid1(TRANS32_DEP_1)
	v_rcp_iflag_f32_e32 v2, v2
	v_nop
	v_mul_f32_e32 v2, 0x4f7ffffe, v2
	s_delay_alu instid0(VALU_DEP_1) | instskip(NEXT) | instid1(VALU_DEP_1)
	v_cvt_u32_f32_e32 v2, v2
	v_readfirstlane_b32 s22, v2
	s_mul_i32 s23, s23, s22
	s_delay_alu instid0(SALU_CYCLE_1) | instskip(NEXT) | instid1(SALU_CYCLE_1)
	s_mul_hi_u32 s23, s22, s23
	s_add_co_i32 s22, s22, s23
	s_delay_alu instid0(SALU_CYCLE_1) | instskip(NEXT) | instid1(SALU_CYCLE_1)
	s_mul_hi_u32 s22, s20, s22
	s_mul_i32 s22, s22, s34
	s_delay_alu instid0(SALU_CYCLE_1) | instskip(NEXT) | instid1(SALU_CYCLE_1)
	s_sub_co_i32 s22, s20, s22
	s_sub_co_i32 s23, s22, s34
	s_cmp_ge_u32 s22, s34
	s_cselect_b32 s22, s23, s22
	s_delay_alu instid0(SALU_CYCLE_1) | instskip(SKIP_2) | instid1(SALU_CYCLE_1)
	s_sub_co_i32 s23, s22, s34
	s_cmp_ge_u32 s22, s34
	s_cselect_b32 s28, s23, s22
	s_mov_b64 s[22:23], s[28:29]
.LBB192_85:                             ;   in Loop: Header=BB192_6 Depth=1
	s_delay_alu instid0(SALU_CYCLE_1)
	s_sub_nc_u64 s[20:21], s[20:21], s[22:23]
	s_mov_b32 s23, 0
	s_mov_b32 s22, 0
	s_mov_b32 s28, exec_lo
                                        ; implicit-def: $vgpr7
	v_cmpx_gt_u64_e64 s[20:21], v[0:1]
	s_cbranch_execz .LBB192_98
; %bb.86:                               ;   in Loop: Header=BB192_6 Depth=1
	v_mov_b64_e32 v[4:5], v[0:1]
	v_mov_b32_e32 v2, v16
                                        ; implicit-def: $sgpr46
	s_branch .LBB192_90
.LBB192_87:                             ;   in Loop: Header=BB192_90 Depth=2
	s_or_b32 exec_lo, exec_lo, s47
	s_wait_dscnt 0x0
	s_barrier_signal -1
	s_barrier_wait -1
	ds_load_b64 v[6:7], v3 offset:3072
	s_wait_dscnt 0x0
	s_barrier_signal -1
	s_barrier_wait -1
	v_cmp_neq_f32_e32 vcc_lo, 0, v6
	s_cbranch_vccnz .LBB192_93
; %bb.88:                               ;   in Loop: Header=BB192_90 Depth=2
	v_add_nc_u64_e32 v[4:5], s[34:35], v[4:5]
	v_add_nc_u32_e32 v2, s89, v2
	s_mov_b32 s47, 0
	s_delay_alu instid0(VALU_DEP_2)
	v_cmp_le_u64_e32 vcc_lo, s[20:21], v[4:5]
	s_or_not1_b32 s68, vcc_lo, exec_lo
.LBB192_89:                             ;   in Loop: Header=BB192_90 Depth=2
	s_delay_alu instid0(SALU_CYCLE_1) | instskip(NEXT) | instid1(SALU_CYCLE_1)
	s_and_b32 s48, exec_lo, s68
	s_or_b32 s22, s48, s22
	s_and_not1_b32 s46, s46, exec_lo
	s_and_b32 s47, s47, exec_lo
	s_delay_alu instid0(SALU_CYCLE_1)
	s_or_b32 s46, s46, s47
	s_and_not1_b32 exec_lo, exec_lo, s22
	s_cbranch_execz .LBB192_97
.LBB192_90:                             ;   Parent Loop BB192_6 Depth=1
                                        ; =>  This Inner Loop Header: Depth=2
	s_mov_b32 s47, exec_lo
	s_delay_alu instid0(VALU_DEP_2)
	v_cmpx_gt_u64_e64 s[10:11], v[4:5]
	s_cbranch_execz .LBB192_87
; %bb.91:                               ;   in Loop: Header=BB192_90 Depth=2
	ds_load_b32 v31, v2
	s_wait_dscnt 0x0
	v_cmp_lt_i32_e32 vcc_lo, -1, v31
	v_cndmask_b32_e64 v6, -1, 0x80000000, vcc_lo
	v_cmp_o_f32_e32 vcc_lo, v31, v31
	s_delay_alu instid0(VALU_DEP_2) | instskip(NEXT) | instid1(VALU_DEP_1)
	v_xor_b32_e32 v6, v6, v31
	v_cndmask_b32_e32 v6, -1, v6, vcc_lo
	s_delay_alu instid0(VALU_DEP_1) | instskip(NEXT) | instid1(VALU_DEP_1)
	v_and_b32_e32 v6, v6, v36
	v_cmp_eq_u32_e32 vcc_lo, v6, v32
	s_and_b32 exec_lo, exec_lo, vcc_lo
	s_cbranch_execz .LBB192_87
; %bb.92:                               ;   in Loop: Header=BB192_90 Depth=2
	ds_store_b64 v3, v[30:31] offset:3072
	s_branch .LBB192_87
.LBB192_93:                             ;   in Loop: Header=BB192_90 Depth=2
	s_mov_b32 s68, -1
	s_mov_b32 s47, -1
                                        ; implicit-def: $vgpr4_vgpr5
                                        ; implicit-def: $vgpr2
	s_branch .LBB192_89
.LBB192_94:                             ;   in Loop: Header=BB192_6 Depth=1
	s_or_b32 exec_lo, exec_lo, s12
	s_wait_dscnt 0x0
	s_barrier_signal -1
	s_barrier_wait -1
	s_and_saveexec_b32 s9, s5
	s_cbranch_execz .LBB192_96
; %bb.95:                               ;   in Loop: Header=BB192_6 Depth=1
	ds_load_b32 v4, v3 offset:5144
	s_wait_dscnt 0x0
	v_ashrrev_i32_e32 v5, 31, v4
	ds_store_b64 v3, v[4:5] offset:5120
.LBB192_96:                             ;   in Loop: Header=BB192_6 Depth=1
	s_or_b32 exec_lo, exec_lo, s9
	s_wait_dscnt 0x0
	s_barrier_signal -1
	s_mov_b32 s9, -1
	s_barrier_wait -1
	s_and_b32 vcc_lo, exec_lo, s11
	s_cbranch_vccnz .LBB192_22
	s_branch .LBB192_37
.LBB192_97:                             ;   in Loop: Header=BB192_6 Depth=1
	s_or_b32 exec_lo, exec_lo, s22
	s_delay_alu instid0(SALU_CYCLE_1)
	s_and_b32 s22, s46, exec_lo
.LBB192_98:                             ;   in Loop: Header=BB192_6 Depth=1
	s_or_b32 exec_lo, exec_lo, s28
.LBB192_99:                             ;   in Loop: Header=BB192_6 Depth=1
	s_delay_alu instid0(SALU_CYCLE_1)
	s_and_b32 vcc_lo, exec_lo, s23
	s_cbranch_vccz .LBB192_114
; %bb.100:                              ;   in Loop: Header=BB192_6 Depth=1
	s_and_b64 s[10:11], s[56:57], 0xffffffff00000000
	s_delay_alu instid0(SALU_CYCLE_1)
	s_cmp_lg_u64 s[10:11], 0
	s_cbranch_scc0 .LBB192_143
; %bb.101:                              ;   in Loop: Header=BB192_6 Depth=1
	s_cvt_f32_u32 s10, s34
	s_sub_nc_u64 s[20:21], 0, s[34:35]
	s_delay_alu instid0(SALU_CYCLE_2) | instskip(NEXT) | instid1(SALU_CYCLE_3)
	s_fmamk_f32 s10, s90, 0x0, s10
	v_s_rcp_f32 s10, s10
	s_delay_alu instid0(TRANS32_DEP_1) | instskip(NEXT) | instid1(SALU_CYCLE_3)
	s_mul_f32 s10, s10, 0x5f7ffffc
	s_mul_f32 s11, s10, 0x2f800000
	s_delay_alu instid0(SALU_CYCLE_3) | instskip(NEXT) | instid1(SALU_CYCLE_3)
	s_trunc_f32 s11, s11
	s_fmamk_f32 s10, s11, 0xcf800000, s10
	s_cvt_u32_f32 s11, s11
	s_delay_alu instid0(SALU_CYCLE_2) | instskip(NEXT) | instid1(SALU_CYCLE_3)
	s_cvt_u32_f32 s10, s10
	s_mul_u64 s[46:47], s[20:21], s[10:11]
	s_delay_alu instid0(SALU_CYCLE_1)
	s_mul_hi_u32 s49, s10, s47
	s_mul_i32 s48, s10, s47
	s_mul_hi_u32 s28, s10, s46
	s_mul_i32 s50, s11, s46
	s_add_nc_u64 s[48:49], s[28:29], s[48:49]
	s_mul_hi_u32 s23, s11, s46
	s_mul_hi_u32 s51, s11, s47
	s_add_co_u32 s28, s48, s50
	s_add_co_ci_u32 s28, s49, s23
	s_mul_i32 s46, s11, s47
	s_add_co_ci_u32 s47, s51, 0
	s_delay_alu instid0(SALU_CYCLE_1) | instskip(NEXT) | instid1(SALU_CYCLE_1)
	s_add_nc_u64 s[46:47], s[28:29], s[46:47]
	s_add_co_u32 s10, s10, s46
	s_cselect_b32 s23, -1, 0
	s_delay_alu instid0(SALU_CYCLE_1) | instskip(SKIP_1) | instid1(SALU_CYCLE_1)
	s_cmp_lg_u32 s23, 0
	s_add_co_ci_u32 s11, s11, s47
	s_mul_u64 s[20:21], s[20:21], s[10:11]
	s_delay_alu instid0(SALU_CYCLE_1)
	s_mul_hi_u32 s47, s10, s21
	s_mul_i32 s46, s10, s21
	s_mul_hi_u32 s28, s10, s20
	s_mul_i32 s48, s11, s20
	s_add_nc_u64 s[46:47], s[28:29], s[46:47]
	s_mul_hi_u32 s23, s11, s20
	s_mul_hi_u32 s49, s11, s21
	s_mul_i32 s20, s11, s21
	s_add_co_u32 s21, s46, s48
	s_add_co_ci_u32 s28, s47, s23
	s_add_co_ci_u32 s21, s49, 0
	s_delay_alu instid0(SALU_CYCLE_1) | instskip(NEXT) | instid1(SALU_CYCLE_1)
	s_add_nc_u64 s[20:21], s[28:29], s[20:21]
	s_add_co_u32 s10, s10, s20
	s_cselect_b32 s20, -1, 0
	s_mul_hi_u32 s28, s56, s10
	s_cmp_lg_u32 s20, 0
	s_mul_hi_u32 s23, s57, s10
	s_add_co_ci_u32 s20, s11, s21
	s_mul_i32 s21, s57, s10
	s_mul_hi_u32 s11, s56, s20
	s_mul_i32 s10, s56, s20
	s_mul_hi_u32 s46, s57, s20
	s_add_nc_u64 s[10:11], s[28:29], s[10:11]
	s_mul_i32 s20, s57, s20
	s_add_co_u32 s10, s10, s21
	s_add_co_ci_u32 s28, s11, s23
	s_add_co_ci_u32 s21, s46, 0
	s_delay_alu instid0(SALU_CYCLE_1) | instskip(NEXT) | instid1(SALU_CYCLE_1)
	s_add_nc_u64 s[10:11], s[28:29], s[20:21]
	s_and_b64 s[20:21], s[10:11], 0xffffffff00000000
	s_delay_alu instid0(SALU_CYCLE_1) | instskip(NEXT) | instid1(SALU_CYCLE_1)
	s_or_b32 s20, s20, s10
	s_mul_u64 s[10:11], s[34:35], s[20:21]
	s_delay_alu instid0(SALU_CYCLE_1) | instskip(SKIP_1) | instid1(SALU_CYCLE_1)
	s_sub_co_u32 s10, s56, s10
	s_cselect_b32 s20, -1, 0
	s_cmp_lg_u32 s20, 0
	s_sub_co_ci_u32 s11, s57, s11
	s_sub_co_u32 s20, s10, s34
	s_cselect_b32 s21, -1, 0
	s_delay_alu instid0(SALU_CYCLE_1) | instskip(SKIP_3) | instid1(SALU_CYCLE_1)
	s_cmp_lg_u32 s21, 0
	s_sub_co_ci_u32 s21, s11, 0
	s_sub_co_u32 s23, s20, s34
	s_cselect_b32 s28, -1, 0
	s_cmp_lg_u32 s28, 0
	s_sub_co_ci_u32 s28, s21, 0
	s_cmp_ge_u32 s20, s34
	s_cselect_b32 s46, -1, 0
	s_cmp_eq_u32 s21, 0
	s_cselect_b32 s46, s46, -1
	s_delay_alu instid0(SALU_CYCLE_1)
	s_cmp_lg_u32 s46, 0
	s_cselect_b32 s21, s28, s21
	s_cselect_b32 s20, s23, s20
	s_cmp_ge_u32 s10, s34
	s_cselect_b32 s23, -1, 0
	s_cmp_eq_u32 s11, 0
	s_cselect_b32 s23, s23, -1
	s_delay_alu instid0(SALU_CYCLE_1)
	s_cmp_lg_u32 s23, 0
	s_cselect_b32 s11, s21, s11
	s_cselect_b32 s10, s20, s10
	s_cbranch_execnz .LBB192_103
.LBB192_102:                            ;   in Loop: Header=BB192_6 Depth=1
	v_cvt_f32_u32_e32 v2, s34
	s_sub_co_i32 s11, 0, s34
	s_delay_alu instid0(VALU_DEP_1) | instskip(SKIP_1) | instid1(TRANS32_DEP_1)
	v_rcp_iflag_f32_e32 v2, v2
	v_nop
	v_mul_f32_e32 v2, 0x4f7ffffe, v2
	s_delay_alu instid0(VALU_DEP_1) | instskip(NEXT) | instid1(VALU_DEP_1)
	v_cvt_u32_f32_e32 v2, v2
	v_readfirstlane_b32 s10, v2
	s_mul_i32 s11, s11, s10
	s_delay_alu instid0(SALU_CYCLE_1) | instskip(NEXT) | instid1(SALU_CYCLE_1)
	s_mul_hi_u32 s11, s10, s11
	s_add_co_i32 s10, s10, s11
	s_delay_alu instid0(SALU_CYCLE_1) | instskip(NEXT) | instid1(SALU_CYCLE_1)
	s_mul_hi_u32 s10, s56, s10
	s_mul_i32 s10, s10, s34
	s_delay_alu instid0(SALU_CYCLE_1) | instskip(NEXT) | instid1(SALU_CYCLE_1)
	s_sub_co_i32 s10, s56, s10
	s_sub_co_i32 s11, s10, s34
	s_cmp_ge_u32 s10, s34
	s_cselect_b32 s10, s11, s10
	s_delay_alu instid0(SALU_CYCLE_1) | instskip(SKIP_2) | instid1(SALU_CYCLE_1)
	s_sub_co_i32 s11, s10, s34
	s_cmp_ge_u32 s10, s34
	s_cselect_b32 s28, s11, s10
	s_mov_b64 s[10:11], s[28:29]
.LBB192_103:                            ;   in Loop: Header=BB192_6 Depth=1
	s_delay_alu instid0(SALU_CYCLE_1)
	s_sub_nc_u64 s[10:11], s[56:57], s[10:11]
	s_mov_b32 s20, exec_lo
                                        ; implicit-def: $vgpr7
	v_nop
	v_cmpx_gt_u64_e64 s[10:11], v[0:1]
	s_cbranch_execz .LBB192_113
; %bb.104:                              ;   in Loop: Header=BB192_6 Depth=1
	v_mov_b64_e32 v[4:5], v[14:15]
	v_mov_b64_e32 v[8:9], v[0:1]
	s_mov_b32 s21, 0
                                        ; implicit-def: $sgpr23
	s_branch .LBB192_108
.LBB192_105:                            ;   in Loop: Header=BB192_108 Depth=2
	s_or_b32 exec_lo, exec_lo, s28
	s_wait_dscnt 0x0
	s_barrier_signal -1
	s_barrier_wait -1
	ds_load_b64 v[6:7], v3 offset:3072
	s_wait_dscnt 0x0
	s_barrier_signal -1
	s_barrier_wait -1
	v_cmp_neq_f32_e32 vcc_lo, 0, v6
	s_cbranch_vccnz .LBB192_111
; %bb.106:                              ;   in Loop: Header=BB192_108 Depth=2
	v_add_nc_u64_e32 v[8:9], s[34:35], v[8:9]
	v_add_nc_u64_e32 v[4:5], s[40:41], v[4:5]
	s_mov_b32 s28, 0
	s_delay_alu instid0(VALU_DEP_2)
	v_cmp_le_u64_e32 vcc_lo, s[10:11], v[8:9]
	s_or_not1_b32 s46, vcc_lo, exec_lo
.LBB192_107:                            ;   in Loop: Header=BB192_108 Depth=2
	s_delay_alu instid0(SALU_CYCLE_1) | instskip(NEXT) | instid1(SALU_CYCLE_1)
	s_and_b32 s46, exec_lo, s46
	s_or_b32 s21, s46, s21
	s_and_not1_b32 s23, s23, exec_lo
	s_and_b32 s28, s28, exec_lo
	s_delay_alu instid0(SALU_CYCLE_1)
	s_or_b32 s23, s23, s28
	s_and_not1_b32 exec_lo, exec_lo, s21
	s_cbranch_execz .LBB192_112
.LBB192_108:                            ;   Parent Loop BB192_6 Depth=1
                                        ; =>  This Inner Loop Header: Depth=2
	s_mov_b32 s28, exec_lo
	s_delay_alu instid0(VALU_DEP_1)
	v_cmpx_gt_u64_e64 s[36:37], v[8:9]
	s_cbranch_execz .LBB192_105
; %bb.109:                              ;   in Loop: Header=BB192_108 Depth=2
	global_load_b32 v31, v[4:5], off
	s_wait_loadcnt 0x0
	v_cmp_lt_i32_e32 vcc_lo, -1, v31
	v_cndmask_b32_e64 v2, -1, 0x80000000, vcc_lo
	v_cmp_o_f32_e32 vcc_lo, v31, v31
	s_delay_alu instid0(VALU_DEP_2) | instskip(NEXT) | instid1(VALU_DEP_1)
	v_xor_b32_e32 v2, v2, v31
	v_cndmask_b32_e32 v2, -1, v2, vcc_lo
	s_delay_alu instid0(VALU_DEP_1) | instskip(NEXT) | instid1(VALU_DEP_1)
	v_and_b32_e32 v2, v2, v36
	v_cmp_eq_u32_e32 vcc_lo, v2, v32
	s_and_b32 exec_lo, exec_lo, vcc_lo
	s_cbranch_execz .LBB192_105
; %bb.110:                              ;   in Loop: Header=BB192_108 Depth=2
	ds_store_b64 v3, v[30:31] offset:3072
	s_branch .LBB192_105
.LBB192_111:                            ;   in Loop: Header=BB192_108 Depth=2
	s_mov_b32 s46, -1
	s_mov_b32 s28, -1
                                        ; implicit-def: $vgpr8_vgpr9
                                        ; implicit-def: $vgpr4_vgpr5
	s_branch .LBB192_107
.LBB192_112:                            ;   in Loop: Header=BB192_6 Depth=1
	s_or_b32 exec_lo, exec_lo, s21
	s_delay_alu instid0(SALU_CYCLE_1) | instskip(SKIP_1) | instid1(SALU_CYCLE_1)
	s_and_not1_b32 s10, s22, exec_lo
	s_and_b32 s11, s23, exec_lo
	s_or_b32 s22, s10, s11
.LBB192_113:                            ;   in Loop: Header=BB192_6 Depth=1
	s_or_b32 exec_lo, exec_lo, s20
	s_mov_b32 s69, 0
	s_mov_b32 s70, -1
.LBB192_114:                            ;   in Loop: Header=BB192_6 Depth=1
	s_or_not1_b32 s10, s22, exec_lo
.LBB192_115:                            ;   in Loop: Header=BB192_6 Depth=1
	s_or_b32 exec_lo, exec_lo, s27
	s_mov_b32 s71, 0
	s_mov_b32 s68, 0
	;; [unrolled: 1-line block ×3, first 2 shown]
                                        ; implicit-def: $vgpr4_vgpr5
                                        ; implicit-def: $vgpr2
	s_and_saveexec_b32 s72, s10
	s_cbranch_execz .LBB192_279
; %bb.116:                              ;   in Loop: Header=BB192_6 Depth=1
	v_mov_b64_e32 v[4:5], 1
	v_mov_b32_e32 v2, 1
	s_xor_b32 s20, s73, -1
	s_mov_b32 s11, 0
	s_and_saveexec_b32 s10, s20
	s_cbranch_execz .LBB192_125
; %bb.117:                              ;   in Loop: Header=BB192_6 Depth=1
	s_mov_b32 s11, exec_lo
	v_cmpx_ge_u64_e64 s[12:13], v[34:35]
	s_xor_b32 s11, exec_lo, s11
	s_cbranch_execz .LBB192_122
; %bb.118:                              ;   in Loop: Header=BB192_6 Depth=1
	ds_load_b64 v[4:5], v3 offset:5120
	v_and_b32_e32 v32, s25, v32
	v_or_b32_e32 v36, s24, v36
	s_wait_dscnt 0x0
	v_cmp_ne_u64_e32 vcc_lo, 0, v[4:5]
	s_cbranch_vccnz .LBB192_122
; %bb.119:                              ;   in Loop: Header=BB192_6 Depth=1
	s_and_saveexec_b32 s20, s5
; %bb.120:                              ;   in Loop: Header=BB192_6 Depth=1
	v_mov_b64_e32 v[4:5], s[12:13]
	ds_store_b64 v3, v[4:5] offset:5128
; %bb.121:                              ;   in Loop: Header=BB192_6 Depth=1
	s_or_b32 exec_lo, exec_lo, s20
	s_wait_dscnt 0x0
	s_barrier_signal -1
	s_barrier_wait -1
.LBB192_122:                            ;   in Loop: Header=BB192_6 Depth=1
	s_or_saveexec_b32 s11, s11
	v_mov_b64_e32 v[4:5], v[34:35]
	v_mov_b32_e32 v2, 8
	s_mov_b32 s20, 0
	s_xor_b32 exec_lo, exec_lo, s11
; %bb.123:                              ;   in Loop: Header=BB192_6 Depth=1
	v_sub_nc_u64_e64 v[4:5], v[34:35], s[12:13]
	v_mov_b32_e32 v2, 0
	s_mov_b32 s20, exec_lo
; %bb.124:                              ;   in Loop: Header=BB192_6 Depth=1
	s_or_b32 exec_lo, exec_lo, s11
	s_delay_alu instid0(SALU_CYCLE_1)
	s_and_b32 s11, s20, exec_lo
.LBB192_125:                            ;   in Loop: Header=BB192_6 Depth=1
	s_or_b32 exec_lo, exec_lo, s10
	s_mov_b32 s10, -1
                                        ; implicit-def: $sgpr68
                                        ; implicit-def: $sgpr73
	s_and_saveexec_b32 s20, s11
	s_delay_alu instid0(SALU_CYCLE_1)
	s_xor_b32 s27, exec_lo, s20
	s_cbranch_execz .LBB192_276
; %bb.126:                              ;   in Loop: Header=BB192_6 Depth=1
	v_cmp_eq_u64_e32 vcc_lo, 1, v[4:5]
	s_cmp_eq_u64 s[14:15], 1
                                        ; implicit-def: $sgpr73
                                        ; implicit-def: $sgpr68
	s_cselect_b32 s10, -1, 0
	s_delay_alu instid0(SALU_CYCLE_1)
	s_and_b32 s75, s10, vcc_lo
	s_mov_b32 s10, -1
	s_and_saveexec_b32 s74, s75
	s_cbranch_execz .LBB192_162
; %bb.127:                              ;   in Loop: Header=BB192_6 Depth=1
	ds_load_b64 v[6:7], v3 offset:5120
	s_wait_dscnt 0x0
	s_barrier_signal -1
	s_barrier_wait -1
	v_readfirstlane_b32 s10, v6
	v_readfirstlane_b32 s11, v7
	s_and_saveexec_b32 s20, s6
; %bb.128:                              ;   in Loop: Header=BB192_6 Depth=1
	ds_store_b32 v43, v3
; %bb.129:                              ;   in Loop: Header=BB192_6 Depth=1
	s_or_b32 exec_lo, exec_lo, s20
	s_lshl_b32 s20, 1, s91
	v_or_b32_e32 v36, s24, v36
	v_and_or_b32 v32, v32, s25, s20
	s_mov_b32 s68, -1
	s_mov_b32 s73, 0
	s_cmp_eq_u64 s[10:11], 0
	s_mov_b32 s22, 0
	s_mov_b32 s23, -1
	s_wait_dscnt 0x0
	s_barrier_signal -1
	s_barrier_wait -1
                                        ; implicit-def: $vgpr7
	s_cbranch_scc1 .LBB192_146
; %bb.130:                              ;   in Loop: Header=BB192_6 Depth=1
	s_add_nc_u64 s[20:21], s[10:11], s[54:55]
	s_delay_alu instid0(SALU_CYCLE_1) | instskip(NEXT) | instid1(SALU_CYCLE_1)
	s_and_b64 s[22:23], s[20:21], 0xffffffff00000000
	s_cmp_lg_u64 s[22:23], 0
	s_cbranch_scc0 .LBB192_189
; %bb.131:                              ;   in Loop: Header=BB192_6 Depth=1
	s_cvt_f32_u32 s22, s34
	s_sub_nc_u64 s[46:47], 0, s[34:35]
	s_delay_alu instid0(SALU_CYCLE_2) | instskip(NEXT) | instid1(SALU_CYCLE_3)
	s_fmamk_f32 s22, s90, 0x0, s22
	v_s_rcp_f32 s22, s22
	s_delay_alu instid0(TRANS32_DEP_1) | instskip(NEXT) | instid1(SALU_CYCLE_3)
	s_mul_f32 s22, s22, 0x5f7ffffc
	s_mul_f32 s23, s22, 0x2f800000
	s_delay_alu instid0(SALU_CYCLE_3) | instskip(NEXT) | instid1(SALU_CYCLE_3)
	s_trunc_f32 s23, s23
	s_fmamk_f32 s22, s23, 0xcf800000, s22
	s_cvt_u32_f32 s23, s23
	s_delay_alu instid0(SALU_CYCLE_2) | instskip(NEXT) | instid1(SALU_CYCLE_3)
	s_cvt_u32_f32 s22, s22
	s_mul_u64 s[76:77], s[46:47], s[22:23]
	s_delay_alu instid0(SALU_CYCLE_1)
	s_mul_hi_u32 s79, s22, s77
	s_mul_i32 s78, s22, s77
	s_mul_hi_u32 s28, s22, s76
	s_mul_i32 s49, s23, s76
	s_add_nc_u64 s[78:79], s[28:29], s[78:79]
	s_mul_hi_u32 s48, s23, s76
	s_mul_hi_u32 s50, s23, s77
	s_add_co_u32 s28, s78, s49
	s_add_co_ci_u32 s28, s79, s48
	s_mul_i32 s76, s23, s77
	s_add_co_ci_u32 s77, s50, 0
	s_delay_alu instid0(SALU_CYCLE_1) | instskip(NEXT) | instid1(SALU_CYCLE_1)
	s_add_nc_u64 s[76:77], s[28:29], s[76:77]
	s_add_co_u32 s22, s22, s76
	s_cselect_b32 s28, -1, 0
	s_delay_alu instid0(SALU_CYCLE_1) | instskip(SKIP_1) | instid1(SALU_CYCLE_1)
	s_cmp_lg_u32 s28, 0
	s_add_co_ci_u32 s23, s23, s77
	s_mul_u64 s[46:47], s[46:47], s[22:23]
	s_delay_alu instid0(SALU_CYCLE_1)
	s_mul_hi_u32 s77, s22, s47
	s_mul_i32 s76, s22, s47
	s_mul_hi_u32 s28, s22, s46
	s_mul_i32 s49, s23, s46
	s_add_nc_u64 s[76:77], s[28:29], s[76:77]
	s_mul_hi_u32 s48, s23, s46
	s_mul_hi_u32 s50, s23, s47
	s_add_co_u32 s28, s76, s49
	s_add_co_ci_u32 s28, s77, s48
	s_mul_i32 s46, s23, s47
	s_add_co_ci_u32 s47, s50, 0
	s_delay_alu instid0(SALU_CYCLE_1) | instskip(NEXT) | instid1(SALU_CYCLE_1)
	s_add_nc_u64 s[46:47], s[28:29], s[46:47]
	s_add_co_u32 s22, s22, s46
	s_cselect_b32 s46, -1, 0
	s_mul_hi_u32 s28, s20, s22
	s_cmp_lg_u32 s46, 0
	s_mul_hi_u32 s48, s21, s22
	s_add_co_ci_u32 s46, s23, s47
	s_mul_i32 s47, s21, s22
	s_mul_hi_u32 s23, s20, s46
	s_mul_i32 s22, s20, s46
	s_mul_hi_u32 s49, s21, s46
	s_add_nc_u64 s[22:23], s[28:29], s[22:23]
	s_mul_i32 s46, s21, s46
	s_add_co_u32 s22, s22, s47
	s_add_co_ci_u32 s28, s23, s48
	s_add_co_ci_u32 s47, s49, 0
	s_delay_alu instid0(SALU_CYCLE_1) | instskip(NEXT) | instid1(SALU_CYCLE_1)
	s_add_nc_u64 s[22:23], s[28:29], s[46:47]
	s_and_b64 s[46:47], s[22:23], 0xffffffff00000000
	s_delay_alu instid0(SALU_CYCLE_1) | instskip(NEXT) | instid1(SALU_CYCLE_1)
	s_or_b32 s46, s46, s22
	s_mul_u64 s[22:23], s[34:35], s[46:47]
	s_delay_alu instid0(SALU_CYCLE_1) | instskip(SKIP_1) | instid1(SALU_CYCLE_1)
	s_sub_co_u32 s22, s20, s22
	s_cselect_b32 s28, -1, 0
	s_cmp_lg_u32 s28, 0
	s_sub_co_ci_u32 s23, s21, s23
	s_sub_co_u32 s28, s22, s34
	s_cselect_b32 s46, -1, 0
	s_delay_alu instid0(SALU_CYCLE_1) | instskip(SKIP_3) | instid1(SALU_CYCLE_1)
	s_cmp_lg_u32 s46, 0
	s_sub_co_ci_u32 s46, s23, 0
	s_sub_co_u32 s47, s28, s34
	s_cselect_b32 s48, -1, 0
	s_cmp_lg_u32 s48, 0
	s_sub_co_ci_u32 s48, s46, 0
	s_cmp_ge_u32 s28, s34
	s_cselect_b32 s49, -1, 0
	s_cmp_eq_u32 s46, 0
	s_cselect_b32 s49, s49, -1
	s_delay_alu instid0(SALU_CYCLE_1)
	s_cmp_lg_u32 s49, 0
	s_cselect_b32 s46, s48, s46
	s_cselect_b32 s28, s47, s28
	s_cmp_ge_u32 s22, s34
	s_cselect_b32 s47, -1, 0
	s_cmp_eq_u32 s23, 0
	s_cselect_b32 s47, s47, -1
	s_delay_alu instid0(SALU_CYCLE_1)
	s_cmp_lg_u32 s47, 0
	s_cselect_b32 s23, s46, s23
	s_cselect_b32 s22, s28, s22
	s_cbranch_execnz .LBB192_133
.LBB192_132:                            ;   in Loop: Header=BB192_6 Depth=1
	v_cvt_f32_u32_e32 v6, s34
	s_sub_co_i32 s23, 0, s34
	s_delay_alu instid0(VALU_DEP_1) | instskip(SKIP_1) | instid1(TRANS32_DEP_1)
	v_rcp_iflag_f32_e32 v6, v6
	v_nop
	v_mul_f32_e32 v6, 0x4f7ffffe, v6
	s_delay_alu instid0(VALU_DEP_1) | instskip(NEXT) | instid1(VALU_DEP_1)
	v_cvt_u32_f32_e32 v6, v6
	v_readfirstlane_b32 s22, v6
	s_mul_i32 s23, s23, s22
	s_delay_alu instid0(SALU_CYCLE_1) | instskip(NEXT) | instid1(SALU_CYCLE_1)
	s_mul_hi_u32 s23, s22, s23
	s_add_co_i32 s22, s22, s23
	s_delay_alu instid0(SALU_CYCLE_1) | instskip(NEXT) | instid1(SALU_CYCLE_1)
	s_mul_hi_u32 s22, s20, s22
	s_mul_i32 s22, s22, s34
	s_delay_alu instid0(SALU_CYCLE_1) | instskip(NEXT) | instid1(SALU_CYCLE_1)
	s_sub_co_i32 s22, s20, s22
	s_sub_co_i32 s23, s22, s34
	s_cmp_ge_u32 s22, s34
	s_cselect_b32 s22, s23, s22
	s_delay_alu instid0(SALU_CYCLE_1) | instskip(SKIP_2) | instid1(SALU_CYCLE_1)
	s_sub_co_i32 s23, s22, s34
	s_cmp_ge_u32 s22, s34
	s_cselect_b32 s28, s23, s22
	s_mov_b64 s[22:23], s[28:29]
.LBB192_133:                            ;   in Loop: Header=BB192_6 Depth=1
	s_delay_alu instid0(SALU_CYCLE_1)
	s_sub_nc_u64 s[20:21], s[20:21], s[22:23]
	s_mov_b32 s23, 0
	s_mov_b32 s22, 0
	s_mov_b32 s28, exec_lo
                                        ; implicit-def: $vgpr7
	v_cmpx_gt_u64_e64 s[20:21], v[0:1]
	s_cbranch_execz .LBB192_145
; %bb.134:                              ;   in Loop: Header=BB192_6 Depth=1
	v_mov_b64_e32 v[8:9], v[0:1]
	v_mov_b32_e32 v10, v16
                                        ; implicit-def: $sgpr46
	s_branch .LBB192_138
.LBB192_135:                            ;   in Loop: Header=BB192_138 Depth=2
	s_or_b32 exec_lo, exec_lo, s47
	s_wait_dscnt 0x0
	s_barrier_signal -1
	s_barrier_wait -1
	ds_load_b64 v[6:7], v3 offset:3072
	s_wait_dscnt 0x0
	s_barrier_signal -1
	s_barrier_wait -1
	v_cmp_neq_f32_e32 vcc_lo, 0, v6
	s_cbranch_vccnz .LBB192_141
; %bb.136:                              ;   in Loop: Header=BB192_138 Depth=2
	v_add_nc_u64_e32 v[8:9], s[34:35], v[8:9]
	v_add_nc_u32_e32 v10, s89, v10
	s_mov_b32 s47, 0
	s_delay_alu instid0(VALU_DEP_2)
	v_cmp_le_u64_e32 vcc_lo, s[20:21], v[8:9]
	s_or_not1_b32 s76, vcc_lo, exec_lo
.LBB192_137:                            ;   in Loop: Header=BB192_138 Depth=2
	s_delay_alu instid0(SALU_CYCLE_1) | instskip(NEXT) | instid1(SALU_CYCLE_1)
	s_and_b32 s48, exec_lo, s76
	s_or_b32 s22, s48, s22
	s_and_not1_b32 s46, s46, exec_lo
	s_and_b32 s47, s47, exec_lo
	s_delay_alu instid0(SALU_CYCLE_1)
	s_or_b32 s46, s46, s47
	s_and_not1_b32 exec_lo, exec_lo, s22
	s_cbranch_execz .LBB192_144
.LBB192_138:                            ;   Parent Loop BB192_6 Depth=1
                                        ; =>  This Inner Loop Header: Depth=2
	s_mov_b32 s47, exec_lo
	s_delay_alu instid0(VALU_DEP_2)
	v_cmpx_gt_u64_e64 s[10:11], v[8:9]
	s_cbranch_execz .LBB192_135
; %bb.139:                              ;   in Loop: Header=BB192_138 Depth=2
	ds_load_b32 v31, v10
	s_wait_dscnt 0x0
	v_cmp_lt_i32_e32 vcc_lo, -1, v31
	v_cndmask_b32_e64 v6, -1, 0x80000000, vcc_lo
	v_cmp_o_f32_e32 vcc_lo, v31, v31
	s_delay_alu instid0(VALU_DEP_2) | instskip(NEXT) | instid1(VALU_DEP_1)
	v_xor_b32_e32 v6, v6, v31
	v_cndmask_b32_e32 v6, -1, v6, vcc_lo
	s_delay_alu instid0(VALU_DEP_1) | instskip(NEXT) | instid1(VALU_DEP_1)
	v_and_b32_e32 v6, v6, v36
	v_cmp_eq_u32_e32 vcc_lo, v6, v32
	s_and_b32 exec_lo, exec_lo, vcc_lo
	s_cbranch_execz .LBB192_135
; %bb.140:                              ;   in Loop: Header=BB192_138 Depth=2
	ds_store_b64 v3, v[30:31] offset:3072
	s_branch .LBB192_135
.LBB192_141:                            ;   in Loop: Header=BB192_138 Depth=2
	s_mov_b32 s76, -1
	s_mov_b32 s47, -1
                                        ; implicit-def: $vgpr8_vgpr9
                                        ; implicit-def: $vgpr10
	s_branch .LBB192_137
.LBB192_142:                            ;   in Loop: Header=BB192_6 Depth=1
                                        ; implicit-def: $sgpr22_sgpr23
	s_branch .LBB192_84
.LBB192_143:                            ;   in Loop: Header=BB192_6 Depth=1
                                        ; implicit-def: $sgpr10_sgpr11
	s_branch .LBB192_102
.LBB192_144:                            ;   in Loop: Header=BB192_6 Depth=1
	s_or_b32 exec_lo, exec_lo, s22
	s_delay_alu instid0(SALU_CYCLE_1)
	s_and_b32 s22, s46, exec_lo
.LBB192_145:                            ;   in Loop: Header=BB192_6 Depth=1
	s_or_b32 exec_lo, exec_lo, s28
.LBB192_146:                            ;   in Loop: Header=BB192_6 Depth=1
	s_delay_alu instid0(SALU_CYCLE_1)
	s_and_b32 vcc_lo, exec_lo, s23
	s_cbranch_vccz .LBB192_161
; %bb.147:                              ;   in Loop: Header=BB192_6 Depth=1
	s_and_b64 s[10:11], s[56:57], 0xffffffff00000000
	s_delay_alu instid0(SALU_CYCLE_1)
	s_cmp_lg_u64 s[10:11], 0
	s_cbranch_scc0 .LBB192_190
; %bb.148:                              ;   in Loop: Header=BB192_6 Depth=1
	s_cvt_f32_u32 s10, s34
	s_sub_nc_u64 s[20:21], 0, s[34:35]
	s_delay_alu instid0(SALU_CYCLE_2) | instskip(NEXT) | instid1(SALU_CYCLE_3)
	s_fmamk_f32 s10, s90, 0x0, s10
	v_s_rcp_f32 s10, s10
	s_delay_alu instid0(TRANS32_DEP_1) | instskip(NEXT) | instid1(SALU_CYCLE_3)
	s_mul_f32 s10, s10, 0x5f7ffffc
	s_mul_f32 s11, s10, 0x2f800000
	s_delay_alu instid0(SALU_CYCLE_3) | instskip(NEXT) | instid1(SALU_CYCLE_3)
	s_trunc_f32 s11, s11
	s_fmamk_f32 s10, s11, 0xcf800000, s10
	s_cvt_u32_f32 s11, s11
	s_delay_alu instid0(SALU_CYCLE_2) | instskip(NEXT) | instid1(SALU_CYCLE_3)
	s_cvt_u32_f32 s10, s10
	s_mul_u64 s[46:47], s[20:21], s[10:11]
	s_delay_alu instid0(SALU_CYCLE_1)
	s_mul_hi_u32 s77, s10, s47
	s_mul_i32 s76, s10, s47
	s_mul_hi_u32 s28, s10, s46
	s_mul_i32 s48, s11, s46
	s_add_nc_u64 s[76:77], s[28:29], s[76:77]
	s_mul_hi_u32 s23, s11, s46
	s_mul_hi_u32 s49, s11, s47
	s_add_co_u32 s28, s76, s48
	s_add_co_ci_u32 s28, s77, s23
	s_mul_i32 s46, s11, s47
	s_add_co_ci_u32 s47, s49, 0
	s_delay_alu instid0(SALU_CYCLE_1) | instskip(NEXT) | instid1(SALU_CYCLE_1)
	s_add_nc_u64 s[46:47], s[28:29], s[46:47]
	s_add_co_u32 s10, s10, s46
	s_cselect_b32 s23, -1, 0
	s_delay_alu instid0(SALU_CYCLE_1) | instskip(SKIP_1) | instid1(SALU_CYCLE_1)
	s_cmp_lg_u32 s23, 0
	s_add_co_ci_u32 s11, s11, s47
	s_mul_u64 s[20:21], s[20:21], s[10:11]
	s_delay_alu instid0(SALU_CYCLE_1)
	s_mul_hi_u32 s47, s10, s21
	s_mul_i32 s46, s10, s21
	s_mul_hi_u32 s28, s10, s20
	s_mul_i32 s48, s11, s20
	s_add_nc_u64 s[46:47], s[28:29], s[46:47]
	s_mul_hi_u32 s23, s11, s20
	s_mul_hi_u32 s49, s11, s21
	s_mul_i32 s20, s11, s21
	s_add_co_u32 s21, s46, s48
	s_add_co_ci_u32 s28, s47, s23
	s_add_co_ci_u32 s21, s49, 0
	s_delay_alu instid0(SALU_CYCLE_1) | instskip(NEXT) | instid1(SALU_CYCLE_1)
	s_add_nc_u64 s[20:21], s[28:29], s[20:21]
	s_add_co_u32 s10, s10, s20
	s_cselect_b32 s20, -1, 0
	s_mul_hi_u32 s28, s56, s10
	s_cmp_lg_u32 s20, 0
	s_mul_hi_u32 s23, s57, s10
	s_add_co_ci_u32 s20, s11, s21
	s_mul_i32 s21, s57, s10
	s_mul_hi_u32 s11, s56, s20
	s_mul_i32 s10, s56, s20
	s_mul_hi_u32 s46, s57, s20
	s_add_nc_u64 s[10:11], s[28:29], s[10:11]
	s_mul_i32 s20, s57, s20
	s_add_co_u32 s10, s10, s21
	s_add_co_ci_u32 s28, s11, s23
	s_add_co_ci_u32 s21, s46, 0
	s_delay_alu instid0(SALU_CYCLE_1) | instskip(NEXT) | instid1(SALU_CYCLE_1)
	s_add_nc_u64 s[10:11], s[28:29], s[20:21]
	s_and_b64 s[20:21], s[10:11], 0xffffffff00000000
	s_delay_alu instid0(SALU_CYCLE_1) | instskip(NEXT) | instid1(SALU_CYCLE_1)
	s_or_b32 s20, s20, s10
	s_mul_u64 s[10:11], s[34:35], s[20:21]
	s_delay_alu instid0(SALU_CYCLE_1) | instskip(SKIP_1) | instid1(SALU_CYCLE_1)
	s_sub_co_u32 s10, s56, s10
	s_cselect_b32 s20, -1, 0
	s_cmp_lg_u32 s20, 0
	s_sub_co_ci_u32 s11, s57, s11
	s_sub_co_u32 s20, s10, s34
	s_cselect_b32 s21, -1, 0
	s_delay_alu instid0(SALU_CYCLE_1) | instskip(SKIP_3) | instid1(SALU_CYCLE_1)
	s_cmp_lg_u32 s21, 0
	s_sub_co_ci_u32 s21, s11, 0
	s_sub_co_u32 s23, s20, s34
	s_cselect_b32 s28, -1, 0
	s_cmp_lg_u32 s28, 0
	s_sub_co_ci_u32 s28, s21, 0
	s_cmp_ge_u32 s20, s34
	s_cselect_b32 s46, -1, 0
	s_cmp_eq_u32 s21, 0
	s_cselect_b32 s46, s46, -1
	s_delay_alu instid0(SALU_CYCLE_1)
	s_cmp_lg_u32 s46, 0
	s_cselect_b32 s21, s28, s21
	s_cselect_b32 s20, s23, s20
	s_cmp_ge_u32 s10, s34
	s_cselect_b32 s23, -1, 0
	s_cmp_eq_u32 s11, 0
	s_cselect_b32 s23, s23, -1
	s_delay_alu instid0(SALU_CYCLE_1)
	s_cmp_lg_u32 s23, 0
	s_cselect_b32 s11, s21, s11
	s_cselect_b32 s10, s20, s10
	s_cbranch_execnz .LBB192_150
.LBB192_149:                            ;   in Loop: Header=BB192_6 Depth=1
	v_cvt_f32_u32_e32 v6, s34
	s_sub_co_i32 s11, 0, s34
	s_delay_alu instid0(VALU_DEP_1) | instskip(SKIP_1) | instid1(TRANS32_DEP_1)
	v_rcp_iflag_f32_e32 v6, v6
	v_nop
	v_mul_f32_e32 v6, 0x4f7ffffe, v6
	s_delay_alu instid0(VALU_DEP_1) | instskip(NEXT) | instid1(VALU_DEP_1)
	v_cvt_u32_f32_e32 v6, v6
	v_readfirstlane_b32 s10, v6
	s_mul_i32 s11, s11, s10
	s_delay_alu instid0(SALU_CYCLE_1) | instskip(NEXT) | instid1(SALU_CYCLE_1)
	s_mul_hi_u32 s11, s10, s11
	s_add_co_i32 s10, s10, s11
	s_delay_alu instid0(SALU_CYCLE_1) | instskip(NEXT) | instid1(SALU_CYCLE_1)
	s_mul_hi_u32 s10, s56, s10
	s_mul_i32 s10, s10, s34
	s_delay_alu instid0(SALU_CYCLE_1) | instskip(NEXT) | instid1(SALU_CYCLE_1)
	s_sub_co_i32 s10, s56, s10
	s_sub_co_i32 s11, s10, s34
	s_cmp_ge_u32 s10, s34
	s_cselect_b32 s10, s11, s10
	s_delay_alu instid0(SALU_CYCLE_1) | instskip(SKIP_2) | instid1(SALU_CYCLE_1)
	s_sub_co_i32 s11, s10, s34
	s_cmp_ge_u32 s10, s34
	s_cselect_b32 s28, s11, s10
	s_mov_b64 s[10:11], s[28:29]
.LBB192_150:                            ;   in Loop: Header=BB192_6 Depth=1
	s_delay_alu instid0(SALU_CYCLE_1)
	s_sub_nc_u64 s[10:11], s[56:57], s[10:11]
	s_mov_b32 s20, exec_lo
                                        ; implicit-def: $vgpr7
	v_nop
	v_cmpx_gt_u64_e64 s[10:11], v[0:1]
	s_cbranch_execz .LBB192_160
; %bb.151:                              ;   in Loop: Header=BB192_6 Depth=1
	v_mov_b64_e32 v[8:9], v[14:15]
	v_mov_b64_e32 v[10:11], v[0:1]
	s_mov_b32 s21, 0
                                        ; implicit-def: $sgpr23
	s_branch .LBB192_155
.LBB192_152:                            ;   in Loop: Header=BB192_155 Depth=2
	s_or_b32 exec_lo, exec_lo, s28
	s_wait_dscnt 0x0
	s_barrier_signal -1
	s_barrier_wait -1
	ds_load_b64 v[6:7], v3 offset:3072
	s_wait_dscnt 0x0
	s_barrier_signal -1
	s_barrier_wait -1
	v_cmp_eq_f32_e32 vcc_lo, 0, v6
	s_cbranch_vccz .LBB192_158
; %bb.153:                              ;   in Loop: Header=BB192_155 Depth=2
	v_add_nc_u64_e32 v[10:11], s[34:35], v[10:11]
	v_add_nc_u64_e32 v[8:9], s[40:41], v[8:9]
	s_mov_b32 s28, 0
	s_delay_alu instid0(VALU_DEP_2)
	v_cmp_le_u64_e32 vcc_lo, s[10:11], v[10:11]
	s_or_not1_b32 s46, vcc_lo, exec_lo
.LBB192_154:                            ;   in Loop: Header=BB192_155 Depth=2
	s_delay_alu instid0(SALU_CYCLE_1) | instskip(NEXT) | instid1(SALU_CYCLE_1)
	s_and_b32 s46, exec_lo, s46
	s_or_b32 s21, s46, s21
	s_and_not1_b32 s23, s23, exec_lo
	s_and_b32 s28, s28, exec_lo
	s_delay_alu instid0(SALU_CYCLE_1)
	s_or_b32 s23, s23, s28
	s_and_not1_b32 exec_lo, exec_lo, s21
	s_cbranch_execz .LBB192_159
.LBB192_155:                            ;   Parent Loop BB192_6 Depth=1
                                        ; =>  This Inner Loop Header: Depth=2
	s_mov_b32 s28, exec_lo
	s_delay_alu instid0(VALU_DEP_1)
	v_cmpx_gt_u64_e64 s[36:37], v[10:11]
	s_cbranch_execz .LBB192_152
; %bb.156:                              ;   in Loop: Header=BB192_155 Depth=2
	global_load_b32 v31, v[8:9], off
	s_wait_loadcnt 0x0
	v_cmp_lt_i32_e32 vcc_lo, -1, v31
	v_cndmask_b32_e64 v6, -1, 0x80000000, vcc_lo
	v_cmp_o_f32_e32 vcc_lo, v31, v31
	s_delay_alu instid0(VALU_DEP_2) | instskip(NEXT) | instid1(VALU_DEP_1)
	v_xor_b32_e32 v6, v6, v31
	v_cndmask_b32_e32 v6, -1, v6, vcc_lo
	s_delay_alu instid0(VALU_DEP_1) | instskip(NEXT) | instid1(VALU_DEP_1)
	v_and_b32_e32 v6, v6, v36
	v_cmp_eq_u32_e32 vcc_lo, v6, v32
	s_and_b32 exec_lo, exec_lo, vcc_lo
	s_cbranch_execz .LBB192_152
; %bb.157:                              ;   in Loop: Header=BB192_155 Depth=2
	ds_store_b64 v3, v[30:31] offset:3072
	s_branch .LBB192_152
.LBB192_158:                            ;   in Loop: Header=BB192_155 Depth=2
	s_mov_b32 s46, -1
	s_mov_b32 s28, -1
                                        ; implicit-def: $vgpr10_vgpr11
                                        ; implicit-def: $vgpr8_vgpr9
	s_branch .LBB192_154
.LBB192_159:                            ;   in Loop: Header=BB192_6 Depth=1
	s_or_b32 exec_lo, exec_lo, s21
	s_delay_alu instid0(SALU_CYCLE_1) | instskip(SKIP_1) | instid1(SALU_CYCLE_1)
	s_and_not1_b32 s10, s22, exec_lo
	s_and_b32 s11, s23, exec_lo
	s_or_b32 s22, s10, s11
.LBB192_160:                            ;   in Loop: Header=BB192_6 Depth=1
	s_or_b32 exec_lo, exec_lo, s20
	s_mov_b32 s68, 0
	s_mov_b32 s73, -1
.LBB192_161:                            ;   in Loop: Header=BB192_6 Depth=1
	s_or_not1_b32 s10, s22, exec_lo
.LBB192_162:                            ;   in Loop: Header=BB192_6 Depth=1
	s_or_b32 exec_lo, exec_lo, s74
	s_mov_b32 s11, 0
	s_and_saveexec_b32 s74, s10
	s_cbranch_execz .LBB192_275
; %bb.163:                              ;   in Loop: Header=BB192_6 Depth=1
	v_mov_b64_e32 v[8:9], 1
	v_mov_b32_e32 v2, 1
	s_xor_b32 s20, s75, -1
	s_delay_alu instid0(SALU_CYCLE_1)
	s_and_saveexec_b32 s10, s20
	s_cbranch_execz .LBB192_172
; %bb.164:                              ;   in Loop: Header=BB192_6 Depth=1
	s_mov_b32 s11, exec_lo
	v_cmpx_ge_u64_e64 s[14:15], v[4:5]
	s_xor_b32 s11, exec_lo, s11
	s_cbranch_execz .LBB192_169
; %bb.165:                              ;   in Loop: Header=BB192_6 Depth=1
	ds_load_b64 v[8:9], v3 offset:5120
	s_lshl_b32 s20, 1, s91
	v_or_b32_e32 v36, s24, v36
	v_and_or_b32 v32, v32, s25, s20
	s_wait_dscnt 0x0
	v_cmp_ne_u64_e32 vcc_lo, 0, v[8:9]
	s_cbranch_vccnz .LBB192_169
; %bb.166:                              ;   in Loop: Header=BB192_6 Depth=1
	s_and_saveexec_b32 s20, s5
; %bb.167:                              ;   in Loop: Header=BB192_6 Depth=1
	v_mov_b64_e32 v[8:9], s[14:15]
	ds_store_b64 v3, v[8:9] offset:5128
; %bb.168:                              ;   in Loop: Header=BB192_6 Depth=1
	s_or_b32 exec_lo, exec_lo, s20
	s_wait_dscnt 0x0
	s_barrier_signal -1
	s_barrier_wait -1
.LBB192_169:                            ;   in Loop: Header=BB192_6 Depth=1
	s_or_saveexec_b32 s11, s11
	v_mov_b32_e32 v2, 8
	s_mov_b32 s20, 0
	s_xor_b32 exec_lo, exec_lo, s11
; %bb.170:                              ;   in Loop: Header=BB192_6 Depth=1
	v_sub_nc_u64_e64 v[4:5], v[4:5], s[14:15]
	v_mov_b32_e32 v2, 0
	s_mov_b32 s20, exec_lo
; %bb.171:                              ;   in Loop: Header=BB192_6 Depth=1
	s_or_b32 exec_lo, exec_lo, s11
	s_delay_alu instid0(VALU_DEP_2)
	v_mov_b64_e32 v[8:9], v[4:5]
	s_and_b32 s11, s20, exec_lo
.LBB192_172:                            ;   in Loop: Header=BB192_6 Depth=1
	s_or_b32 exec_lo, exec_lo, s10
	s_mov_b32 s10, -1
                                        ; implicit-def: $sgpr76
                                        ; implicit-def: $sgpr77
	s_and_saveexec_b32 s75, s11
	s_cbranch_execz .LBB192_274
; %bb.173:                              ;   in Loop: Header=BB192_6 Depth=1
	s_delay_alu instid0(VALU_DEP_1) | instskip(SKIP_2) | instid1(SALU_CYCLE_1)
	v_cmp_eq_u64_e32 vcc_lo, 1, v[8:9]
	s_cmp_eq_u64 s[16:17], 1
                                        ; implicit-def: $sgpr77
                                        ; implicit-def: $sgpr76
	s_cselect_b32 s10, -1, 0
	s_and_b32 s79, s10, vcc_lo
	s_mov_b32 s10, -1
	s_and_saveexec_b32 s78, s79
	s_cbranch_execz .LBB192_209
; %bb.174:                              ;   in Loop: Header=BB192_6 Depth=1
	ds_load_b64 v[4:5], v3 offset:5120
	s_wait_dscnt 0x0
	s_barrier_signal -1
	s_barrier_wait -1
	v_readfirstlane_b32 s10, v4
	v_readfirstlane_b32 s11, v5
	s_and_saveexec_b32 s20, s6
; %bb.175:                              ;   in Loop: Header=BB192_6 Depth=1
	ds_store_b32 v43, v3
; %bb.176:                              ;   in Loop: Header=BB192_6 Depth=1
	s_or_b32 exec_lo, exec_lo, s20
	s_lshl_b32 s20, 2, s91
	v_or_b32_e32 v36, s24, v36
	v_and_or_b32 v32, v32, s25, s20
	s_mov_b32 s76, -1
	s_mov_b32 s77, 0
	s_cmp_eq_u64 s[10:11], 0
	s_mov_b32 s22, 0
	s_mov_b32 s23, -1
	s_wait_dscnt 0x0
	s_barrier_signal -1
	s_barrier_wait -1
                                        ; implicit-def: $vgpr7
	s_cbranch_scc1 .LBB192_193
; %bb.177:                              ;   in Loop: Header=BB192_6 Depth=1
	s_add_nc_u64 s[20:21], s[10:11], s[54:55]
	s_delay_alu instid0(SALU_CYCLE_1) | instskip(NEXT) | instid1(SALU_CYCLE_1)
	s_and_b64 s[22:23], s[20:21], 0xffffffff00000000
	s_cmp_lg_u64 s[22:23], 0
	s_cbranch_scc0 .LBB192_226
; %bb.178:                              ;   in Loop: Header=BB192_6 Depth=1
	s_cvt_f32_u32 s22, s34
	s_sub_nc_u64 s[46:47], 0, s[34:35]
	s_delay_alu instid0(SALU_CYCLE_2) | instskip(NEXT) | instid1(SALU_CYCLE_3)
	s_fmamk_f32 s22, s90, 0x0, s22
	v_s_rcp_f32 s22, s22
	s_delay_alu instid0(TRANS32_DEP_1) | instskip(NEXT) | instid1(SALU_CYCLE_3)
	s_mul_f32 s22, s22, 0x5f7ffffc
	s_mul_f32 s23, s22, 0x2f800000
	s_delay_alu instid0(SALU_CYCLE_3) | instskip(NEXT) | instid1(SALU_CYCLE_3)
	s_trunc_f32 s23, s23
	s_fmamk_f32 s22, s23, 0xcf800000, s22
	s_cvt_u32_f32 s23, s23
	s_delay_alu instid0(SALU_CYCLE_2) | instskip(NEXT) | instid1(SALU_CYCLE_3)
	s_cvt_u32_f32 s22, s22
	s_mul_u64 s[80:81], s[46:47], s[22:23]
	s_delay_alu instid0(SALU_CYCLE_1)
	s_mul_hi_u32 vcc_hi, s22, s81
	s_mul_i32 vcc_lo, s22, s81
	s_mul_hi_u32 s28, s22, s80
	s_mul_i32 s49, s23, s80
	s_add_nc_u64 vcc, s[28:29], vcc
	s_mul_hi_u32 s48, s23, s80
	s_mul_hi_u32 s50, s23, s81
	s_add_co_u32 s28, vcc_lo, s49
	s_add_co_ci_u32 s28, vcc_hi, s48
	s_mul_i32 s80, s23, s81
	s_add_co_ci_u32 s81, s50, 0
	s_delay_alu instid0(SALU_CYCLE_1) | instskip(NEXT) | instid1(SALU_CYCLE_1)
	s_add_nc_u64 s[80:81], s[28:29], s[80:81]
	s_add_co_u32 s22, s22, s80
	s_cselect_b32 s28, -1, 0
	s_delay_alu instid0(SALU_CYCLE_1) | instskip(SKIP_1) | instid1(SALU_CYCLE_1)
	s_cmp_lg_u32 s28, 0
	s_add_co_ci_u32 s23, s23, s81
	s_mul_u64 s[46:47], s[46:47], s[22:23]
	s_delay_alu instid0(SALU_CYCLE_1)
	s_mul_hi_u32 s81, s22, s47
	s_mul_i32 s80, s22, s47
	s_mul_hi_u32 s28, s22, s46
	s_mul_i32 s49, s23, s46
	s_add_nc_u64 s[80:81], s[28:29], s[80:81]
	s_mul_hi_u32 s48, s23, s46
	s_mul_hi_u32 s50, s23, s47
	s_add_co_u32 s28, s80, s49
	s_add_co_ci_u32 s28, s81, s48
	s_mul_i32 s46, s23, s47
	s_add_co_ci_u32 s47, s50, 0
	s_delay_alu instid0(SALU_CYCLE_1) | instskip(NEXT) | instid1(SALU_CYCLE_1)
	s_add_nc_u64 s[46:47], s[28:29], s[46:47]
	s_add_co_u32 s22, s22, s46
	s_cselect_b32 s46, -1, 0
	s_mul_hi_u32 s28, s20, s22
	s_cmp_lg_u32 s46, 0
	s_mul_hi_u32 s48, s21, s22
	s_add_co_ci_u32 s46, s23, s47
	s_mul_i32 s47, s21, s22
	s_mul_hi_u32 s23, s20, s46
	s_mul_i32 s22, s20, s46
	s_mul_hi_u32 s49, s21, s46
	s_add_nc_u64 s[22:23], s[28:29], s[22:23]
	s_mul_i32 s46, s21, s46
	s_add_co_u32 s22, s22, s47
	s_add_co_ci_u32 s28, s23, s48
	s_add_co_ci_u32 s47, s49, 0
	s_delay_alu instid0(SALU_CYCLE_1) | instskip(NEXT) | instid1(SALU_CYCLE_1)
	s_add_nc_u64 s[22:23], s[28:29], s[46:47]
	s_and_b64 s[46:47], s[22:23], 0xffffffff00000000
	s_delay_alu instid0(SALU_CYCLE_1) | instskip(NEXT) | instid1(SALU_CYCLE_1)
	s_or_b32 s46, s46, s22
	s_mul_u64 s[22:23], s[34:35], s[46:47]
	s_delay_alu instid0(SALU_CYCLE_1) | instskip(SKIP_1) | instid1(SALU_CYCLE_1)
	s_sub_co_u32 s22, s20, s22
	s_cselect_b32 s28, -1, 0
	s_cmp_lg_u32 s28, 0
	s_sub_co_ci_u32 s23, s21, s23
	s_sub_co_u32 s28, s22, s34
	s_cselect_b32 s46, -1, 0
	s_delay_alu instid0(SALU_CYCLE_1) | instskip(SKIP_3) | instid1(SALU_CYCLE_1)
	s_cmp_lg_u32 s46, 0
	s_sub_co_ci_u32 s46, s23, 0
	s_sub_co_u32 s47, s28, s34
	s_cselect_b32 s48, -1, 0
	s_cmp_lg_u32 s48, 0
	s_sub_co_ci_u32 s48, s46, 0
	s_cmp_ge_u32 s28, s34
	s_cselect_b32 s49, -1, 0
	s_cmp_eq_u32 s46, 0
	s_cselect_b32 s49, s49, -1
	s_delay_alu instid0(SALU_CYCLE_1)
	s_cmp_lg_u32 s49, 0
	s_cselect_b32 s46, s48, s46
	s_cselect_b32 s28, s47, s28
	s_cmp_ge_u32 s22, s34
	s_cselect_b32 s47, -1, 0
	s_cmp_eq_u32 s23, 0
	s_cselect_b32 s47, s47, -1
	s_delay_alu instid0(SALU_CYCLE_1)
	s_cmp_lg_u32 s47, 0
	s_cselect_b32 s23, s46, s23
	s_cselect_b32 s22, s28, s22
	s_cbranch_execnz .LBB192_180
.LBB192_179:                            ;   in Loop: Header=BB192_6 Depth=1
	v_cvt_f32_u32_e32 v4, s34
	s_sub_co_i32 s23, 0, s34
	s_delay_alu instid0(VALU_DEP_1) | instskip(SKIP_1) | instid1(TRANS32_DEP_1)
	v_rcp_iflag_f32_e32 v4, v4
	v_nop
	v_mul_f32_e32 v4, 0x4f7ffffe, v4
	s_delay_alu instid0(VALU_DEP_1) | instskip(NEXT) | instid1(VALU_DEP_1)
	v_cvt_u32_f32_e32 v4, v4
	v_readfirstlane_b32 s22, v4
	s_mul_i32 s23, s23, s22
	s_delay_alu instid0(SALU_CYCLE_1) | instskip(NEXT) | instid1(SALU_CYCLE_1)
	s_mul_hi_u32 s23, s22, s23
	s_add_co_i32 s22, s22, s23
	s_delay_alu instid0(SALU_CYCLE_1) | instskip(NEXT) | instid1(SALU_CYCLE_1)
	s_mul_hi_u32 s22, s20, s22
	s_mul_i32 s22, s22, s34
	s_delay_alu instid0(SALU_CYCLE_1) | instskip(NEXT) | instid1(SALU_CYCLE_1)
	s_sub_co_i32 s22, s20, s22
	s_sub_co_i32 s23, s22, s34
	s_cmp_ge_u32 s22, s34
	s_cselect_b32 s22, s23, s22
	s_delay_alu instid0(SALU_CYCLE_1) | instskip(SKIP_2) | instid1(SALU_CYCLE_1)
	s_sub_co_i32 s23, s22, s34
	s_cmp_ge_u32 s22, s34
	s_cselect_b32 s28, s23, s22
	s_mov_b64 s[22:23], s[28:29]
.LBB192_180:                            ;   in Loop: Header=BB192_6 Depth=1
	s_delay_alu instid0(SALU_CYCLE_1)
	s_sub_nc_u64 s[20:21], s[20:21], s[22:23]
	s_mov_b32 s23, 0
	s_mov_b32 s22, 0
	s_mov_b32 s28, exec_lo
                                        ; implicit-def: $vgpr7
	v_cmpx_gt_u64_e64 s[20:21], v[0:1]
	s_cbranch_execz .LBB192_192
; %bb.181:                              ;   in Loop: Header=BB192_6 Depth=1
	v_mov_b64_e32 v[4:5], v[0:1]
	v_mov_b32_e32 v10, v16
                                        ; implicit-def: $sgpr46
	s_branch .LBB192_185
.LBB192_182:                            ;   in Loop: Header=BB192_185 Depth=2
	s_or_b32 exec_lo, exec_lo, s47
	s_wait_dscnt 0x0
	s_barrier_signal -1
	s_barrier_wait -1
	ds_load_b64 v[6:7], v3 offset:3072
	s_wait_dscnt 0x0
	s_barrier_signal -1
	s_barrier_wait -1
	v_cmp_neq_f32_e32 vcc_lo, 0, v6
	s_cbranch_vccnz .LBB192_188
; %bb.183:                              ;   in Loop: Header=BB192_185 Depth=2
	v_add_nc_u64_e32 v[4:5], s[34:35], v[4:5]
	v_add_nc_u32_e32 v10, s89, v10
	s_mov_b32 s47, 0
	s_delay_alu instid0(VALU_DEP_2)
	v_cmp_le_u64_e32 vcc_lo, s[20:21], v[4:5]
	s_or_not1_b32 s80, vcc_lo, exec_lo
.LBB192_184:                            ;   in Loop: Header=BB192_185 Depth=2
	s_delay_alu instid0(SALU_CYCLE_1) | instskip(NEXT) | instid1(SALU_CYCLE_1)
	s_and_b32 s48, exec_lo, s80
	s_or_b32 s22, s48, s22
	s_and_not1_b32 s46, s46, exec_lo
	s_and_b32 s47, s47, exec_lo
	s_delay_alu instid0(SALU_CYCLE_1)
	s_or_b32 s46, s46, s47
	s_and_not1_b32 exec_lo, exec_lo, s22
	s_cbranch_execz .LBB192_191
.LBB192_185:                            ;   Parent Loop BB192_6 Depth=1
                                        ; =>  This Inner Loop Header: Depth=2
	s_mov_b32 s47, exec_lo
	s_delay_alu instid0(VALU_DEP_2)
	v_cmpx_gt_u64_e64 s[10:11], v[4:5]
	s_cbranch_execz .LBB192_182
; %bb.186:                              ;   in Loop: Header=BB192_185 Depth=2
	ds_load_b32 v31, v10
	s_wait_dscnt 0x0
	v_cmp_lt_i32_e32 vcc_lo, -1, v31
	v_cndmask_b32_e64 v6, -1, 0x80000000, vcc_lo
	v_cmp_o_f32_e32 vcc_lo, v31, v31
	s_delay_alu instid0(VALU_DEP_2) | instskip(NEXT) | instid1(VALU_DEP_1)
	v_xor_b32_e32 v6, v6, v31
	v_cndmask_b32_e32 v6, -1, v6, vcc_lo
	s_delay_alu instid0(VALU_DEP_1) | instskip(NEXT) | instid1(VALU_DEP_1)
	v_and_b32_e32 v6, v6, v36
	v_cmp_eq_u32_e32 vcc_lo, v6, v32
	s_and_b32 exec_lo, exec_lo, vcc_lo
	s_cbranch_execz .LBB192_182
; %bb.187:                              ;   in Loop: Header=BB192_185 Depth=2
	ds_store_b64 v3, v[30:31] offset:3072
	s_branch .LBB192_182
.LBB192_188:                            ;   in Loop: Header=BB192_185 Depth=2
	s_mov_b32 s80, -1
	s_mov_b32 s47, -1
                                        ; implicit-def: $vgpr4_vgpr5
                                        ; implicit-def: $vgpr10
	s_branch .LBB192_184
.LBB192_189:                            ;   in Loop: Header=BB192_6 Depth=1
                                        ; implicit-def: $sgpr22_sgpr23
	s_branch .LBB192_132
.LBB192_190:                            ;   in Loop: Header=BB192_6 Depth=1
                                        ; implicit-def: $sgpr10_sgpr11
	s_branch .LBB192_149
.LBB192_191:                            ;   in Loop: Header=BB192_6 Depth=1
	s_or_b32 exec_lo, exec_lo, s22
	s_delay_alu instid0(SALU_CYCLE_1)
	s_and_b32 s22, s46, exec_lo
.LBB192_192:                            ;   in Loop: Header=BB192_6 Depth=1
	s_or_b32 exec_lo, exec_lo, s28
.LBB192_193:                            ;   in Loop: Header=BB192_6 Depth=1
	s_delay_alu instid0(SALU_CYCLE_1)
	s_and_b32 vcc_lo, exec_lo, s23
	s_cbranch_vccz .LBB192_208
; %bb.194:                              ;   in Loop: Header=BB192_6 Depth=1
	s_and_b64 s[10:11], s[56:57], 0xffffffff00000000
	s_delay_alu instid0(SALU_CYCLE_1)
	s_cmp_lg_u64 s[10:11], 0
	s_cbranch_scc0 .LBB192_227
; %bb.195:                              ;   in Loop: Header=BB192_6 Depth=1
	s_cvt_f32_u32 s10, s34
	s_sub_nc_u64 s[20:21], 0, s[34:35]
	s_delay_alu instid0(SALU_CYCLE_2) | instskip(NEXT) | instid1(SALU_CYCLE_3)
	s_fmamk_f32 s10, s90, 0x0, s10
	v_s_rcp_f32 s10, s10
	s_delay_alu instid0(TRANS32_DEP_1) | instskip(NEXT) | instid1(SALU_CYCLE_3)
	s_mul_f32 s10, s10, 0x5f7ffffc
	s_mul_f32 s11, s10, 0x2f800000
	s_delay_alu instid0(SALU_CYCLE_3) | instskip(NEXT) | instid1(SALU_CYCLE_3)
	s_trunc_f32 s11, s11
	s_fmamk_f32 s10, s11, 0xcf800000, s10
	s_cvt_u32_f32 s11, s11
	s_delay_alu instid0(SALU_CYCLE_2) | instskip(NEXT) | instid1(SALU_CYCLE_3)
	s_cvt_u32_f32 s10, s10
	s_mul_u64 s[46:47], s[20:21], s[10:11]
	s_delay_alu instid0(SALU_CYCLE_1)
	s_mul_hi_u32 s77, s10, s47
	s_mul_i32 s76, s10, s47
	s_mul_hi_u32 s28, s10, s46
	s_mul_i32 s48, s11, s46
	s_add_nc_u64 s[76:77], s[28:29], s[76:77]
	s_mul_hi_u32 s23, s11, s46
	s_mul_hi_u32 s49, s11, s47
	s_add_co_u32 s28, s76, s48
	s_add_co_ci_u32 s28, s77, s23
	s_mul_i32 s46, s11, s47
	s_add_co_ci_u32 s47, s49, 0
	s_delay_alu instid0(SALU_CYCLE_1) | instskip(NEXT) | instid1(SALU_CYCLE_1)
	s_add_nc_u64 s[46:47], s[28:29], s[46:47]
	s_add_co_u32 s10, s10, s46
	s_cselect_b32 s23, -1, 0
	s_delay_alu instid0(SALU_CYCLE_1) | instskip(SKIP_1) | instid1(SALU_CYCLE_1)
	s_cmp_lg_u32 s23, 0
	s_add_co_ci_u32 s11, s11, s47
	s_mul_u64 s[20:21], s[20:21], s[10:11]
	s_delay_alu instid0(SALU_CYCLE_1)
	s_mul_hi_u32 s47, s10, s21
	s_mul_i32 s46, s10, s21
	s_mul_hi_u32 s28, s10, s20
	s_mul_i32 s48, s11, s20
	s_add_nc_u64 s[46:47], s[28:29], s[46:47]
	s_mul_hi_u32 s23, s11, s20
	s_mul_hi_u32 s49, s11, s21
	s_mul_i32 s20, s11, s21
	s_add_co_u32 s21, s46, s48
	s_add_co_ci_u32 s28, s47, s23
	s_add_co_ci_u32 s21, s49, 0
	s_delay_alu instid0(SALU_CYCLE_1) | instskip(NEXT) | instid1(SALU_CYCLE_1)
	s_add_nc_u64 s[20:21], s[28:29], s[20:21]
	s_add_co_u32 s10, s10, s20
	s_cselect_b32 s20, -1, 0
	s_mul_hi_u32 s28, s56, s10
	s_cmp_lg_u32 s20, 0
	s_mul_hi_u32 s23, s57, s10
	s_add_co_ci_u32 s20, s11, s21
	s_mul_i32 s21, s57, s10
	s_mul_hi_u32 s11, s56, s20
	s_mul_i32 s10, s56, s20
	s_mul_hi_u32 s46, s57, s20
	s_add_nc_u64 s[10:11], s[28:29], s[10:11]
	s_mul_i32 s20, s57, s20
	s_add_co_u32 s10, s10, s21
	s_add_co_ci_u32 s28, s11, s23
	s_add_co_ci_u32 s21, s46, 0
	s_delay_alu instid0(SALU_CYCLE_1) | instskip(NEXT) | instid1(SALU_CYCLE_1)
	s_add_nc_u64 s[10:11], s[28:29], s[20:21]
	s_and_b64 s[20:21], s[10:11], 0xffffffff00000000
	s_delay_alu instid0(SALU_CYCLE_1) | instskip(NEXT) | instid1(SALU_CYCLE_1)
	s_or_b32 s20, s20, s10
	s_mul_u64 s[10:11], s[34:35], s[20:21]
	s_delay_alu instid0(SALU_CYCLE_1) | instskip(SKIP_1) | instid1(SALU_CYCLE_1)
	s_sub_co_u32 s10, s56, s10
	s_cselect_b32 s20, -1, 0
	s_cmp_lg_u32 s20, 0
	s_sub_co_ci_u32 s11, s57, s11
	s_sub_co_u32 s20, s10, s34
	s_cselect_b32 s21, -1, 0
	s_delay_alu instid0(SALU_CYCLE_1) | instskip(SKIP_3) | instid1(SALU_CYCLE_1)
	s_cmp_lg_u32 s21, 0
	s_sub_co_ci_u32 s21, s11, 0
	s_sub_co_u32 s23, s20, s34
	s_cselect_b32 s28, -1, 0
	s_cmp_lg_u32 s28, 0
	s_sub_co_ci_u32 s28, s21, 0
	s_cmp_ge_u32 s20, s34
	s_cselect_b32 s46, -1, 0
	s_cmp_eq_u32 s21, 0
	s_cselect_b32 s46, s46, -1
	s_delay_alu instid0(SALU_CYCLE_1)
	s_cmp_lg_u32 s46, 0
	s_cselect_b32 s21, s28, s21
	s_cselect_b32 s20, s23, s20
	s_cmp_ge_u32 s10, s34
	s_cselect_b32 s23, -1, 0
	s_cmp_eq_u32 s11, 0
	s_cselect_b32 s23, s23, -1
	s_delay_alu instid0(SALU_CYCLE_1)
	s_cmp_lg_u32 s23, 0
	s_cselect_b32 s11, s21, s11
	s_cselect_b32 s10, s20, s10
	s_cbranch_execnz .LBB192_197
.LBB192_196:                            ;   in Loop: Header=BB192_6 Depth=1
	v_cvt_f32_u32_e32 v4, s34
	s_sub_co_i32 s11, 0, s34
	s_delay_alu instid0(VALU_DEP_1) | instskip(SKIP_1) | instid1(TRANS32_DEP_1)
	v_rcp_iflag_f32_e32 v4, v4
	v_nop
	v_mul_f32_e32 v4, 0x4f7ffffe, v4
	s_delay_alu instid0(VALU_DEP_1) | instskip(NEXT) | instid1(VALU_DEP_1)
	v_cvt_u32_f32_e32 v4, v4
	v_readfirstlane_b32 s10, v4
	s_mul_i32 s11, s11, s10
	s_delay_alu instid0(SALU_CYCLE_1) | instskip(NEXT) | instid1(SALU_CYCLE_1)
	s_mul_hi_u32 s11, s10, s11
	s_add_co_i32 s10, s10, s11
	s_delay_alu instid0(SALU_CYCLE_1) | instskip(NEXT) | instid1(SALU_CYCLE_1)
	s_mul_hi_u32 s10, s56, s10
	s_mul_i32 s10, s10, s34
	s_delay_alu instid0(SALU_CYCLE_1) | instskip(NEXT) | instid1(SALU_CYCLE_1)
	s_sub_co_i32 s10, s56, s10
	s_sub_co_i32 s11, s10, s34
	s_cmp_ge_u32 s10, s34
	s_cselect_b32 s10, s11, s10
	s_delay_alu instid0(SALU_CYCLE_1) | instskip(SKIP_2) | instid1(SALU_CYCLE_1)
	s_sub_co_i32 s11, s10, s34
	s_cmp_ge_u32 s10, s34
	s_cselect_b32 s28, s11, s10
	s_mov_b64 s[10:11], s[28:29]
.LBB192_197:                            ;   in Loop: Header=BB192_6 Depth=1
	s_delay_alu instid0(SALU_CYCLE_1)
	s_sub_nc_u64 s[10:11], s[56:57], s[10:11]
	s_mov_b32 s20, exec_lo
                                        ; implicit-def: $vgpr7
	v_nop
	v_cmpx_gt_u64_e64 s[10:11], v[0:1]
	s_cbranch_execz .LBB192_207
; %bb.198:                              ;   in Loop: Header=BB192_6 Depth=1
	v_mov_b64_e32 v[4:5], v[14:15]
	v_mov_b64_e32 v[10:11], v[0:1]
	s_mov_b32 s21, 0
                                        ; implicit-def: $sgpr23
	s_branch .LBB192_202
.LBB192_199:                            ;   in Loop: Header=BB192_202 Depth=2
	s_or_b32 exec_lo, exec_lo, s28
	s_wait_dscnt 0x0
	s_barrier_signal -1
	s_barrier_wait -1
	ds_load_b64 v[6:7], v3 offset:3072
	s_wait_dscnt 0x0
	s_barrier_signal -1
	s_barrier_wait -1
	v_cmp_eq_f32_e32 vcc_lo, 0, v6
	s_cbranch_vccz .LBB192_205
; %bb.200:                              ;   in Loop: Header=BB192_202 Depth=2
	v_add_nc_u64_e32 v[10:11], s[34:35], v[10:11]
	v_add_nc_u64_e32 v[4:5], s[40:41], v[4:5]
	s_mov_b32 s28, 0
	s_delay_alu instid0(VALU_DEP_2)
	v_cmp_le_u64_e32 vcc_lo, s[10:11], v[10:11]
	s_or_not1_b32 s46, vcc_lo, exec_lo
.LBB192_201:                            ;   in Loop: Header=BB192_202 Depth=2
	s_delay_alu instid0(SALU_CYCLE_1) | instskip(NEXT) | instid1(SALU_CYCLE_1)
	s_and_b32 s46, exec_lo, s46
	s_or_b32 s21, s46, s21
	s_and_not1_b32 s23, s23, exec_lo
	s_and_b32 s28, s28, exec_lo
	s_delay_alu instid0(SALU_CYCLE_1)
	s_or_b32 s23, s23, s28
	s_and_not1_b32 exec_lo, exec_lo, s21
	s_cbranch_execz .LBB192_206
.LBB192_202:                            ;   Parent Loop BB192_6 Depth=1
                                        ; =>  This Inner Loop Header: Depth=2
	s_mov_b32 s28, exec_lo
	s_delay_alu instid0(VALU_DEP_1)
	v_cmpx_gt_u64_e64 s[36:37], v[10:11]
	s_cbranch_execz .LBB192_199
; %bb.203:                              ;   in Loop: Header=BB192_202 Depth=2
	global_load_b32 v31, v[4:5], off
	s_wait_loadcnt 0x0
	v_cmp_lt_i32_e32 vcc_lo, -1, v31
	v_cndmask_b32_e64 v6, -1, 0x80000000, vcc_lo
	v_cmp_o_f32_e32 vcc_lo, v31, v31
	s_delay_alu instid0(VALU_DEP_2) | instskip(NEXT) | instid1(VALU_DEP_1)
	v_xor_b32_e32 v6, v6, v31
	v_cndmask_b32_e32 v6, -1, v6, vcc_lo
	s_delay_alu instid0(VALU_DEP_1) | instskip(NEXT) | instid1(VALU_DEP_1)
	v_and_b32_e32 v6, v6, v36
	v_cmp_eq_u32_e32 vcc_lo, v6, v32
	s_and_b32 exec_lo, exec_lo, vcc_lo
	s_cbranch_execz .LBB192_199
; %bb.204:                              ;   in Loop: Header=BB192_202 Depth=2
	ds_store_b64 v3, v[30:31] offset:3072
	s_branch .LBB192_199
.LBB192_205:                            ;   in Loop: Header=BB192_202 Depth=2
	s_mov_b32 s46, -1
	s_mov_b32 s28, -1
                                        ; implicit-def: $vgpr10_vgpr11
                                        ; implicit-def: $vgpr4_vgpr5
	s_branch .LBB192_201
.LBB192_206:                            ;   in Loop: Header=BB192_6 Depth=1
	s_or_b32 exec_lo, exec_lo, s21
	s_delay_alu instid0(SALU_CYCLE_1) | instskip(SKIP_1) | instid1(SALU_CYCLE_1)
	s_and_not1_b32 s10, s22, exec_lo
	s_and_b32 s11, s23, exec_lo
	s_or_b32 s22, s10, s11
.LBB192_207:                            ;   in Loop: Header=BB192_6 Depth=1
	s_or_b32 exec_lo, exec_lo, s20
	s_mov_b32 s76, 0
	s_mov_b32 s77, -1
.LBB192_208:                            ;   in Loop: Header=BB192_6 Depth=1
	s_or_not1_b32 s10, s22, exec_lo
.LBB192_209:                            ;   in Loop: Header=BB192_6 Depth=1
	s_or_b32 exec_lo, exec_lo, s78
	s_mov_b32 s11, 0
	s_and_saveexec_b32 s78, s10
	s_cbranch_execz .LBB192_273
; %bb.210:                              ;   in Loop: Header=BB192_6 Depth=1
	v_mov_b64_e32 v[4:5], 1
	v_mov_b32_e32 v2, 1
	s_xor_b32 s20, s79, -1
	s_delay_alu instid0(SALU_CYCLE_1)
	s_and_saveexec_b32 s10, s20
	s_cbranch_execz .LBB192_219
; %bb.211:                              ;   in Loop: Header=BB192_6 Depth=1
	s_mov_b32 s11, exec_lo
	v_cmpx_ge_u64_e64 s[16:17], v[8:9]
	s_xor_b32 s11, exec_lo, s11
	s_cbranch_execz .LBB192_216
; %bb.212:                              ;   in Loop: Header=BB192_6 Depth=1
	ds_load_b64 v[4:5], v3 offset:5120
	s_lshl_b32 s20, 2, s91
	v_or_b32_e32 v36, s24, v36
	v_and_or_b32 v32, v32, s25, s20
	s_wait_dscnt 0x0
	v_cmp_ne_u64_e32 vcc_lo, 0, v[4:5]
	s_cbranch_vccnz .LBB192_216
; %bb.213:                              ;   in Loop: Header=BB192_6 Depth=1
	s_and_saveexec_b32 s20, s5
; %bb.214:                              ;   in Loop: Header=BB192_6 Depth=1
	v_mov_b64_e32 v[4:5], s[16:17]
	ds_store_b64 v3, v[4:5] offset:5128
; %bb.215:                              ;   in Loop: Header=BB192_6 Depth=1
	s_or_b32 exec_lo, exec_lo, s20
	s_wait_dscnt 0x0
	s_barrier_signal -1
	s_barrier_wait -1
.LBB192_216:                            ;   in Loop: Header=BB192_6 Depth=1
	s_or_saveexec_b32 s11, s11
	v_mov_b32_e32 v2, 8
	s_mov_b32 s20, 0
	s_xor_b32 exec_lo, exec_lo, s11
; %bb.217:                              ;   in Loop: Header=BB192_6 Depth=1
	v_sub_nc_u64_e64 v[8:9], v[8:9], s[16:17]
	v_mov_b32_e32 v2, 0
	s_mov_b32 s20, exec_lo
; %bb.218:                              ;   in Loop: Header=BB192_6 Depth=1
	s_or_b32 exec_lo, exec_lo, s11
	s_delay_alu instid0(VALU_DEP_2)
	v_mov_b64_e32 v[4:5], v[8:9]
	s_and_b32 s11, s20, exec_lo
.LBB192_219:                            ;   in Loop: Header=BB192_6 Depth=1
	s_or_b32 exec_lo, exec_lo, s10
	s_mov_b32 s10, -1
                                        ; implicit-def: $vcc_hi
                                        ; implicit-def: $sgpr104
	s_and_saveexec_b32 s79, s11
	s_cbranch_execz .LBB192_272
; %bb.220:                              ;   in Loop: Header=BB192_6 Depth=1
	s_delay_alu instid0(VALU_DEP_1) | instskip(SKIP_3) | instid1(SALU_CYCLE_1)
	v_cmp_eq_u64_e32 vcc_lo, 1, v[4:5]
	s_cmp_eq_u64 s[18:19], 1
	s_mov_b32 s11, -1
	s_cselect_b32 s10, -1, 0
                                        ; implicit-def: $vcc_hi
                                        ; implicit-def: $sgpr104
	s_and_b32 s80, s10, vcc_lo
	s_delay_alu instid0(SALU_CYCLE_1)
	s_and_saveexec_b32 s81, s80
	s_cbranch_execz .LBB192_260
; %bb.221:                              ;   in Loop: Header=BB192_6 Depth=1
	ds_load_b64 v[6:7], v3 offset:5120
	s_wait_dscnt 0x0
	s_barrier_signal -1
	s_barrier_wait -1
	v_readfirstlane_b32 s10, v6
	v_readfirstlane_b32 s11, v7
	s_and_saveexec_b32 s20, s6
; %bb.222:                              ;   in Loop: Header=BB192_6 Depth=1
	ds_store_b32 v43, v3
; %bb.223:                              ;   in Loop: Header=BB192_6 Depth=1
	s_or_b32 exec_lo, exec_lo, s20
	v_or_b32_e32 v32, s24, v32
	v_or_b32_e32 v36, s24, v36
	s_mov_b32 s104, -1
	s_mov_b32 vcc_hi, 0
	s_cmp_eq_u64 s[10:11], 0
	s_mov_b32 s22, 0
	s_mov_b32 s23, -1
	s_wait_dscnt 0x0
	s_barrier_signal -1
	s_barrier_wait -1
                                        ; implicit-def: $vgpr7
	s_cbranch_scc1 .LBB192_242
; %bb.224:                              ;   in Loop: Header=BB192_6 Depth=1
	s_add_nc_u64 s[20:21], s[10:11], s[54:55]
	s_delay_alu instid0(SALU_CYCLE_1) | instskip(NEXT) | instid1(SALU_CYCLE_1)
	s_and_b64 s[22:23], s[20:21], 0xffffffff00000000
	s_cmp_lg_u64 s[22:23], 0
	s_cbranch_scc0 .LBB192_228
; %bb.225:                              ;   in Loop: Header=BB192_6 Depth=1
	s_cvt_f32_u32 s22, s34
	s_sub_nc_u64 s[46:47], 0, s[34:35]
	s_delay_alu instid0(SALU_CYCLE_2) | instskip(NEXT) | instid1(SALU_CYCLE_3)
	s_fmamk_f32 s22, s90, 0x0, s22
	v_s_rcp_f32 s22, s22
	s_delay_alu instid0(TRANS32_DEP_1) | instskip(NEXT) | instid1(SALU_CYCLE_3)
	s_mul_f32 s22, s22, 0x5f7ffffc
	s_mul_f32 s23, s22, 0x2f800000
	s_delay_alu instid0(SALU_CYCLE_3) | instskip(NEXT) | instid1(SALU_CYCLE_3)
	s_trunc_f32 s23, s23
	s_fmamk_f32 s22, s23, 0xcf800000, s22
	s_cvt_u32_f32 s23, s23
	s_delay_alu instid0(SALU_CYCLE_2) | instskip(NEXT) | instid1(SALU_CYCLE_3)
	s_cvt_u32_f32 s22, s22
	s_mul_u64 s[48:49], s[46:47], s[22:23]
	s_delay_alu instid0(SALU_CYCLE_1)
	s_mul_hi_u32 s51, s22, s49
	s_mul_i32 s50, s22, s49
	s_mul_hi_u32 s28, s22, s48
	s_mul_i32 s52, s23, s48
	s_add_nc_u64 s[50:51], s[28:29], s[50:51]
	s_mul_hi_u32 vcc_lo, s23, s48
	s_mul_hi_u32 s53, s23, s49
	s_add_co_u32 s28, s50, s52
	s_add_co_ci_u32 s28, s51, vcc_lo
	s_mul_i32 s48, s23, s49
	s_add_co_ci_u32 s49, s53, 0
	s_delay_alu instid0(SALU_CYCLE_1) | instskip(NEXT) | instid1(SALU_CYCLE_1)
	s_add_nc_u64 s[48:49], s[28:29], s[48:49]
	s_add_co_u32 s22, s22, s48
	s_cselect_b32 s28, -1, 0
	s_delay_alu instid0(SALU_CYCLE_1) | instskip(SKIP_1) | instid1(SALU_CYCLE_1)
	s_cmp_lg_u32 s28, 0
	s_add_co_ci_u32 s23, s23, s49
	s_mul_u64 s[46:47], s[46:47], s[22:23]
	s_delay_alu instid0(SALU_CYCLE_1)
	s_mul_hi_u32 s49, s22, s47
	s_mul_i32 s48, s22, s47
	s_mul_hi_u32 s28, s22, s46
	s_mul_i32 s51, s23, s46
	s_add_nc_u64 s[48:49], s[28:29], s[48:49]
	s_mul_hi_u32 s50, s23, s46
	s_mul_hi_u32 s52, s23, s47
	s_add_co_u32 s28, s48, s51
	s_add_co_ci_u32 s28, s49, s50
	s_mul_i32 s46, s23, s47
	s_add_co_ci_u32 s47, s52, 0
	s_delay_alu instid0(SALU_CYCLE_1) | instskip(NEXT) | instid1(SALU_CYCLE_1)
	s_add_nc_u64 s[46:47], s[28:29], s[46:47]
	s_add_co_u32 s22, s22, s46
	s_cselect_b32 s46, -1, 0
	s_mul_hi_u32 s28, s20, s22
	s_cmp_lg_u32 s46, 0
	s_mul_hi_u32 s48, s21, s22
	s_add_co_ci_u32 s46, s23, s47
	s_mul_i32 s47, s21, s22
	s_mul_hi_u32 s23, s20, s46
	s_mul_i32 s22, s20, s46
	s_mul_hi_u32 s49, s21, s46
	s_add_nc_u64 s[22:23], s[28:29], s[22:23]
	s_mul_i32 s46, s21, s46
	s_add_co_u32 s22, s22, s47
	s_add_co_ci_u32 s28, s23, s48
	s_add_co_ci_u32 s47, s49, 0
	s_delay_alu instid0(SALU_CYCLE_1) | instskip(NEXT) | instid1(SALU_CYCLE_1)
	s_add_nc_u64 s[22:23], s[28:29], s[46:47]
	s_and_b64 s[46:47], s[22:23], 0xffffffff00000000
	s_delay_alu instid0(SALU_CYCLE_1) | instskip(NEXT) | instid1(SALU_CYCLE_1)
	s_or_b32 s46, s46, s22
	s_mul_u64 s[22:23], s[34:35], s[46:47]
	s_delay_alu instid0(SALU_CYCLE_1) | instskip(SKIP_1) | instid1(SALU_CYCLE_1)
	s_sub_co_u32 s22, s20, s22
	s_cselect_b32 s28, -1, 0
	s_cmp_lg_u32 s28, 0
	s_sub_co_ci_u32 s23, s21, s23
	s_sub_co_u32 s28, s22, s34
	s_cselect_b32 s46, -1, 0
	s_delay_alu instid0(SALU_CYCLE_1) | instskip(SKIP_3) | instid1(SALU_CYCLE_1)
	s_cmp_lg_u32 s46, 0
	s_sub_co_ci_u32 s46, s23, 0
	s_sub_co_u32 s47, s28, s34
	s_cselect_b32 s48, -1, 0
	s_cmp_lg_u32 s48, 0
	s_sub_co_ci_u32 s48, s46, 0
	s_cmp_ge_u32 s28, s34
	s_cselect_b32 s49, -1, 0
	s_cmp_eq_u32 s46, 0
	s_cselect_b32 s49, s49, -1
	s_delay_alu instid0(SALU_CYCLE_1)
	s_cmp_lg_u32 s49, 0
	s_cselect_b32 s46, s48, s46
	s_cselect_b32 s28, s47, s28
	s_cmp_ge_u32 s22, s34
	s_cselect_b32 s47, -1, 0
	s_cmp_eq_u32 s23, 0
	s_cselect_b32 s47, s47, -1
	s_delay_alu instid0(SALU_CYCLE_1)
	s_cmp_lg_u32 s47, 0
	s_cselect_b32 s23, s46, s23
	s_cselect_b32 s22, s28, s22
	s_mov_b32 s28, 0
	s_branch .LBB192_229
.LBB192_226:                            ;   in Loop: Header=BB192_6 Depth=1
                                        ; implicit-def: $sgpr22_sgpr23
	s_branch .LBB192_179
.LBB192_227:                            ;   in Loop: Header=BB192_6 Depth=1
                                        ; implicit-def: $sgpr10_sgpr11
	s_branch .LBB192_196
.LBB192_228:                            ;   in Loop: Header=BB192_6 Depth=1
	s_mov_b32 s28, -1
                                        ; implicit-def: $sgpr22_sgpr23
.LBB192_229:                            ;   in Loop: Header=BB192_6 Depth=1
	s_delay_alu instid0(SALU_CYCLE_1)
	s_and_not1_b32 vcc_lo, exec_lo, s28
	s_cbranch_vccnz .LBB192_231
; %bb.230:                              ;   in Loop: Header=BB192_6 Depth=1
	v_cvt_f32_u32_e32 v6, s34
	s_sub_co_i32 s23, 0, s34
	s_delay_alu instid0(VALU_DEP_1) | instskip(SKIP_1) | instid1(TRANS32_DEP_1)
	v_rcp_iflag_f32_e32 v6, v6
	v_nop
	v_mul_f32_e32 v6, 0x4f7ffffe, v6
	s_delay_alu instid0(VALU_DEP_1) | instskip(NEXT) | instid1(VALU_DEP_1)
	v_cvt_u32_f32_e32 v6, v6
	v_readfirstlane_b32 s22, v6
	s_mul_i32 s23, s23, s22
	s_delay_alu instid0(SALU_CYCLE_1) | instskip(NEXT) | instid1(SALU_CYCLE_1)
	s_mul_hi_u32 s23, s22, s23
	s_add_co_i32 s22, s22, s23
	s_delay_alu instid0(SALU_CYCLE_1) | instskip(NEXT) | instid1(SALU_CYCLE_1)
	s_mul_hi_u32 s22, s20, s22
	s_mul_i32 s22, s22, s34
	s_delay_alu instid0(SALU_CYCLE_1) | instskip(NEXT) | instid1(SALU_CYCLE_1)
	s_sub_co_i32 s22, s20, s22
	s_sub_co_i32 s23, s22, s34
	s_cmp_ge_u32 s22, s34
	s_cselect_b32 s22, s23, s22
	s_delay_alu instid0(SALU_CYCLE_1) | instskip(SKIP_2) | instid1(SALU_CYCLE_1)
	s_sub_co_i32 s23, s22, s34
	s_cmp_ge_u32 s22, s34
	s_cselect_b32 s28, s23, s22
	s_mov_b64 s[22:23], s[28:29]
.LBB192_231:                            ;   in Loop: Header=BB192_6 Depth=1
	s_delay_alu instid0(SALU_CYCLE_1)
	s_sub_nc_u64 s[20:21], s[20:21], s[22:23]
	s_mov_b32 s23, 0
	s_mov_b32 s22, 0
	s_mov_b32 s28, exec_lo
                                        ; implicit-def: $vgpr7
	v_cmpx_gt_u64_e64 s[20:21], v[0:1]
	s_cbranch_execz .LBB192_241
; %bb.232:                              ;   in Loop: Header=BB192_6 Depth=1
	v_mov_b64_e32 v[8:9], v[0:1]
	v_mov_b32_e32 v10, v16
                                        ; implicit-def: $sgpr46
	s_branch .LBB192_236
.LBB192_233:                            ;   in Loop: Header=BB192_236 Depth=2
	s_or_b32 exec_lo, exec_lo, s47
	s_wait_dscnt 0x0
	s_barrier_signal -1
	s_barrier_wait -1
	ds_load_b64 v[6:7], v3 offset:3072
	s_wait_dscnt 0x0
	s_barrier_signal -1
	s_barrier_wait -1
	v_cmp_neq_f32_e32 vcc_lo, 0, v6
	s_cbranch_vccnz .LBB192_239
; %bb.234:                              ;   in Loop: Header=BB192_236 Depth=2
	v_add_nc_u64_e32 v[8:9], s[34:35], v[8:9]
	v_add_nc_u32_e32 v10, s89, v10
	s_mov_b32 s47, 0
	s_delay_alu instid0(VALU_DEP_2)
	v_cmp_le_u64_e32 vcc_lo, s[20:21], v[8:9]
	s_or_not1_b32 vcc_lo, vcc_lo, exec_lo
.LBB192_235:                            ;   in Loop: Header=BB192_236 Depth=2
	s_delay_alu instid0(SALU_CYCLE_1) | instskip(NEXT) | instid1(SALU_CYCLE_1)
	s_and_b32 s48, exec_lo, vcc_lo
	s_or_b32 s22, s48, s22
	s_and_not1_b32 s46, s46, exec_lo
	s_and_b32 s47, s47, exec_lo
	s_delay_alu instid0(SALU_CYCLE_1)
	s_or_b32 s46, s46, s47
	s_and_not1_b32 exec_lo, exec_lo, s22
	s_cbranch_execz .LBB192_240
.LBB192_236:                            ;   Parent Loop BB192_6 Depth=1
                                        ; =>  This Inner Loop Header: Depth=2
	s_mov_b32 s47, exec_lo
	s_delay_alu instid0(VALU_DEP_2)
	v_cmpx_gt_u64_e64 s[10:11], v[8:9]
	s_cbranch_execz .LBB192_233
; %bb.237:                              ;   in Loop: Header=BB192_236 Depth=2
	ds_load_b32 v31, v10
	s_wait_dscnt 0x0
	v_cmp_lt_i32_e32 vcc_lo, -1, v31
	v_cndmask_b32_e64 v6, -1, 0x80000000, vcc_lo
	v_cmp_o_f32_e32 vcc_lo, v31, v31
	s_delay_alu instid0(VALU_DEP_2) | instskip(NEXT) | instid1(VALU_DEP_1)
	v_xor_b32_e32 v6, v6, v31
	v_cndmask_b32_e32 v6, -1, v6, vcc_lo
	s_delay_alu instid0(VALU_DEP_1) | instskip(NEXT) | instid1(VALU_DEP_1)
	v_and_b32_e32 v6, v6, v36
	v_cmp_eq_u32_e32 vcc_lo, v6, v32
	s_and_b32 exec_lo, exec_lo, vcc_lo
	s_cbranch_execz .LBB192_233
; %bb.238:                              ;   in Loop: Header=BB192_236 Depth=2
	ds_store_b64 v3, v[30:31] offset:3072
	s_branch .LBB192_233
.LBB192_239:                            ;   in Loop: Header=BB192_236 Depth=2
	s_mov_b32 vcc_lo, -1
	s_mov_b32 s47, -1
                                        ; implicit-def: $vgpr8_vgpr9
                                        ; implicit-def: $vgpr10
	s_branch .LBB192_235
.LBB192_240:                            ;   in Loop: Header=BB192_6 Depth=1
	s_or_b32 exec_lo, exec_lo, s22
	s_delay_alu instid0(SALU_CYCLE_1)
	s_and_b32 s22, s46, exec_lo
.LBB192_241:                            ;   in Loop: Header=BB192_6 Depth=1
	s_or_b32 exec_lo, exec_lo, s28
.LBB192_242:                            ;   in Loop: Header=BB192_6 Depth=1
	s_delay_alu instid0(SALU_CYCLE_1)
	s_and_b32 vcc_lo, exec_lo, s23
	s_cbranch_vccz .LBB192_259
; %bb.243:                              ;   in Loop: Header=BB192_6 Depth=1
	s_and_b64 s[10:11], s[56:57], 0xffffffff00000000
	s_delay_alu instid0(SALU_CYCLE_1)
	s_cmp_lg_u64 s[10:11], 0
	s_cbranch_scc0 .LBB192_245
; %bb.244:                              ;   in Loop: Header=BB192_6 Depth=1
	s_cvt_f32_u32 s10, s34
	s_sub_nc_u64 s[20:21], 0, s[34:35]
	s_delay_alu instid0(SALU_CYCLE_2) | instskip(NEXT) | instid1(SALU_CYCLE_3)
	s_fmamk_f32 s10, s90, 0x0, s10
	v_s_rcp_f32 s10, s10
	s_delay_alu instid0(TRANS32_DEP_1) | instskip(NEXT) | instid1(SALU_CYCLE_3)
	s_mul_f32 s10, s10, 0x5f7ffffc
	s_mul_f32 s11, s10, 0x2f800000
	s_delay_alu instid0(SALU_CYCLE_3) | instskip(NEXT) | instid1(SALU_CYCLE_3)
	s_trunc_f32 s11, s11
	s_fmamk_f32 s10, s11, 0xcf800000, s10
	s_cvt_u32_f32 s11, s11
	s_delay_alu instid0(SALU_CYCLE_2) | instskip(NEXT) | instid1(SALU_CYCLE_3)
	s_cvt_u32_f32 s10, s10
	s_mul_u64 s[46:47], s[20:21], s[10:11]
	s_delay_alu instid0(SALU_CYCLE_1)
	s_mul_hi_u32 s49, s10, s47
	s_mul_i32 s48, s10, s47
	s_mul_hi_u32 s28, s10, s46
	s_mul_i32 s50, s11, s46
	s_add_nc_u64 s[48:49], s[28:29], s[48:49]
	s_mul_hi_u32 s23, s11, s46
	s_mul_hi_u32 s51, s11, s47
	s_add_co_u32 s28, s48, s50
	s_add_co_ci_u32 s28, s49, s23
	s_mul_i32 s46, s11, s47
	s_add_co_ci_u32 s47, s51, 0
	s_delay_alu instid0(SALU_CYCLE_1) | instskip(NEXT) | instid1(SALU_CYCLE_1)
	s_add_nc_u64 s[46:47], s[28:29], s[46:47]
	s_add_co_u32 s10, s10, s46
	s_cselect_b32 s23, -1, 0
	s_delay_alu instid0(SALU_CYCLE_1) | instskip(SKIP_1) | instid1(SALU_CYCLE_1)
	s_cmp_lg_u32 s23, 0
	s_add_co_ci_u32 s11, s11, s47
	s_mul_u64 s[20:21], s[20:21], s[10:11]
	s_delay_alu instid0(SALU_CYCLE_1)
	s_mul_hi_u32 s47, s10, s21
	s_mul_i32 s46, s10, s21
	s_mul_hi_u32 s28, s10, s20
	s_mul_i32 s48, s11, s20
	s_add_nc_u64 s[46:47], s[28:29], s[46:47]
	s_mul_hi_u32 s23, s11, s20
	s_mul_hi_u32 s49, s11, s21
	s_mul_i32 s20, s11, s21
	s_add_co_u32 s21, s46, s48
	s_add_co_ci_u32 s28, s47, s23
	s_add_co_ci_u32 s21, s49, 0
	s_delay_alu instid0(SALU_CYCLE_1) | instskip(NEXT) | instid1(SALU_CYCLE_1)
	s_add_nc_u64 s[20:21], s[28:29], s[20:21]
	s_add_co_u32 s10, s10, s20
	s_cselect_b32 s20, -1, 0
	s_mul_hi_u32 s28, s56, s10
	s_cmp_lg_u32 s20, 0
	s_mul_hi_u32 s23, s57, s10
	s_add_co_ci_u32 s20, s11, s21
	s_mul_i32 s21, s57, s10
	s_mul_hi_u32 s11, s56, s20
	s_mul_i32 s10, s56, s20
	s_mul_hi_u32 s46, s57, s20
	s_add_nc_u64 s[10:11], s[28:29], s[10:11]
	s_mul_i32 s20, s57, s20
	s_add_co_u32 s10, s10, s21
	s_add_co_ci_u32 s28, s11, s23
	s_add_co_ci_u32 s21, s46, 0
	s_delay_alu instid0(SALU_CYCLE_1) | instskip(NEXT) | instid1(SALU_CYCLE_1)
	s_add_nc_u64 s[10:11], s[28:29], s[20:21]
	s_and_b64 s[20:21], s[10:11], 0xffffffff00000000
	s_delay_alu instid0(SALU_CYCLE_1) | instskip(NEXT) | instid1(SALU_CYCLE_1)
	s_or_b32 s20, s20, s10
	s_mul_u64 s[10:11], s[34:35], s[20:21]
	s_delay_alu instid0(SALU_CYCLE_1) | instskip(SKIP_1) | instid1(SALU_CYCLE_1)
	s_sub_co_u32 s10, s56, s10
	s_cselect_b32 s20, -1, 0
	s_cmp_lg_u32 s20, 0
	s_sub_co_ci_u32 s11, s57, s11
	s_sub_co_u32 s20, s10, s34
	s_cselect_b32 s21, -1, 0
	s_delay_alu instid0(SALU_CYCLE_1) | instskip(SKIP_3) | instid1(SALU_CYCLE_1)
	s_cmp_lg_u32 s21, 0
	s_sub_co_ci_u32 s21, s11, 0
	s_sub_co_u32 s23, s20, s34
	s_cselect_b32 s28, -1, 0
	s_cmp_lg_u32 s28, 0
	s_sub_co_ci_u32 s28, s21, 0
	s_cmp_ge_u32 s20, s34
	s_cselect_b32 s46, -1, 0
	s_cmp_eq_u32 s21, 0
	s_cselect_b32 s46, s46, -1
	s_delay_alu instid0(SALU_CYCLE_1)
	s_cmp_lg_u32 s46, 0
	s_cselect_b32 s21, s28, s21
	s_cselect_b32 s20, s23, s20
	s_cmp_ge_u32 s10, s34
	s_cselect_b32 s23, -1, 0
	s_cmp_eq_u32 s11, 0
	s_cselect_b32 s23, s23, -1
	s_delay_alu instid0(SALU_CYCLE_1)
	s_cmp_lg_u32 s23, 0
	s_cselect_b32 s11, s21, s11
	s_cselect_b32 s10, s20, s10
	s_mov_b32 s20, 0
	s_branch .LBB192_246
.LBB192_245:                            ;   in Loop: Header=BB192_6 Depth=1
	s_mov_b32 s20, -1
                                        ; implicit-def: $sgpr10_sgpr11
.LBB192_246:                            ;   in Loop: Header=BB192_6 Depth=1
	s_delay_alu instid0(SALU_CYCLE_1)
	s_and_not1_b32 vcc_lo, exec_lo, s20
	s_cbranch_vccnz .LBB192_248
; %bb.247:                              ;   in Loop: Header=BB192_6 Depth=1
	v_cvt_f32_u32_e32 v6, s34
	s_sub_co_i32 s11, 0, s34
	s_delay_alu instid0(VALU_DEP_1) | instskip(SKIP_1) | instid1(TRANS32_DEP_1)
	v_rcp_iflag_f32_e32 v6, v6
	v_nop
	v_mul_f32_e32 v6, 0x4f7ffffe, v6
	s_delay_alu instid0(VALU_DEP_1) | instskip(NEXT) | instid1(VALU_DEP_1)
	v_cvt_u32_f32_e32 v6, v6
	v_readfirstlane_b32 s10, v6
	s_mul_i32 s11, s11, s10
	s_delay_alu instid0(SALU_CYCLE_1) | instskip(NEXT) | instid1(SALU_CYCLE_1)
	s_mul_hi_u32 s11, s10, s11
	s_add_co_i32 s10, s10, s11
	s_delay_alu instid0(SALU_CYCLE_1) | instskip(NEXT) | instid1(SALU_CYCLE_1)
	s_mul_hi_u32 s10, s56, s10
	s_mul_i32 s10, s10, s34
	s_delay_alu instid0(SALU_CYCLE_1) | instskip(NEXT) | instid1(SALU_CYCLE_1)
	s_sub_co_i32 s10, s56, s10
	s_sub_co_i32 s11, s10, s34
	s_cmp_ge_u32 s10, s34
	s_cselect_b32 s10, s11, s10
	s_delay_alu instid0(SALU_CYCLE_1) | instskip(SKIP_2) | instid1(SALU_CYCLE_1)
	s_sub_co_i32 s11, s10, s34
	s_cmp_ge_u32 s10, s34
	s_cselect_b32 s28, s11, s10
	s_mov_b64 s[10:11], s[28:29]
.LBB192_248:                            ;   in Loop: Header=BB192_6 Depth=1
	s_delay_alu instid0(SALU_CYCLE_1)
	s_sub_nc_u64 s[10:11], s[56:57], s[10:11]
	s_mov_b32 s20, exec_lo
                                        ; implicit-def: $vgpr7
	v_nop
	v_cmpx_gt_u64_e64 s[10:11], v[0:1]
	s_cbranch_execz .LBB192_258
; %bb.249:                              ;   in Loop: Header=BB192_6 Depth=1
	v_mov_b64_e32 v[8:9], v[14:15]
	v_mov_b64_e32 v[10:11], v[0:1]
	s_mov_b32 s21, 0
                                        ; implicit-def: $sgpr23
	s_branch .LBB192_253
.LBB192_250:                            ;   in Loop: Header=BB192_253 Depth=2
	s_or_b32 exec_lo, exec_lo, s28
	s_wait_dscnt 0x0
	s_barrier_signal -1
	s_barrier_wait -1
	ds_load_b64 v[6:7], v3 offset:3072
	s_wait_dscnt 0x0
	s_barrier_signal -1
	s_barrier_wait -1
	v_cmp_eq_f32_e32 vcc_lo, 0, v6
	s_cbranch_vccz .LBB192_256
; %bb.251:                              ;   in Loop: Header=BB192_253 Depth=2
	v_add_nc_u64_e32 v[10:11], s[34:35], v[10:11]
	v_add_nc_u64_e32 v[8:9], s[40:41], v[8:9]
	s_mov_b32 s28, 0
	s_delay_alu instid0(VALU_DEP_2)
	v_cmp_le_u64_e32 vcc_lo, s[10:11], v[10:11]
	s_or_not1_b32 s46, vcc_lo, exec_lo
.LBB192_252:                            ;   in Loop: Header=BB192_253 Depth=2
	s_delay_alu instid0(SALU_CYCLE_1) | instskip(NEXT) | instid1(SALU_CYCLE_1)
	s_and_b32 s46, exec_lo, s46
	s_or_b32 s21, s46, s21
	s_and_not1_b32 s23, s23, exec_lo
	s_and_b32 s28, s28, exec_lo
	s_delay_alu instid0(SALU_CYCLE_1)
	s_or_b32 s23, s23, s28
	s_and_not1_b32 exec_lo, exec_lo, s21
	s_cbranch_execz .LBB192_257
.LBB192_253:                            ;   Parent Loop BB192_6 Depth=1
                                        ; =>  This Inner Loop Header: Depth=2
	s_mov_b32 s28, exec_lo
	s_delay_alu instid0(VALU_DEP_1)
	v_cmpx_gt_u64_e64 s[36:37], v[10:11]
	s_cbranch_execz .LBB192_250
; %bb.254:                              ;   in Loop: Header=BB192_253 Depth=2
	global_load_b32 v31, v[8:9], off
	s_wait_loadcnt 0x0
	v_cmp_lt_i32_e32 vcc_lo, -1, v31
	v_cndmask_b32_e64 v6, -1, 0x80000000, vcc_lo
	v_cmp_o_f32_e32 vcc_lo, v31, v31
	s_delay_alu instid0(VALU_DEP_2) | instskip(NEXT) | instid1(VALU_DEP_1)
	v_xor_b32_e32 v6, v6, v31
	v_cndmask_b32_e32 v6, -1, v6, vcc_lo
	s_delay_alu instid0(VALU_DEP_1) | instskip(NEXT) | instid1(VALU_DEP_1)
	v_and_b32_e32 v6, v6, v36
	v_cmp_eq_u32_e32 vcc_lo, v6, v32
	s_and_b32 exec_lo, exec_lo, vcc_lo
	s_cbranch_execz .LBB192_250
; %bb.255:                              ;   in Loop: Header=BB192_253 Depth=2
	ds_store_b64 v3, v[30:31] offset:3072
	s_branch .LBB192_250
.LBB192_256:                            ;   in Loop: Header=BB192_253 Depth=2
	s_mov_b32 s46, -1
	s_mov_b32 s28, -1
                                        ; implicit-def: $vgpr10_vgpr11
                                        ; implicit-def: $vgpr8_vgpr9
	s_branch .LBB192_252
.LBB192_257:                            ;   in Loop: Header=BB192_6 Depth=1
	s_or_b32 exec_lo, exec_lo, s21
	s_delay_alu instid0(SALU_CYCLE_1) | instskip(SKIP_1) | instid1(SALU_CYCLE_1)
	s_and_not1_b32 s10, s22, exec_lo
	s_and_b32 s11, s23, exec_lo
	s_or_b32 s22, s10, s11
.LBB192_258:                            ;   in Loop: Header=BB192_6 Depth=1
	s_or_b32 exec_lo, exec_lo, s20
	s_mov_b32 s104, 0
	s_mov_b32 vcc_hi, -1
.LBB192_259:                            ;   in Loop: Header=BB192_6 Depth=1
	s_or_not1_b32 s11, s22, exec_lo
.LBB192_260:                            ;   in Loop: Header=BB192_6 Depth=1
	s_or_b32 exec_lo, exec_lo, s81
	s_mov_b32 s20, 0
	s_and_saveexec_b32 s10, s11
	s_cbranch_execz .LBB192_271
; %bb.261:                              ;   in Loop: Header=BB192_6 Depth=1
	v_mov_b64_e32 v[8:9], 1
	v_mov_b32_e32 v2, 1
	s_xor_b32 s20, s80, -1
	s_delay_alu instid0(SALU_CYCLE_1)
	s_and_saveexec_b32 s11, s20
	s_cbranch_execz .LBB192_270
; %bb.262:                              ;   in Loop: Header=BB192_6 Depth=1
	s_mov_b32 s20, exec_lo
	v_cmpx_ge_u64_e64 s[18:19], v[4:5]
	s_xor_b32 s20, exec_lo, s20
	s_cbranch_execz .LBB192_267
; %bb.263:                              ;   in Loop: Header=BB192_6 Depth=1
	ds_load_b64 v[8:9], v3 offset:5120
	v_or_b32_e32 v32, s24, v32
	v_or_b32_e32 v36, s24, v36
	s_wait_dscnt 0x0
	v_cmp_ne_u64_e32 vcc_lo, 0, v[8:9]
	s_cbranch_vccnz .LBB192_267
; %bb.264:                              ;   in Loop: Header=BB192_6 Depth=1
	s_and_saveexec_b32 s21, s5
; %bb.265:                              ;   in Loop: Header=BB192_6 Depth=1
	v_mov_b64_e32 v[8:9], s[18:19]
	ds_store_b64 v3, v[8:9] offset:5128
; %bb.266:                              ;   in Loop: Header=BB192_6 Depth=1
	s_or_b32 exec_lo, exec_lo, s21
	s_wait_dscnt 0x0
	s_barrier_signal -1
	s_barrier_wait -1
.LBB192_267:                            ;   in Loop: Header=BB192_6 Depth=1
	s_and_not1_saveexec_b32 s20, s20
; %bb.268:                              ;   in Loop: Header=BB192_6 Depth=1
	v_sub_nc_u64_e64 v[4:5], v[4:5], s[18:19]
; %bb.269:                              ;   in Loop: Header=BB192_6 Depth=1
	s_or_b32 exec_lo, exec_lo, s20
	s_delay_alu instid0(VALU_DEP_1)
	v_mov_b64_e32 v[8:9], v[4:5]
	v_mov_b32_e32 v2, 8
.LBB192_270:                            ;   in Loop: Header=BB192_6 Depth=1
	s_or_b32 exec_lo, exec_lo, s11
	s_delay_alu instid0(VALU_DEP_2)
	v_mov_b64_e32 v[4:5], v[8:9]
	s_mov_b32 s20, exec_lo
.LBB192_271:                            ;   in Loop: Header=BB192_6 Depth=1
	s_or_b32 exec_lo, exec_lo, s10
	s_delay_alu instid0(SALU_CYCLE_1)
	s_or_not1_b32 s10, s20, exec_lo
.LBB192_272:                            ;   in Loop: Header=BB192_6 Depth=1
	s_or_b32 exec_lo, exec_lo, s79
	s_delay_alu instid0(VALU_DEP_1)
	v_mov_b64_e32 v[8:9], v[4:5]
	s_and_not1_b32 s11, s77, exec_lo
	s_and_b32 s20, vcc_hi, exec_lo
	s_and_not1_b32 s21, s76, exec_lo
	s_and_b32 s22, s104, exec_lo
	s_or_b32 s77, s11, s20
	s_or_b32 s76, s21, s22
	s_and_b32 s11, s10, exec_lo
.LBB192_273:                            ;   in Loop: Header=BB192_6 Depth=1
	s_or_b32 exec_lo, exec_lo, s78
	s_delay_alu instid0(SALU_CYCLE_1)
	s_or_not1_b32 s10, s11, exec_lo
.LBB192_274:                            ;   in Loop: Header=BB192_6 Depth=1
	s_or_b32 exec_lo, exec_lo, s75
	v_mov_b64_e32 v[4:5], v[8:9]
	s_and_not1_b32 s11, s73, exec_lo
	s_and_b32 s20, s77, exec_lo
	s_and_not1_b32 s21, s68, exec_lo
	s_and_b32 s22, s76, exec_lo
	s_or_b32 s73, s11, s20
	s_or_b32 s68, s21, s22
	s_and_b32 s11, s10, exec_lo
.LBB192_275:                            ;   in Loop: Header=BB192_6 Depth=1
	s_or_b32 exec_lo, exec_lo, s74
	s_delay_alu instid0(SALU_CYCLE_1)
	s_or_not1_b32 s10, s11, exec_lo
.LBB192_276:                            ;   in Loop: Header=BB192_6 Depth=1
	s_or_b32 exec_lo, exec_lo, s27
	s_mov_b32 s11, 0
	s_mov_b32 s20, 0
	s_and_saveexec_b32 s21, s10
	s_delay_alu instid0(SALU_CYCLE_1)
	s_xor_b32 s21, exec_lo, s21
; %bb.277:                              ;   in Loop: Header=BB192_6 Depth=1
	v_cmp_ne_u32_e32 vcc_lo, 8, v2
	v_cmp_eq_u32_e64 s10, 8, v2
	s_and_b32 s20, vcc_lo, exec_lo
	s_and_b32 s11, s10, exec_lo
; %bb.278:                              ;   in Loop: Header=BB192_6 Depth=1
	s_or_b32 exec_lo, exec_lo, s21
	s_delay_alu instid0(SALU_CYCLE_1)
	s_and_not1_b32 s10, s70, exec_lo
	s_and_b32 s21, s73, exec_lo
	s_and_not1_b32 s22, s69, exec_lo
	s_and_b32 s23, s68, exec_lo
	s_or_b32 s70, s10, s21
	s_or_b32 s69, s22, s23
	s_and_b32 s27, s20, exec_lo
	s_and_b32 s68, s11, exec_lo
.LBB192_279:                            ;   in Loop: Header=BB192_6 Depth=1
	s_or_b32 exec_lo, exec_lo, s72
.LBB192_280:                            ;   in Loop: Header=BB192_6 Depth=1
	s_delay_alu instid0(SALU_CYCLE_1)
	s_and_b32 vcc_lo, exec_lo, s71
	s_cbranch_vccz .LBB192_297
; %bb.281:                              ;   in Loop: Header=BB192_6 Depth=1
	s_cmp_eq_u64 s[18:19], 1
                                        ; implicit-def: $sgpr71
                                        ; implicit-def: $sgpr26
	s_cselect_b32 s10, -1, 0
	s_delay_alu instid0(SALU_CYCLE_1)
	s_and_b32 s9, s10, s9
	s_mov_b32 s10, -1
	s_and_saveexec_b32 s69, s9
	s_cbranch_execz .LBB192_316
; %bb.282:                              ;   in Loop: Header=BB192_6 Depth=1
	ds_load_b64 v[4:5], v3 offset:5120
	s_wait_dscnt 0x0
	s_barrier_signal -1
	s_barrier_wait -1
	v_readfirstlane_b32 s10, v4
	v_readfirstlane_b32 s11, v5
	s_and_saveexec_b32 s20, s6
; %bb.283:                              ;   in Loop: Header=BB192_6 Depth=1
	ds_store_b32 v43, v3
; %bb.284:                              ;   in Loop: Header=BB192_6 Depth=1
	s_or_b32 exec_lo, exec_lo, s20
	v_or_b32_e32 v45, s24, v45
	v_or_b32_e32 v47, s24, v47
	s_mov_b32 s26, -1
	s_mov_b32 s71, 0
	s_cmp_eq_u64 s[10:11], 0
	s_mov_b32 s22, 0
	s_mov_b32 s23, -1
	s_wait_dscnt 0x0
	s_barrier_signal -1
	s_barrier_wait -1
                                        ; implicit-def: $vgpr33
	s_cbranch_scc1 .LBB192_300
; %bb.285:                              ;   in Loop: Header=BB192_6 Depth=1
	s_add_nc_u64 s[20:21], s[10:11], s[54:55]
	s_delay_alu instid0(SALU_CYCLE_1) | instskip(NEXT) | instid1(SALU_CYCLE_1)
	s_and_b64 s[22:23], s[20:21], 0xffffffff00000000
	s_cmp_lg_u64 s[22:23], 0
	s_cbranch_scc0 .LBB192_343
; %bb.286:                              ;   in Loop: Header=BB192_6 Depth=1
	s_cvt_f32_u32 s22, s34
	s_sub_nc_u64 s[46:47], 0, s[34:35]
	s_delay_alu instid0(SALU_CYCLE_2) | instskip(NEXT) | instid1(SALU_CYCLE_3)
	s_fmamk_f32 s22, s90, 0x0, s22
	v_s_rcp_f32 s22, s22
	s_delay_alu instid0(TRANS32_DEP_1) | instskip(NEXT) | instid1(SALU_CYCLE_3)
	s_mul_f32 s22, s22, 0x5f7ffffc
	s_mul_f32 s23, s22, 0x2f800000
	s_delay_alu instid0(SALU_CYCLE_3) | instskip(NEXT) | instid1(SALU_CYCLE_3)
	s_trunc_f32 s23, s23
	s_fmamk_f32 s22, s23, 0xcf800000, s22
	s_cvt_u32_f32 s23, s23
	s_delay_alu instid0(SALU_CYCLE_2) | instskip(NEXT) | instid1(SALU_CYCLE_3)
	s_cvt_u32_f32 s22, s22
	s_mul_u64 s[72:73], s[46:47], s[22:23]
	s_delay_alu instid0(SALU_CYCLE_1)
	s_mul_hi_u32 s75, s22, s73
	s_mul_i32 s74, s22, s73
	s_mul_hi_u32 s28, s22, s72
	s_mul_i32 s49, s23, s72
	s_add_nc_u64 s[74:75], s[28:29], s[74:75]
	s_mul_hi_u32 s48, s23, s72
	s_mul_hi_u32 s50, s23, s73
	s_add_co_u32 s28, s74, s49
	s_add_co_ci_u32 s28, s75, s48
	s_mul_i32 s72, s23, s73
	s_add_co_ci_u32 s73, s50, 0
	s_delay_alu instid0(SALU_CYCLE_1) | instskip(NEXT) | instid1(SALU_CYCLE_1)
	s_add_nc_u64 s[72:73], s[28:29], s[72:73]
	s_add_co_u32 s22, s22, s72
	s_cselect_b32 s28, -1, 0
	s_delay_alu instid0(SALU_CYCLE_1) | instskip(SKIP_1) | instid1(SALU_CYCLE_1)
	s_cmp_lg_u32 s28, 0
	s_add_co_ci_u32 s23, s23, s73
	s_mul_u64 s[46:47], s[46:47], s[22:23]
	s_delay_alu instid0(SALU_CYCLE_1)
	s_mul_hi_u32 s73, s22, s47
	s_mul_i32 s72, s22, s47
	s_mul_hi_u32 s28, s22, s46
	s_mul_i32 s49, s23, s46
	s_add_nc_u64 s[72:73], s[28:29], s[72:73]
	s_mul_hi_u32 s48, s23, s46
	s_mul_hi_u32 s50, s23, s47
	s_add_co_u32 s28, s72, s49
	s_add_co_ci_u32 s28, s73, s48
	s_mul_i32 s46, s23, s47
	s_add_co_ci_u32 s47, s50, 0
	s_delay_alu instid0(SALU_CYCLE_1) | instskip(NEXT) | instid1(SALU_CYCLE_1)
	s_add_nc_u64 s[46:47], s[28:29], s[46:47]
	s_add_co_u32 s22, s22, s46
	s_cselect_b32 s46, -1, 0
	s_mul_hi_u32 s28, s20, s22
	s_cmp_lg_u32 s46, 0
	s_mul_hi_u32 s48, s21, s22
	s_add_co_ci_u32 s46, s23, s47
	s_mul_i32 s47, s21, s22
	s_mul_hi_u32 s23, s20, s46
	s_mul_i32 s22, s20, s46
	s_mul_hi_u32 s49, s21, s46
	s_add_nc_u64 s[22:23], s[28:29], s[22:23]
	s_mul_i32 s46, s21, s46
	s_add_co_u32 s22, s22, s47
	s_add_co_ci_u32 s28, s23, s48
	s_add_co_ci_u32 s47, s49, 0
	s_delay_alu instid0(SALU_CYCLE_1) | instskip(NEXT) | instid1(SALU_CYCLE_1)
	s_add_nc_u64 s[22:23], s[28:29], s[46:47]
	s_and_b64 s[46:47], s[22:23], 0xffffffff00000000
	s_delay_alu instid0(SALU_CYCLE_1) | instskip(NEXT) | instid1(SALU_CYCLE_1)
	s_or_b32 s46, s46, s22
	s_mul_u64 s[22:23], s[34:35], s[46:47]
	s_delay_alu instid0(SALU_CYCLE_1) | instskip(SKIP_1) | instid1(SALU_CYCLE_1)
	s_sub_co_u32 s22, s20, s22
	s_cselect_b32 s28, -1, 0
	s_cmp_lg_u32 s28, 0
	s_sub_co_ci_u32 s23, s21, s23
	s_sub_co_u32 s28, s22, s34
	s_cselect_b32 s46, -1, 0
	s_delay_alu instid0(SALU_CYCLE_1) | instskip(SKIP_3) | instid1(SALU_CYCLE_1)
	s_cmp_lg_u32 s46, 0
	s_sub_co_ci_u32 s46, s23, 0
	s_sub_co_u32 s47, s28, s34
	s_cselect_b32 s48, -1, 0
	s_cmp_lg_u32 s48, 0
	s_sub_co_ci_u32 s48, s46, 0
	s_cmp_ge_u32 s28, s34
	s_cselect_b32 s49, -1, 0
	s_cmp_eq_u32 s46, 0
	s_cselect_b32 s49, s49, -1
	s_delay_alu instid0(SALU_CYCLE_1)
	s_cmp_lg_u32 s49, 0
	s_cselect_b32 s46, s48, s46
	s_cselect_b32 s28, s47, s28
	s_cmp_ge_u32 s22, s34
	s_cselect_b32 s47, -1, 0
	s_cmp_eq_u32 s23, 0
	s_cselect_b32 s47, s47, -1
	s_delay_alu instid0(SALU_CYCLE_1)
	s_cmp_lg_u32 s47, 0
	s_cselect_b32 s23, s46, s23
	s_cselect_b32 s22, s28, s22
	s_cbranch_execnz .LBB192_288
.LBB192_287:                            ;   in Loop: Header=BB192_6 Depth=1
	v_cvt_f32_u32_e32 v2, s34
	s_sub_co_i32 s23, 0, s34
	s_delay_alu instid0(VALU_DEP_1) | instskip(SKIP_1) | instid1(TRANS32_DEP_1)
	v_rcp_iflag_f32_e32 v2, v2
	v_nop
	v_mul_f32_e32 v2, 0x4f7ffffe, v2
	s_delay_alu instid0(VALU_DEP_1) | instskip(NEXT) | instid1(VALU_DEP_1)
	v_cvt_u32_f32_e32 v2, v2
	v_readfirstlane_b32 s22, v2
	s_mul_i32 s23, s23, s22
	s_delay_alu instid0(SALU_CYCLE_1) | instskip(NEXT) | instid1(SALU_CYCLE_1)
	s_mul_hi_u32 s23, s22, s23
	s_add_co_i32 s22, s22, s23
	s_delay_alu instid0(SALU_CYCLE_1) | instskip(NEXT) | instid1(SALU_CYCLE_1)
	s_mul_hi_u32 s22, s20, s22
	s_mul_i32 s22, s22, s34
	s_delay_alu instid0(SALU_CYCLE_1) | instskip(NEXT) | instid1(SALU_CYCLE_1)
	s_sub_co_i32 s22, s20, s22
	s_sub_co_i32 s23, s22, s34
	s_cmp_ge_u32 s22, s34
	s_cselect_b32 s22, s23, s22
	s_delay_alu instid0(SALU_CYCLE_1) | instskip(SKIP_2) | instid1(SALU_CYCLE_1)
	s_sub_co_i32 s23, s22, s34
	s_cmp_ge_u32 s22, s34
	s_cselect_b32 s28, s23, s22
	s_mov_b64 s[22:23], s[28:29]
.LBB192_288:                            ;   in Loop: Header=BB192_6 Depth=1
	s_delay_alu instid0(SALU_CYCLE_1)
	s_sub_nc_u64 s[20:21], s[20:21], s[22:23]
	s_mov_b32 s23, 0
	s_mov_b32 s22, 0
	s_mov_b32 s28, exec_lo
                                        ; implicit-def: $vgpr33
	v_cmpx_gt_u64_e64 s[20:21], v[0:1]
	s_cbranch_execz .LBB192_299
; %bb.289:                              ;   in Loop: Header=BB192_6 Depth=1
	v_mov_b64_e32 v[4:5], v[0:1]
	v_mov_b32_e32 v2, v16
                                        ; implicit-def: $sgpr46
	s_branch .LBB192_293
.LBB192_290:                            ;   in Loop: Header=BB192_293 Depth=2
	s_or_b32 exec_lo, exec_lo, s47
	s_wait_dscnt 0x0
	s_barrier_signal -1
	s_barrier_wait -1
	ds_load_b64 v[32:33], v3 offset:3072
	s_wait_dscnt 0x0
	s_barrier_signal -1
	s_barrier_wait -1
	v_cmp_neq_f32_e32 vcc_lo, 0, v32
	s_cbranch_vccnz .LBB192_296
; %bb.291:                              ;   in Loop: Header=BB192_293 Depth=2
	v_add_nc_u64_e32 v[4:5], s[34:35], v[4:5]
	v_add_nc_u32_e32 v2, s89, v2
	s_mov_b32 s47, 0
	s_delay_alu instid0(VALU_DEP_2)
	v_cmp_le_u64_e32 vcc_lo, s[20:21], v[4:5]
	s_or_not1_b32 s70, vcc_lo, exec_lo
.LBB192_292:                            ;   in Loop: Header=BB192_293 Depth=2
	s_delay_alu instid0(SALU_CYCLE_1) | instskip(NEXT) | instid1(SALU_CYCLE_1)
	s_and_b32 s48, exec_lo, s70
	s_or_b32 s22, s48, s22
	s_and_not1_b32 s46, s46, exec_lo
	s_and_b32 s47, s47, exec_lo
	s_delay_alu instid0(SALU_CYCLE_1)
	s_or_b32 s46, s46, s47
	s_and_not1_b32 exec_lo, exec_lo, s22
	s_cbranch_execz .LBB192_298
.LBB192_293:                            ;   Parent Loop BB192_6 Depth=1
                                        ; =>  This Inner Loop Header: Depth=2
	s_mov_b32 s47, exec_lo
	s_delay_alu instid0(VALU_DEP_2)
	v_cmpx_gt_u64_e64 s[10:11], v[4:5]
	s_cbranch_execz .LBB192_290
; %bb.294:                              ;   in Loop: Header=BB192_293 Depth=2
	ds_load_b32 v31, v2
	s_wait_dscnt 0x0
	v_cmp_lt_i32_e32 vcc_lo, -1, v31
	v_cndmask_b32_e64 v6, -1, 0x80000000, vcc_lo
	v_cmp_o_f32_e32 vcc_lo, v31, v31
	s_delay_alu instid0(VALU_DEP_2) | instskip(NEXT) | instid1(VALU_DEP_1)
	v_xor_b32_e32 v6, v6, v31
	v_cndmask_b32_e32 v6, -1, v6, vcc_lo
	s_delay_alu instid0(VALU_DEP_1) | instskip(NEXT) | instid1(VALU_DEP_1)
	v_and_b32_e32 v6, v6, v47
	v_cmp_eq_u32_e32 vcc_lo, v6, v45
	s_and_b32 exec_lo, exec_lo, vcc_lo
	s_cbranch_execz .LBB192_290
; %bb.295:                              ;   in Loop: Header=BB192_293 Depth=2
	ds_store_b64 v3, v[30:31] offset:3072
	s_branch .LBB192_290
.LBB192_296:                            ;   in Loop: Header=BB192_293 Depth=2
	s_mov_b32 s70, -1
	s_mov_b32 s47, -1
                                        ; implicit-def: $vgpr4_vgpr5
                                        ; implicit-def: $vgpr2
	s_branch .LBB192_292
.LBB192_297:                            ;   in Loop: Header=BB192_6 Depth=1
	v_dual_mov_b32 v45, v32 :: v_dual_mov_b32 v47, v36
	v_mov_b32_e32 v33, v7
	s_mov_b32 s71, 0
	s_and_saveexec_b32 s9, s68
	s_cbranch_execnz .LBB192_481
	s_branch .LBB192_482
.LBB192_298:                            ;   in Loop: Header=BB192_6 Depth=1
	s_or_b32 exec_lo, exec_lo, s22
	s_delay_alu instid0(SALU_CYCLE_1)
	s_and_b32 s22, s46, exec_lo
.LBB192_299:                            ;   in Loop: Header=BB192_6 Depth=1
	s_or_b32 exec_lo, exec_lo, s28
.LBB192_300:                            ;   in Loop: Header=BB192_6 Depth=1
	s_delay_alu instid0(SALU_CYCLE_1)
	s_and_b32 vcc_lo, exec_lo, s23
	s_cbranch_vccz .LBB192_315
; %bb.301:                              ;   in Loop: Header=BB192_6 Depth=1
	s_and_b64 s[10:11], s[56:57], 0xffffffff00000000
	s_delay_alu instid0(SALU_CYCLE_1)
	s_cmp_lg_u64 s[10:11], 0
	s_cbranch_scc0 .LBB192_344
; %bb.302:                              ;   in Loop: Header=BB192_6 Depth=1
	s_cvt_f32_u32 s10, s34
	s_sub_nc_u64 s[20:21], 0, s[34:35]
	s_delay_alu instid0(SALU_CYCLE_2) | instskip(NEXT) | instid1(SALU_CYCLE_3)
	s_fmamk_f32 s10, s90, 0x0, s10
	v_s_rcp_f32 s10, s10
	s_delay_alu instid0(TRANS32_DEP_1) | instskip(NEXT) | instid1(SALU_CYCLE_3)
	s_mul_f32 s10, s10, 0x5f7ffffc
	s_mul_f32 s11, s10, 0x2f800000
	s_delay_alu instid0(SALU_CYCLE_3) | instskip(NEXT) | instid1(SALU_CYCLE_3)
	s_trunc_f32 s11, s11
	s_fmamk_f32 s10, s11, 0xcf800000, s10
	s_cvt_u32_f32 s11, s11
	s_delay_alu instid0(SALU_CYCLE_2) | instskip(NEXT) | instid1(SALU_CYCLE_3)
	s_cvt_u32_f32 s10, s10
	s_mul_u64 s[46:47], s[20:21], s[10:11]
	s_delay_alu instid0(SALU_CYCLE_1)
	s_mul_hi_u32 s71, s10, s47
	s_mul_i32 s70, s10, s47
	s_mul_hi_u32 s28, s10, s46
	s_mul_i32 s26, s11, s46
	s_add_nc_u64 s[70:71], s[28:29], s[70:71]
	s_mul_hi_u32 s23, s11, s46
	s_mul_hi_u32 s48, s11, s47
	s_add_co_u32 s26, s70, s26
	s_add_co_ci_u32 s28, s71, s23
	s_mul_i32 s46, s11, s47
	s_add_co_ci_u32 s47, s48, 0
	s_delay_alu instid0(SALU_CYCLE_1) | instskip(NEXT) | instid1(SALU_CYCLE_1)
	s_add_nc_u64 s[46:47], s[28:29], s[46:47]
	s_add_co_u32 s10, s10, s46
	s_cselect_b32 s23, -1, 0
	s_delay_alu instid0(SALU_CYCLE_1) | instskip(SKIP_1) | instid1(SALU_CYCLE_1)
	s_cmp_lg_u32 s23, 0
	s_add_co_ci_u32 s11, s11, s47
	s_mul_u64 s[20:21], s[20:21], s[10:11]
	s_delay_alu instid0(SALU_CYCLE_1)
	s_mul_hi_u32 s47, s10, s21
	s_mul_i32 s46, s10, s21
	s_mul_hi_u32 s28, s10, s20
	s_mul_i32 s26, s11, s20
	s_add_nc_u64 s[46:47], s[28:29], s[46:47]
	s_mul_hi_u32 s23, s11, s20
	s_mul_hi_u32 s48, s11, s21
	s_mul_i32 s20, s11, s21
	s_add_co_u32 s21, s46, s26
	s_add_co_ci_u32 s28, s47, s23
	s_add_co_ci_u32 s21, s48, 0
	s_delay_alu instid0(SALU_CYCLE_1) | instskip(NEXT) | instid1(SALU_CYCLE_1)
	s_add_nc_u64 s[20:21], s[28:29], s[20:21]
	s_add_co_u32 s10, s10, s20
	s_cselect_b32 s20, -1, 0
	s_mul_hi_u32 s28, s56, s10
	s_cmp_lg_u32 s20, 0
	s_mul_hi_u32 s23, s57, s10
	s_add_co_ci_u32 s20, s11, s21
	s_mul_i32 s21, s57, s10
	s_mul_hi_u32 s11, s56, s20
	s_mul_i32 s10, s56, s20
	s_mul_hi_u32 s26, s57, s20
	s_add_nc_u64 s[10:11], s[28:29], s[10:11]
	s_mul_i32 s20, s57, s20
	s_add_co_u32 s10, s10, s21
	s_add_co_ci_u32 s28, s11, s23
	s_add_co_ci_u32 s21, s26, 0
	s_delay_alu instid0(SALU_CYCLE_1) | instskip(NEXT) | instid1(SALU_CYCLE_1)
	s_add_nc_u64 s[10:11], s[28:29], s[20:21]
	s_and_b64 s[20:21], s[10:11], 0xffffffff00000000
	s_delay_alu instid0(SALU_CYCLE_1) | instskip(NEXT) | instid1(SALU_CYCLE_1)
	s_or_b32 s20, s20, s10
	s_mul_u64 s[10:11], s[34:35], s[20:21]
	s_delay_alu instid0(SALU_CYCLE_1) | instskip(SKIP_1) | instid1(SALU_CYCLE_1)
	s_sub_co_u32 s10, s56, s10
	s_cselect_b32 s20, -1, 0
	s_cmp_lg_u32 s20, 0
	s_sub_co_ci_u32 s11, s57, s11
	s_sub_co_u32 s20, s10, s34
	s_cselect_b32 s21, -1, 0
	s_delay_alu instid0(SALU_CYCLE_1) | instskip(SKIP_3) | instid1(SALU_CYCLE_1)
	s_cmp_lg_u32 s21, 0
	s_sub_co_ci_u32 s21, s11, 0
	s_sub_co_u32 s23, s20, s34
	s_cselect_b32 s26, -1, 0
	s_cmp_lg_u32 s26, 0
	s_sub_co_ci_u32 s26, s21, 0
	s_cmp_ge_u32 s20, s34
	s_cselect_b32 s28, -1, 0
	s_cmp_eq_u32 s21, 0
	s_cselect_b32 s28, s28, -1
	s_delay_alu instid0(SALU_CYCLE_1)
	s_cmp_lg_u32 s28, 0
	s_cselect_b32 s21, s26, s21
	s_cselect_b32 s20, s23, s20
	s_cmp_ge_u32 s10, s34
	s_cselect_b32 s23, -1, 0
	s_cmp_eq_u32 s11, 0
	s_cselect_b32 s23, s23, -1
	s_delay_alu instid0(SALU_CYCLE_1)
	s_cmp_lg_u32 s23, 0
	s_cselect_b32 s11, s21, s11
	s_cselect_b32 s10, s20, s10
	s_cbranch_execnz .LBB192_304
.LBB192_303:                            ;   in Loop: Header=BB192_6 Depth=1
	v_cvt_f32_u32_e32 v2, s34
	s_sub_co_i32 s11, 0, s34
	s_delay_alu instid0(VALU_DEP_1) | instskip(SKIP_1) | instid1(TRANS32_DEP_1)
	v_rcp_iflag_f32_e32 v2, v2
	v_nop
	v_mul_f32_e32 v2, 0x4f7ffffe, v2
	s_delay_alu instid0(VALU_DEP_1) | instskip(NEXT) | instid1(VALU_DEP_1)
	v_cvt_u32_f32_e32 v2, v2
	v_readfirstlane_b32 s10, v2
	s_mul_i32 s11, s11, s10
	s_delay_alu instid0(SALU_CYCLE_1) | instskip(NEXT) | instid1(SALU_CYCLE_1)
	s_mul_hi_u32 s11, s10, s11
	s_add_co_i32 s10, s10, s11
	s_delay_alu instid0(SALU_CYCLE_1) | instskip(NEXT) | instid1(SALU_CYCLE_1)
	s_mul_hi_u32 s10, s56, s10
	s_mul_i32 s10, s10, s34
	s_delay_alu instid0(SALU_CYCLE_1) | instskip(NEXT) | instid1(SALU_CYCLE_1)
	s_sub_co_i32 s10, s56, s10
	s_sub_co_i32 s11, s10, s34
	s_cmp_ge_u32 s10, s34
	s_cselect_b32 s10, s11, s10
	s_delay_alu instid0(SALU_CYCLE_1) | instskip(SKIP_2) | instid1(SALU_CYCLE_1)
	s_sub_co_i32 s11, s10, s34
	s_cmp_ge_u32 s10, s34
	s_cselect_b32 s28, s11, s10
	s_mov_b64 s[10:11], s[28:29]
.LBB192_304:                            ;   in Loop: Header=BB192_6 Depth=1
	s_delay_alu instid0(SALU_CYCLE_1)
	s_sub_nc_u64 s[10:11], s[56:57], s[10:11]
	s_mov_b32 s20, exec_lo
                                        ; implicit-def: $vgpr33
	v_nop
	v_cmpx_gt_u64_e64 s[10:11], v[0:1]
	s_cbranch_execz .LBB192_314
; %bb.305:                              ;   in Loop: Header=BB192_6 Depth=1
	v_mov_b64_e32 v[4:5], v[14:15]
	v_mov_b64_e32 v[6:7], v[0:1]
	s_mov_b32 s21, 0
                                        ; implicit-def: $sgpr23
	s_branch .LBB192_309
.LBB192_306:                            ;   in Loop: Header=BB192_309 Depth=2
	s_or_b32 exec_lo, exec_lo, s26
	s_wait_dscnt 0x0
	s_barrier_signal -1
	s_barrier_wait -1
	ds_load_b64 v[32:33], v3 offset:3072
	s_wait_dscnt 0x0
	s_barrier_signal -1
	s_barrier_wait -1
	v_cmp_neq_f32_e32 vcc_lo, 0, v32
	s_cbranch_vccnz .LBB192_312
; %bb.307:                              ;   in Loop: Header=BB192_309 Depth=2
	v_add_nc_u64_e32 v[6:7], s[34:35], v[6:7]
	v_add_nc_u64_e32 v[4:5], s[40:41], v[4:5]
	s_mov_b32 s26, 0
	s_delay_alu instid0(VALU_DEP_2)
	v_cmp_le_u64_e32 vcc_lo, s[10:11], v[6:7]
	s_or_not1_b32 s28, vcc_lo, exec_lo
.LBB192_308:                            ;   in Loop: Header=BB192_309 Depth=2
	s_delay_alu instid0(SALU_CYCLE_1) | instskip(NEXT) | instid1(SALU_CYCLE_1)
	s_and_b32 s28, exec_lo, s28
	s_or_b32 s21, s28, s21
	s_and_not1_b32 s23, s23, exec_lo
	s_and_b32 s26, s26, exec_lo
	s_delay_alu instid0(SALU_CYCLE_1)
	s_or_b32 s23, s23, s26
	s_and_not1_b32 exec_lo, exec_lo, s21
	s_cbranch_execz .LBB192_313
.LBB192_309:                            ;   Parent Loop BB192_6 Depth=1
                                        ; =>  This Inner Loop Header: Depth=2
	s_mov_b32 s26, exec_lo
	s_delay_alu instid0(VALU_DEP_1)
	v_cmpx_gt_u64_e64 s[36:37], v[6:7]
	s_cbranch_execz .LBB192_306
; %bb.310:                              ;   in Loop: Header=BB192_309 Depth=2
	global_load_b32 v31, v[4:5], off
	s_wait_loadcnt 0x0
	v_cmp_lt_i32_e32 vcc_lo, -1, v31
	v_cndmask_b32_e64 v2, -1, 0x80000000, vcc_lo
	v_cmp_o_f32_e32 vcc_lo, v31, v31
	s_delay_alu instid0(VALU_DEP_2) | instskip(NEXT) | instid1(VALU_DEP_1)
	v_xor_b32_e32 v2, v2, v31
	v_cndmask_b32_e32 v2, -1, v2, vcc_lo
	s_delay_alu instid0(VALU_DEP_1) | instskip(NEXT) | instid1(VALU_DEP_1)
	v_and_b32_e32 v2, v2, v47
	v_cmp_eq_u32_e32 vcc_lo, v2, v45
	s_and_b32 exec_lo, exec_lo, vcc_lo
	s_cbranch_execz .LBB192_306
; %bb.311:                              ;   in Loop: Header=BB192_309 Depth=2
	ds_store_b64 v3, v[30:31] offset:3072
	s_branch .LBB192_306
.LBB192_312:                            ;   in Loop: Header=BB192_309 Depth=2
	s_mov_b32 s28, -1
	s_mov_b32 s26, -1
                                        ; implicit-def: $vgpr6_vgpr7
                                        ; implicit-def: $vgpr4_vgpr5
	s_branch .LBB192_308
.LBB192_313:                            ;   in Loop: Header=BB192_6 Depth=1
	s_or_b32 exec_lo, exec_lo, s21
	s_delay_alu instid0(SALU_CYCLE_1) | instskip(SKIP_1) | instid1(SALU_CYCLE_1)
	s_and_not1_b32 s10, s22, exec_lo
	s_and_b32 s11, s23, exec_lo
	s_or_b32 s22, s10, s11
.LBB192_314:                            ;   in Loop: Header=BB192_6 Depth=1
	s_or_b32 exec_lo, exec_lo, s20
	s_mov_b32 s26, 0
	s_mov_b32 s71, -1
.LBB192_315:                            ;   in Loop: Header=BB192_6 Depth=1
	s_or_not1_b32 s10, s22, exec_lo
.LBB192_316:                            ;   in Loop: Header=BB192_6 Depth=1
	s_or_b32 exec_lo, exec_lo, s69
                                        ; implicit-def: $vgpr4_vgpr5
                                        ; implicit-def: $vgpr2
	s_and_saveexec_b32 s22, s10
	s_cbranch_execz .LBB192_480
; %bb.317:                              ;   in Loop: Header=BB192_6 Depth=1
	v_mov_b64_e32 v[4:5], 1
	v_mov_b32_e32 v2, 1
	s_xor_b32 s10, s9, -1
	s_mov_b32 s11, 0
	s_and_saveexec_b32 s9, s10
	s_cbranch_execz .LBB192_326
; %bb.318:                              ;   in Loop: Header=BB192_6 Depth=1
	s_mov_b32 s10, exec_lo
	v_cmpx_ge_u64_e64 s[18:19], v[34:35]
	s_xor_b32 s10, exec_lo, s10
	s_cbranch_execz .LBB192_323
; %bb.319:                              ;   in Loop: Header=BB192_6 Depth=1
	ds_load_b64 v[4:5], v3 offset:5120
	v_or_b32_e32 v45, s24, v45
	v_or_b32_e32 v47, s24, v47
	s_wait_dscnt 0x0
	v_cmp_ne_u64_e32 vcc_lo, 0, v[4:5]
	s_cbranch_vccnz .LBB192_323
; %bb.320:                              ;   in Loop: Header=BB192_6 Depth=1
	s_and_saveexec_b32 s11, s5
; %bb.321:                              ;   in Loop: Header=BB192_6 Depth=1
	v_mov_b64_e32 v[4:5], s[18:19]
	ds_store_b64 v3, v[4:5] offset:5128
; %bb.322:                              ;   in Loop: Header=BB192_6 Depth=1
	s_or_b32 exec_lo, exec_lo, s11
	s_wait_dscnt 0x0
	s_barrier_signal -1
	s_barrier_wait -1
.LBB192_323:                            ;   in Loop: Header=BB192_6 Depth=1
	s_or_saveexec_b32 s10, s10
	v_mov_b32_e32 v2, 5
	s_mov_b32 s11, 0
	s_xor_b32 exec_lo, exec_lo, s10
; %bb.324:                              ;   in Loop: Header=BB192_6 Depth=1
	v_sub_nc_u64_e64 v[34:35], v[34:35], s[18:19]
	v_mov_b32_e32 v2, 0
	s_mov_b32 s11, exec_lo
; %bb.325:                              ;   in Loop: Header=BB192_6 Depth=1
	s_or_b32 exec_lo, exec_lo, s10
	s_delay_alu instid0(VALU_DEP_2)
	v_mov_b64_e32 v[4:5], v[34:35]
	s_and_b32 s11, s11, exec_lo
.LBB192_326:                            ;   in Loop: Header=BB192_6 Depth=1
	s_or_b32 exec_lo, exec_lo, s9
	s_mov_b32 s10, -1
                                        ; implicit-def: $sgpr23
                                        ; implicit-def: $sgpr69
	s_and_saveexec_b32 s9, s11
	s_delay_alu instid0(SALU_CYCLE_1)
	s_xor_b32 s9, exec_lo, s9
	s_cbranch_execz .LBB192_477
; %bb.327:                              ;   in Loop: Header=BB192_6 Depth=1
	v_cmp_eq_u64_e32 vcc_lo, 1, v[4:5]
	s_cmp_eq_u64 s[16:17], 1
                                        ; implicit-def: $sgpr69
                                        ; implicit-def: $sgpr23
	s_cselect_b32 s10, -1, 0
	s_delay_alu instid0(SALU_CYCLE_1)
	s_and_b32 s70, s10, vcc_lo
	s_mov_b32 s10, -1
	s_and_saveexec_b32 s72, s70
	s_cbranch_execz .LBB192_363
; %bb.328:                              ;   in Loop: Header=BB192_6 Depth=1
	ds_load_b64 v[6:7], v3 offset:5120
	s_wait_dscnt 0x0
	s_barrier_signal -1
	s_barrier_wait -1
	v_readfirstlane_b32 s10, v6
	v_readfirstlane_b32 s11, v7
	s_and_saveexec_b32 s18, s6
; %bb.329:                              ;   in Loop: Header=BB192_6 Depth=1
	ds_store_b32 v43, v3
; %bb.330:                              ;   in Loop: Header=BB192_6 Depth=1
	s_or_b32 exec_lo, exec_lo, s18
	s_lshl_b32 s18, 2, s91
	v_or_b32_e32 v47, s24, v47
	v_and_or_b32 v45, v45, s25, s18
	s_mov_b32 s23, -1
	s_mov_b32 s69, 0
	s_cmp_eq_u64 s[10:11], 0
	s_mov_b32 s20, 0
	s_mov_b32 s21, -1
	s_wait_dscnt 0x0
	s_barrier_signal -1
	s_barrier_wait -1
                                        ; implicit-def: $vgpr33
	s_cbranch_scc1 .LBB192_347
; %bb.331:                              ;   in Loop: Header=BB192_6 Depth=1
	s_add_nc_u64 s[18:19], s[10:11], s[54:55]
	s_delay_alu instid0(SALU_CYCLE_1) | instskip(NEXT) | instid1(SALU_CYCLE_1)
	s_and_b64 s[20:21], s[18:19], 0xffffffff00000000
	s_cmp_lg_u64 s[20:21], 0
	s_cbranch_scc0 .LBB192_390
; %bb.332:                              ;   in Loop: Header=BB192_6 Depth=1
	s_cvt_f32_u32 s20, s34
	s_sub_nc_u64 s[46:47], 0, s[34:35]
	s_delay_alu instid0(SALU_CYCLE_2) | instskip(NEXT) | instid1(SALU_CYCLE_3)
	s_fmamk_f32 s20, s90, 0x0, s20
	v_s_rcp_f32 s20, s20
	s_delay_alu instid0(TRANS32_DEP_1) | instskip(NEXT) | instid1(SALU_CYCLE_3)
	s_mul_f32 s20, s20, 0x5f7ffffc
	s_mul_f32 s21, s20, 0x2f800000
	s_delay_alu instid0(SALU_CYCLE_3) | instskip(NEXT) | instid1(SALU_CYCLE_3)
	s_trunc_f32 s21, s21
	s_fmamk_f32 s20, s21, 0xcf800000, s20
	s_cvt_u32_f32 s21, s21
	s_delay_alu instid0(SALU_CYCLE_2) | instskip(NEXT) | instid1(SALU_CYCLE_3)
	s_cvt_u32_f32 s20, s20
	s_mul_u64 s[74:75], s[46:47], s[20:21]
	s_delay_alu instid0(SALU_CYCLE_1)
	s_mul_hi_u32 s77, s20, s75
	s_mul_i32 s76, s20, s75
	s_mul_hi_u32 s28, s20, s74
	s_mul_i32 s49, s21, s74
	s_add_nc_u64 s[76:77], s[28:29], s[76:77]
	s_mul_hi_u32 s48, s21, s74
	s_mul_hi_u32 s50, s21, s75
	s_add_co_u32 s28, s76, s49
	s_add_co_ci_u32 s28, s77, s48
	s_mul_i32 s74, s21, s75
	s_add_co_ci_u32 s75, s50, 0
	s_delay_alu instid0(SALU_CYCLE_1) | instskip(NEXT) | instid1(SALU_CYCLE_1)
	s_add_nc_u64 s[74:75], s[28:29], s[74:75]
	s_add_co_u32 s20, s20, s74
	s_cselect_b32 s28, -1, 0
	s_delay_alu instid0(SALU_CYCLE_1) | instskip(SKIP_1) | instid1(SALU_CYCLE_1)
	s_cmp_lg_u32 s28, 0
	s_add_co_ci_u32 s21, s21, s75
	s_mul_u64 s[46:47], s[46:47], s[20:21]
	s_delay_alu instid0(SALU_CYCLE_1)
	s_mul_hi_u32 s75, s20, s47
	s_mul_i32 s74, s20, s47
	s_mul_hi_u32 s28, s20, s46
	s_mul_i32 s49, s21, s46
	s_add_nc_u64 s[74:75], s[28:29], s[74:75]
	s_mul_hi_u32 s48, s21, s46
	s_mul_hi_u32 s50, s21, s47
	s_add_co_u32 s28, s74, s49
	s_add_co_ci_u32 s28, s75, s48
	s_mul_i32 s46, s21, s47
	s_add_co_ci_u32 s47, s50, 0
	s_delay_alu instid0(SALU_CYCLE_1) | instskip(NEXT) | instid1(SALU_CYCLE_1)
	s_add_nc_u64 s[46:47], s[28:29], s[46:47]
	s_add_co_u32 s20, s20, s46
	s_cselect_b32 s46, -1, 0
	s_mul_hi_u32 s28, s18, s20
	s_cmp_lg_u32 s46, 0
	s_mul_hi_u32 s48, s19, s20
	s_add_co_ci_u32 s46, s21, s47
	s_mul_i32 s47, s19, s20
	s_mul_hi_u32 s21, s18, s46
	s_mul_i32 s20, s18, s46
	s_mul_hi_u32 s49, s19, s46
	s_add_nc_u64 s[20:21], s[28:29], s[20:21]
	s_mul_i32 s46, s19, s46
	s_add_co_u32 s20, s20, s47
	s_add_co_ci_u32 s28, s21, s48
	s_add_co_ci_u32 s47, s49, 0
	s_delay_alu instid0(SALU_CYCLE_1) | instskip(NEXT) | instid1(SALU_CYCLE_1)
	s_add_nc_u64 s[20:21], s[28:29], s[46:47]
	s_and_b64 s[46:47], s[20:21], 0xffffffff00000000
	s_delay_alu instid0(SALU_CYCLE_1) | instskip(NEXT) | instid1(SALU_CYCLE_1)
	s_or_b32 s46, s46, s20
	s_mul_u64 s[20:21], s[34:35], s[46:47]
	s_delay_alu instid0(SALU_CYCLE_1) | instskip(SKIP_1) | instid1(SALU_CYCLE_1)
	s_sub_co_u32 s20, s18, s20
	s_cselect_b32 s28, -1, 0
	s_cmp_lg_u32 s28, 0
	s_sub_co_ci_u32 s21, s19, s21
	s_sub_co_u32 s28, s20, s34
	s_cselect_b32 s46, -1, 0
	s_delay_alu instid0(SALU_CYCLE_1) | instskip(SKIP_3) | instid1(SALU_CYCLE_1)
	s_cmp_lg_u32 s46, 0
	s_sub_co_ci_u32 s46, s21, 0
	s_sub_co_u32 s47, s28, s34
	s_cselect_b32 s48, -1, 0
	s_cmp_lg_u32 s48, 0
	s_sub_co_ci_u32 s48, s46, 0
	s_cmp_ge_u32 s28, s34
	s_cselect_b32 s49, -1, 0
	s_cmp_eq_u32 s46, 0
	s_cselect_b32 s49, s49, -1
	s_delay_alu instid0(SALU_CYCLE_1)
	s_cmp_lg_u32 s49, 0
	s_cselect_b32 s46, s48, s46
	s_cselect_b32 s28, s47, s28
	s_cmp_ge_u32 s20, s34
	s_cselect_b32 s47, -1, 0
	s_cmp_eq_u32 s21, 0
	s_cselect_b32 s47, s47, -1
	s_delay_alu instid0(SALU_CYCLE_1)
	s_cmp_lg_u32 s47, 0
	s_cselect_b32 s21, s46, s21
	s_cselect_b32 s20, s28, s20
	s_cbranch_execnz .LBB192_334
.LBB192_333:                            ;   in Loop: Header=BB192_6 Depth=1
	v_cvt_f32_u32_e32 v6, s34
	s_sub_co_i32 s21, 0, s34
	s_delay_alu instid0(VALU_DEP_1) | instskip(SKIP_1) | instid1(TRANS32_DEP_1)
	v_rcp_iflag_f32_e32 v6, v6
	v_nop
	v_mul_f32_e32 v6, 0x4f7ffffe, v6
	s_delay_alu instid0(VALU_DEP_1) | instskip(NEXT) | instid1(VALU_DEP_1)
	v_cvt_u32_f32_e32 v6, v6
	v_readfirstlane_b32 s20, v6
	s_mul_i32 s21, s21, s20
	s_delay_alu instid0(SALU_CYCLE_1) | instskip(NEXT) | instid1(SALU_CYCLE_1)
	s_mul_hi_u32 s21, s20, s21
	s_add_co_i32 s20, s20, s21
	s_delay_alu instid0(SALU_CYCLE_1) | instskip(NEXT) | instid1(SALU_CYCLE_1)
	s_mul_hi_u32 s20, s18, s20
	s_mul_i32 s20, s20, s34
	s_delay_alu instid0(SALU_CYCLE_1) | instskip(NEXT) | instid1(SALU_CYCLE_1)
	s_sub_co_i32 s20, s18, s20
	s_sub_co_i32 s21, s20, s34
	s_cmp_ge_u32 s20, s34
	s_cselect_b32 s20, s21, s20
	s_delay_alu instid0(SALU_CYCLE_1) | instskip(SKIP_2) | instid1(SALU_CYCLE_1)
	s_sub_co_i32 s21, s20, s34
	s_cmp_ge_u32 s20, s34
	s_cselect_b32 s28, s21, s20
	s_mov_b64 s[20:21], s[28:29]
.LBB192_334:                            ;   in Loop: Header=BB192_6 Depth=1
	s_delay_alu instid0(SALU_CYCLE_1)
	s_sub_nc_u64 s[18:19], s[18:19], s[20:21]
	s_mov_b32 s21, 0
	s_mov_b32 s20, 0
	s_mov_b32 s28, exec_lo
                                        ; implicit-def: $vgpr33
	v_cmpx_gt_u64_e64 s[18:19], v[0:1]
	s_cbranch_execz .LBB192_346
; %bb.335:                              ;   in Loop: Header=BB192_6 Depth=1
	v_mov_b64_e32 v[6:7], v[0:1]
	v_mov_b32_e32 v8, v16
                                        ; implicit-def: $sgpr46
	s_branch .LBB192_339
.LBB192_336:                            ;   in Loop: Header=BB192_339 Depth=2
	s_or_b32 exec_lo, exec_lo, s47
	s_wait_dscnt 0x0
	s_barrier_signal -1
	s_barrier_wait -1
	ds_load_b64 v[32:33], v3 offset:3072
	s_wait_dscnt 0x0
	s_barrier_signal -1
	s_barrier_wait -1
	v_cmp_neq_f32_e32 vcc_lo, 0, v32
	s_cbranch_vccnz .LBB192_342
; %bb.337:                              ;   in Loop: Header=BB192_339 Depth=2
	v_add_nc_u64_e32 v[6:7], s[34:35], v[6:7]
	v_add_nc_u32_e32 v8, s89, v8
	s_mov_b32 s47, 0
	s_delay_alu instid0(VALU_DEP_2)
	v_cmp_le_u64_e32 vcc_lo, s[18:19], v[6:7]
	s_or_not1_b32 s73, vcc_lo, exec_lo
.LBB192_338:                            ;   in Loop: Header=BB192_339 Depth=2
	s_delay_alu instid0(SALU_CYCLE_1) | instskip(NEXT) | instid1(SALU_CYCLE_1)
	s_and_b32 s48, exec_lo, s73
	s_or_b32 s20, s48, s20
	s_and_not1_b32 s46, s46, exec_lo
	s_and_b32 s47, s47, exec_lo
	s_delay_alu instid0(SALU_CYCLE_1)
	s_or_b32 s46, s46, s47
	s_and_not1_b32 exec_lo, exec_lo, s20
	s_cbranch_execz .LBB192_345
.LBB192_339:                            ;   Parent Loop BB192_6 Depth=1
                                        ; =>  This Inner Loop Header: Depth=2
	s_mov_b32 s47, exec_lo
	s_delay_alu instid0(VALU_DEP_2)
	v_cmpx_gt_u64_e64 s[10:11], v[6:7]
	s_cbranch_execz .LBB192_336
; %bb.340:                              ;   in Loop: Header=BB192_339 Depth=2
	ds_load_b32 v31, v8
	s_wait_dscnt 0x0
	v_cmp_lt_i32_e32 vcc_lo, -1, v31
	v_cndmask_b32_e64 v9, -1, 0x80000000, vcc_lo
	v_cmp_o_f32_e32 vcc_lo, v31, v31
	s_delay_alu instid0(VALU_DEP_2) | instskip(NEXT) | instid1(VALU_DEP_1)
	v_xor_b32_e32 v9, v9, v31
	v_cndmask_b32_e32 v9, -1, v9, vcc_lo
	s_delay_alu instid0(VALU_DEP_1) | instskip(NEXT) | instid1(VALU_DEP_1)
	v_and_b32_e32 v9, v9, v47
	v_cmp_eq_u32_e32 vcc_lo, v9, v45
	s_and_b32 exec_lo, exec_lo, vcc_lo
	s_cbranch_execz .LBB192_336
; %bb.341:                              ;   in Loop: Header=BB192_339 Depth=2
	ds_store_b64 v3, v[30:31] offset:3072
	s_branch .LBB192_336
.LBB192_342:                            ;   in Loop: Header=BB192_339 Depth=2
	s_mov_b32 s73, -1
	s_mov_b32 s47, -1
                                        ; implicit-def: $vgpr6_vgpr7
                                        ; implicit-def: $vgpr8
	s_branch .LBB192_338
.LBB192_343:                            ;   in Loop: Header=BB192_6 Depth=1
                                        ; implicit-def: $sgpr22_sgpr23
	s_branch .LBB192_287
.LBB192_344:                            ;   in Loop: Header=BB192_6 Depth=1
                                        ; implicit-def: $sgpr10_sgpr11
	s_branch .LBB192_303
.LBB192_345:                            ;   in Loop: Header=BB192_6 Depth=1
	s_or_b32 exec_lo, exec_lo, s20
	s_delay_alu instid0(SALU_CYCLE_1)
	s_and_b32 s20, s46, exec_lo
.LBB192_346:                            ;   in Loop: Header=BB192_6 Depth=1
	s_or_b32 exec_lo, exec_lo, s28
.LBB192_347:                            ;   in Loop: Header=BB192_6 Depth=1
	s_delay_alu instid0(SALU_CYCLE_1)
	s_and_b32 vcc_lo, exec_lo, s21
	s_cbranch_vccz .LBB192_362
; %bb.348:                              ;   in Loop: Header=BB192_6 Depth=1
	s_and_b64 s[10:11], s[56:57], 0xffffffff00000000
	s_delay_alu instid0(SALU_CYCLE_1)
	s_cmp_lg_u64 s[10:11], 0
	s_cbranch_scc0 .LBB192_391
; %bb.349:                              ;   in Loop: Header=BB192_6 Depth=1
	s_cvt_f32_u32 s10, s34
	s_sub_nc_u64 s[18:19], 0, s[34:35]
	s_delay_alu instid0(SALU_CYCLE_2) | instskip(NEXT) | instid1(SALU_CYCLE_3)
	s_fmamk_f32 s10, s90, 0x0, s10
	v_s_rcp_f32 s10, s10
	s_delay_alu instid0(TRANS32_DEP_1) | instskip(NEXT) | instid1(SALU_CYCLE_3)
	s_mul_f32 s10, s10, 0x5f7ffffc
	s_mul_f32 s11, s10, 0x2f800000
	s_delay_alu instid0(SALU_CYCLE_3) | instskip(NEXT) | instid1(SALU_CYCLE_3)
	s_trunc_f32 s11, s11
	s_fmamk_f32 s10, s11, 0xcf800000, s10
	s_cvt_u32_f32 s11, s11
	s_delay_alu instid0(SALU_CYCLE_2) | instskip(NEXT) | instid1(SALU_CYCLE_3)
	s_cvt_u32_f32 s10, s10
	s_mul_u64 s[46:47], s[18:19], s[10:11]
	s_delay_alu instid0(SALU_CYCLE_1)
	s_mul_hi_u32 s75, s10, s47
	s_mul_i32 s74, s10, s47
	s_mul_hi_u32 s28, s10, s46
	s_mul_i32 s23, s11, s46
	s_add_nc_u64 s[74:75], s[28:29], s[74:75]
	s_mul_hi_u32 s21, s11, s46
	s_mul_hi_u32 s48, s11, s47
	s_add_co_u32 s23, s74, s23
	s_add_co_ci_u32 s28, s75, s21
	s_mul_i32 s46, s11, s47
	s_add_co_ci_u32 s47, s48, 0
	s_delay_alu instid0(SALU_CYCLE_1) | instskip(NEXT) | instid1(SALU_CYCLE_1)
	s_add_nc_u64 s[46:47], s[28:29], s[46:47]
	s_add_co_u32 s10, s10, s46
	s_cselect_b32 s21, -1, 0
	s_delay_alu instid0(SALU_CYCLE_1) | instskip(SKIP_1) | instid1(SALU_CYCLE_1)
	s_cmp_lg_u32 s21, 0
	s_add_co_ci_u32 s11, s11, s47
	s_mul_u64 s[18:19], s[18:19], s[10:11]
	s_delay_alu instid0(SALU_CYCLE_1)
	s_mul_hi_u32 s47, s10, s19
	s_mul_i32 s46, s10, s19
	s_mul_hi_u32 s28, s10, s18
	s_mul_i32 s23, s11, s18
	s_add_nc_u64 s[46:47], s[28:29], s[46:47]
	s_mul_hi_u32 s21, s11, s18
	s_mul_hi_u32 s48, s11, s19
	s_mul_i32 s18, s11, s19
	s_add_co_u32 s19, s46, s23
	s_add_co_ci_u32 s28, s47, s21
	s_add_co_ci_u32 s19, s48, 0
	s_delay_alu instid0(SALU_CYCLE_1) | instskip(NEXT) | instid1(SALU_CYCLE_1)
	s_add_nc_u64 s[18:19], s[28:29], s[18:19]
	s_add_co_u32 s10, s10, s18
	s_cselect_b32 s18, -1, 0
	s_mul_hi_u32 s28, s56, s10
	s_cmp_lg_u32 s18, 0
	s_mul_hi_u32 s21, s57, s10
	s_add_co_ci_u32 s18, s11, s19
	s_mul_i32 s19, s57, s10
	s_mul_hi_u32 s11, s56, s18
	s_mul_i32 s10, s56, s18
	s_mul_hi_u32 s23, s57, s18
	s_add_nc_u64 s[10:11], s[28:29], s[10:11]
	s_mul_i32 s18, s57, s18
	s_add_co_u32 s10, s10, s19
	s_add_co_ci_u32 s28, s11, s21
	s_add_co_ci_u32 s19, s23, 0
	s_delay_alu instid0(SALU_CYCLE_1) | instskip(NEXT) | instid1(SALU_CYCLE_1)
	s_add_nc_u64 s[10:11], s[28:29], s[18:19]
	s_and_b64 s[18:19], s[10:11], 0xffffffff00000000
	s_delay_alu instid0(SALU_CYCLE_1) | instskip(NEXT) | instid1(SALU_CYCLE_1)
	s_or_b32 s18, s18, s10
	s_mul_u64 s[10:11], s[34:35], s[18:19]
	s_delay_alu instid0(SALU_CYCLE_1) | instskip(SKIP_1) | instid1(SALU_CYCLE_1)
	s_sub_co_u32 s10, s56, s10
	s_cselect_b32 s18, -1, 0
	s_cmp_lg_u32 s18, 0
	s_sub_co_ci_u32 s11, s57, s11
	s_sub_co_u32 s18, s10, s34
	s_cselect_b32 s19, -1, 0
	s_delay_alu instid0(SALU_CYCLE_1) | instskip(SKIP_3) | instid1(SALU_CYCLE_1)
	s_cmp_lg_u32 s19, 0
	s_sub_co_ci_u32 s19, s11, 0
	s_sub_co_u32 s21, s18, s34
	s_cselect_b32 s23, -1, 0
	s_cmp_lg_u32 s23, 0
	s_sub_co_ci_u32 s23, s19, 0
	s_cmp_ge_u32 s18, s34
	s_cselect_b32 s28, -1, 0
	s_cmp_eq_u32 s19, 0
	s_cselect_b32 s28, s28, -1
	s_delay_alu instid0(SALU_CYCLE_1)
	s_cmp_lg_u32 s28, 0
	s_cselect_b32 s19, s23, s19
	s_cselect_b32 s18, s21, s18
	s_cmp_ge_u32 s10, s34
	s_cselect_b32 s21, -1, 0
	s_cmp_eq_u32 s11, 0
	s_cselect_b32 s21, s21, -1
	s_delay_alu instid0(SALU_CYCLE_1)
	s_cmp_lg_u32 s21, 0
	s_cselect_b32 s11, s19, s11
	s_cselect_b32 s10, s18, s10
	s_cbranch_execnz .LBB192_351
.LBB192_350:                            ;   in Loop: Header=BB192_6 Depth=1
	v_cvt_f32_u32_e32 v6, s34
	s_sub_co_i32 s11, 0, s34
	s_delay_alu instid0(VALU_DEP_1) | instskip(SKIP_1) | instid1(TRANS32_DEP_1)
	v_rcp_iflag_f32_e32 v6, v6
	v_nop
	v_mul_f32_e32 v6, 0x4f7ffffe, v6
	s_delay_alu instid0(VALU_DEP_1) | instskip(NEXT) | instid1(VALU_DEP_1)
	v_cvt_u32_f32_e32 v6, v6
	v_readfirstlane_b32 s10, v6
	s_mul_i32 s11, s11, s10
	s_delay_alu instid0(SALU_CYCLE_1) | instskip(NEXT) | instid1(SALU_CYCLE_1)
	s_mul_hi_u32 s11, s10, s11
	s_add_co_i32 s10, s10, s11
	s_delay_alu instid0(SALU_CYCLE_1) | instskip(NEXT) | instid1(SALU_CYCLE_1)
	s_mul_hi_u32 s10, s56, s10
	s_mul_i32 s10, s10, s34
	s_delay_alu instid0(SALU_CYCLE_1) | instskip(NEXT) | instid1(SALU_CYCLE_1)
	s_sub_co_i32 s10, s56, s10
	s_sub_co_i32 s11, s10, s34
	s_cmp_ge_u32 s10, s34
	s_cselect_b32 s10, s11, s10
	s_delay_alu instid0(SALU_CYCLE_1) | instskip(SKIP_2) | instid1(SALU_CYCLE_1)
	s_sub_co_i32 s11, s10, s34
	s_cmp_ge_u32 s10, s34
	s_cselect_b32 s28, s11, s10
	s_mov_b64 s[10:11], s[28:29]
.LBB192_351:                            ;   in Loop: Header=BB192_6 Depth=1
	s_delay_alu instid0(SALU_CYCLE_1)
	s_sub_nc_u64 s[10:11], s[56:57], s[10:11]
	s_mov_b32 s18, exec_lo
                                        ; implicit-def: $vgpr33
	v_nop
	v_cmpx_gt_u64_e64 s[10:11], v[0:1]
	s_cbranch_execz .LBB192_361
; %bb.352:                              ;   in Loop: Header=BB192_6 Depth=1
	v_mov_b64_e32 v[6:7], v[14:15]
	v_mov_b64_e32 v[8:9], v[0:1]
	s_mov_b32 s19, 0
                                        ; implicit-def: $sgpr21
	s_branch .LBB192_356
.LBB192_353:                            ;   in Loop: Header=BB192_356 Depth=2
	s_or_b32 exec_lo, exec_lo, s23
	s_wait_dscnt 0x0
	s_barrier_signal -1
	s_barrier_wait -1
	ds_load_b64 v[32:33], v3 offset:3072
	s_wait_dscnt 0x0
	s_barrier_signal -1
	s_barrier_wait -1
	v_cmp_eq_f32_e32 vcc_lo, 0, v32
	s_cbranch_vccz .LBB192_359
; %bb.354:                              ;   in Loop: Header=BB192_356 Depth=2
	v_add_nc_u64_e32 v[8:9], s[34:35], v[8:9]
	v_add_nc_u64_e32 v[6:7], s[40:41], v[6:7]
	s_mov_b32 s23, 0
	s_delay_alu instid0(VALU_DEP_2)
	v_cmp_le_u64_e32 vcc_lo, s[10:11], v[8:9]
	s_or_not1_b32 s28, vcc_lo, exec_lo
.LBB192_355:                            ;   in Loop: Header=BB192_356 Depth=2
	s_delay_alu instid0(SALU_CYCLE_1) | instskip(NEXT) | instid1(SALU_CYCLE_1)
	s_and_b32 s28, exec_lo, s28
	s_or_b32 s19, s28, s19
	s_and_not1_b32 s21, s21, exec_lo
	s_and_b32 s23, s23, exec_lo
	s_delay_alu instid0(SALU_CYCLE_1)
	s_or_b32 s21, s21, s23
	s_and_not1_b32 exec_lo, exec_lo, s19
	s_cbranch_execz .LBB192_360
.LBB192_356:                            ;   Parent Loop BB192_6 Depth=1
                                        ; =>  This Inner Loop Header: Depth=2
	s_mov_b32 s23, exec_lo
	s_delay_alu instid0(VALU_DEP_1)
	v_cmpx_gt_u64_e64 s[36:37], v[8:9]
	s_cbranch_execz .LBB192_353
; %bb.357:                              ;   in Loop: Header=BB192_356 Depth=2
	global_load_b32 v31, v[6:7], off
	s_wait_loadcnt 0x0
	v_cmp_lt_i32_e32 vcc_lo, -1, v31
	v_cndmask_b32_e64 v10, -1, 0x80000000, vcc_lo
	v_cmp_o_f32_e32 vcc_lo, v31, v31
	s_delay_alu instid0(VALU_DEP_2) | instskip(NEXT) | instid1(VALU_DEP_1)
	v_xor_b32_e32 v10, v10, v31
	v_cndmask_b32_e32 v10, -1, v10, vcc_lo
	s_delay_alu instid0(VALU_DEP_1) | instskip(NEXT) | instid1(VALU_DEP_1)
	v_and_b32_e32 v10, v10, v47
	v_cmp_eq_u32_e32 vcc_lo, v10, v45
	s_and_b32 exec_lo, exec_lo, vcc_lo
	s_cbranch_execz .LBB192_353
; %bb.358:                              ;   in Loop: Header=BB192_356 Depth=2
	ds_store_b64 v3, v[30:31] offset:3072
	s_branch .LBB192_353
.LBB192_359:                            ;   in Loop: Header=BB192_356 Depth=2
	s_mov_b32 s28, -1
	s_mov_b32 s23, -1
                                        ; implicit-def: $vgpr8_vgpr9
                                        ; implicit-def: $vgpr6_vgpr7
	s_branch .LBB192_355
.LBB192_360:                            ;   in Loop: Header=BB192_6 Depth=1
	s_or_b32 exec_lo, exec_lo, s19
	s_delay_alu instid0(SALU_CYCLE_1) | instskip(SKIP_1) | instid1(SALU_CYCLE_1)
	s_and_not1_b32 s10, s20, exec_lo
	s_and_b32 s11, s21, exec_lo
	s_or_b32 s20, s10, s11
.LBB192_361:                            ;   in Loop: Header=BB192_6 Depth=1
	s_or_b32 exec_lo, exec_lo, s18
	s_mov_b32 s23, 0
	s_mov_b32 s69, -1
.LBB192_362:                            ;   in Loop: Header=BB192_6 Depth=1
	s_or_not1_b32 s10, s20, exec_lo
.LBB192_363:                            ;   in Loop: Header=BB192_6 Depth=1
	s_or_b32 exec_lo, exec_lo, s72
	s_mov_b32 s11, 0
	s_and_saveexec_b32 s20, s10
	s_cbranch_execz .LBB192_476
; %bb.364:                              ;   in Loop: Header=BB192_6 Depth=1
	v_mov_b64_e32 v[6:7], 1
	v_mov_b32_e32 v2, 1
	s_xor_b32 s18, s70, -1
	s_delay_alu instid0(SALU_CYCLE_1)
	s_and_saveexec_b32 s10, s18
	s_cbranch_execz .LBB192_373
; %bb.365:                              ;   in Loop: Header=BB192_6 Depth=1
	s_mov_b32 s11, exec_lo
	v_cmpx_ge_u64_e64 s[16:17], v[4:5]
	s_xor_b32 s11, exec_lo, s11
	s_cbranch_execz .LBB192_370
; %bb.366:                              ;   in Loop: Header=BB192_6 Depth=1
	ds_load_b64 v[6:7], v3 offset:5120
	s_lshl_b32 s18, 2, s91
	v_or_b32_e32 v47, s24, v47
	v_and_or_b32 v45, v45, s25, s18
	s_wait_dscnt 0x0
	v_cmp_ne_u64_e32 vcc_lo, 0, v[6:7]
	s_cbranch_vccnz .LBB192_370
; %bb.367:                              ;   in Loop: Header=BB192_6 Depth=1
	s_and_saveexec_b32 s18, s5
; %bb.368:                              ;   in Loop: Header=BB192_6 Depth=1
	v_mov_b64_e32 v[6:7], s[16:17]
	ds_store_b64 v3, v[6:7] offset:5128
; %bb.369:                              ;   in Loop: Header=BB192_6 Depth=1
	s_or_b32 exec_lo, exec_lo, s18
	s_wait_dscnt 0x0
	s_barrier_signal -1
	s_barrier_wait -1
.LBB192_370:                            ;   in Loop: Header=BB192_6 Depth=1
	s_or_saveexec_b32 s11, s11
	v_mov_b32_e32 v2, 5
	s_mov_b32 s18, 0
	s_xor_b32 exec_lo, exec_lo, s11
; %bb.371:                              ;   in Loop: Header=BB192_6 Depth=1
	v_sub_nc_u64_e64 v[4:5], v[4:5], s[16:17]
	v_mov_b32_e32 v2, 0
	s_mov_b32 s18, exec_lo
; %bb.372:                              ;   in Loop: Header=BB192_6 Depth=1
	s_or_b32 exec_lo, exec_lo, s11
	s_delay_alu instid0(VALU_DEP_2)
	v_mov_b64_e32 v[6:7], v[4:5]
	s_and_b32 s11, s18, exec_lo
.LBB192_373:                            ;   in Loop: Header=BB192_6 Depth=1
	s_or_b32 exec_lo, exec_lo, s10
	s_mov_b32 s10, -1
                                        ; implicit-def: $sgpr70
                                        ; implicit-def: $sgpr72
	s_and_saveexec_b32 s21, s11
	s_cbranch_execz .LBB192_475
; %bb.374:                              ;   in Loop: Header=BB192_6 Depth=1
	s_delay_alu instid0(VALU_DEP_1) | instskip(SKIP_2) | instid1(SALU_CYCLE_1)
	v_cmp_eq_u64_e32 vcc_lo, 1, v[6:7]
	s_cmp_eq_u64 s[14:15], 1
                                        ; implicit-def: $sgpr72
                                        ; implicit-def: $sgpr70
	s_cselect_b32 s10, -1, 0
	s_and_b32 s73, s10, vcc_lo
	s_mov_b32 s10, -1
	s_and_saveexec_b32 s74, s73
	s_cbranch_execz .LBB192_410
; %bb.375:                              ;   in Loop: Header=BB192_6 Depth=1
	ds_load_b64 v[4:5], v3 offset:5120
	s_wait_dscnt 0x0
	s_barrier_signal -1
	s_barrier_wait -1
	v_readfirstlane_b32 s10, v4
	v_readfirstlane_b32 s11, v5
	s_and_saveexec_b32 s16, s6
; %bb.376:                              ;   in Loop: Header=BB192_6 Depth=1
	ds_store_b32 v43, v3
; %bb.377:                              ;   in Loop: Header=BB192_6 Depth=1
	s_or_b32 exec_lo, exec_lo, s16
	s_lshl_b32 s16, 1, s91
	v_or_b32_e32 v47, s24, v47
	v_and_or_b32 v45, v45, s25, s16
	s_mov_b32 s70, -1
	s_mov_b32 s72, 0
	s_cmp_eq_u64 s[10:11], 0
	s_mov_b32 s18, 0
	s_mov_b32 s19, -1
	s_wait_dscnt 0x0
	s_barrier_signal -1
	s_barrier_wait -1
                                        ; implicit-def: $vgpr33
	s_cbranch_scc1 .LBB192_394
; %bb.378:                              ;   in Loop: Header=BB192_6 Depth=1
	s_add_nc_u64 s[16:17], s[10:11], s[54:55]
	s_delay_alu instid0(SALU_CYCLE_1) | instskip(NEXT) | instid1(SALU_CYCLE_1)
	s_and_b64 s[18:19], s[16:17], 0xffffffff00000000
	s_cmp_lg_u64 s[18:19], 0
	s_cbranch_scc0 .LBB192_427
; %bb.379:                              ;   in Loop: Header=BB192_6 Depth=1
	s_cvt_f32_u32 s18, s34
	s_sub_nc_u64 s[46:47], 0, s[34:35]
	s_delay_alu instid0(SALU_CYCLE_2) | instskip(NEXT) | instid1(SALU_CYCLE_3)
	s_fmamk_f32 s18, s90, 0x0, s18
	v_s_rcp_f32 s18, s18
	s_delay_alu instid0(TRANS32_DEP_1) | instskip(NEXT) | instid1(SALU_CYCLE_3)
	s_mul_f32 s18, s18, 0x5f7ffffc
	s_mul_f32 s19, s18, 0x2f800000
	s_delay_alu instid0(SALU_CYCLE_3) | instskip(NEXT) | instid1(SALU_CYCLE_3)
	s_trunc_f32 s19, s19
	s_fmamk_f32 s18, s19, 0xcf800000, s18
	s_cvt_u32_f32 s19, s19
	s_delay_alu instid0(SALU_CYCLE_2) | instskip(NEXT) | instid1(SALU_CYCLE_3)
	s_cvt_u32_f32 s18, s18
	s_mul_u64 s[76:77], s[46:47], s[18:19]
	s_delay_alu instid0(SALU_CYCLE_1)
	s_mul_hi_u32 s79, s18, s77
	s_mul_i32 s78, s18, s77
	s_mul_hi_u32 s28, s18, s76
	s_mul_i32 s49, s19, s76
	s_add_nc_u64 s[78:79], s[28:29], s[78:79]
	s_mul_hi_u32 s48, s19, s76
	s_mul_hi_u32 s50, s19, s77
	s_add_co_u32 s28, s78, s49
	s_add_co_ci_u32 s28, s79, s48
	s_mul_i32 s76, s19, s77
	s_add_co_ci_u32 s77, s50, 0
	s_delay_alu instid0(SALU_CYCLE_1) | instskip(NEXT) | instid1(SALU_CYCLE_1)
	s_add_nc_u64 s[76:77], s[28:29], s[76:77]
	s_add_co_u32 s18, s18, s76
	s_cselect_b32 s28, -1, 0
	s_delay_alu instid0(SALU_CYCLE_1) | instskip(SKIP_1) | instid1(SALU_CYCLE_1)
	s_cmp_lg_u32 s28, 0
	s_add_co_ci_u32 s19, s19, s77
	s_mul_u64 s[46:47], s[46:47], s[18:19]
	s_delay_alu instid0(SALU_CYCLE_1)
	s_mul_hi_u32 s77, s18, s47
	s_mul_i32 s76, s18, s47
	s_mul_hi_u32 s28, s18, s46
	s_mul_i32 s49, s19, s46
	s_add_nc_u64 s[76:77], s[28:29], s[76:77]
	s_mul_hi_u32 s48, s19, s46
	s_mul_hi_u32 s50, s19, s47
	s_add_co_u32 s28, s76, s49
	s_add_co_ci_u32 s28, s77, s48
	s_mul_i32 s46, s19, s47
	s_add_co_ci_u32 s47, s50, 0
	s_delay_alu instid0(SALU_CYCLE_1) | instskip(NEXT) | instid1(SALU_CYCLE_1)
	s_add_nc_u64 s[46:47], s[28:29], s[46:47]
	s_add_co_u32 s18, s18, s46
	s_cselect_b32 s46, -1, 0
	s_mul_hi_u32 s28, s16, s18
	s_cmp_lg_u32 s46, 0
	s_mul_hi_u32 s48, s17, s18
	s_add_co_ci_u32 s46, s19, s47
	s_mul_i32 s47, s17, s18
	s_mul_hi_u32 s19, s16, s46
	s_mul_i32 s18, s16, s46
	s_mul_hi_u32 s49, s17, s46
	s_add_nc_u64 s[18:19], s[28:29], s[18:19]
	s_mul_i32 s46, s17, s46
	s_add_co_u32 s18, s18, s47
	s_add_co_ci_u32 s28, s19, s48
	s_add_co_ci_u32 s47, s49, 0
	s_delay_alu instid0(SALU_CYCLE_1) | instskip(NEXT) | instid1(SALU_CYCLE_1)
	s_add_nc_u64 s[18:19], s[28:29], s[46:47]
	s_and_b64 s[46:47], s[18:19], 0xffffffff00000000
	s_delay_alu instid0(SALU_CYCLE_1) | instskip(NEXT) | instid1(SALU_CYCLE_1)
	s_or_b32 s46, s46, s18
	s_mul_u64 s[18:19], s[34:35], s[46:47]
	s_delay_alu instid0(SALU_CYCLE_1) | instskip(SKIP_1) | instid1(SALU_CYCLE_1)
	s_sub_co_u32 s18, s16, s18
	s_cselect_b32 s28, -1, 0
	s_cmp_lg_u32 s28, 0
	s_sub_co_ci_u32 s19, s17, s19
	s_sub_co_u32 s28, s18, s34
	s_cselect_b32 s46, -1, 0
	s_delay_alu instid0(SALU_CYCLE_1) | instskip(SKIP_3) | instid1(SALU_CYCLE_1)
	s_cmp_lg_u32 s46, 0
	s_sub_co_ci_u32 s46, s19, 0
	s_sub_co_u32 s47, s28, s34
	s_cselect_b32 s48, -1, 0
	s_cmp_lg_u32 s48, 0
	s_sub_co_ci_u32 s48, s46, 0
	s_cmp_ge_u32 s28, s34
	s_cselect_b32 s49, -1, 0
	s_cmp_eq_u32 s46, 0
	s_cselect_b32 s49, s49, -1
	s_delay_alu instid0(SALU_CYCLE_1)
	s_cmp_lg_u32 s49, 0
	s_cselect_b32 s46, s48, s46
	s_cselect_b32 s28, s47, s28
	s_cmp_ge_u32 s18, s34
	s_cselect_b32 s47, -1, 0
	s_cmp_eq_u32 s19, 0
	s_cselect_b32 s47, s47, -1
	s_delay_alu instid0(SALU_CYCLE_1)
	s_cmp_lg_u32 s47, 0
	s_cselect_b32 s19, s46, s19
	s_cselect_b32 s18, s28, s18
	s_cbranch_execnz .LBB192_381
.LBB192_380:                            ;   in Loop: Header=BB192_6 Depth=1
	v_cvt_f32_u32_e32 v4, s34
	s_sub_co_i32 s19, 0, s34
	s_delay_alu instid0(VALU_DEP_1) | instskip(SKIP_1) | instid1(TRANS32_DEP_1)
	v_rcp_iflag_f32_e32 v4, v4
	v_nop
	v_mul_f32_e32 v4, 0x4f7ffffe, v4
	s_delay_alu instid0(VALU_DEP_1) | instskip(NEXT) | instid1(VALU_DEP_1)
	v_cvt_u32_f32_e32 v4, v4
	v_readfirstlane_b32 s18, v4
	s_mul_i32 s19, s19, s18
	s_delay_alu instid0(SALU_CYCLE_1) | instskip(NEXT) | instid1(SALU_CYCLE_1)
	s_mul_hi_u32 s19, s18, s19
	s_add_co_i32 s18, s18, s19
	s_delay_alu instid0(SALU_CYCLE_1) | instskip(NEXT) | instid1(SALU_CYCLE_1)
	s_mul_hi_u32 s18, s16, s18
	s_mul_i32 s18, s18, s34
	s_delay_alu instid0(SALU_CYCLE_1) | instskip(NEXT) | instid1(SALU_CYCLE_1)
	s_sub_co_i32 s18, s16, s18
	s_sub_co_i32 s19, s18, s34
	s_cmp_ge_u32 s18, s34
	s_cselect_b32 s18, s19, s18
	s_delay_alu instid0(SALU_CYCLE_1) | instskip(SKIP_2) | instid1(SALU_CYCLE_1)
	s_sub_co_i32 s19, s18, s34
	s_cmp_ge_u32 s18, s34
	s_cselect_b32 s28, s19, s18
	s_mov_b64 s[18:19], s[28:29]
.LBB192_381:                            ;   in Loop: Header=BB192_6 Depth=1
	s_delay_alu instid0(SALU_CYCLE_1)
	s_sub_nc_u64 s[16:17], s[16:17], s[18:19]
	s_mov_b32 s19, 0
	s_mov_b32 s18, 0
	s_mov_b32 s28, exec_lo
                                        ; implicit-def: $vgpr33
	v_cmpx_gt_u64_e64 s[16:17], v[0:1]
	s_cbranch_execz .LBB192_393
; %bb.382:                              ;   in Loop: Header=BB192_6 Depth=1
	v_mov_b64_e32 v[4:5], v[0:1]
	v_mov_b32_e32 v8, v16
                                        ; implicit-def: $sgpr46
	s_branch .LBB192_386
.LBB192_383:                            ;   in Loop: Header=BB192_386 Depth=2
	s_or_b32 exec_lo, exec_lo, s47
	s_wait_dscnt 0x0
	s_barrier_signal -1
	s_barrier_wait -1
	ds_load_b64 v[32:33], v3 offset:3072
	s_wait_dscnt 0x0
	s_barrier_signal -1
	s_barrier_wait -1
	v_cmp_neq_f32_e32 vcc_lo, 0, v32
	s_cbranch_vccnz .LBB192_389
; %bb.384:                              ;   in Loop: Header=BB192_386 Depth=2
	v_add_nc_u64_e32 v[4:5], s[34:35], v[4:5]
	v_add_nc_u32_e32 v8, s89, v8
	s_mov_b32 s47, 0
	s_delay_alu instid0(VALU_DEP_2)
	v_cmp_le_u64_e32 vcc_lo, s[16:17], v[4:5]
	s_or_not1_b32 s75, vcc_lo, exec_lo
.LBB192_385:                            ;   in Loop: Header=BB192_386 Depth=2
	s_delay_alu instid0(SALU_CYCLE_1) | instskip(NEXT) | instid1(SALU_CYCLE_1)
	s_and_b32 s48, exec_lo, s75
	s_or_b32 s18, s48, s18
	s_and_not1_b32 s46, s46, exec_lo
	s_and_b32 s47, s47, exec_lo
	s_delay_alu instid0(SALU_CYCLE_1)
	s_or_b32 s46, s46, s47
	s_and_not1_b32 exec_lo, exec_lo, s18
	s_cbranch_execz .LBB192_392
.LBB192_386:                            ;   Parent Loop BB192_6 Depth=1
                                        ; =>  This Inner Loop Header: Depth=2
	s_mov_b32 s47, exec_lo
	s_delay_alu instid0(VALU_DEP_2)
	v_cmpx_gt_u64_e64 s[10:11], v[4:5]
	s_cbranch_execz .LBB192_383
; %bb.387:                              ;   in Loop: Header=BB192_386 Depth=2
	ds_load_b32 v31, v8
	s_wait_dscnt 0x0
	v_cmp_lt_i32_e32 vcc_lo, -1, v31
	v_cndmask_b32_e64 v9, -1, 0x80000000, vcc_lo
	v_cmp_o_f32_e32 vcc_lo, v31, v31
	s_delay_alu instid0(VALU_DEP_2) | instskip(NEXT) | instid1(VALU_DEP_1)
	v_xor_b32_e32 v9, v9, v31
	v_cndmask_b32_e32 v9, -1, v9, vcc_lo
	s_delay_alu instid0(VALU_DEP_1) | instskip(NEXT) | instid1(VALU_DEP_1)
	v_and_b32_e32 v9, v9, v47
	v_cmp_eq_u32_e32 vcc_lo, v9, v45
	s_and_b32 exec_lo, exec_lo, vcc_lo
	s_cbranch_execz .LBB192_383
; %bb.388:                              ;   in Loop: Header=BB192_386 Depth=2
	ds_store_b64 v3, v[30:31] offset:3072
	s_branch .LBB192_383
.LBB192_389:                            ;   in Loop: Header=BB192_386 Depth=2
	s_mov_b32 s75, -1
	s_mov_b32 s47, -1
                                        ; implicit-def: $vgpr4_vgpr5
                                        ; implicit-def: $vgpr8
	s_branch .LBB192_385
.LBB192_390:                            ;   in Loop: Header=BB192_6 Depth=1
                                        ; implicit-def: $sgpr20_sgpr21
	s_branch .LBB192_333
.LBB192_391:                            ;   in Loop: Header=BB192_6 Depth=1
                                        ; implicit-def: $sgpr10_sgpr11
	s_branch .LBB192_350
.LBB192_392:                            ;   in Loop: Header=BB192_6 Depth=1
	s_or_b32 exec_lo, exec_lo, s18
	s_delay_alu instid0(SALU_CYCLE_1)
	s_and_b32 s18, s46, exec_lo
.LBB192_393:                            ;   in Loop: Header=BB192_6 Depth=1
	s_or_b32 exec_lo, exec_lo, s28
.LBB192_394:                            ;   in Loop: Header=BB192_6 Depth=1
	s_delay_alu instid0(SALU_CYCLE_1)
	s_and_b32 vcc_lo, exec_lo, s19
	s_cbranch_vccz .LBB192_409
; %bb.395:                              ;   in Loop: Header=BB192_6 Depth=1
	s_and_b64 s[10:11], s[56:57], 0xffffffff00000000
	s_delay_alu instid0(SALU_CYCLE_1)
	s_cmp_lg_u64 s[10:11], 0
	s_cbranch_scc0 .LBB192_428
; %bb.396:                              ;   in Loop: Header=BB192_6 Depth=1
	s_cvt_f32_u32 s10, s34
	s_sub_nc_u64 s[16:17], 0, s[34:35]
	s_delay_alu instid0(SALU_CYCLE_2) | instskip(NEXT) | instid1(SALU_CYCLE_3)
	s_fmamk_f32 s10, s90, 0x0, s10
	v_s_rcp_f32 s10, s10
	s_delay_alu instid0(TRANS32_DEP_1) | instskip(NEXT) | instid1(SALU_CYCLE_3)
	s_mul_f32 s10, s10, 0x5f7ffffc
	s_mul_f32 s11, s10, 0x2f800000
	s_delay_alu instid0(SALU_CYCLE_3) | instskip(NEXT) | instid1(SALU_CYCLE_3)
	s_trunc_f32 s11, s11
	s_fmamk_f32 s10, s11, 0xcf800000, s10
	s_cvt_u32_f32 s11, s11
	s_delay_alu instid0(SALU_CYCLE_2) | instskip(NEXT) | instid1(SALU_CYCLE_3)
	s_cvt_u32_f32 s10, s10
	s_mul_u64 s[46:47], s[16:17], s[10:11]
	s_delay_alu instid0(SALU_CYCLE_1)
	s_mul_hi_u32 s77, s10, s47
	s_mul_i32 s76, s10, s47
	s_mul_hi_u32 s28, s10, s46
	s_mul_i32 s48, s11, s46
	s_add_nc_u64 s[76:77], s[28:29], s[76:77]
	s_mul_hi_u32 s19, s11, s46
	s_mul_hi_u32 s49, s11, s47
	s_add_co_u32 s28, s76, s48
	s_add_co_ci_u32 s28, s77, s19
	s_mul_i32 s46, s11, s47
	s_add_co_ci_u32 s47, s49, 0
	s_delay_alu instid0(SALU_CYCLE_1) | instskip(NEXT) | instid1(SALU_CYCLE_1)
	s_add_nc_u64 s[46:47], s[28:29], s[46:47]
	s_add_co_u32 s10, s10, s46
	s_cselect_b32 s19, -1, 0
	s_delay_alu instid0(SALU_CYCLE_1) | instskip(SKIP_1) | instid1(SALU_CYCLE_1)
	s_cmp_lg_u32 s19, 0
	s_add_co_ci_u32 s11, s11, s47
	s_mul_u64 s[16:17], s[16:17], s[10:11]
	s_delay_alu instid0(SALU_CYCLE_1)
	s_mul_hi_u32 s47, s10, s17
	s_mul_i32 s46, s10, s17
	s_mul_hi_u32 s28, s10, s16
	s_mul_i32 s48, s11, s16
	s_add_nc_u64 s[46:47], s[28:29], s[46:47]
	s_mul_hi_u32 s19, s11, s16
	s_mul_hi_u32 s49, s11, s17
	s_mul_i32 s16, s11, s17
	s_add_co_u32 s17, s46, s48
	s_add_co_ci_u32 s28, s47, s19
	s_add_co_ci_u32 s17, s49, 0
	s_delay_alu instid0(SALU_CYCLE_1) | instskip(NEXT) | instid1(SALU_CYCLE_1)
	s_add_nc_u64 s[16:17], s[28:29], s[16:17]
	s_add_co_u32 s10, s10, s16
	s_cselect_b32 s16, -1, 0
	s_mul_hi_u32 s28, s56, s10
	s_cmp_lg_u32 s16, 0
	s_mul_hi_u32 s19, s57, s10
	s_add_co_ci_u32 s16, s11, s17
	s_mul_i32 s17, s57, s10
	s_mul_hi_u32 s11, s56, s16
	s_mul_i32 s10, s56, s16
	s_mul_hi_u32 s46, s57, s16
	s_add_nc_u64 s[10:11], s[28:29], s[10:11]
	s_mul_i32 s16, s57, s16
	s_add_co_u32 s10, s10, s17
	s_add_co_ci_u32 s28, s11, s19
	s_add_co_ci_u32 s17, s46, 0
	s_delay_alu instid0(SALU_CYCLE_1) | instskip(NEXT) | instid1(SALU_CYCLE_1)
	s_add_nc_u64 s[10:11], s[28:29], s[16:17]
	s_and_b64 s[16:17], s[10:11], 0xffffffff00000000
	s_delay_alu instid0(SALU_CYCLE_1) | instskip(NEXT) | instid1(SALU_CYCLE_1)
	s_or_b32 s16, s16, s10
	s_mul_u64 s[10:11], s[34:35], s[16:17]
	s_delay_alu instid0(SALU_CYCLE_1) | instskip(SKIP_1) | instid1(SALU_CYCLE_1)
	s_sub_co_u32 s10, s56, s10
	s_cselect_b32 s16, -1, 0
	s_cmp_lg_u32 s16, 0
	s_sub_co_ci_u32 s11, s57, s11
	s_sub_co_u32 s16, s10, s34
	s_cselect_b32 s17, -1, 0
	s_delay_alu instid0(SALU_CYCLE_1) | instskip(SKIP_3) | instid1(SALU_CYCLE_1)
	s_cmp_lg_u32 s17, 0
	s_sub_co_ci_u32 s17, s11, 0
	s_sub_co_u32 s19, s16, s34
	s_cselect_b32 s28, -1, 0
	s_cmp_lg_u32 s28, 0
	s_sub_co_ci_u32 s28, s17, 0
	s_cmp_ge_u32 s16, s34
	s_cselect_b32 s46, -1, 0
	s_cmp_eq_u32 s17, 0
	s_cselect_b32 s46, s46, -1
	s_delay_alu instid0(SALU_CYCLE_1)
	s_cmp_lg_u32 s46, 0
	s_cselect_b32 s17, s28, s17
	s_cselect_b32 s16, s19, s16
	s_cmp_ge_u32 s10, s34
	s_cselect_b32 s19, -1, 0
	s_cmp_eq_u32 s11, 0
	s_cselect_b32 s19, s19, -1
	s_delay_alu instid0(SALU_CYCLE_1)
	s_cmp_lg_u32 s19, 0
	s_cselect_b32 s11, s17, s11
	s_cselect_b32 s10, s16, s10
	s_cbranch_execnz .LBB192_398
.LBB192_397:                            ;   in Loop: Header=BB192_6 Depth=1
	v_cvt_f32_u32_e32 v4, s34
	s_sub_co_i32 s11, 0, s34
	s_delay_alu instid0(VALU_DEP_1) | instskip(SKIP_1) | instid1(TRANS32_DEP_1)
	v_rcp_iflag_f32_e32 v4, v4
	v_nop
	v_mul_f32_e32 v4, 0x4f7ffffe, v4
	s_delay_alu instid0(VALU_DEP_1) | instskip(NEXT) | instid1(VALU_DEP_1)
	v_cvt_u32_f32_e32 v4, v4
	v_readfirstlane_b32 s10, v4
	s_mul_i32 s11, s11, s10
	s_delay_alu instid0(SALU_CYCLE_1) | instskip(NEXT) | instid1(SALU_CYCLE_1)
	s_mul_hi_u32 s11, s10, s11
	s_add_co_i32 s10, s10, s11
	s_delay_alu instid0(SALU_CYCLE_1) | instskip(NEXT) | instid1(SALU_CYCLE_1)
	s_mul_hi_u32 s10, s56, s10
	s_mul_i32 s10, s10, s34
	s_delay_alu instid0(SALU_CYCLE_1) | instskip(NEXT) | instid1(SALU_CYCLE_1)
	s_sub_co_i32 s10, s56, s10
	s_sub_co_i32 s11, s10, s34
	s_cmp_ge_u32 s10, s34
	s_cselect_b32 s10, s11, s10
	s_delay_alu instid0(SALU_CYCLE_1) | instskip(SKIP_2) | instid1(SALU_CYCLE_1)
	s_sub_co_i32 s11, s10, s34
	s_cmp_ge_u32 s10, s34
	s_cselect_b32 s28, s11, s10
	s_mov_b64 s[10:11], s[28:29]
.LBB192_398:                            ;   in Loop: Header=BB192_6 Depth=1
	s_delay_alu instid0(SALU_CYCLE_1)
	s_sub_nc_u64 s[10:11], s[56:57], s[10:11]
	s_mov_b32 s16, exec_lo
                                        ; implicit-def: $vgpr33
	v_nop
	v_cmpx_gt_u64_e64 s[10:11], v[0:1]
	s_cbranch_execz .LBB192_408
; %bb.399:                              ;   in Loop: Header=BB192_6 Depth=1
	v_mov_b64_e32 v[4:5], v[14:15]
	v_mov_b64_e32 v[8:9], v[0:1]
	s_mov_b32 s17, 0
                                        ; implicit-def: $sgpr19
	s_branch .LBB192_403
.LBB192_400:                            ;   in Loop: Header=BB192_403 Depth=2
	s_or_b32 exec_lo, exec_lo, s28
	s_wait_dscnt 0x0
	s_barrier_signal -1
	s_barrier_wait -1
	ds_load_b64 v[32:33], v3 offset:3072
	s_wait_dscnt 0x0
	s_barrier_signal -1
	s_barrier_wait -1
	v_cmp_eq_f32_e32 vcc_lo, 0, v32
	s_cbranch_vccz .LBB192_406
; %bb.401:                              ;   in Loop: Header=BB192_403 Depth=2
	v_add_nc_u64_e32 v[8:9], s[34:35], v[8:9]
	v_add_nc_u64_e32 v[4:5], s[40:41], v[4:5]
	s_mov_b32 s28, 0
	s_delay_alu instid0(VALU_DEP_2)
	v_cmp_le_u64_e32 vcc_lo, s[10:11], v[8:9]
	s_or_not1_b32 s46, vcc_lo, exec_lo
.LBB192_402:                            ;   in Loop: Header=BB192_403 Depth=2
	s_delay_alu instid0(SALU_CYCLE_1) | instskip(NEXT) | instid1(SALU_CYCLE_1)
	s_and_b32 s46, exec_lo, s46
	s_or_b32 s17, s46, s17
	s_and_not1_b32 s19, s19, exec_lo
	s_and_b32 s28, s28, exec_lo
	s_delay_alu instid0(SALU_CYCLE_1)
	s_or_b32 s19, s19, s28
	s_and_not1_b32 exec_lo, exec_lo, s17
	s_cbranch_execz .LBB192_407
.LBB192_403:                            ;   Parent Loop BB192_6 Depth=1
                                        ; =>  This Inner Loop Header: Depth=2
	s_mov_b32 s28, exec_lo
	s_delay_alu instid0(VALU_DEP_1)
	v_cmpx_gt_u64_e64 s[36:37], v[8:9]
	s_cbranch_execz .LBB192_400
; %bb.404:                              ;   in Loop: Header=BB192_403 Depth=2
	global_load_b32 v31, v[4:5], off
	s_wait_loadcnt 0x0
	v_cmp_lt_i32_e32 vcc_lo, -1, v31
	v_cndmask_b32_e64 v10, -1, 0x80000000, vcc_lo
	v_cmp_o_f32_e32 vcc_lo, v31, v31
	s_delay_alu instid0(VALU_DEP_2) | instskip(NEXT) | instid1(VALU_DEP_1)
	v_xor_b32_e32 v10, v10, v31
	v_cndmask_b32_e32 v10, -1, v10, vcc_lo
	s_delay_alu instid0(VALU_DEP_1) | instskip(NEXT) | instid1(VALU_DEP_1)
	v_and_b32_e32 v10, v10, v47
	v_cmp_eq_u32_e32 vcc_lo, v10, v45
	s_and_b32 exec_lo, exec_lo, vcc_lo
	s_cbranch_execz .LBB192_400
; %bb.405:                              ;   in Loop: Header=BB192_403 Depth=2
	ds_store_b64 v3, v[30:31] offset:3072
	s_branch .LBB192_400
.LBB192_406:                            ;   in Loop: Header=BB192_403 Depth=2
	s_mov_b32 s46, -1
	s_mov_b32 s28, -1
                                        ; implicit-def: $vgpr8_vgpr9
                                        ; implicit-def: $vgpr4_vgpr5
	s_branch .LBB192_402
.LBB192_407:                            ;   in Loop: Header=BB192_6 Depth=1
	s_or_b32 exec_lo, exec_lo, s17
	s_delay_alu instid0(SALU_CYCLE_1) | instskip(SKIP_1) | instid1(SALU_CYCLE_1)
	s_and_not1_b32 s10, s18, exec_lo
	s_and_b32 s11, s19, exec_lo
	s_or_b32 s18, s10, s11
.LBB192_408:                            ;   in Loop: Header=BB192_6 Depth=1
	s_or_b32 exec_lo, exec_lo, s16
	s_mov_b32 s70, 0
	s_mov_b32 s72, -1
.LBB192_409:                            ;   in Loop: Header=BB192_6 Depth=1
	s_or_not1_b32 s10, s18, exec_lo
.LBB192_410:                            ;   in Loop: Header=BB192_6 Depth=1
	s_or_b32 exec_lo, exec_lo, s74
	s_mov_b32 s11, 0
	s_and_saveexec_b32 s18, s10
	s_cbranch_execz .LBB192_474
; %bb.411:                              ;   in Loop: Header=BB192_6 Depth=1
	v_mov_b64_e32 v[4:5], 1
	v_mov_b32_e32 v2, 1
	s_xor_b32 s16, s73, -1
	s_delay_alu instid0(SALU_CYCLE_1)
	s_and_saveexec_b32 s10, s16
	s_cbranch_execz .LBB192_420
; %bb.412:                              ;   in Loop: Header=BB192_6 Depth=1
	s_mov_b32 s11, exec_lo
	v_cmpx_ge_u64_e64 s[14:15], v[6:7]
	s_xor_b32 s11, exec_lo, s11
	s_cbranch_execz .LBB192_417
; %bb.413:                              ;   in Loop: Header=BB192_6 Depth=1
	ds_load_b64 v[4:5], v3 offset:5120
	s_lshl_b32 s16, 1, s91
	v_or_b32_e32 v47, s24, v47
	v_and_or_b32 v45, v45, s25, s16
	s_wait_dscnt 0x0
	v_cmp_ne_u64_e32 vcc_lo, 0, v[4:5]
	s_cbranch_vccnz .LBB192_417
; %bb.414:                              ;   in Loop: Header=BB192_6 Depth=1
	s_and_saveexec_b32 s16, s5
; %bb.415:                              ;   in Loop: Header=BB192_6 Depth=1
	v_mov_b64_e32 v[4:5], s[14:15]
	ds_store_b64 v3, v[4:5] offset:5128
; %bb.416:                              ;   in Loop: Header=BB192_6 Depth=1
	s_or_b32 exec_lo, exec_lo, s16
	s_wait_dscnt 0x0
	s_barrier_signal -1
	s_barrier_wait -1
.LBB192_417:                            ;   in Loop: Header=BB192_6 Depth=1
	s_or_saveexec_b32 s11, s11
	v_mov_b32_e32 v2, 5
	s_mov_b32 s16, 0
	s_xor_b32 exec_lo, exec_lo, s11
; %bb.418:                              ;   in Loop: Header=BB192_6 Depth=1
	v_sub_nc_u64_e64 v[6:7], v[6:7], s[14:15]
	v_mov_b32_e32 v2, 0
	s_mov_b32 s16, exec_lo
; %bb.419:                              ;   in Loop: Header=BB192_6 Depth=1
	s_or_b32 exec_lo, exec_lo, s11
	s_delay_alu instid0(VALU_DEP_2)
	v_mov_b64_e32 v[4:5], v[6:7]
	s_and_b32 s11, s16, exec_lo
.LBB192_420:                            ;   in Loop: Header=BB192_6 Depth=1
	s_or_b32 exec_lo, exec_lo, s10
	s_mov_b32 s10, -1
                                        ; implicit-def: $sgpr76
                                        ; implicit-def: $sgpr75
	s_and_saveexec_b32 s19, s11
	s_cbranch_execz .LBB192_473
; %bb.421:                              ;   in Loop: Header=BB192_6 Depth=1
	s_delay_alu instid0(VALU_DEP_1) | instskip(SKIP_3) | instid1(SALU_CYCLE_1)
	v_cmp_eq_u64_e32 vcc_lo, 1, v[4:5]
	s_cmp_eq_u64 s[12:13], 1
	s_mov_b32 s11, -1
	s_cselect_b32 s10, -1, 0
                                        ; implicit-def: $sgpr76
                                        ; implicit-def: $sgpr75
	s_and_b32 s73, s10, vcc_lo
	s_delay_alu instid0(SALU_CYCLE_1)
	s_and_saveexec_b32 s74, s73
	s_cbranch_execz .LBB192_461
; %bb.422:                              ;   in Loop: Header=BB192_6 Depth=1
	ds_load_b64 v[6:7], v3 offset:5120
	s_wait_dscnt 0x0
	s_barrier_signal -1
	s_barrier_wait -1
	v_readfirstlane_b32 s10, v6
	v_readfirstlane_b32 s11, v7
	s_and_saveexec_b32 s14, s6
; %bb.423:                              ;   in Loop: Header=BB192_6 Depth=1
	ds_store_b32 v43, v3
; %bb.424:                              ;   in Loop: Header=BB192_6 Depth=1
	s_or_b32 exec_lo, exec_lo, s14
	v_and_b32_e32 v45, s25, v45
	v_or_b32_e32 v47, s24, v47
	s_mov_b32 s75, -1
	s_mov_b32 s76, 0
	s_cmp_eq_u64 s[10:11], 0
	s_mov_b32 s16, 0
	s_mov_b32 s17, -1
	s_wait_dscnt 0x0
	s_barrier_signal -1
	s_barrier_wait -1
                                        ; implicit-def: $vgpr33
	s_cbranch_scc1 .LBB192_443
; %bb.425:                              ;   in Loop: Header=BB192_6 Depth=1
	s_add_nc_u64 s[14:15], s[10:11], s[54:55]
	s_delay_alu instid0(SALU_CYCLE_1) | instskip(NEXT) | instid1(SALU_CYCLE_1)
	s_and_b64 s[16:17], s[14:15], 0xffffffff00000000
	s_cmp_lg_u64 s[16:17], 0
	s_cbranch_scc0 .LBB192_429
; %bb.426:                              ;   in Loop: Header=BB192_6 Depth=1
	s_cvt_f32_u32 s16, s34
	s_sub_nc_u64 s[46:47], 0, s[34:35]
	s_delay_alu instid0(SALU_CYCLE_2) | instskip(NEXT) | instid1(SALU_CYCLE_3)
	s_fmamk_f32 s16, s90, 0x0, s16
	v_s_rcp_f32 s16, s16
	s_delay_alu instid0(TRANS32_DEP_1) | instskip(NEXT) | instid1(SALU_CYCLE_3)
	s_mul_f32 s16, s16, 0x5f7ffffc
	s_mul_f32 s17, s16, 0x2f800000
	s_delay_alu instid0(SALU_CYCLE_3) | instskip(NEXT) | instid1(SALU_CYCLE_3)
	s_trunc_f32 s17, s17
	s_fmamk_f32 s16, s17, 0xcf800000, s16
	s_cvt_u32_f32 s17, s17
	s_delay_alu instid0(SALU_CYCLE_2) | instskip(NEXT) | instid1(SALU_CYCLE_3)
	s_cvt_u32_f32 s16, s16
	s_mul_u64 s[78:79], s[46:47], s[16:17]
	s_delay_alu instid0(SALU_CYCLE_1)
	s_mul_hi_u32 s81, s16, s79
	s_mul_i32 s80, s16, s79
	s_mul_hi_u32 s28, s16, s78
	s_mul_i32 s49, s17, s78
	s_add_nc_u64 s[80:81], s[28:29], s[80:81]
	s_mul_hi_u32 s48, s17, s78
	s_mul_hi_u32 s50, s17, s79
	s_add_co_u32 s28, s80, s49
	s_add_co_ci_u32 s28, s81, s48
	s_mul_i32 s78, s17, s79
	s_add_co_ci_u32 s79, s50, 0
	s_delay_alu instid0(SALU_CYCLE_1) | instskip(NEXT) | instid1(SALU_CYCLE_1)
	s_add_nc_u64 s[78:79], s[28:29], s[78:79]
	s_add_co_u32 s16, s16, s78
	s_cselect_b32 s28, -1, 0
	s_delay_alu instid0(SALU_CYCLE_1) | instskip(SKIP_1) | instid1(SALU_CYCLE_1)
	s_cmp_lg_u32 s28, 0
	s_add_co_ci_u32 s17, s17, s79
	s_mul_u64 s[46:47], s[46:47], s[16:17]
	s_delay_alu instid0(SALU_CYCLE_1)
	s_mul_hi_u32 s79, s16, s47
	s_mul_i32 s78, s16, s47
	s_mul_hi_u32 s28, s16, s46
	s_mul_i32 s49, s17, s46
	s_add_nc_u64 s[78:79], s[28:29], s[78:79]
	s_mul_hi_u32 s48, s17, s46
	s_mul_hi_u32 s50, s17, s47
	s_add_co_u32 s28, s78, s49
	s_add_co_ci_u32 s28, s79, s48
	s_mul_i32 s46, s17, s47
	s_add_co_ci_u32 s47, s50, 0
	s_delay_alu instid0(SALU_CYCLE_1) | instskip(NEXT) | instid1(SALU_CYCLE_1)
	s_add_nc_u64 s[46:47], s[28:29], s[46:47]
	s_add_co_u32 s16, s16, s46
	s_cselect_b32 s46, -1, 0
	s_mul_hi_u32 s28, s14, s16
	s_cmp_lg_u32 s46, 0
	s_mul_hi_u32 s48, s15, s16
	s_add_co_ci_u32 s46, s17, s47
	s_mul_i32 s47, s15, s16
	s_mul_hi_u32 s17, s14, s46
	s_mul_i32 s16, s14, s46
	s_mul_hi_u32 s49, s15, s46
	s_add_nc_u64 s[16:17], s[28:29], s[16:17]
	s_mul_i32 s46, s15, s46
	s_add_co_u32 s16, s16, s47
	s_add_co_ci_u32 s28, s17, s48
	s_add_co_ci_u32 s47, s49, 0
	s_delay_alu instid0(SALU_CYCLE_1) | instskip(NEXT) | instid1(SALU_CYCLE_1)
	s_add_nc_u64 s[16:17], s[28:29], s[46:47]
	s_and_b64 s[46:47], s[16:17], 0xffffffff00000000
	s_delay_alu instid0(SALU_CYCLE_1) | instskip(NEXT) | instid1(SALU_CYCLE_1)
	s_or_b32 s46, s46, s16
	s_mul_u64 s[16:17], s[34:35], s[46:47]
	s_delay_alu instid0(SALU_CYCLE_1) | instskip(SKIP_1) | instid1(SALU_CYCLE_1)
	s_sub_co_u32 s16, s14, s16
	s_cselect_b32 s28, -1, 0
	s_cmp_lg_u32 s28, 0
	s_sub_co_ci_u32 s17, s15, s17
	s_sub_co_u32 s28, s16, s34
	s_cselect_b32 s46, -1, 0
	s_delay_alu instid0(SALU_CYCLE_1) | instskip(SKIP_3) | instid1(SALU_CYCLE_1)
	s_cmp_lg_u32 s46, 0
	s_sub_co_ci_u32 s46, s17, 0
	s_sub_co_u32 s47, s28, s34
	s_cselect_b32 s48, -1, 0
	s_cmp_lg_u32 s48, 0
	s_sub_co_ci_u32 s48, s46, 0
	s_cmp_ge_u32 s28, s34
	s_cselect_b32 s49, -1, 0
	s_cmp_eq_u32 s46, 0
	s_cselect_b32 s49, s49, -1
	s_delay_alu instid0(SALU_CYCLE_1)
	s_cmp_lg_u32 s49, 0
	s_cselect_b32 s46, s48, s46
	s_cselect_b32 s28, s47, s28
	s_cmp_ge_u32 s16, s34
	s_cselect_b32 s47, -1, 0
	s_cmp_eq_u32 s17, 0
	s_cselect_b32 s47, s47, -1
	s_delay_alu instid0(SALU_CYCLE_1)
	s_cmp_lg_u32 s47, 0
	s_cselect_b32 s17, s46, s17
	s_cselect_b32 s16, s28, s16
	s_mov_b32 s28, 0
	s_branch .LBB192_430
.LBB192_427:                            ;   in Loop: Header=BB192_6 Depth=1
                                        ; implicit-def: $sgpr18_sgpr19
	s_branch .LBB192_380
.LBB192_428:                            ;   in Loop: Header=BB192_6 Depth=1
                                        ; implicit-def: $sgpr10_sgpr11
	s_branch .LBB192_397
.LBB192_429:                            ;   in Loop: Header=BB192_6 Depth=1
	s_mov_b32 s28, -1
                                        ; implicit-def: $sgpr16_sgpr17
.LBB192_430:                            ;   in Loop: Header=BB192_6 Depth=1
	s_delay_alu instid0(SALU_CYCLE_1)
	s_and_not1_b32 vcc_lo, exec_lo, s28
	s_cbranch_vccnz .LBB192_432
; %bb.431:                              ;   in Loop: Header=BB192_6 Depth=1
	v_cvt_f32_u32_e32 v6, s34
	s_sub_co_i32 s17, 0, s34
	s_delay_alu instid0(VALU_DEP_1) | instskip(SKIP_1) | instid1(TRANS32_DEP_1)
	v_rcp_iflag_f32_e32 v6, v6
	v_nop
	v_mul_f32_e32 v6, 0x4f7ffffe, v6
	s_delay_alu instid0(VALU_DEP_1) | instskip(NEXT) | instid1(VALU_DEP_1)
	v_cvt_u32_f32_e32 v6, v6
	v_readfirstlane_b32 s16, v6
	s_mul_i32 s17, s17, s16
	s_delay_alu instid0(SALU_CYCLE_1) | instskip(NEXT) | instid1(SALU_CYCLE_1)
	s_mul_hi_u32 s17, s16, s17
	s_add_co_i32 s16, s16, s17
	s_delay_alu instid0(SALU_CYCLE_1) | instskip(NEXT) | instid1(SALU_CYCLE_1)
	s_mul_hi_u32 s16, s14, s16
	s_mul_i32 s16, s16, s34
	s_delay_alu instid0(SALU_CYCLE_1) | instskip(NEXT) | instid1(SALU_CYCLE_1)
	s_sub_co_i32 s16, s14, s16
	s_sub_co_i32 s17, s16, s34
	s_cmp_ge_u32 s16, s34
	s_cselect_b32 s16, s17, s16
	s_delay_alu instid0(SALU_CYCLE_1) | instskip(SKIP_2) | instid1(SALU_CYCLE_1)
	s_sub_co_i32 s17, s16, s34
	s_cmp_ge_u32 s16, s34
	s_cselect_b32 s28, s17, s16
	s_mov_b64 s[16:17], s[28:29]
.LBB192_432:                            ;   in Loop: Header=BB192_6 Depth=1
	s_delay_alu instid0(SALU_CYCLE_1)
	s_sub_nc_u64 s[14:15], s[14:15], s[16:17]
	s_mov_b32 s17, 0
	s_mov_b32 s16, 0
	s_mov_b32 s28, exec_lo
                                        ; implicit-def: $vgpr33
	v_cmpx_gt_u64_e64 s[14:15], v[0:1]
	s_cbranch_execz .LBB192_442
; %bb.433:                              ;   in Loop: Header=BB192_6 Depth=1
	v_mov_b64_e32 v[6:7], v[0:1]
	v_mov_b32_e32 v8, v16
                                        ; implicit-def: $sgpr46
	s_branch .LBB192_437
.LBB192_434:                            ;   in Loop: Header=BB192_437 Depth=2
	s_or_b32 exec_lo, exec_lo, s47
	s_wait_dscnt 0x0
	s_barrier_signal -1
	s_barrier_wait -1
	ds_load_b64 v[32:33], v3 offset:3072
	s_wait_dscnt 0x0
	s_barrier_signal -1
	s_barrier_wait -1
	v_cmp_neq_f32_e32 vcc_lo, 0, v32
	s_cbranch_vccnz .LBB192_440
; %bb.435:                              ;   in Loop: Header=BB192_437 Depth=2
	v_add_nc_u64_e32 v[6:7], s[34:35], v[6:7]
	v_add_nc_u32_e32 v8, s89, v8
	s_mov_b32 s47, 0
	s_delay_alu instid0(VALU_DEP_2)
	v_cmp_le_u64_e32 vcc_lo, s[14:15], v[6:7]
	s_or_not1_b32 s77, vcc_lo, exec_lo
.LBB192_436:                            ;   in Loop: Header=BB192_437 Depth=2
	s_delay_alu instid0(SALU_CYCLE_1) | instskip(NEXT) | instid1(SALU_CYCLE_1)
	s_and_b32 s48, exec_lo, s77
	s_or_b32 s16, s48, s16
	s_and_not1_b32 s46, s46, exec_lo
	s_and_b32 s47, s47, exec_lo
	s_delay_alu instid0(SALU_CYCLE_1)
	s_or_b32 s46, s46, s47
	s_and_not1_b32 exec_lo, exec_lo, s16
	s_cbranch_execz .LBB192_441
.LBB192_437:                            ;   Parent Loop BB192_6 Depth=1
                                        ; =>  This Inner Loop Header: Depth=2
	s_mov_b32 s47, exec_lo
	s_delay_alu instid0(VALU_DEP_2)
	v_cmpx_gt_u64_e64 s[10:11], v[6:7]
	s_cbranch_execz .LBB192_434
; %bb.438:                              ;   in Loop: Header=BB192_437 Depth=2
	ds_load_b32 v31, v8
	s_wait_dscnt 0x0
	v_cmp_lt_i32_e32 vcc_lo, -1, v31
	v_cndmask_b32_e64 v9, -1, 0x80000000, vcc_lo
	v_cmp_o_f32_e32 vcc_lo, v31, v31
	s_delay_alu instid0(VALU_DEP_2) | instskip(NEXT) | instid1(VALU_DEP_1)
	v_xor_b32_e32 v9, v9, v31
	v_cndmask_b32_e32 v9, -1, v9, vcc_lo
	s_delay_alu instid0(VALU_DEP_1) | instskip(NEXT) | instid1(VALU_DEP_1)
	v_and_b32_e32 v9, v9, v47
	v_cmp_eq_u32_e32 vcc_lo, v9, v45
	s_and_b32 exec_lo, exec_lo, vcc_lo
	s_cbranch_execz .LBB192_434
; %bb.439:                              ;   in Loop: Header=BB192_437 Depth=2
	ds_store_b64 v3, v[30:31] offset:3072
	s_branch .LBB192_434
.LBB192_440:                            ;   in Loop: Header=BB192_437 Depth=2
	s_mov_b32 s77, -1
	s_mov_b32 s47, -1
                                        ; implicit-def: $vgpr6_vgpr7
                                        ; implicit-def: $vgpr8
	s_branch .LBB192_436
.LBB192_441:                            ;   in Loop: Header=BB192_6 Depth=1
	s_or_b32 exec_lo, exec_lo, s16
	s_delay_alu instid0(SALU_CYCLE_1)
	s_and_b32 s16, s46, exec_lo
.LBB192_442:                            ;   in Loop: Header=BB192_6 Depth=1
	s_or_b32 exec_lo, exec_lo, s28
.LBB192_443:                            ;   in Loop: Header=BB192_6 Depth=1
	s_delay_alu instid0(SALU_CYCLE_1)
	s_and_b32 vcc_lo, exec_lo, s17
	s_cbranch_vccz .LBB192_460
; %bb.444:                              ;   in Loop: Header=BB192_6 Depth=1
	s_and_b64 s[10:11], s[56:57], 0xffffffff00000000
	s_delay_alu instid0(SALU_CYCLE_1)
	s_cmp_lg_u64 s[10:11], 0
	s_cbranch_scc0 .LBB192_446
; %bb.445:                              ;   in Loop: Header=BB192_6 Depth=1
	s_cvt_f32_u32 s10, s34
	s_sub_nc_u64 s[14:15], 0, s[34:35]
	s_delay_alu instid0(SALU_CYCLE_2) | instskip(NEXT) | instid1(SALU_CYCLE_3)
	s_fmamk_f32 s10, s90, 0x0, s10
	v_s_rcp_f32 s10, s10
	s_delay_alu instid0(TRANS32_DEP_1) | instskip(NEXT) | instid1(SALU_CYCLE_3)
	s_mul_f32 s10, s10, 0x5f7ffffc
	s_mul_f32 s11, s10, 0x2f800000
	s_delay_alu instid0(SALU_CYCLE_3) | instskip(NEXT) | instid1(SALU_CYCLE_3)
	s_trunc_f32 s11, s11
	s_fmamk_f32 s10, s11, 0xcf800000, s10
	s_cvt_u32_f32 s11, s11
	s_delay_alu instid0(SALU_CYCLE_2) | instskip(NEXT) | instid1(SALU_CYCLE_3)
	s_cvt_u32_f32 s10, s10
	s_mul_u64 s[46:47], s[14:15], s[10:11]
	s_delay_alu instid0(SALU_CYCLE_1)
	s_mul_hi_u32 s77, s10, s47
	s_mul_i32 s76, s10, s47
	s_mul_hi_u32 s28, s10, s46
	s_mul_i32 s48, s11, s46
	s_add_nc_u64 s[76:77], s[28:29], s[76:77]
	s_mul_hi_u32 s17, s11, s46
	s_mul_hi_u32 s49, s11, s47
	s_add_co_u32 s28, s76, s48
	s_add_co_ci_u32 s28, s77, s17
	s_mul_i32 s46, s11, s47
	s_add_co_ci_u32 s47, s49, 0
	s_delay_alu instid0(SALU_CYCLE_1) | instskip(NEXT) | instid1(SALU_CYCLE_1)
	s_add_nc_u64 s[46:47], s[28:29], s[46:47]
	s_add_co_u32 s10, s10, s46
	s_cselect_b32 s17, -1, 0
	s_delay_alu instid0(SALU_CYCLE_1) | instskip(SKIP_1) | instid1(SALU_CYCLE_1)
	s_cmp_lg_u32 s17, 0
	s_add_co_ci_u32 s11, s11, s47
	s_mul_u64 s[14:15], s[14:15], s[10:11]
	s_delay_alu instid0(SALU_CYCLE_1)
	s_mul_hi_u32 s47, s10, s15
	s_mul_i32 s46, s10, s15
	s_mul_hi_u32 s28, s10, s14
	s_mul_i32 s48, s11, s14
	s_add_nc_u64 s[46:47], s[28:29], s[46:47]
	s_mul_hi_u32 s17, s11, s14
	s_mul_hi_u32 s49, s11, s15
	s_mul_i32 s14, s11, s15
	s_add_co_u32 s15, s46, s48
	s_add_co_ci_u32 s28, s47, s17
	s_add_co_ci_u32 s15, s49, 0
	s_delay_alu instid0(SALU_CYCLE_1) | instskip(NEXT) | instid1(SALU_CYCLE_1)
	s_add_nc_u64 s[14:15], s[28:29], s[14:15]
	s_add_co_u32 s10, s10, s14
	s_cselect_b32 s14, -1, 0
	s_mul_hi_u32 s28, s56, s10
	s_cmp_lg_u32 s14, 0
	s_mul_hi_u32 s17, s57, s10
	s_add_co_ci_u32 s14, s11, s15
	s_mul_i32 s15, s57, s10
	s_mul_hi_u32 s11, s56, s14
	s_mul_i32 s10, s56, s14
	s_mul_hi_u32 s46, s57, s14
	s_add_nc_u64 s[10:11], s[28:29], s[10:11]
	s_mul_i32 s14, s57, s14
	s_add_co_u32 s10, s10, s15
	s_add_co_ci_u32 s28, s11, s17
	s_add_co_ci_u32 s15, s46, 0
	s_delay_alu instid0(SALU_CYCLE_1) | instskip(NEXT) | instid1(SALU_CYCLE_1)
	s_add_nc_u64 s[10:11], s[28:29], s[14:15]
	s_and_b64 s[14:15], s[10:11], 0xffffffff00000000
	s_delay_alu instid0(SALU_CYCLE_1) | instskip(NEXT) | instid1(SALU_CYCLE_1)
	s_or_b32 s14, s14, s10
	s_mul_u64 s[10:11], s[34:35], s[14:15]
	s_delay_alu instid0(SALU_CYCLE_1) | instskip(SKIP_1) | instid1(SALU_CYCLE_1)
	s_sub_co_u32 s10, s56, s10
	s_cselect_b32 s14, -1, 0
	s_cmp_lg_u32 s14, 0
	s_sub_co_ci_u32 s11, s57, s11
	s_sub_co_u32 s14, s10, s34
	s_cselect_b32 s15, -1, 0
	s_delay_alu instid0(SALU_CYCLE_1) | instskip(SKIP_3) | instid1(SALU_CYCLE_1)
	s_cmp_lg_u32 s15, 0
	s_sub_co_ci_u32 s15, s11, 0
	s_sub_co_u32 s17, s14, s34
	s_cselect_b32 s28, -1, 0
	s_cmp_lg_u32 s28, 0
	s_sub_co_ci_u32 s28, s15, 0
	s_cmp_ge_u32 s14, s34
	s_cselect_b32 s46, -1, 0
	s_cmp_eq_u32 s15, 0
	s_cselect_b32 s46, s46, -1
	s_delay_alu instid0(SALU_CYCLE_1)
	s_cmp_lg_u32 s46, 0
	s_cselect_b32 s15, s28, s15
	s_cselect_b32 s14, s17, s14
	s_cmp_ge_u32 s10, s34
	s_cselect_b32 s17, -1, 0
	s_cmp_eq_u32 s11, 0
	s_cselect_b32 s17, s17, -1
	s_delay_alu instid0(SALU_CYCLE_1)
	s_cmp_lg_u32 s17, 0
	s_cselect_b32 s11, s15, s11
	s_cselect_b32 s10, s14, s10
	s_mov_b32 s14, 0
	s_branch .LBB192_447
.LBB192_446:                            ;   in Loop: Header=BB192_6 Depth=1
	s_mov_b32 s14, -1
                                        ; implicit-def: $sgpr10_sgpr11
.LBB192_447:                            ;   in Loop: Header=BB192_6 Depth=1
	s_delay_alu instid0(SALU_CYCLE_1)
	s_and_not1_b32 vcc_lo, exec_lo, s14
	s_cbranch_vccnz .LBB192_449
; %bb.448:                              ;   in Loop: Header=BB192_6 Depth=1
	v_cvt_f32_u32_e32 v6, s34
	s_sub_co_i32 s11, 0, s34
	s_delay_alu instid0(VALU_DEP_1) | instskip(SKIP_1) | instid1(TRANS32_DEP_1)
	v_rcp_iflag_f32_e32 v6, v6
	v_nop
	v_mul_f32_e32 v6, 0x4f7ffffe, v6
	s_delay_alu instid0(VALU_DEP_1) | instskip(NEXT) | instid1(VALU_DEP_1)
	v_cvt_u32_f32_e32 v6, v6
	v_readfirstlane_b32 s10, v6
	s_mul_i32 s11, s11, s10
	s_delay_alu instid0(SALU_CYCLE_1) | instskip(NEXT) | instid1(SALU_CYCLE_1)
	s_mul_hi_u32 s11, s10, s11
	s_add_co_i32 s10, s10, s11
	s_delay_alu instid0(SALU_CYCLE_1) | instskip(NEXT) | instid1(SALU_CYCLE_1)
	s_mul_hi_u32 s10, s56, s10
	s_mul_i32 s10, s10, s34
	s_delay_alu instid0(SALU_CYCLE_1) | instskip(NEXT) | instid1(SALU_CYCLE_1)
	s_sub_co_i32 s10, s56, s10
	s_sub_co_i32 s11, s10, s34
	s_cmp_ge_u32 s10, s34
	s_cselect_b32 s10, s11, s10
	s_delay_alu instid0(SALU_CYCLE_1) | instskip(SKIP_2) | instid1(SALU_CYCLE_1)
	s_sub_co_i32 s11, s10, s34
	s_cmp_ge_u32 s10, s34
	s_cselect_b32 s28, s11, s10
	s_mov_b64 s[10:11], s[28:29]
.LBB192_449:                            ;   in Loop: Header=BB192_6 Depth=1
	s_delay_alu instid0(SALU_CYCLE_1)
	s_sub_nc_u64 s[10:11], s[56:57], s[10:11]
	s_mov_b32 s14, exec_lo
                                        ; implicit-def: $vgpr33
	v_nop
	v_cmpx_gt_u64_e64 s[10:11], v[0:1]
	s_cbranch_execz .LBB192_459
; %bb.450:                              ;   in Loop: Header=BB192_6 Depth=1
	v_mov_b64_e32 v[6:7], v[14:15]
	v_mov_b64_e32 v[8:9], v[0:1]
	s_mov_b32 s15, 0
                                        ; implicit-def: $sgpr17
	s_branch .LBB192_454
.LBB192_451:                            ;   in Loop: Header=BB192_454 Depth=2
	s_or_b32 exec_lo, exec_lo, s28
	s_wait_dscnt 0x0
	s_barrier_signal -1
	s_barrier_wait -1
	ds_load_b64 v[32:33], v3 offset:3072
	s_wait_dscnt 0x0
	s_barrier_signal -1
	s_barrier_wait -1
	v_cmp_eq_f32_e32 vcc_lo, 0, v32
	s_cbranch_vccz .LBB192_457
; %bb.452:                              ;   in Loop: Header=BB192_454 Depth=2
	v_add_nc_u64_e32 v[8:9], s[34:35], v[8:9]
	v_add_nc_u64_e32 v[6:7], s[40:41], v[6:7]
	s_mov_b32 s28, 0
	s_delay_alu instid0(VALU_DEP_2)
	v_cmp_le_u64_e32 vcc_lo, s[10:11], v[8:9]
	s_or_not1_b32 s46, vcc_lo, exec_lo
.LBB192_453:                            ;   in Loop: Header=BB192_454 Depth=2
	s_delay_alu instid0(SALU_CYCLE_1) | instskip(NEXT) | instid1(SALU_CYCLE_1)
	s_and_b32 s46, exec_lo, s46
	s_or_b32 s15, s46, s15
	s_and_not1_b32 s17, s17, exec_lo
	s_and_b32 s28, s28, exec_lo
	s_delay_alu instid0(SALU_CYCLE_1)
	s_or_b32 s17, s17, s28
	s_and_not1_b32 exec_lo, exec_lo, s15
	s_cbranch_execz .LBB192_458
.LBB192_454:                            ;   Parent Loop BB192_6 Depth=1
                                        ; =>  This Inner Loop Header: Depth=2
	s_mov_b32 s28, exec_lo
	s_delay_alu instid0(VALU_DEP_1)
	v_cmpx_gt_u64_e64 s[36:37], v[8:9]
	s_cbranch_execz .LBB192_451
; %bb.455:                              ;   in Loop: Header=BB192_454 Depth=2
	global_load_b32 v31, v[6:7], off
	s_wait_loadcnt 0x0
	v_cmp_lt_i32_e32 vcc_lo, -1, v31
	v_cndmask_b32_e64 v10, -1, 0x80000000, vcc_lo
	v_cmp_o_f32_e32 vcc_lo, v31, v31
	s_delay_alu instid0(VALU_DEP_2) | instskip(NEXT) | instid1(VALU_DEP_1)
	v_xor_b32_e32 v10, v10, v31
	v_cndmask_b32_e32 v10, -1, v10, vcc_lo
	s_delay_alu instid0(VALU_DEP_1) | instskip(NEXT) | instid1(VALU_DEP_1)
	v_and_b32_e32 v10, v10, v47
	v_cmp_eq_u32_e32 vcc_lo, v10, v45
	s_and_b32 exec_lo, exec_lo, vcc_lo
	s_cbranch_execz .LBB192_451
; %bb.456:                              ;   in Loop: Header=BB192_454 Depth=2
	ds_store_b64 v3, v[30:31] offset:3072
	s_branch .LBB192_451
.LBB192_457:                            ;   in Loop: Header=BB192_454 Depth=2
	s_mov_b32 s46, -1
	s_mov_b32 s28, -1
                                        ; implicit-def: $vgpr8_vgpr9
                                        ; implicit-def: $vgpr6_vgpr7
	s_branch .LBB192_453
.LBB192_458:                            ;   in Loop: Header=BB192_6 Depth=1
	s_or_b32 exec_lo, exec_lo, s15
	s_delay_alu instid0(SALU_CYCLE_1) | instskip(SKIP_1) | instid1(SALU_CYCLE_1)
	s_and_not1_b32 s10, s16, exec_lo
	s_and_b32 s11, s17, exec_lo
	s_or_b32 s16, s10, s11
.LBB192_459:                            ;   in Loop: Header=BB192_6 Depth=1
	s_or_b32 exec_lo, exec_lo, s14
	s_mov_b32 s75, 0
	s_mov_b32 s76, -1
.LBB192_460:                            ;   in Loop: Header=BB192_6 Depth=1
	s_or_not1_b32 s11, s16, exec_lo
.LBB192_461:                            ;   in Loop: Header=BB192_6 Depth=1
	s_or_b32 exec_lo, exec_lo, s74
	s_mov_b32 s14, 0
	s_and_saveexec_b32 s10, s11
	s_cbranch_execz .LBB192_472
; %bb.462:                              ;   in Loop: Header=BB192_6 Depth=1
	v_mov_b64_e32 v[6:7], 1
	v_mov_b32_e32 v2, 1
	s_xor_b32 s14, s73, -1
	s_delay_alu instid0(SALU_CYCLE_1)
	s_and_saveexec_b32 s11, s14
	s_cbranch_execz .LBB192_471
; %bb.463:                              ;   in Loop: Header=BB192_6 Depth=1
	s_mov_b32 s14, exec_lo
	v_cmpx_ge_u64_e64 s[12:13], v[4:5]
	s_xor_b32 s14, exec_lo, s14
	s_cbranch_execz .LBB192_468
; %bb.464:                              ;   in Loop: Header=BB192_6 Depth=1
	ds_load_b64 v[6:7], v3 offset:5120
	v_and_b32_e32 v45, s25, v45
	v_or_b32_e32 v47, s24, v47
	s_wait_dscnt 0x0
	v_cmp_ne_u64_e32 vcc_lo, 0, v[6:7]
	s_cbranch_vccnz .LBB192_468
; %bb.465:                              ;   in Loop: Header=BB192_6 Depth=1
	s_and_saveexec_b32 s15, s5
; %bb.466:                              ;   in Loop: Header=BB192_6 Depth=1
	v_mov_b64_e32 v[6:7], s[12:13]
	ds_store_b64 v3, v[6:7] offset:5128
; %bb.467:                              ;   in Loop: Header=BB192_6 Depth=1
	s_or_b32 exec_lo, exec_lo, s15
	s_wait_dscnt 0x0
	s_barrier_signal -1
	s_barrier_wait -1
.LBB192_468:                            ;   in Loop: Header=BB192_6 Depth=1
	s_and_not1_saveexec_b32 s14, s14
; %bb.469:                              ;   in Loop: Header=BB192_6 Depth=1
	v_sub_nc_u64_e64 v[4:5], v[4:5], s[12:13]
; %bb.470:                              ;   in Loop: Header=BB192_6 Depth=1
	s_or_b32 exec_lo, exec_lo, s14
	s_delay_alu instid0(VALU_DEP_1)
	v_mov_b64_e32 v[6:7], v[4:5]
	v_mov_b32_e32 v2, 5
.LBB192_471:                            ;   in Loop: Header=BB192_6 Depth=1
	s_or_b32 exec_lo, exec_lo, s11
	s_delay_alu instid0(VALU_DEP_2)
	v_mov_b64_e32 v[4:5], v[6:7]
	s_mov_b32 s14, exec_lo
.LBB192_472:                            ;   in Loop: Header=BB192_6 Depth=1
	s_or_b32 exec_lo, exec_lo, s10
	s_delay_alu instid0(SALU_CYCLE_1)
	s_or_not1_b32 s10, s14, exec_lo
.LBB192_473:                            ;   in Loop: Header=BB192_6 Depth=1
	s_or_b32 exec_lo, exec_lo, s19
	s_delay_alu instid0(SALU_CYCLE_1)
	s_and_not1_b32 s11, s72, exec_lo
	s_and_b32 s12, s76, exec_lo
	s_and_not1_b32 s13, s70, exec_lo
	s_and_b32 s14, s75, exec_lo
	v_mov_b64_e32 v[6:7], v[4:5]
	s_or_b32 s72, s11, s12
	s_or_b32 s70, s13, s14
	s_and_b32 s11, s10, exec_lo
.LBB192_474:                            ;   in Loop: Header=BB192_6 Depth=1
	s_or_b32 exec_lo, exec_lo, s18
	s_delay_alu instid0(SALU_CYCLE_1)
	s_or_not1_b32 s10, s11, exec_lo
.LBB192_475:                            ;   in Loop: Header=BB192_6 Depth=1
	s_or_b32 exec_lo, exec_lo, s21
	s_delay_alu instid0(SALU_CYCLE_1)
	s_and_not1_b32 s11, s69, exec_lo
	s_and_b32 s12, s72, exec_lo
	s_and_not1_b32 s13, s23, exec_lo
	s_and_b32 s14, s70, exec_lo
	v_mov_b64_e32 v[4:5], v[6:7]
	s_or_b32 s69, s11, s12
	s_or_b32 s23, s13, s14
	s_and_b32 s11, s10, exec_lo
.LBB192_476:                            ;   in Loop: Header=BB192_6 Depth=1
	s_or_b32 exec_lo, exec_lo, s20
	s_delay_alu instid0(SALU_CYCLE_1)
	s_or_not1_b32 s10, s11, exec_lo
.LBB192_477:                            ;   in Loop: Header=BB192_6 Depth=1
	s_or_b32 exec_lo, exec_lo, s9
	s_mov_b32 s9, s68
	s_mov_b32 s11, s27
	s_and_saveexec_b32 s12, s10
; %bb.478:                              ;   in Loop: Header=BB192_6 Depth=1
	v_cmp_ne_u32_e32 vcc_lo, 5, v2
	v_cmp_eq_u32_e64 s9, 5, v2
	s_and_not1_b32 s10, s27, exec_lo
	s_and_not1_b32 s13, s68, exec_lo
	s_and_b32 s11, vcc_lo, exec_lo
	s_and_b32 s9, s9, exec_lo
	s_or_b32 s11, s10, s11
	s_or_b32 s9, s13, s9
; %bb.479:                              ;   in Loop: Header=BB192_6 Depth=1
	s_or_b32 exec_lo, exec_lo, s12
	s_delay_alu instid0(SALU_CYCLE_1)
	s_and_not1_b32 s10, s71, exec_lo
	s_and_b32 s12, s69, exec_lo
	s_and_not1_b32 s13, s26, exec_lo
	s_and_b32 s14, s23, exec_lo
	s_or_b32 s71, s10, s12
	s_and_not1_b32 s10, s27, exec_lo
	s_and_b32 s11, s11, exec_lo
	s_and_not1_b32 s12, s68, exec_lo
	s_and_b32 s9, s9, exec_lo
	s_or_b32 s26, s13, s14
	s_or_b32 s27, s10, s11
	;; [unrolled: 1-line block ×3, first 2 shown]
.LBB192_480:                            ;   in Loop: Header=BB192_6 Depth=1
	s_or_b32 exec_lo, exec_lo, s22
	s_mov_b32 s69, 0
	s_mov_b32 s70, 0
	s_and_saveexec_b32 s9, s68
.LBB192_481:                            ;   in Loop: Header=BB192_6 Depth=1
	v_mov_b32_e32 v2, 0
	s_or_b32 s27, s27, exec_lo
.LBB192_482:                            ;   in Loop: Header=BB192_6 Depth=1
	s_or_b32 exec_lo, exec_lo, s9
	v_mov_b64_e32 v[34:35], v[4:5]
	s_and_not1_b32 s9, s101, exec_lo
	s_and_b32 s11, s71, exec_lo
	s_and_not1_b32 s12, s99, exec_lo
	s_and_b32 s13, s26, exec_lo
	s_or_b32 s101, s9, s11
	s_or_b32 s99, s12, s13
	s_and_not1_b32 s9, s103, exec_lo
	s_and_b32 s11, s70, exec_lo
	s_and_not1_b32 s12, s102, exec_lo
	s_and_b32 s13, s69, exec_lo
	s_mov_b32 s10, -1
	s_and_not1_b32 s100, s100, exec_lo
	s_or_b32 s103, s9, s11
	s_or_b32 s102, s12, s13
	s_and_saveexec_b32 s9, s27
	s_delay_alu instid0(SALU_CYCLE_1)
	s_xor_b32 s9, exec_lo, s9
	s_cbranch_execz .LBB192_5
; %bb.483:                              ;   in Loop: Header=BB192_6 Depth=1
	s_mov_b32 s11, -1
	s_mov_b32 s12, exec_lo
	v_cmpx_eq_u32_e32 0, v2
	s_cbranch_execz .LBB192_4
; %bb.484:                              ;   in Loop: Header=BB192_6 Depth=1
	s_xor_b32 s94, s94, 1
	s_add_co_i32 s13, s91, -2
	s_cmp_eq_u32 s91, 0
	s_mov_b32 s91, s13
	s_cselect_b32 s10, -1, 0
	s_xor_b32 s11, exec_lo, -1
	s_or_not1_b32 s10, s10, exec_lo
	s_branch .LBB192_4
.LBB192_485:
	s_or_b32 exec_lo, exec_lo, s92
	s_xor_b32 s7, s98, -1
	s_xor_b32 s9, s96, -1
	;; [unrolled: 1-line block ×5, first 2 shown]
	s_mov_b32 s8, 0
	s_and_saveexec_b32 s12, s11
	s_delay_alu instid0(SALU_CYCLE_1)
	s_xor_b32 s16, exec_lo, s12
	s_cbranch_execnz .LBB192_490
; %bb.486:
	s_and_not1_saveexec_b32 s0, s16
	s_cbranch_execnz .LBB192_509
.LBB192_487:
	s_or_b32 exec_lo, exec_lo, s0
	s_and_saveexec_b32 s0, s8
.LBB192_488:
	; divergent unreachable
.LBB192_489:
	s_endpgm
.LBB192_490:
	s_and_saveexec_b32 s11, s10
	s_delay_alu instid0(SALU_CYCLE_1)
	s_xor_b32 s17, exec_lo, s11
	s_cbranch_execz .LBB192_507
; %bb.491:
	s_and_saveexec_b32 s10, s9
	s_delay_alu instid0(SALU_CYCLE_1)
	s_xor_b32 s18, exec_lo, s10
	s_cbranch_execz .LBB192_505
; %bb.492:
	;; [unrolled: 5-line block ×3, first 2 shown]
	s_and_saveexec_b32 s7, s6
	s_delay_alu instid0(SALU_CYCLE_1)
	s_xor_b32 s6, exec_lo, s7
; %bb.494:
	v_cmp_lt_i32_e32 vcc_lo, -1, v45
	v_cndmask_b32_e64 v2, 0x80000000, -1, vcc_lo
	s_delay_alu instid0(VALU_DEP_1)
	v_xor_b32_e32 v33, v2, v45
; %bb.495:
	s_or_b32 exec_lo, exec_lo, s6
	s_and_saveexec_b32 s6, s5
; %bb.496:
	v_mov_b64_e32 v[2:3], 0
	v_mov_b32_e32 v4, 0
	ds_store_b64 v4, v[2:3] offset:5136
; %bb.497:
	s_or_b32 exec_lo, exec_lo, s6
	v_mov_b32_e32 v18, 0
	s_wait_dscnt 0x0
	s_barrier_signal -1
	s_barrier_wait -1
	s_and_saveexec_b32 s5, s3
	s_cbranch_execz .LBB192_499
; %bb.498:
	global_load_b32 v18, v[14:15], off
.LBB192_499:
	s_wait_xcnt 0x0
	s_or_b32 exec_lo, exec_lo, s5
	v_cmp_lt_i32_e32 vcc_lo, -1, v33
	s_clause 0x1
	s_load_b64 s[6:7], s[0:1], 0x368
	s_load_b64 s[8:9], s[0:1], 0x510
	v_readlane_b32 s12, v54, 4
	v_readlane_b32 s13, v54, 5
	;; [unrolled: 1-line block ×3, first 2 shown]
	v_cndmask_b32_e64 v2, -1, 0x80000000, vcc_lo
	v_readlane_b32 s21, v54, 7
	v_cmp_o_f32_e32 vcc_lo, v33, v33
	s_mul_u64 s[12:13], s[12:13], s[44:45]
	v_readlane_b32 s14, v54, 0
	v_xor_b32_e32 v2, v2, v33
	s_wait_xcnt 0x0
	s_add_nc_u64 s[0:1], s[36:37], 31
	s_mov_b64 s[10:11], 0xffffffffffffffe0
	v_readlane_b32 s15, v54, 1
	s_lshl_b64 s[12:13], s[12:13], 2
	s_and_b64 s[10:11], s[0:1], s[10:11]
	s_add_nc_u64 s[12:13], s[20:21], s[12:13]
	v_readlane_b32 s20, v54, 2
	v_cndmask_b32_e32 v13, -1, v2, vcc_lo
	v_cmp_gt_u64_e32 vcc_lo, s[10:11], v[0:1]
	v_readlane_b32 s21, v54, 3
	s_mul_u64 s[14:15], s[14:15], s[44:45]
	s_mov_b32 s0, -1
	s_lshl_b64 s[14:15], s[14:15], 3
	s_mov_b32 s5, 0
	s_add_nc_u64 s[14:15], s[20:21], s[14:15]
	s_mov_b32 s1, 0
	s_and_saveexec_b32 s20, vcc_lo
	s_cbranch_execnz .LBB192_510
; %bb.500:
	s_or_b32 exec_lo, exec_lo, s20
	s_and_saveexec_b32 s4, s0
	s_cbranch_execnz .LBB192_527
.LBB192_501:
	s_or_b32 exec_lo, exec_lo, s4
	s_and_saveexec_b32 s0, s1
	s_delay_alu instid0(SALU_CYCLE_1)
	s_xor_b32 s0, exec_lo, s0
	s_cbranch_execnz .LBB192_550
.LBB192_502:
	s_or_b32 exec_lo, exec_lo, s0
	s_wait_kmcnt 0x0
	s_and_b32 s8, s5, exec_lo
.LBB192_503:
	s_and_not1_saveexec_b32 s0, s19
	s_cbranch_execnz .LBB192_552
.LBB192_504:
	s_or_b32 exec_lo, exec_lo, s0
	s_delay_alu instid0(SALU_CYCLE_1)
	s_and_b32 s8, s8, exec_lo
.LBB192_505:
	s_and_not1_saveexec_b32 s0, s18
	s_cbranch_execnz .LBB192_551
.LBB192_506:
	s_or_b32 exec_lo, exec_lo, s0
	s_delay_alu instid0(SALU_CYCLE_1)
	s_and_b32 s8, s8, exec_lo
.LBB192_507:
	s_and_not1_saveexec_b32 s0, s17
	s_cbranch_execnz .LBB192_546
.LBB192_508:
	s_or_b32 exec_lo, exec_lo, s0
	s_delay_alu instid0(SALU_CYCLE_1)
	s_and_b32 s8, s8, exec_lo
	s_and_not1_saveexec_b32 s0, s16
	s_cbranch_execz .LBB192_487
.LBB192_509:
	s_or_b32 s8, s8, exec_lo
	s_trap 2
	s_or_b32 exec_lo, exec_lo, s0
	s_and_saveexec_b32 s0, s8
	s_cbranch_execnz .LBB192_488
	s_branch .LBB192_489
.LBB192_510:
	v_add_nc_u64_e32 v[2:3], s[34:35], v[0:1]
	v_mov_b64_e32 v[10:11], v[0:1]
	s_mov_b32 s21, 0
                                        ; implicit-def: $sgpr22
                                        ; implicit-def: $vgpr8_vgpr9
	s_delay_alu instid0(VALU_DEP_2) | instskip(SKIP_1) | instid1(VALU_DEP_2)
	v_mul_u64_e32 v[4:5], s[30:31], v[2:3]
	v_mov_b32_e32 v3, 0
	v_lshl_add_u64 v[4:5], v[4:5], 2, s[42:43]
	s_branch .LBB192_512
.LBB192_511:                            ;   in Loop: Header=BB192_512 Depth=1
	s_or_b32 exec_lo, exec_lo, s24
	s_xor_b32 s0, s23, -1
	s_and_b32 s1, exec_lo, s1
	v_mov_b64_e32 v[10:11], v[6:7]
	s_wait_loadcnt 0x0
	v_mov_b32_e32 v18, v19
	s_or_b32 s21, s1, s21
	s_and_not1_b32 s1, s22, exec_lo
	s_and_b32 s0, s0, exec_lo
	s_delay_alu instid0(SALU_CYCLE_1)
	s_or_b32 s22, s1, s0
	s_and_not1_b32 exec_lo, exec_lo, s21
	s_cbranch_execz .LBB192_526
.LBB192_512:                            ; =>This Inner Loop Header: Depth=1
	s_delay_alu instid0(VALU_DEP_4) | instskip(SKIP_2) | instid1(VALU_DEP_2)
	v_add_nc_u64_e32 v[6:7], s[34:35], v[10:11]
	v_mov_b32_e32 v19, 0
	s_mov_b32 s1, exec_lo
	v_cmpx_gt_u64_e64 s[36:37], v[6:7]
	s_cbranch_execz .LBB192_514
; %bb.513:                              ;   in Loop: Header=BB192_512 Depth=1
	global_load_b32 v19, v[4:5], off
.LBB192_514:                            ;   in Loop: Header=BB192_512 Depth=1
	s_wait_xcnt 0x0
	s_or_b32 exec_lo, exec_lo, s1
	s_mov_b32 s23, 0
	s_mov_b32 s1, exec_lo
	v_cmpx_gt_u64_e64 s[36:37], v[10:11]
	s_cbranch_execz .LBB192_516
; %bb.515:                              ;   in Loop: Header=BB192_512 Depth=1
	s_wait_loadcnt 0x0
	v_cmp_lt_i32_e64 s0, -1, v18
	s_delay_alu instid0(VALU_DEP_1) | instskip(SKIP_1) | instid1(VALU_DEP_2)
	v_cndmask_b32_e64 v2, -1, 0x80000000, s0
	v_cmp_o_f32_e64 s0, v18, v18
	v_xor_b32_e32 v2, v2, v18
	s_delay_alu instid0(VALU_DEP_1) | instskip(NEXT) | instid1(VALU_DEP_1)
	v_cndmask_b32_e64 v2, -1, v2, s0
	v_cmp_gt_u32_e64 s0, v2, v13
	s_delay_alu instid0(VALU_DEP_1) | instskip(SKIP_1) | instid1(VALU_DEP_1)
	v_cndmask_b32_e64 v16, 0, 1, s0
	v_cmp_lt_u32_e64 s0, v2, v13
	v_cndmask_b32_e64 v2, 0, 1, s0
	s_delay_alu instid0(VALU_DEP_1) | instskip(NEXT) | instid1(VALU_DEP_1)
	v_cndmask_b32_e64 v2, v2, v16, s4
	v_and_b32_e32 v2, 1, v2
	s_delay_alu instid0(VALU_DEP_1)
	v_cmp_eq_u32_e64 s0, 1, v2
	s_and_b32 s23, s0, exec_lo
.LBB192_516:                            ;   in Loop: Header=BB192_512 Depth=1
	s_or_b32 exec_lo, exec_lo, s1
	v_cndmask_b32_e64 v2, 0, 1, s23
	s_delay_alu instid0(VALU_DEP_1) | instskip(SKIP_2) | instid1(SALU_CYCLE_1)
	v_cmp_ne_u32_e64 s0, 0, v2
	s_cmp_lg_u32 s0, 0
	s_cselect_b32 s1, -1, 0
	s_and_b32 s1, s2, s1
	s_delay_alu instid0(SALU_CYCLE_1)
	s_and_saveexec_b32 s24, s1
	s_cbranch_execz .LBB192_520
; %bb.517:                              ;   in Loop: Header=BB192_512 Depth=1
	s_mov_b32 s27, exec_lo
	s_bcnt1_i32_b32 s25, s0
	v_mbcnt_lo_u32_b32 v16, s27, 0
	s_mov_b32 s26, exec_lo
                                        ; implicit-def: $vgpr8_vgpr9
	s_delay_alu instid0(VALU_DEP_1)
	v_cmpx_eq_u32_e32 0, v16
	s_cbranch_execz .LBB192_519
; %bb.518:                              ;   in Loop: Header=BB192_512 Depth=1
	s_bcnt1_i32_b32 s1, s27
	s_delay_alu instid0(SALU_CYCLE_1) | instskip(NEXT) | instid1(SALU_CYCLE_1)
	s_mul_i32 s1, s25, s1
	v_mov_b32_e32 v2, s1
	s_wait_dscnt 0x0
	ds_add_rtn_u64 v[8:9], v3, v[2:3] offset:5136
.LBB192_519:                            ;   in Loop: Header=BB192_512 Depth=1
	s_or_b32 exec_lo, exec_lo, s26
	s_wait_dscnt 0x0
	v_readfirstlane_b32 s27, v9
	v_readfirstlane_b32 s26, v8
	s_delay_alu instid0(VALU_DEP_1)
	v_mad_nc_u64_u32 v[8:9], s25, v16, s[26:27]
.LBB192_520:                            ;   in Loop: Header=BB192_512 Depth=1
	s_or_b32 exec_lo, exec_lo, s24
	s_wait_dscnt 0x1
	ds_bpermute_b32 v8, v3, v8
	s_wait_dscnt 0x1
	ds_bpermute_b32 v9, v3, v9
	s_mov_b32 s1, -1
	s_mov_b32 s25, -1
	s_and_saveexec_b32 s24, s23
	s_cbranch_execz .LBB192_524
; %bb.521:                              ;   in Loop: Header=BB192_512 Depth=1
	v_and_b32_e32 v2, s0, v12
	s_mov_b32 s23, 0
	s_mov_b32 s25, exec_lo
	s_delay_alu instid0(VALU_DEP_1) | instskip(SKIP_1) | instid1(VALU_DEP_1)
	v_bcnt_u32_b32 v2, v2, 0
	s_wait_dscnt 0x0
	v_add_nc_u64_e32 v[16:17], v[8:9], v[2:3]
	s_delay_alu instid0(VALU_DEP_1)
	v_cmpx_gt_u64_e64 s[38:39], v[16:17]
	s_cbranch_execz .LBB192_523
; %bb.522:                              ;   in Loop: Header=BB192_512 Depth=1
	s_wait_kmcnt 0x0
	v_mul_u64_e32 v[20:21], s[6:7], v[16:17]
	v_mul_u64_e32 v[16:17], s[8:9], v[16:17]
	s_mov_b32 s23, exec_lo
	s_delay_alu instid0(VALU_DEP_2) | instskip(NEXT) | instid1(VALU_DEP_2)
	v_lshl_add_u64 v[20:21], v[20:21], 2, s[12:13]
	v_lshl_add_u64 v[16:17], v[16:17], 3, s[14:15]
	s_wait_loadcnt 0x0
	global_store_b32 v[20:21], v18, off
	global_store_b64 v[16:17], v[10:11], off
.LBB192_523:                            ;   in Loop: Header=BB192_512 Depth=1
	s_wait_xcnt 0x0
	s_or_b32 exec_lo, exec_lo, s25
	s_delay_alu instid0(SALU_CYCLE_1)
	s_or_not1_b32 s25, s23, exec_lo
.LBB192_524:                            ;   in Loop: Header=BB192_512 Depth=1
	s_or_b32 exec_lo, exec_lo, s24
	s_mov_b32 s23, -1
	s_and_saveexec_b32 s24, s25
	s_cbranch_execz .LBB192_511
; %bb.525:                              ;   in Loop: Header=BB192_512 Depth=1
	v_cmp_le_u64_e64 s0, s[10:11], v[6:7]
	v_add_nc_u64_e32 v[4:5], s[40:41], v[4:5]
	s_xor_b32 s23, exec_lo, -1
	s_or_not1_b32 s1, s0, exec_lo
	s_branch .LBB192_511
.LBB192_526:
	s_or_b32 exec_lo, exec_lo, s21
	s_delay_alu instid0(SALU_CYCLE_1)
	s_mov_b32 s1, exec_lo
	s_or_not1_b32 s0, s22, exec_lo
	s_or_b32 exec_lo, exec_lo, s20
	s_and_saveexec_b32 s4, s0
	s_cbranch_execz .LBB192_501
.LBB192_527:
	v_mov_b32_e32 v16, 0
	s_wait_storecnt 0x0
	s_wait_loadcnt_dscnt 0x0
	s_barrier_signal -1
	s_barrier_wait -1
	s_and_saveexec_b32 s0, s3
	s_cbranch_execz .LBB192_529
; %bb.528:
	global_load_b32 v16, v[14:15], off
.LBB192_529:
	s_wait_xcnt 0x0
	s_or_b32 exec_lo, exec_lo, s0
	s_mov_b32 s0, 0
	s_and_saveexec_b32 s3, vcc_lo
	s_cbranch_execz .LBB192_549
; %bb.530:
	v_add_nc_u64_e32 v[2:3], s[34:35], v[0:1]
	v_mov_b32_e32 v5, 0
	s_mov_b32 s5, 0
                                        ; implicit-def: $sgpr20
                                        ; implicit-def: $vgpr8_vgpr9
	s_delay_alu instid0(VALU_DEP_2) | instskip(NEXT) | instid1(VALU_DEP_1)
	v_mul_u64_e32 v[2:3], s[30:31], v[2:3]
	v_lshl_add_u64 v[2:3], v[2:3], 2, s[42:43]
	s_branch .LBB192_533
.LBB192_531:                            ;   in Loop: Header=BB192_533 Depth=1
	s_or_b32 exec_lo, exec_lo, s23
	s_delay_alu instid0(SALU_CYCLE_1)
	s_or_not1_b32 s23, s21, exec_lo
	s_or_not1_b32 s22, s22, exec_lo
.LBB192_532:                            ;   in Loop: Header=BB192_533 Depth=1
	s_or_b32 exec_lo, exec_lo, s0
	s_xor_b32 s0, s23, -1
	s_and_b32 s21, exec_lo, s22
	v_mov_b64_e32 v[0:1], v[6:7]
	s_or_b32 s5, s21, s5
	v_mov_b32_e32 v16, v14
	s_and_not1_b32 s20, s20, exec_lo
	s_and_b32 s0, s0, exec_lo
	s_delay_alu instid0(SALU_CYCLE_1)
	s_or_b32 s20, s20, s0
	s_and_not1_b32 exec_lo, exec_lo, s5
	s_cbranch_execz .LBB192_547
.LBB192_533:                            ; =>This Inner Loop Header: Depth=1
	v_add_nc_u64_e32 v[6:7], s[34:35], v[0:1]
	v_mov_b32_e32 v14, 0
	s_mov_b32 s0, exec_lo
	s_delay_alu instid0(VALU_DEP_2)
	v_cmpx_gt_u64_e64 s[36:37], v[6:7]
	s_cbranch_execz .LBB192_535
; %bb.534:                              ;   in Loop: Header=BB192_533 Depth=1
	global_load_b32 v14, v[2:3], off
.LBB192_535:                            ;   in Loop: Header=BB192_533 Depth=1
	s_wait_xcnt 0x0
	s_or_b32 exec_lo, exec_lo, s0
	s_wait_loadcnt 0x0
	v_cmp_lt_i32_e32 vcc_lo, -1, v16
	v_cndmask_b32_e64 v4, -1, 0x80000000, vcc_lo
	v_cmp_o_f32_e32 vcc_lo, v16, v16
	s_delay_alu instid0(VALU_DEP_2) | instskip(NEXT) | instid1(VALU_DEP_1)
	v_xor_b32_e32 v4, v4, v16
	v_cndmask_b32_e32 v4, -1, v4, vcc_lo
	v_cmp_gt_u64_e32 vcc_lo, s[36:37], v[0:1]
	s_delay_alu instid0(VALU_DEP_2) | instskip(SKIP_1) | instid1(SALU_CYCLE_1)
	v_cmp_eq_u32_e64 s0, v4, v13
	s_and_b32 s21, vcc_lo, s0
	v_cndmask_b32_e64 v4, 0, 1, s21
	s_delay_alu instid0(VALU_DEP_1) | instskip(SKIP_2) | instid1(SALU_CYCLE_1)
	v_cmp_ne_u32_e32 vcc_lo, 0, v4
	s_cmp_lg_u32 vcc_lo, 0
	s_cselect_b32 s0, -1, 0
	s_and_b32 s0, s2, s0
	s_delay_alu instid0(SALU_CYCLE_1)
	s_and_saveexec_b32 s22, s0
	s_cbranch_execz .LBB192_539
; %bb.536:                              ;   in Loop: Header=BB192_533 Depth=1
	s_mov_b32 s25, exec_lo
	s_bcnt1_i32_b32 s23, vcc_lo
	v_mbcnt_lo_u32_b32 v10, s25, 0
	s_mov_b32 s24, exec_lo
                                        ; implicit-def: $vgpr8_vgpr9
	s_delay_alu instid0(VALU_DEP_1)
	v_cmpx_eq_u32_e32 0, v10
; %bb.537:                              ;   in Loop: Header=BB192_533 Depth=1
	s_bcnt1_i32_b32 s0, s25
	s_delay_alu instid0(SALU_CYCLE_1) | instskip(NEXT) | instid1(SALU_CYCLE_1)
	s_mul_i32 s0, s23, s0
	v_mov_b32_e32 v4, s0
	ds_add_rtn_u64 v[8:9], v5, v[4:5] offset:5136
; %bb.538:                              ;   in Loop: Header=BB192_533 Depth=1
	s_or_b32 exec_lo, exec_lo, s24
	s_wait_dscnt 0x0
	v_readfirstlane_b32 s25, v9
	v_readfirstlane_b32 s24, v8
	s_delay_alu instid0(VALU_DEP_1)
	v_mad_nc_u64_u32 v[8:9], s23, v10, s[24:25]
.LBB192_539:                            ;   in Loop: Header=BB192_533 Depth=1
	s_or_b32 exec_lo, exec_lo, s22
	ds_bpermute_b32 v8, v5, v8
	ds_bpermute_b32 v9, v5, v9
	s_cmp_eq_u32 vcc_lo, 0
	s_mov_b32 s22, -1
	s_cselect_b32 s23, -1, 0
	s_wait_dscnt 0x0
	v_cmp_gt_u64_e64 s0, s[38:39], v[8:9]
	s_or_b32 s24, s23, s0
	s_mov_b32 s23, -1
	s_and_saveexec_b32 s0, s24
	s_cbranch_execz .LBB192_532
; %bb.540:                              ;   in Loop: Header=BB192_533 Depth=1
	v_and_b32_e32 v4, vcc_lo, v12
	v_sub_nc_u64_e32 v[10:11], s[38:39], v[8:9]
	s_mov_b32 s24, -1
	s_delay_alu instid0(VALU_DEP_2) | instskip(NEXT) | instid1(VALU_DEP_1)
	v_bcnt_u32_b32 v4, v4, 0
	v_bcnt_u32_b32 v4, 0, v4
	s_delay_alu instid0(VALU_DEP_1)
	v_cmp_gt_u64_e32 vcc_lo, v[10:11], v[4:5]
	s_and_b32 s25, s21, vcc_lo
	s_mov_b32 s21, -1
	s_and_saveexec_b32 s23, s25
	s_cbranch_execz .LBB192_544
; %bb.541:                              ;   in Loop: Header=BB192_533 Depth=1
	v_add_nc_u64_e32 v[10:11], v[8:9], v[4:5]
	s_mov_b32 s24, 0
	s_mov_b32 s21, exec_lo
	s_delay_alu instid0(VALU_DEP_1)
	v_cmpx_gt_u64_e64 s[38:39], v[10:11]
	s_cbranch_execz .LBB192_543
; %bb.542:                              ;   in Loop: Header=BB192_533 Depth=1
	s_wait_kmcnt 0x0
	v_mul_u64_e32 v[18:19], s[6:7], v[10:11]
	v_mul_u64_e32 v[10:11], s[8:9], v[10:11]
	s_mov_b32 s24, exec_lo
	s_delay_alu instid0(VALU_DEP_2) | instskip(NEXT) | instid1(VALU_DEP_2)
	v_lshl_add_u64 v[18:19], v[18:19], 2, s[12:13]
	v_lshl_add_u64 v[10:11], v[10:11], 3, s[14:15]
	global_store_b32 v[18:19], v16, off
	global_store_b64 v[10:11], v[0:1], off
.LBB192_543:                            ;   in Loop: Header=BB192_533 Depth=1
	s_wait_xcnt 0x0
	s_or_b32 exec_lo, exec_lo, s21
	s_delay_alu instid0(SALU_CYCLE_1)
	s_xor_b32 s21, exec_lo, -1
	s_or_not1_b32 s24, s24, exec_lo
.LBB192_544:                            ;   in Loop: Header=BB192_533 Depth=1
	s_or_b32 exec_lo, exec_lo, s23
	s_and_saveexec_b32 s23, s24
	s_cbranch_execz .LBB192_531
; %bb.545:                              ;   in Loop: Header=BB192_533 Depth=1
	v_cmp_le_u64_e32 vcc_lo, s[10:11], v[6:7]
	v_add_nc_u64_e32 v[2:3], s[40:41], v[2:3]
	s_or_b32 s21, s21, exec_lo
	s_or_not1_b32 s22, vcc_lo, exec_lo
	s_branch .LBB192_531
.LBB192_546:
	s_or_b32 s8, s8, exec_lo
	s_trap 2
	s_branch .LBB192_508
.LBB192_547:
	s_or_b32 exec_lo, exec_lo, s5
	s_mov_b32 s0, 0
	s_and_saveexec_b32 s2, s20
	s_delay_alu instid0(SALU_CYCLE_1)
	s_xor_b32 s2, exec_lo, s2
	s_cbranch_execnz .LBB192_553
.LBB192_548:
	s_or_b32 exec_lo, exec_lo, s2
	s_delay_alu instid0(SALU_CYCLE_1)
	s_and_b32 s0, s0, exec_lo
.LBB192_549:
	s_or_b32 exec_lo, exec_lo, s3
	s_delay_alu instid0(SALU_CYCLE_1) | instskip(SKIP_3) | instid1(SALU_CYCLE_1)
	s_and_b32 s5, s0, exec_lo
	s_and_not1_b32 s1, s1, exec_lo
	s_or_b32 exec_lo, exec_lo, s4
	s_and_saveexec_b32 s0, s1
	s_xor_b32 s0, exec_lo, s0
	s_cbranch_execz .LBB192_502
.LBB192_550:
	s_or_b32 s5, s5, exec_lo
	s_trap 2
	s_branch .LBB192_502
.LBB192_551:
	s_or_b32 s8, s8, exec_lo
	s_trap 2
	s_branch .LBB192_506
.LBB192_552:
	s_or_b32 s8, s8, exec_lo
	s_trap 2
	s_branch .LBB192_504
.LBB192_553:
	s_mov_b32 s0, exec_lo
	s_trap 2
	s_branch .LBB192_548
	.section	.rodata,"a",@progbits
	.p2align	6, 0x0
	.amdhsa_kernel _ZN2at6native6sbtopk10gatherTopKIfmLi1ELb0EEEvNS_4cuda6detail10TensorInfoIKT_T0_EES8_S8_bS8_S8_NS5_IS6_S8_EES8_NS5_IlS8_EES8_PS6_
		.amdhsa_group_segment_fixed_size 5152
		.amdhsa_private_segment_fixed_size 0
		.amdhsa_kernarg_size 1568
		.amdhsa_user_sgpr_count 2
		.amdhsa_user_sgpr_dispatch_ptr 0
		.amdhsa_user_sgpr_queue_ptr 0
		.amdhsa_user_sgpr_kernarg_segment_ptr 1
		.amdhsa_user_sgpr_dispatch_id 0
		.amdhsa_user_sgpr_kernarg_preload_length 0
		.amdhsa_user_sgpr_kernarg_preload_offset 0
		.amdhsa_user_sgpr_private_segment_size 0
		.amdhsa_wavefront_size32 1
		.amdhsa_uses_dynamic_stack 0
		.amdhsa_enable_private_segment 0
		.amdhsa_system_sgpr_workgroup_id_x 1
		.amdhsa_system_sgpr_workgroup_id_y 1
		.amdhsa_system_sgpr_workgroup_id_z 1
		.amdhsa_system_sgpr_workgroup_info 0
		.amdhsa_system_vgpr_workitem_id 0
		.amdhsa_next_free_vgpr 55
		.amdhsa_next_free_sgpr 105
		.amdhsa_named_barrier_count 0
		.amdhsa_reserve_vcc 1
		.amdhsa_float_round_mode_32 0
		.amdhsa_float_round_mode_16_64 0
		.amdhsa_float_denorm_mode_32 3
		.amdhsa_float_denorm_mode_16_64 3
		.amdhsa_fp16_overflow 0
		.amdhsa_memory_ordered 1
		.amdhsa_forward_progress 1
		.amdhsa_inst_pref_size 196
		.amdhsa_round_robin_scheduling 0
		.amdhsa_exception_fp_ieee_invalid_op 0
		.amdhsa_exception_fp_denorm_src 0
		.amdhsa_exception_fp_ieee_div_zero 0
		.amdhsa_exception_fp_ieee_overflow 0
		.amdhsa_exception_fp_ieee_underflow 0
		.amdhsa_exception_fp_ieee_inexact 0
		.amdhsa_exception_int_div_zero 0
	.end_amdhsa_kernel
	.section	.text._ZN2at6native6sbtopk10gatherTopKIfmLi1ELb0EEEvNS_4cuda6detail10TensorInfoIKT_T0_EES8_S8_bS8_S8_NS5_IS6_S8_EES8_NS5_IlS8_EES8_PS6_,"axG",@progbits,_ZN2at6native6sbtopk10gatherTopKIfmLi1ELb0EEEvNS_4cuda6detail10TensorInfoIKT_T0_EES8_S8_bS8_S8_NS5_IS6_S8_EES8_NS5_IlS8_EES8_PS6_,comdat
.Lfunc_end192:
	.size	_ZN2at6native6sbtopk10gatherTopKIfmLi1ELb0EEEvNS_4cuda6detail10TensorInfoIKT_T0_EES8_S8_bS8_S8_NS5_IS6_S8_EES8_NS5_IlS8_EES8_PS6_, .Lfunc_end192-_ZN2at6native6sbtopk10gatherTopKIfmLi1ELb0EEEvNS_4cuda6detail10TensorInfoIKT_T0_EES8_S8_bS8_S8_NS5_IS6_S8_EES8_NS5_IlS8_EES8_PS6_
                                        ; -- End function
	.set _ZN2at6native6sbtopk10gatherTopKIfmLi1ELb0EEEvNS_4cuda6detail10TensorInfoIKT_T0_EES8_S8_bS8_S8_NS5_IS6_S8_EES8_NS5_IlS8_EES8_PS6_.num_vgpr, 55
	.set _ZN2at6native6sbtopk10gatherTopKIfmLi1ELb0EEEvNS_4cuda6detail10TensorInfoIKT_T0_EES8_S8_bS8_S8_NS5_IS6_S8_EES8_NS5_IlS8_EES8_PS6_.num_agpr, 0
	.set _ZN2at6native6sbtopk10gatherTopKIfmLi1ELb0EEEvNS_4cuda6detail10TensorInfoIKT_T0_EES8_S8_bS8_S8_NS5_IS6_S8_EES8_NS5_IlS8_EES8_PS6_.numbered_sgpr, 105
	.set _ZN2at6native6sbtopk10gatherTopKIfmLi1ELb0EEEvNS_4cuda6detail10TensorInfoIKT_T0_EES8_S8_bS8_S8_NS5_IS6_S8_EES8_NS5_IlS8_EES8_PS6_.num_named_barrier, 0
	.set _ZN2at6native6sbtopk10gatherTopKIfmLi1ELb0EEEvNS_4cuda6detail10TensorInfoIKT_T0_EES8_S8_bS8_S8_NS5_IS6_S8_EES8_NS5_IlS8_EES8_PS6_.private_seg_size, 0
	.set _ZN2at6native6sbtopk10gatherTopKIfmLi1ELb0EEEvNS_4cuda6detail10TensorInfoIKT_T0_EES8_S8_bS8_S8_NS5_IS6_S8_EES8_NS5_IlS8_EES8_PS6_.uses_vcc, 1
	.set _ZN2at6native6sbtopk10gatherTopKIfmLi1ELb0EEEvNS_4cuda6detail10TensorInfoIKT_T0_EES8_S8_bS8_S8_NS5_IS6_S8_EES8_NS5_IlS8_EES8_PS6_.uses_flat_scratch, 0
	.set _ZN2at6native6sbtopk10gatherTopKIfmLi1ELb0EEEvNS_4cuda6detail10TensorInfoIKT_T0_EES8_S8_bS8_S8_NS5_IS6_S8_EES8_NS5_IlS8_EES8_PS6_.has_dyn_sized_stack, 0
	.set _ZN2at6native6sbtopk10gatherTopKIfmLi1ELb0EEEvNS_4cuda6detail10TensorInfoIKT_T0_EES8_S8_bS8_S8_NS5_IS6_S8_EES8_NS5_IlS8_EES8_PS6_.has_recursion, 0
	.set _ZN2at6native6sbtopk10gatherTopKIfmLi1ELb0EEEvNS_4cuda6detail10TensorInfoIKT_T0_EES8_S8_bS8_S8_NS5_IS6_S8_EES8_NS5_IlS8_EES8_PS6_.has_indirect_call, 0
	.section	.AMDGPU.csdata,"",@progbits
; Kernel info:
; codeLenInByte = 24992
; TotalNumSgprs: 107
; NumVgprs: 55
; ScratchSize: 0
; MemoryBound: 0
; FloatMode: 240
; IeeeMode: 1
; LDSByteSize: 5152 bytes/workgroup (compile time only)
; SGPRBlocks: 0
; VGPRBlocks: 3
; NumSGPRsForWavesPerEU: 107
; NumVGPRsForWavesPerEU: 55
; NamedBarCnt: 0
; Occupancy: 16
; WaveLimiterHint : 1
; COMPUTE_PGM_RSRC2:SCRATCH_EN: 0
; COMPUTE_PGM_RSRC2:USER_SGPR: 2
; COMPUTE_PGM_RSRC2:TRAP_HANDLER: 0
; COMPUTE_PGM_RSRC2:TGID_X_EN: 1
; COMPUTE_PGM_RSRC2:TGID_Y_EN: 1
; COMPUTE_PGM_RSRC2:TGID_Z_EN: 1
; COMPUTE_PGM_RSRC2:TIDIG_COMP_CNT: 0
	.section	.text._ZN2at6native6mbtopk23computeBlockDigitCountsIfmjLi2EEEvNS_4cuda6detail10TensorInfoIKT_T0_EEjPjjS8_iijT1_PSB_Ps,"axG",@progbits,_ZN2at6native6mbtopk23computeBlockDigitCountsIfmjLi2EEEvNS_4cuda6detail10TensorInfoIKT_T0_EEjPjjS8_iijT1_PSB_Ps,comdat
	.protected	_ZN2at6native6mbtopk23computeBlockDigitCountsIfmjLi2EEEvNS_4cuda6detail10TensorInfoIKT_T0_EEjPjjS8_iijT1_PSB_Ps ; -- Begin function _ZN2at6native6mbtopk23computeBlockDigitCountsIfmjLi2EEEvNS_4cuda6detail10TensorInfoIKT_T0_EEjPjjS8_iijT1_PSB_Ps
	.globl	_ZN2at6native6mbtopk23computeBlockDigitCountsIfmjLi2EEEvNS_4cuda6detail10TensorInfoIKT_T0_EEjPjjS8_iijT1_PSB_Ps
	.p2align	8
	.type	_ZN2at6native6mbtopk23computeBlockDigitCountsIfmjLi2EEEvNS_4cuda6detail10TensorInfoIKT_T0_EEjPjjS8_iijT1_PSB_Ps,@function
_ZN2at6native6mbtopk23computeBlockDigitCountsIfmjLi2EEEvNS_4cuda6detail10TensorInfoIKT_T0_EEjPjjS8_iijT1_PSB_Ps: ; @_ZN2at6native6mbtopk23computeBlockDigitCountsIfmjLi2EEEvNS_4cuda6detail10TensorInfoIKT_T0_EEjPjjS8_iijT1_PSB_Ps
; %bb.0:
	s_load_b128 s[4:7], s[0:1], 0x1c0
	s_bfe_u32 s2, ttmp6, 0x40010
	s_and_b32 s8, ttmp7, 0xffff
	s_add_co_i32 s9, s2, 1
	s_bfe_u32 s10, ttmp6, 0x40004
	s_mul_i32 s9, s8, s9
	s_load_b64 s[2:3], s[0:1], 0x1e0
	s_add_co_i32 s10, s10, s9
	s_bfe_u32 s11, ttmp6, 0x4000c
	s_bfe_u32 s13, ttmp6, 0x40014
	s_add_co_i32 s11, s11, 1
	s_and_b32 s12, ttmp6, 15
	s_mul_i32 s11, ttmp9, s11
	s_add_co_i32 s13, s13, 1
	s_add_co_i32 s12, s12, s11
	s_getreg_b32 s14, hwreg(HW_REG_IB_STS2, 6, 4)
	s_wait_kmcnt 0x0
	s_cvt_f32_u32 s9, s6
	s_delay_alu instid0(SALU_CYCLE_3) | instskip(SKIP_1) | instid1(SALU_CYCLE_1)
	v_rcp_iflag_f32_e32 v1, s9
	s_lshr_b32 s9, ttmp7, 16
	s_mul_i32 s11, s9, s13
	s_bfe_u32 s13, ttmp6, 0x40008
	s_delay_alu instid0(SALU_CYCLE_1) | instskip(SKIP_1) | instid1(TRANS32_DEP_1)
	s_add_co_i32 s13, s13, s11
	v_nop
	v_readfirstlane_b32 s15, v1
	s_cmp_eq_u32 s14, 0
	s_cselect_b32 s9, s9, s13
	s_load_b32 s13, s[0:1], 0x1b0
	s_mul_f32 s11, s15, 0x4f7ffffe
	s_mul_i32 s3, s3, s9
	s_cselect_b32 s9, ttmp9, s12
	s_cselect_b32 s8, s8, s10
	s_cvt_u32_f32 s11, s11
	s_sub_co_i32 s10, 0, s6
	s_add_co_i32 s3, s3, s8
	s_delay_alu instid0(SALU_CYCLE_1) | instskip(SKIP_3) | instid1(SALU_CYCLE_1)
	s_mul_i32 s20, s3, s2
	s_mul_i32 s10, s10, s11
	s_add_co_i32 s20, s20, s9
	s_mul_hi_u32 s2, s11, s10
	s_add_co_i32 s11, s11, s2
	s_delay_alu instid0(SALU_CYCLE_1) | instskip(NEXT) | instid1(SALU_CYCLE_1)
	s_mul_hi_u32 s2, s20, s11
	s_mul_i32 s3, s2, s6
	s_add_co_i32 s8, s2, 1
	s_sub_co_i32 s3, s20, s3
	s_delay_alu instid0(SALU_CYCLE_1)
	s_sub_co_i32 s9, s3, s6
	s_cmp_ge_u32 s3, s6
	s_cselect_b32 s2, s8, s2
	s_cselect_b32 s3, s9, s3
	s_add_co_i32 s8, s2, 1
	s_cmp_ge_u32 s3, s6
	s_cselect_b32 s12, s8, s2
	s_wait_kmcnt 0x0
	s_cmp_ge_u32 s12, s13
	s_mov_b32 s13, 0
	s_cbranch_scc1 .LBB193_23
; %bb.1:
	s_load_b64 s[14:15], s[0:1], 0x10
	s_mov_b64 s[16:17], 0
	s_wait_kmcnt 0x0
	v_cmp_lt_u64_e64 s2, s[12:13], s[14:15]
	s_and_b32 vcc_lo, exec_lo, s2
	s_cbranch_vccnz .LBB193_3
; %bb.2:
	v_cvt_f32_u32_e32 v1, s14
	s_sub_co_i32 s3, 0, s14
	s_mov_b32 s17, 0
	s_delay_alu instid0(VALU_DEP_1) | instskip(SKIP_1) | instid1(TRANS32_DEP_1)
	v_rcp_iflag_f32_e32 v1, v1
	v_nop
	v_mul_f32_e32 v1, 0x4f7ffffe, v1
	s_delay_alu instid0(VALU_DEP_1) | instskip(NEXT) | instid1(VALU_DEP_1)
	v_cvt_u32_f32_e32 v1, v1
	v_readfirstlane_b32 s2, v1
	s_mul_i32 s3, s3, s2
	s_delay_alu instid0(SALU_CYCLE_1) | instskip(NEXT) | instid1(SALU_CYCLE_1)
	s_mul_hi_u32 s3, s2, s3
	s_add_co_i32 s2, s2, s3
	s_delay_alu instid0(SALU_CYCLE_1) | instskip(NEXT) | instid1(SALU_CYCLE_1)
	s_mul_hi_u32 s2, s12, s2
	s_mul_i32 s3, s2, s14
	s_add_co_i32 s8, s2, 1
	s_sub_co_i32 s3, s12, s3
	s_delay_alu instid0(SALU_CYCLE_1)
	s_sub_co_i32 s9, s3, s14
	s_cmp_ge_u32 s3, s14
	s_cselect_b32 s2, s8, s2
	s_cselect_b32 s3, s9, s3
	s_add_co_i32 s8, s2, 1
	s_cmp_ge_u32 s3, s14
	s_cselect_b32 s16, s8, s2
.LBB193_3:
	v_cmp_gt_u32_e32 vcc_lo, 0x100, v0
	v_lshlrev_b32_e32 v1, 2, v0
	s_and_saveexec_b32 s2, vcc_lo
; %bb.4:
	v_mov_b32_e32 v2, 0
	ds_store_b32 v1, v2
; %bb.5:
	s_or_b32 exec_lo, exec_lo, s2
	s_clause 0x1
	s_load_b32 s21, s[0:1], 0x1a0
	s_load_b128 s[8:11], s[0:1], 0x1d0
	s_mul_i32 s2, s12, s6
	s_mov_b32 s19, 0
	s_sub_co_i32 s23, s20, s2
	s_wait_dscnt 0x0
	s_mul_i32 s2, s5, s23
	s_add_co_i32 s23, s23, 1
	s_lshl_b32 s22, s2, 8
	s_barrier_signal -1
	s_barrier_wait -1
	s_wait_kmcnt 0x0
	s_sub_co_i32 s18, s21, s22
	s_delay_alu instid0(SALU_CYCLE_1) | instskip(NEXT) | instid1(SALU_CYCLE_1)
	s_add_nc_u64 s[2:3], s[18:19], 0xff
	s_lshr_b64 s[2:3], s[2:3], 8
	s_cmp_lt_u32 s23, s6
	s_cselect_b32 s18, s5, s2
	s_delay_alu instid0(SALU_CYCLE_1)
	s_cmp_lt_i32 s18, 1
	s_cbranch_scc1 .LBB193_21
; %bb.6:
	s_clause 0x1
	s_load_b128 s[24:27], s[0:1], 0xd0
	s_load_b64 s[28:29], s[0:1], 0x0
	s_load_b32 s6, s[8:9], s12 offset:0x0 scale_offset
	s_load_b64 s[2:3], s[0:1], 0x1b8
	s_wait_xcnt 0x0
	s_mul_u64 s[0:1], s[16:17], s[14:15]
	v_add_nc_u32_e32 v6, s22, v0
	s_sub_nc_u64 s[0:1], s[12:13], s[0:1]
	s_wait_kmcnt 0x0
	s_mul_u64 s[8:9], s[16:17], s[24:25]
	s_mul_u64 s[0:1], s[0:1], s[26:27]
	s_lshl_b64 s[8:9], s[8:9], 2
	s_lshl_b64 s[12:13], s[0:1], 2
	s_add_nc_u64 s[8:9], s[28:29], s[8:9]
	s_and_b32 s1, s4, 0xff
	s_cmp_eq_u32 s18, 1
	s_add_nc_u64 s[4:5], s[8:9], s[12:13]
	s_cbranch_scc1 .LBB193_16
; %bb.7:
	v_dual_mov_b32 v3, 0 :: v_dual_mov_b32 v7, 1
	v_mov_b32_e32 v2, v6
	s_and_b32 s8, s18, 0x7ffffffe
	s_mov_b32 s9, 0
	s_branch .LBB193_9
.LBB193_8:                              ;   in Loop: Header=BB193_9 Depth=1
	s_or_b32 exec_lo, exec_lo, s12
	v_add_nc_u32_e32 v2, 0x200, v2
	s_add_co_i32 s9, s9, 2
	s_delay_alu instid0(SALU_CYCLE_1)
	s_cmp_eq_u32 s8, s9
	s_cbranch_scc1 .LBB193_15
.LBB193_9:                              ; =>This Inner Loop Header: Depth=1
	s_mov_b32 s12, exec_lo
	v_cmpx_gt_u32_e64 s21, v2
	s_cbranch_execz .LBB193_12
; %bb.10:                               ;   in Loop: Header=BB193_9 Depth=1
	v_mul_u64_e32 v[4:5], s[2:3], v[2:3]
	s_delay_alu instid0(VALU_DEP_1) | instskip(SKIP_4) | instid1(VALU_DEP_1)
	v_lshl_add_u64 v[4:5], v[4:5], 2, s[4:5]
	global_load_b32 v4, v[4:5], off
	s_wait_loadcnt 0x0
	v_cmp_lt_i32_e64 s0, -1, v4
	s_wait_xcnt 0x0
	v_cndmask_b32_e64 v5, -1, 0x80000000, s0
	v_cmp_o_f32_e64 s0, v4, v4
	s_delay_alu instid0(VALU_DEP_2) | instskip(NEXT) | instid1(VALU_DEP_1)
	v_xor_b32_e32 v5, v5, v4
	v_cndmask_b32_e64 v4, -1, v5, s0
	s_delay_alu instid0(VALU_DEP_1) | instskip(NEXT) | instid1(VALU_DEP_1)
	v_bitop3_b32 v5, v4, s7, s6 bitop3:0x48
	v_cmp_eq_u32_e64 s0, 0, v5
	s_and_b32 exec_lo, exec_lo, s0
; %bb.11:                               ;   in Loop: Header=BB193_9 Depth=1
	v_bfe_u32 v4, v4, s1, 8
	s_delay_alu instid0(VALU_DEP_1)
	v_lshlrev_b32_e32 v4, 2, v4
	ds_add_u32 v4, v7
.LBB193_12:                             ;   in Loop: Header=BB193_9 Depth=1
	s_or_b32 exec_lo, exec_lo, s12
	v_add_nc_u32_e32 v4, 0x100, v2
	s_mov_b32 s12, exec_lo
	s_delay_alu instid0(VALU_DEP_1)
	v_cmpx_gt_u32_e64 s21, v4
	s_cbranch_execz .LBB193_8
; %bb.13:                               ;   in Loop: Header=BB193_9 Depth=1
	v_mov_b32_e32 v5, v3
	s_delay_alu instid0(VALU_DEP_1) | instskip(NEXT) | instid1(VALU_DEP_1)
	v_mul_u64_e32 v[4:5], s[2:3], v[4:5]
	v_lshl_add_u64 v[4:5], v[4:5], 2, s[4:5]
	global_load_b32 v4, v[4:5], off
	s_wait_loadcnt 0x0
	v_cmp_lt_i32_e64 s0, -1, v4
	s_delay_alu instid0(VALU_DEP_1) | instskip(SKIP_1) | instid1(VALU_DEP_2)
	v_cndmask_b32_e64 v5, -1, 0x80000000, s0
	v_cmp_o_f32_e64 s0, v4, v4
	v_xor_b32_e32 v5, v5, v4
	s_delay_alu instid0(VALU_DEP_1) | instskip(NEXT) | instid1(VALU_DEP_1)
	v_cndmask_b32_e64 v4, -1, v5, s0
	v_bitop3_b32 v5, v4, s7, s6 bitop3:0x48
	s_delay_alu instid0(VALU_DEP_1)
	v_cmp_eq_u32_e64 s0, 0, v5
	s_and_b32 exec_lo, exec_lo, s0
	s_cbranch_execz .LBB193_8
; %bb.14:                               ;   in Loop: Header=BB193_9 Depth=1
	v_bfe_u32 v4, v4, s1, 8
	s_delay_alu instid0(VALU_DEP_1)
	v_lshlrev_b32_e32 v4, 2, v4
	ds_add_u32 v4, v7
	s_branch .LBB193_8
.LBB193_15:
	s_lshl_b32 s19, s8, 8
.LBB193_16:
	s_bitcmp0_b32 s18, 0
	s_cbranch_scc1 .LBB193_21
; %bb.17:
	v_add_nc_u32_e32 v2, s19, v6
	s_mov_b32 s8, exec_lo
	s_delay_alu instid0(VALU_DEP_1)
	v_cmpx_gt_u32_e64 s21, v2
	s_cbranch_execz .LBB193_20
; %bb.18:
	v_mov_b32_e32 v3, 0
	s_delay_alu instid0(VALU_DEP_1) | instskip(NEXT) | instid1(VALU_DEP_1)
	v_mul_u64_e32 v[2:3], s[2:3], v[2:3]
	v_lshl_add_u64 v[2:3], v[2:3], 2, s[4:5]
	global_load_b32 v2, v[2:3], off
	s_wait_loadcnt 0x0
	v_cmp_lt_i32_e64 s0, -1, v2
	s_delay_alu instid0(VALU_DEP_1) | instskip(SKIP_1) | instid1(VALU_DEP_2)
	v_cndmask_b32_e64 v3, -1, 0x80000000, s0
	v_cmp_o_f32_e64 s0, v2, v2
	v_xor_b32_e32 v3, v3, v2
	s_delay_alu instid0(VALU_DEP_1) | instskip(NEXT) | instid1(VALU_DEP_1)
	v_cndmask_b32_e64 v2, -1, v3, s0
	v_bitop3_b32 v3, v2, s7, s6 bitop3:0x48
	s_delay_alu instid0(VALU_DEP_1)
	v_cmp_eq_u32_e64 s0, 0, v3
	s_and_b32 exec_lo, exec_lo, s0
; %bb.19:
	v_bfe_u32 v2, v2, s1, 8
	s_delay_alu instid0(VALU_DEP_1)
	v_dual_mov_b32 v3, 1 :: v_dual_lshlrev_b32 v2, 2, v2
	ds_add_u32 v2, v3
.LBB193_20:
	s_or_b32 exec_lo, exec_lo, s8
.LBB193_21:
	s_wait_dscnt 0x0
	s_barrier_signal -1
	s_barrier_wait -1
	s_and_saveexec_b32 s0, vcc_lo
	s_cbranch_execz .LBB193_23
; %bb.22:
	ds_load_b32 v1, v1
	v_lshl_or_b32 v0, s20, 8, v0
	s_wait_dscnt 0x0
	global_store_b16 v0, v1, s[10:11] scale_offset
.LBB193_23:
	s_endpgm
	.section	.rodata,"a",@progbits
	.p2align	6, 0x0
	.amdhsa_kernel _ZN2at6native6mbtopk23computeBlockDigitCountsIfmjLi2EEEvNS_4cuda6detail10TensorInfoIKT_T0_EEjPjjS8_iijT1_PSB_Ps
		.amdhsa_group_segment_fixed_size 1024
		.amdhsa_private_segment_fixed_size 0
		.amdhsa_kernarg_size 736
		.amdhsa_user_sgpr_count 2
		.amdhsa_user_sgpr_dispatch_ptr 0
		.amdhsa_user_sgpr_queue_ptr 0
		.amdhsa_user_sgpr_kernarg_segment_ptr 1
		.amdhsa_user_sgpr_dispatch_id 0
		.amdhsa_user_sgpr_kernarg_preload_length 0
		.amdhsa_user_sgpr_kernarg_preload_offset 0
		.amdhsa_user_sgpr_private_segment_size 0
		.amdhsa_wavefront_size32 1
		.amdhsa_uses_dynamic_stack 0
		.amdhsa_enable_private_segment 0
		.amdhsa_system_sgpr_workgroup_id_x 1
		.amdhsa_system_sgpr_workgroup_id_y 1
		.amdhsa_system_sgpr_workgroup_id_z 1
		.amdhsa_system_sgpr_workgroup_info 0
		.amdhsa_system_vgpr_workitem_id 0
		.amdhsa_next_free_vgpr 8
		.amdhsa_next_free_sgpr 30
		.amdhsa_named_barrier_count 0
		.amdhsa_reserve_vcc 1
		.amdhsa_float_round_mode_32 0
		.amdhsa_float_round_mode_16_64 0
		.amdhsa_float_denorm_mode_32 3
		.amdhsa_float_denorm_mode_16_64 3
		.amdhsa_fp16_overflow 0
		.amdhsa_memory_ordered 1
		.amdhsa_forward_progress 1
		.amdhsa_inst_pref_size 10
		.amdhsa_round_robin_scheduling 0
		.amdhsa_exception_fp_ieee_invalid_op 0
		.amdhsa_exception_fp_denorm_src 0
		.amdhsa_exception_fp_ieee_div_zero 0
		.amdhsa_exception_fp_ieee_overflow 0
		.amdhsa_exception_fp_ieee_underflow 0
		.amdhsa_exception_fp_ieee_inexact 0
		.amdhsa_exception_int_div_zero 0
	.end_amdhsa_kernel
	.section	.text._ZN2at6native6mbtopk23computeBlockDigitCountsIfmjLi2EEEvNS_4cuda6detail10TensorInfoIKT_T0_EEjPjjS8_iijT1_PSB_Ps,"axG",@progbits,_ZN2at6native6mbtopk23computeBlockDigitCountsIfmjLi2EEEvNS_4cuda6detail10TensorInfoIKT_T0_EEjPjjS8_iijT1_PSB_Ps,comdat
.Lfunc_end193:
	.size	_ZN2at6native6mbtopk23computeBlockDigitCountsIfmjLi2EEEvNS_4cuda6detail10TensorInfoIKT_T0_EEjPjjS8_iijT1_PSB_Ps, .Lfunc_end193-_ZN2at6native6mbtopk23computeBlockDigitCountsIfmjLi2EEEvNS_4cuda6detail10TensorInfoIKT_T0_EEjPjjS8_iijT1_PSB_Ps
                                        ; -- End function
	.set _ZN2at6native6mbtopk23computeBlockDigitCountsIfmjLi2EEEvNS_4cuda6detail10TensorInfoIKT_T0_EEjPjjS8_iijT1_PSB_Ps.num_vgpr, 8
	.set _ZN2at6native6mbtopk23computeBlockDigitCountsIfmjLi2EEEvNS_4cuda6detail10TensorInfoIKT_T0_EEjPjjS8_iijT1_PSB_Ps.num_agpr, 0
	.set _ZN2at6native6mbtopk23computeBlockDigitCountsIfmjLi2EEEvNS_4cuda6detail10TensorInfoIKT_T0_EEjPjjS8_iijT1_PSB_Ps.numbered_sgpr, 30
	.set _ZN2at6native6mbtopk23computeBlockDigitCountsIfmjLi2EEEvNS_4cuda6detail10TensorInfoIKT_T0_EEjPjjS8_iijT1_PSB_Ps.num_named_barrier, 0
	.set _ZN2at6native6mbtopk23computeBlockDigitCountsIfmjLi2EEEvNS_4cuda6detail10TensorInfoIKT_T0_EEjPjjS8_iijT1_PSB_Ps.private_seg_size, 0
	.set _ZN2at6native6mbtopk23computeBlockDigitCountsIfmjLi2EEEvNS_4cuda6detail10TensorInfoIKT_T0_EEjPjjS8_iijT1_PSB_Ps.uses_vcc, 1
	.set _ZN2at6native6mbtopk23computeBlockDigitCountsIfmjLi2EEEvNS_4cuda6detail10TensorInfoIKT_T0_EEjPjjS8_iijT1_PSB_Ps.uses_flat_scratch, 0
	.set _ZN2at6native6mbtopk23computeBlockDigitCountsIfmjLi2EEEvNS_4cuda6detail10TensorInfoIKT_T0_EEjPjjS8_iijT1_PSB_Ps.has_dyn_sized_stack, 0
	.set _ZN2at6native6mbtopk23computeBlockDigitCountsIfmjLi2EEEvNS_4cuda6detail10TensorInfoIKT_T0_EEjPjjS8_iijT1_PSB_Ps.has_recursion, 0
	.set _ZN2at6native6mbtopk23computeBlockDigitCountsIfmjLi2EEEvNS_4cuda6detail10TensorInfoIKT_T0_EEjPjjS8_iijT1_PSB_Ps.has_indirect_call, 0
	.section	.AMDGPU.csdata,"",@progbits
; Kernel info:
; codeLenInByte = 1260
; TotalNumSgprs: 32
; NumVgprs: 8
; ScratchSize: 0
; MemoryBound: 0
; FloatMode: 240
; IeeeMode: 1
; LDSByteSize: 1024 bytes/workgroup (compile time only)
; SGPRBlocks: 0
; VGPRBlocks: 0
; NumSGPRsForWavesPerEU: 32
; NumVGPRsForWavesPerEU: 8
; NamedBarCnt: 0
; Occupancy: 16
; WaveLimiterHint : 1
; COMPUTE_PGM_RSRC2:SCRATCH_EN: 0
; COMPUTE_PGM_RSRC2:USER_SGPR: 2
; COMPUTE_PGM_RSRC2:TRAP_HANDLER: 0
; COMPUTE_PGM_RSRC2:TGID_X_EN: 1
; COMPUTE_PGM_RSRC2:TGID_Y_EN: 1
; COMPUTE_PGM_RSRC2:TGID_Z_EN: 1
; COMPUTE_PGM_RSRC2:TIDIG_COMP_CNT: 0
	.section	.text._ZN2at6native6mbtopk10gatherTopKIfmLi2EEEvNS_4cuda6detail10TensorInfoIKT_T0_EES8_S8_bjS8_NS5_IS6_S8_EES8_NS5_IlS8_EES8_jjPS6_PjSD_j,"axG",@progbits,_ZN2at6native6mbtopk10gatherTopKIfmLi2EEEvNS_4cuda6detail10TensorInfoIKT_T0_EES8_S8_bjS8_NS5_IS6_S8_EES8_NS5_IlS8_EES8_jjPS6_PjSD_j,comdat
	.protected	_ZN2at6native6mbtopk10gatherTopKIfmLi2EEEvNS_4cuda6detail10TensorInfoIKT_T0_EES8_S8_bjS8_NS5_IS6_S8_EES8_NS5_IlS8_EES8_jjPS6_PjSD_j ; -- Begin function _ZN2at6native6mbtopk10gatherTopKIfmLi2EEEvNS_4cuda6detail10TensorInfoIKT_T0_EES8_S8_bjS8_NS5_IS6_S8_EES8_NS5_IlS8_EES8_jjPS6_PjSD_j
	.globl	_ZN2at6native6mbtopk10gatherTopKIfmLi2EEEvNS_4cuda6detail10TensorInfoIKT_T0_EES8_S8_bjS8_NS5_IS6_S8_EES8_NS5_IlS8_EES8_jjPS6_PjSD_j
	.p2align	8
	.type	_ZN2at6native6mbtopk10gatherTopKIfmLi2EEEvNS_4cuda6detail10TensorInfoIKT_T0_EES8_S8_bjS8_NS5_IS6_S8_EES8_NS5_IlS8_EES8_jjPS6_PjSD_j,@function
_ZN2at6native6mbtopk10gatherTopKIfmLi2EEEvNS_4cuda6detail10TensorInfoIKT_T0_EES8_S8_bjS8_NS5_IS6_S8_EES8_NS5_IlS8_EES8_jjPS6_PjSD_j: ; @_ZN2at6native6mbtopk10gatherTopKIfmLi2EEEvNS_4cuda6detail10TensorInfoIKT_T0_EES8_S8_bjS8_NS5_IS6_S8_EES8_NS5_IlS8_EES8_jjPS6_PjSD_j
; %bb.0:
	s_bfe_u32 s2, ttmp6, 0x40010
	s_and_b32 s4, ttmp7, 0xffff
	s_add_co_i32 s5, s2, 1
	s_clause 0x1
	s_load_b32 s6, s[0:1], 0x530
	s_load_b64 s[2:3], s[0:1], 0x538
	s_bfe_u32 s8, ttmp6, 0x4000c
	s_mul_i32 s5, s4, s5
	s_bfe_u32 s7, ttmp6, 0x40004
	s_add_co_i32 s8, s8, 1
	s_bfe_u32 s9, ttmp6, 0x40014
	s_add_co_i32 s7, s7, s5
	s_and_b32 s5, ttmp6, 15
	s_mul_i32 s8, ttmp9, s8
	s_lshr_b32 s10, ttmp7, 16
	s_add_co_i32 s9, s9, 1
	s_add_co_i32 s5, s5, s8
	s_mul_i32 s8, s10, s9
	s_bfe_u32 s9, ttmp6, 0x40008
	s_getreg_b32 s11, hwreg(HW_REG_IB_STS2, 6, 4)
	s_add_co_i32 s9, s9, s8
	s_cmp_eq_u32 s11, 0
	s_cselect_b32 s8, s10, s9
	s_cselect_b32 s4, s4, s7
	s_wait_kmcnt 0x0
	s_mul_i32 s3, s3, s8
	s_cselect_b32 s5, ttmp9, s5
	s_add_co_i32 s3, s3, s4
	s_delay_alu instid0(SALU_CYCLE_1) | instskip(NEXT) | instid1(SALU_CYCLE_1)
	s_mul_i32 s2, s3, s2
	s_add_co_i32 s2, s2, s5
	s_delay_alu instid0(SALU_CYCLE_1)
	s_cmp_ge_u32 s2, s6
	s_cbranch_scc1 .LBB194_48
; %bb.1:
	s_load_b64 s[28:29], s[0:1], 0x510
	s_wait_kmcnt 0x0
	s_cvt_f32_u32 s3, s29
	s_sub_co_i32 s4, 0, s29
	s_lshl_b32 s33, s28, 8
	s_delay_alu instid0(SALU_CYCLE_1) | instskip(SKIP_1) | instid1(TRANS32_DEP_1)
	v_rcp_iflag_f32_e32 v1, s3
	v_nop
	v_readfirstlane_b32 s3, v1
	s_mul_f32 s3, s3, 0x4f7ffffe
	s_delay_alu instid0(SALU_CYCLE_3) | instskip(NEXT) | instid1(SALU_CYCLE_3)
	s_cvt_u32_f32 s3, s3
	s_mul_i32 s4, s4, s3
	s_delay_alu instid0(SALU_CYCLE_1) | instskip(NEXT) | instid1(SALU_CYCLE_1)
	s_mul_hi_u32 s4, s3, s4
	s_add_co_i32 s3, s3, s4
	s_clause 0x1
	s_load_b128 s[4:7], s[0:1], 0x1a0
	s_load_b64 s[34:35], s[0:1], 0x10
	s_mul_hi_u32 s3, s2, s3
	s_delay_alu instid0(SALU_CYCLE_1) | instskip(SKIP_2) | instid1(SALU_CYCLE_1)
	s_mul_i32 s8, s3, s29
	s_add_co_i32 s9, s3, 1
	s_sub_co_i32 s8, s2, s8
	s_sub_co_i32 s10, s8, s29
	s_cmp_ge_u32 s8, s29
	s_cselect_b32 s3, s9, s3
	s_cselect_b32 s8, s10, s8
	s_add_co_i32 s9, s3, 1
	s_cmp_ge_u32 s8, s29
	s_cselect_b32 s30, s9, s3
	s_delay_alu instid0(SALU_CYCLE_1) | instskip(NEXT) | instid1(SALU_CYCLE_1)
	s_mul_i32 s16, s30, s29
	s_sub_co_i32 s48, s2, s16
	s_delay_alu instid0(SALU_CYCLE_1) | instskip(NEXT) | instid1(SALU_CYCLE_1)
	s_add_co_i32 s2, s48, 1
	s_cmp_lt_u32 s2, s29
	s_cbranch_scc1 .LBB194_3
; %bb.2:
	s_mul_i32 s2, s48, s33
	s_mov_b32 s3, 0
	s_wait_kmcnt 0x0
	s_sub_nc_u64 s[8:9], s[4:5], s[2:3]
	s_delay_alu instid0(SALU_CYCLE_1) | instskip(NEXT) | instid1(SALU_CYCLE_1)
	s_add_nc_u64 s[8:9], s[8:9], 0xff
	s_ashr_i32 s2, s9, 31
	s_delay_alu instid0(SALU_CYCLE_1) | instskip(NEXT) | instid1(SALU_CYCLE_1)
	s_lshr_b32 s2, s2, 24
	s_add_nc_u64 s[2:3], s[8:9], s[2:3]
	s_delay_alu instid0(SALU_CYCLE_1) | instskip(NEXT) | instid1(SALU_CYCLE_1)
	s_lshr_b64 s[2:3], s[2:3], 8
	s_mov_b32 s28, s2
.LBB194_3:
	s_load_b64 s[36:37], s[0:1], 0x1d0
	s_mov_b32 s31, 0
	s_mov_b64 s[42:43], 0
	s_wait_kmcnt 0x0
	v_cmp_lt_u64_e64 s2, s[30:31], s[34:35]
	s_mov_b64 s[38:39], 0
	s_and_b32 vcc_lo, exec_lo, s2
	s_cbranch_vccz .LBB194_20
; %bb.4:
	s_load_b64 s[40:41], s[0:1], 0x378
	v_cmp_lt_u64_e64 s2, s[30:31], s[36:37]
	s_and_b32 vcc_lo, exec_lo, s2
	s_cbranch_vccz .LBB194_21
.LBB194_5:
	s_wait_kmcnt 0x0
	v_cmp_lt_u64_e64 s2, s[30:31], s[40:41]
	s_mov_b64 s[44:45], 0
	s_and_b32 vcc_lo, exec_lo, s2
	s_cbranch_vccnz .LBB194_7
.LBB194_6:
	v_cvt_f32_u32_e32 v1, s40
	s_sub_co_i32 s3, 0, s40
	s_mov_b32 s45, 0
	s_delay_alu instid0(VALU_DEP_1) | instskip(SKIP_1) | instid1(TRANS32_DEP_1)
	v_rcp_iflag_f32_e32 v1, v1
	v_nop
	v_mul_f32_e32 v1, 0x4f7ffffe, v1
	s_delay_alu instid0(VALU_DEP_1) | instskip(NEXT) | instid1(VALU_DEP_1)
	v_cvt_u32_f32_e32 v1, v1
	v_readfirstlane_b32 s2, v1
	s_mul_i32 s3, s3, s2
	s_delay_alu instid0(SALU_CYCLE_1) | instskip(NEXT) | instid1(SALU_CYCLE_1)
	s_mul_hi_u32 s3, s2, s3
	s_add_co_i32 s2, s2, s3
	s_delay_alu instid0(SALU_CYCLE_1) | instskip(NEXT) | instid1(SALU_CYCLE_1)
	s_mul_hi_u32 s2, s30, s2
	s_mul_i32 s3, s2, s40
	s_add_co_i32 s8, s2, 1
	s_sub_co_i32 s3, s30, s3
	s_delay_alu instid0(SALU_CYCLE_1)
	s_sub_co_i32 s9, s3, s40
	s_cmp_ge_u32 s3, s40
	s_cselect_b32 s2, s8, s2
	s_cselect_b32 s3, s9, s3
	s_add_co_i32 s8, s2, 1
	s_cmp_ge_u32 s3, s40
	s_cselect_b32 s44, s8, s2
.LBB194_7:
	s_load_b128 s[8:11], s[0:1], 0x518
	s_lshl_b64 s[2:3], s[30:31], 2
	s_mov_b32 s17, 0
	s_wait_kmcnt 0x0
	s_add_nc_u64 s[2:3], s[8:9], s[2:3]
	s_load_b32 s49, s[2:3], 0x0
	s_wait_xcnt 0x0
	v_cmp_ne_u32_e64 s2, 0, v0
	v_cmp_eq_u32_e64 s3, 0, v0
	s_and_saveexec_b32 s24, s3
	s_cbranch_execz .LBB194_25
; %bb.8:
	s_load_b64 s[18:19], s[0:1], 0x528
	s_cmp_lt_u32 s29, 4
	s_cbranch_scc1 .LBB194_22
; %bb.9:
	s_lshl_b64 s[20:21], s[16:17], 2
	s_mov_b64 s[8:9], 0
	s_mov_b32 s16, 0
.LBB194_10:                             ; =>This Inner Loop Header: Depth=1
	s_add_nc_u64 s[22:23], s[10:11], s[20:21]
	s_cmp_ge_u32 s16, s48
	s_load_b128 s[12:15], s[22:23], 0x0
	s_wait_kmcnt 0x0
	s_add_nc_u64 s[22:23], s[18:19], s[20:21]
	s_cbranch_scc0 .LBB194_17
; %bb.11:                               ;   in Loop: Header=BB194_10 Depth=1
	s_add_co_i32 s25, s16, 1
	s_delay_alu instid0(SALU_CYCLE_1)
	s_cmp_ge_u32 s25, s48
	s_cbranch_scc0 .LBB194_18
.LBB194_12:                             ;   in Loop: Header=BB194_10 Depth=1
	s_add_co_i32 s25, s25, 1
	s_delay_alu instid0(SALU_CYCLE_1)
	s_cmp_ge_u32 s25, s48
	s_cbranch_scc0 .LBB194_19
.LBB194_13:                             ;   in Loop: Header=BB194_10 Depth=1
	s_add_co_i32 s25, s25, 1
	s_delay_alu instid0(SALU_CYCLE_1)
	s_cmp_ge_u32 s25, s48
	s_cbranch_scc1 .LBB194_15
.LBB194_14:                             ;   in Loop: Header=BB194_10 Depth=1
	s_load_b32 s22, s[22:23], 0xc
	s_add_co_i32 s9, s15, s9
	s_wait_kmcnt 0x0
	s_add_co_i32 s8, s22, s8
.LBB194_15:                             ;   in Loop: Header=BB194_10 Depth=1
	s_add_co_i32 s12, s12, s17
	s_add_nc_u64 s[10:11], s[10:11], 16
	s_add_co_i32 s12, s12, s13
	s_add_co_i32 s13, s25, 4
	;; [unrolled: 1-line block ×3, first 2 shown]
	s_add_nc_u64 s[18:19], s[18:19], 16
	s_add_co_i32 s17, s12, s15
	s_add_co_i32 s12, s25, 1
	s_cmp_ge_u32 s13, s29
	s_cbranch_scc1 .LBB194_23
; %bb.16:                               ;   in Loop: Header=BB194_10 Depth=1
	s_mov_b32 s16, s12
	s_branch .LBB194_10
.LBB194_17:                             ;   in Loop: Header=BB194_10 Depth=1
	s_load_b32 s25, s[22:23], 0x0
	s_add_co_i32 s9, s12, s9
	s_wait_kmcnt 0x0
	s_add_co_i32 s8, s25, s8
	s_add_co_i32 s25, s16, 1
	s_delay_alu instid0(SALU_CYCLE_1)
	s_cmp_ge_u32 s25, s48
	s_cbranch_scc1 .LBB194_12
.LBB194_18:                             ;   in Loop: Header=BB194_10 Depth=1
	s_load_b32 s26, s[22:23], 0x4
	s_add_co_i32 s9, s13, s9
	s_wait_kmcnt 0x0
	s_add_co_i32 s8, s26, s8
	s_add_co_i32 s25, s25, 1
	s_delay_alu instid0(SALU_CYCLE_1)
	s_cmp_ge_u32 s25, s48
	s_cbranch_scc1 .LBB194_13
.LBB194_19:                             ;   in Loop: Header=BB194_10 Depth=1
	s_load_b32 s26, s[22:23], 0x8
	s_add_co_i32 s9, s14, s9
	s_wait_kmcnt 0x0
	s_add_co_i32 s8, s26, s8
	s_add_co_i32 s25, s25, 1
	s_delay_alu instid0(SALU_CYCLE_1)
	s_cmp_ge_u32 s25, s48
	s_cbranch_scc0 .LBB194_14
	s_branch .LBB194_15
.LBB194_20:
	v_cvt_f32_u32_e32 v1, s34
	s_sub_co_i32 s3, 0, s34
	s_mov_b32 s39, s31
	s_delay_alu instid0(VALU_DEP_1) | instskip(SKIP_1) | instid1(TRANS32_DEP_1)
	v_rcp_iflag_f32_e32 v1, v1
	v_nop
	v_mul_f32_e32 v1, 0x4f7ffffe, v1
	s_delay_alu instid0(VALU_DEP_1) | instskip(NEXT) | instid1(VALU_DEP_1)
	v_cvt_u32_f32_e32 v1, v1
	v_readfirstlane_b32 s2, v1
	s_mul_i32 s3, s3, s2
	s_delay_alu instid0(SALU_CYCLE_1) | instskip(NEXT) | instid1(SALU_CYCLE_1)
	s_mul_hi_u32 s3, s2, s3
	s_add_co_i32 s2, s2, s3
	s_delay_alu instid0(SALU_CYCLE_1) | instskip(NEXT) | instid1(SALU_CYCLE_1)
	s_mul_hi_u32 s2, s30, s2
	s_mul_i32 s3, s2, s34
	s_add_co_i32 s8, s2, 1
	s_sub_co_i32 s3, s30, s3
	s_delay_alu instid0(SALU_CYCLE_1)
	s_sub_co_i32 s9, s3, s34
	s_cmp_ge_u32 s3, s34
	s_cselect_b32 s2, s8, s2
	s_cselect_b32 s3, s9, s3
	s_add_co_i32 s8, s2, 1
	s_cmp_ge_u32 s3, s34
	s_cselect_b32 s38, s8, s2
	s_load_b64 s[40:41], s[0:1], 0x378
	v_cmp_lt_u64_e64 s2, s[30:31], s[36:37]
	s_and_b32 vcc_lo, exec_lo, s2
	s_cbranch_vccnz .LBB194_5
.LBB194_21:
	v_cvt_f32_u32_e32 v1, s36
	s_sub_co_i32 s3, 0, s36
	s_mov_b32 s43, 0
	s_delay_alu instid0(VALU_DEP_1) | instskip(SKIP_1) | instid1(TRANS32_DEP_1)
	v_rcp_iflag_f32_e32 v1, v1
	v_nop
	v_mul_f32_e32 v1, 0x4f7ffffe, v1
	s_delay_alu instid0(VALU_DEP_1) | instskip(NEXT) | instid1(VALU_DEP_1)
	v_cvt_u32_f32_e32 v1, v1
	v_readfirstlane_b32 s2, v1
	s_mul_i32 s3, s3, s2
	s_delay_alu instid0(SALU_CYCLE_1) | instskip(NEXT) | instid1(SALU_CYCLE_1)
	s_mul_hi_u32 s3, s2, s3
	s_add_co_i32 s2, s2, s3
	s_delay_alu instid0(SALU_CYCLE_1) | instskip(NEXT) | instid1(SALU_CYCLE_1)
	s_mul_hi_u32 s2, s30, s2
	s_mul_i32 s3, s2, s36
	s_add_co_i32 s8, s2, 1
	s_sub_co_i32 s3, s30, s3
	s_delay_alu instid0(SALU_CYCLE_1)
	s_sub_co_i32 s9, s3, s36
	s_cmp_ge_u32 s3, s36
	s_cselect_b32 s2, s8, s2
	s_cselect_b32 s3, s9, s3
	s_add_co_i32 s8, s2, 1
	s_cmp_ge_u32 s3, s36
	s_cselect_b32 s42, s8, s2
	s_wait_kmcnt 0x0
	v_cmp_lt_u64_e64 s2, s[30:31], s[40:41]
	s_mov_b64 s[44:45], 0
	s_and_b32 vcc_lo, exec_lo, s2
	s_cbranch_vccz .LBB194_6
	s_branch .LBB194_7
.LBB194_22:
	s_lshl_b64 s[12:13], s[16:17], 2
	s_mov_b64 s[8:9], 0
	s_add_nc_u64 s[10:11], s[10:11], s[12:13]
	s_wait_kmcnt 0x0
	s_add_nc_u64 s[12:13], s[18:19], s[12:13]
	s_mov_b32 s14, s17
	s_delay_alu instid0(SALU_CYCLE_1)
	s_cmp_ge_u32 s14, s29
	s_cbranch_scc0 .LBB194_46
	s_branch .LBB194_24
.LBB194_23:
	s_add_co_i32 s14, s16, 4
	s_add_nc_u64 s[12:13], s[18:19], s[20:21]
	s_add_nc_u64 s[10:11], s[10:11], s[20:21]
	s_cmp_ge_u32 s14, s29
	s_cbranch_scc0 .LBB194_46
.LBB194_24:
	v_dual_mov_b32 v2, s8 :: v_dual_mov_b32 v3, s17
	v_dual_mov_b32 v4, s9 :: v_dual_mov_b32 v1, 0
	ds_store_b96 v1, v[2:4] offset:1056
.LBB194_25:
	s_or_b32 exec_lo, exec_lo, s24
	s_clause 0x5
	s_load_b64 s[46:47], s[0:1], 0x0
	s_load_b128 s[20:23], s[0:1], 0xd0
	s_load_b128 s[8:11], s[0:1], 0x1b8
	;; [unrolled: 1-line block ×5, first 2 shown]
	s_cmp_eq_u32 s28, 0
	s_wait_dscnt 0x0
	s_barrier_signal -1
	s_barrier_wait -1
	s_cbranch_scc1 .LBB194_48
; %bb.26:
	s_mul_u64 s[36:37], s[42:43], s[36:37]
	v_dual_mov_b32 v7, 0 :: v_dual_lshrrev_b32 v1, 3, v0
	s_sub_nc_u64 s[36:37], s[30:31], s[36:37]
	s_mul_u64 s[34:35], s[38:39], s[34:35]
	s_wait_kmcnt 0x0
	s_mul_u64 s[26:27], s[36:37], s[26:27]
	s_mul_u64 s[36:37], s[44:45], s[40:41]
	;; [unrolled: 1-line block ×4, first 2 shown]
	s_sub_nc_u64 s[34:35], s[30:31], s[34:35]
	s_sub_nc_u64 s[30:31], s[30:31], s[36:37]
	s_lshl_b64 s[20:21], s[20:21], 2
	ds_load_b96 v[2:4], v7 offset:1056
	s_mul_u64 s[22:23], s[34:35], s[22:23]
	s_mul_u64 s[18:19], s[30:31], s[18:19]
	;; [unrolled: 1-line block ×3, first 2 shown]
	s_add_nc_u64 s[16:17], s[46:47], s[20:21]
	s_lshl_b64 s[20:21], s[24:25], 2
	s_lshl_b64 s[22:23], s[22:23], 2
	s_add_nc_u64 s[20:21], s[10:11], s[20:21]
	s_lshl_b64 s[24:25], s[26:27], 2
	s_add_nc_u64 s[10:11], s[16:17], s[22:23]
	s_add_nc_u64 s[16:17], s[20:21], s[24:25]
	s_lshl_b64 s[20:21], s[30:31], 3
	s_lshl_b64 s[18:19], s[18:19], 3
	s_cmp_gt_i32 s49, -1
	s_add_nc_u64 s[22:23], s[14:15], s[20:21]
	s_load_b32 s21, s[0:1], 0x1b0
	s_cselect_b32 s14, 0x80000000, -1
	v_dual_add_nc_u32 v9, -1, v0 :: v_dual_bitop2_b32 v1, 28, v1 bitop3:0x40
	s_xor_b32 s20, s14, s49
	s_load_b64 s[14:15], s[0:1], 0x508
	s_wait_dscnt 0x0
	s_delay_alu instid0(VALU_DEP_1)
	v_dual_add_nc_u32 v2, v2, v3 :: v_dual_lshrrev_b32 v6, 3, v9
	v_lshl_add_u32 v5, v0, 2, v1
	v_and_b32_e32 v1, 0xfc, v0
	v_lshlrev_b32_e32 v10, 5, v0
	v_mbcnt_lo_u32_b32 v8, -1, 0
	v_and_b32_e32 v3, 0x1ffffffc, v6
	v_mad_u32 v6, s48, s33, v0
	s_cmp_o_f32 s49, s49
	s_wait_xcnt 0x0
	v_cmp_gt_u32_e64 s0, 32, v0
	v_dual_add_nc_u32 v10, v1, v10 :: v_dual_bitop2_b32 v11, 15, v8 bitop3:0x40
	v_lshl_add_u32 v9, v9, 2, v3
	v_bfe_i32 v12, v8, 4, 1
	v_add_nc_u32_e32 v13, -1, v8
	s_cselect_b32 s20, s20, -1
	s_wait_kmcnt 0x0
	s_bitcmp1_b32 s21, 0
	s_add_nc_u64 s[18:19], s[22:23], s[18:19]
	s_cselect_b32 s1, -1, 0
                                        ; implicit-def: $vgpr14
	s_branch .LBB194_29
.LBB194_27:                             ;   in Loop: Header=BB194_29 Depth=1
	s_wait_xcnt 0x0
	s_or_b32 exec_lo, exec_lo, s21
	v_add_nc_u32_e32 v2, v3, v2
.LBB194_28:                             ;   in Loop: Header=BB194_29 Depth=1
	v_add_nc_u32_e32 v4, v15, v4
	v_add_nc_u32_e32 v6, 0x100, v6
	s_add_co_i32 s28, s28, -1
	s_delay_alu instid0(SALU_CYCLE_1)
	s_cmp_lg_u32 s28, 0
	s_cbranch_scc0 .LBB194_48
.LBB194_29:                             ; =>This Inner Loop Header: Depth=1
	v_dual_mov_b32 v1, v7 :: v_dual_mov_b32 v0, v7
	s_mov_b32 s21, exec_lo
	v_cmpx_gt_u64_e64 s[4:5], v[6:7]
	s_cbranch_execz .LBB194_31
; %bb.30:                               ;   in Loop: Header=BB194_29 Depth=1
	v_mul_u64_e32 v[0:1], s[8:9], v[6:7]
	s_delay_alu instid0(VALU_DEP_1)
	v_lshl_add_u64 v[0:1], v[0:1], 2, s[10:11]
	global_load_b32 v14, v[0:1], off
	s_wait_loadcnt 0x0
	v_cmp_lt_i32_e32 vcc_lo, -1, v14
	s_wait_xcnt 0x0
	v_cndmask_b32_e64 v0, -1, 0x80000000, vcc_lo
	v_cmp_o_f32_e32 vcc_lo, v14, v14
	s_delay_alu instid0(VALU_DEP_2) | instskip(NEXT) | instid1(VALU_DEP_1)
	v_xor_b32_e32 v0, v0, v14
	v_cndmask_b32_e32 v0, -1, v0, vcc_lo
	s_delay_alu instid0(VALU_DEP_1) | instskip(SKIP_3) | instid1(VALU_DEP_1)
	v_cmp_lt_u32_e32 vcc_lo, s20, v0
	v_cndmask_b32_e64 v1, 0, 1, vcc_lo
	v_cmp_gt_u32_e32 vcc_lo, s20, v0
	v_cndmask_b32_e64 v3, 0, 1, vcc_lo
	v_cndmask_b32_e64 v1, v3, v1, s1
	s_delay_alu instid0(VALU_DEP_1)
	v_and_b32_e32 v1, 1, v1
	v_cmp_eq_u32_e32 vcc_lo, s20, v0
	v_cndmask_b32_e64 v0, 0, 1, vcc_lo
.LBB194_31:                             ;   in Loop: Header=BB194_29 Depth=1
	s_or_b32 exec_lo, exec_lo, s21
	ds_store_b32 v5, v1
	s_wait_dscnt 0x0
	s_barrier_signal -1
	s_barrier_wait -1
	s_and_saveexec_b32 s21, s0
	s_cbranch_execz .LBB194_33
; %bb.32:                               ;   in Loop: Header=BB194_29 Depth=1
	ds_load_2addr_b32 v[16:17], v10 offset1:1
	ds_load_2addr_b32 v[18:19], v10 offset0:2 offset1:3
	ds_load_2addr_b32 v[20:21], v10 offset0:4 offset1:5
	;; [unrolled: 1-line block ×3, first 2 shown]
	v_cmp_ne_u32_e32 vcc_lo, 0, v11
	; wave barrier
	s_wait_dscnt 0x3
	v_add_nc_u32_e32 v3, v17, v16
	s_wait_dscnt 0x2
	s_delay_alu instid0(VALU_DEP_1) | instskip(SKIP_1) | instid1(VALU_DEP_1)
	v_add3_u32 v3, v3, v18, v19
	s_wait_dscnt 0x1
	v_add3_u32 v3, v3, v20, v21
	s_wait_dscnt 0x0
	s_delay_alu instid0(VALU_DEP_1) | instskip(NEXT) | instid1(VALU_DEP_1)
	v_add3_u32 v3, v3, v22, v23
	v_mov_b32_dpp v15, v3 row_shr:1 row_mask:0xf bank_mask:0xf
	s_delay_alu instid0(VALU_DEP_1) | instskip(SKIP_1) | instid1(VALU_DEP_2)
	v_cndmask_b32_e32 v15, 0, v15, vcc_lo
	v_cmp_lt_u32_e32 vcc_lo, 1, v11
	v_add_nc_u32_e32 v3, v15, v3
	s_delay_alu instid0(VALU_DEP_1) | instskip(NEXT) | instid1(VALU_DEP_1)
	v_mov_b32_dpp v15, v3 row_shr:2 row_mask:0xf bank_mask:0xf
	v_cndmask_b32_e32 v15, 0, v15, vcc_lo
	v_cmp_lt_u32_e32 vcc_lo, 3, v11
	s_delay_alu instid0(VALU_DEP_2) | instskip(NEXT) | instid1(VALU_DEP_1)
	v_add_nc_u32_e32 v3, v3, v15
	v_mov_b32_dpp v15, v3 row_shr:4 row_mask:0xf bank_mask:0xf
	s_delay_alu instid0(VALU_DEP_1) | instskip(SKIP_1) | instid1(VALU_DEP_2)
	v_cndmask_b32_e32 v15, 0, v15, vcc_lo
	v_cmp_lt_u32_e32 vcc_lo, 7, v11
	v_add_nc_u32_e32 v3, v3, v15
	s_delay_alu instid0(VALU_DEP_1) | instskip(NEXT) | instid1(VALU_DEP_1)
	v_mov_b32_dpp v15, v3 row_shr:8 row_mask:0xf bank_mask:0xf
	v_cndmask_b32_e32 v15, 0, v15, vcc_lo
	v_cmp_gt_i32_e32 vcc_lo, 0, v13
	s_delay_alu instid0(VALU_DEP_2) | instskip(SKIP_3) | instid1(VALU_DEP_1)
	v_dual_add_nc_u32 v3, v3, v15 :: v_dual_cndmask_b32 v17, v13, v8, vcc_lo
	ds_swizzle_b32 v15, v3 offset:swizzle(BROADCAST,32,15)
	s_wait_dscnt 0x0
	v_dual_lshlrev_b32 v17, 2, v17 :: v_dual_bitop2_b32 v15, v12, v15 bitop3:0x40
	v_add_nc_u32_e32 v3, v3, v15
	ds_bpermute_b32 v3, v17, v3
	s_wait_dscnt 0x0
	v_add_nc_u32_e32 v3, v3, v16
	s_delay_alu instid0(VALU_DEP_1)
	v_cndmask_b32_e64 v3, v3, v1, s3
	ds_store_b32 v10, v3
	; wave barrier
	ds_load_2addr_b32 v[16:17], v10 offset0:1 offset1:2
	ds_load_2addr_b32 v[18:19], v10 offset0:3 offset1:4
	;; [unrolled: 1-line block ×3, first 2 shown]
	ds_load_b32 v15, v10 offset:28
	s_wait_dscnt 0x3
	v_add_nc_u32_e32 v3, v16, v3
	s_delay_alu instid0(VALU_DEP_1) | instskip(SKIP_1) | instid1(VALU_DEP_1)
	v_add_nc_u32_e32 v16, v17, v3
	s_wait_dscnt 0x2
	v_add_nc_u32_e32 v17, v18, v16
	s_delay_alu instid0(VALU_DEP_1) | instskip(SKIP_1) | instid1(VALU_DEP_1)
	v_add_nc_u32_e32 v18, v19, v17
	;; [unrolled: 4-line block ×3, first 2 shown]
	s_wait_dscnt 0x0
	v_add_nc_u32_e32 v15, v15, v20
	ds_store_2addr_b32 v10, v3, v16 offset0:1 offset1:2
	ds_store_2addr_b32 v10, v17, v18 offset0:3 offset1:4
	;; [unrolled: 1-line block ×3, first 2 shown]
	ds_store_b32 v10, v15 offset:28
.LBB194_33:                             ;   in Loop: Header=BB194_29 Depth=1
	s_or_b32 exec_lo, exec_lo, s21
	v_mov_b32_e32 v3, 0
	s_wait_dscnt 0x0
	s_barrier_signal -1
	s_barrier_wait -1
	s_and_saveexec_b32 s21, s2
; %bb.34:                               ;   in Loop: Header=BB194_29 Depth=1
	ds_load_b32 v3, v9
; %bb.35:                               ;   in Loop: Header=BB194_29 Depth=1
	s_or_b32 exec_lo, exec_lo, s21
	ds_load_b32 v15, v7 offset:1048
	s_mov_b32 s21, exec_lo
	s_wait_dscnt 0x0
	s_barrier_signal -1
	s_barrier_wait -1
	v_cmpx_ne_u32_e32 0, v1
	s_cbranch_execz .LBB194_37
; %bb.36:                               ;   in Loop: Header=BB194_29 Depth=1
	v_add_nc_u32_e32 v16, v3, v4
	v_mov_b32_e32 v17, v7
	s_delay_alu instid0(VALU_DEP_1) | instskip(SKIP_1) | instid1(VALU_DEP_2)
	v_mul_u64_e32 v[18:19], s[12:13], v[16:17]
	v_mul_u64_e32 v[16:17], s[14:15], v[16:17]
	v_lshl_add_u64 v[18:19], v[18:19], 2, s[16:17]
	s_delay_alu instid0(VALU_DEP_2)
	v_lshl_add_u64 v[16:17], v[16:17], 3, s[18:19]
	global_store_b32 v[18:19], v14, off
	global_store_b64 v[16:17], v[6:7], off
.LBB194_37:                             ;   in Loop: Header=BB194_29 Depth=1
	s_wait_xcnt 0x0
	s_or_b32 exec_lo, exec_lo, s21
	v_mov_b32_e32 v3, v7
	s_delay_alu instid0(VALU_DEP_1)
	v_cmp_le_u64_e32 vcc_lo, s[6:7], v[2:3]
	s_cbranch_vccnz .LBB194_28
; %bb.38:                               ;   in Loop: Header=BB194_29 Depth=1
	ds_store_b32 v5, v0
	s_wait_storecnt_dscnt 0x0
	s_barrier_signal -1
	s_barrier_wait -1
	s_and_saveexec_b32 s21, s0
	s_cbranch_execz .LBB194_40
; %bb.39:                               ;   in Loop: Header=BB194_29 Depth=1
	ds_load_2addr_b32 v[16:17], v10 offset1:1
	ds_load_2addr_b32 v[18:19], v10 offset0:2 offset1:3
	ds_load_2addr_b32 v[20:21], v10 offset0:4 offset1:5
	;; [unrolled: 1-line block ×3, first 2 shown]
	v_cmp_ne_u32_e32 vcc_lo, 0, v11
	; wave barrier
	s_wait_dscnt 0x3
	v_add_nc_u32_e32 v1, v17, v16
	s_wait_dscnt 0x2
	s_delay_alu instid0(VALU_DEP_1) | instskip(SKIP_1) | instid1(VALU_DEP_1)
	v_add3_u32 v1, v1, v18, v19
	s_wait_dscnt 0x1
	v_add3_u32 v1, v1, v20, v21
	s_wait_dscnt 0x0
	s_delay_alu instid0(VALU_DEP_1) | instskip(NEXT) | instid1(VALU_DEP_1)
	v_add3_u32 v1, v1, v22, v23
	v_mov_b32_dpp v3, v1 row_shr:1 row_mask:0xf bank_mask:0xf
	s_delay_alu instid0(VALU_DEP_1) | instskip(SKIP_1) | instid1(VALU_DEP_2)
	v_cndmask_b32_e32 v3, 0, v3, vcc_lo
	v_cmp_lt_u32_e32 vcc_lo, 1, v11
	v_add_nc_u32_e32 v1, v3, v1
	s_delay_alu instid0(VALU_DEP_1) | instskip(NEXT) | instid1(VALU_DEP_1)
	v_mov_b32_dpp v3, v1 row_shr:2 row_mask:0xf bank_mask:0xf
	v_cndmask_b32_e32 v3, 0, v3, vcc_lo
	v_cmp_lt_u32_e32 vcc_lo, 3, v11
	s_delay_alu instid0(VALU_DEP_2) | instskip(NEXT) | instid1(VALU_DEP_1)
	v_add_nc_u32_e32 v1, v1, v3
	v_mov_b32_dpp v3, v1 row_shr:4 row_mask:0xf bank_mask:0xf
	s_delay_alu instid0(VALU_DEP_1) | instskip(SKIP_1) | instid1(VALU_DEP_2)
	v_cndmask_b32_e32 v3, 0, v3, vcc_lo
	v_cmp_lt_u32_e32 vcc_lo, 7, v11
	v_add_nc_u32_e32 v1, v1, v3
	s_delay_alu instid0(VALU_DEP_1) | instskip(NEXT) | instid1(VALU_DEP_1)
	v_mov_b32_dpp v3, v1 row_shr:8 row_mask:0xf bank_mask:0xf
	v_cndmask_b32_e32 v3, 0, v3, vcc_lo
	v_cmp_gt_i32_e32 vcc_lo, 0, v13
	s_delay_alu instid0(VALU_DEP_2) | instskip(SKIP_4) | instid1(VALU_DEP_1)
	v_add_nc_u32_e32 v1, v1, v3
	v_cndmask_b32_e32 v17, v13, v8, vcc_lo
	ds_swizzle_b32 v3, v1 offset:swizzle(BROADCAST,32,15)
	s_wait_dscnt 0x0
	v_dual_lshlrev_b32 v17, 2, v17 :: v_dual_bitop2_b32 v3, v12, v3 bitop3:0x40
	v_add_nc_u32_e32 v1, v1, v3
	ds_bpermute_b32 v1, v17, v1
	s_wait_dscnt 0x0
	v_add_nc_u32_e32 v1, v1, v16
	s_delay_alu instid0(VALU_DEP_1)
	v_cndmask_b32_e64 v1, v1, v0, s3
	ds_store_b32 v10, v1
	; wave barrier
	ds_load_2addr_b32 v[16:17], v10 offset0:1 offset1:2
	ds_load_2addr_b32 v[18:19], v10 offset0:3 offset1:4
	;; [unrolled: 1-line block ×3, first 2 shown]
	ds_load_b32 v3, v10 offset:28
	s_wait_dscnt 0x3
	v_add_nc_u32_e32 v1, v16, v1
	s_delay_alu instid0(VALU_DEP_1) | instskip(SKIP_1) | instid1(VALU_DEP_1)
	v_add_nc_u32_e32 v16, v17, v1
	s_wait_dscnt 0x2
	v_add_nc_u32_e32 v17, v18, v16
	s_delay_alu instid0(VALU_DEP_1) | instskip(SKIP_1) | instid1(VALU_DEP_1)
	v_add_nc_u32_e32 v18, v19, v17
	;; [unrolled: 4-line block ×3, first 2 shown]
	s_wait_dscnt 0x0
	v_add_nc_u32_e32 v3, v3, v20
	ds_store_2addr_b32 v10, v1, v16 offset0:1 offset1:2
	ds_store_2addr_b32 v10, v17, v18 offset0:3 offset1:4
	;; [unrolled: 1-line block ×3, first 2 shown]
	ds_store_b32 v10, v3 offset:28
.LBB194_40:                             ;   in Loop: Header=BB194_29 Depth=1
	s_or_b32 exec_lo, exec_lo, s21
	v_mov_b32_e32 v1, 0
	s_wait_dscnt 0x0
	s_barrier_signal -1
	s_barrier_wait -1
	s_and_saveexec_b32 s21, s2
; %bb.41:                               ;   in Loop: Header=BB194_29 Depth=1
	ds_load_b32 v1, v9
; %bb.42:                               ;   in Loop: Header=BB194_29 Depth=1
	s_or_b32 exec_lo, exec_lo, s21
	ds_load_b32 v3, v7 offset:1048
	s_mov_b32 s21, exec_lo
	s_wait_dscnt 0x0
	s_barrier_signal -1
	s_barrier_wait -1
	v_cmpx_ne_u32_e32 0, v0
	s_cbranch_execz .LBB194_27
; %bb.43:                               ;   in Loop: Header=BB194_29 Depth=1
	v_dual_mov_b32 v1, v7 :: v_dual_add_nc_u32 v0, v1, v2
	s_delay_alu instid0(VALU_DEP_1)
	v_cmp_gt_u64_e32 vcc_lo, s[6:7], v[0:1]
	s_and_b32 exec_lo, exec_lo, vcc_lo
	s_cbranch_execz .LBB194_27
; %bb.44:                               ;   in Loop: Header=BB194_29 Depth=1
	v_mul_u64_e32 v[16:17], s[12:13], v[0:1]
	v_mul_u64_e32 v[0:1], s[14:15], v[0:1]
	s_delay_alu instid0(VALU_DEP_2) | instskip(NEXT) | instid1(VALU_DEP_2)
	v_lshl_add_u64 v[16:17], v[16:17], 2, s[16:17]
	v_lshl_add_u64 v[0:1], v[0:1], 3, s[18:19]
	global_store_b32 v[16:17], v14, off
	global_store_b64 v[0:1], v[6:7], off
	s_branch .LBB194_27
.LBB194_45:                             ;   in Loop: Header=BB194_46 Depth=1
	s_add_co_i32 s14, s14, 1
	s_wait_kmcnt 0x0
	s_add_co_i32 s17, s15, s17
	s_add_nc_u64 s[10:11], s[10:11], 4
	s_cmp_lt_u32 s14, s29
	s_add_nc_u64 s[12:13], s[12:13], 4
	s_cbranch_scc0 .LBB194_24
.LBB194_46:                             ; =>This Inner Loop Header: Depth=1
	s_load_b32 s15, s[10:11], 0x0
	s_cmp_ge_u32 s14, s48
	s_cbranch_scc1 .LBB194_45
; %bb.47:                               ;   in Loop: Header=BB194_46 Depth=1
	s_load_b32 s16, s[12:13], 0x0
	s_wait_kmcnt 0x0
	s_add_co_i32 s9, s15, s9
	s_add_co_i32 s8, s16, s8
	s_branch .LBB194_45
.LBB194_48:
	s_endpgm
	.section	.rodata,"a",@progbits
	.p2align	6, 0x0
	.amdhsa_kernel _ZN2at6native6mbtopk10gatherTopKIfmLi2EEEvNS_4cuda6detail10TensorInfoIKT_T0_EES8_S8_bjS8_NS5_IS6_S8_EES8_NS5_IlS8_EES8_jjPS6_PjSD_j
		.amdhsa_group_segment_fixed_size 1068
		.amdhsa_private_segment_fixed_size 0
		.amdhsa_kernarg_size 1592
		.amdhsa_user_sgpr_count 2
		.amdhsa_user_sgpr_dispatch_ptr 0
		.amdhsa_user_sgpr_queue_ptr 0
		.amdhsa_user_sgpr_kernarg_segment_ptr 1
		.amdhsa_user_sgpr_dispatch_id 0
		.amdhsa_user_sgpr_kernarg_preload_length 0
		.amdhsa_user_sgpr_kernarg_preload_offset 0
		.amdhsa_user_sgpr_private_segment_size 0
		.amdhsa_wavefront_size32 1
		.amdhsa_uses_dynamic_stack 0
		.amdhsa_enable_private_segment 0
		.amdhsa_system_sgpr_workgroup_id_x 1
		.amdhsa_system_sgpr_workgroup_id_y 1
		.amdhsa_system_sgpr_workgroup_id_z 1
		.amdhsa_system_sgpr_workgroup_info 0
		.amdhsa_system_vgpr_workitem_id 0
		.amdhsa_next_free_vgpr 24
		.amdhsa_next_free_sgpr 50
		.amdhsa_named_barrier_count 0
		.amdhsa_reserve_vcc 1
		.amdhsa_float_round_mode_32 0
		.amdhsa_float_round_mode_16_64 0
		.amdhsa_float_denorm_mode_32 3
		.amdhsa_float_denorm_mode_16_64 3
		.amdhsa_fp16_overflow 0
		.amdhsa_memory_ordered 1
		.amdhsa_forward_progress 1
		.amdhsa_inst_pref_size 24
		.amdhsa_round_robin_scheduling 0
		.amdhsa_exception_fp_ieee_invalid_op 0
		.amdhsa_exception_fp_denorm_src 0
		.amdhsa_exception_fp_ieee_div_zero 0
		.amdhsa_exception_fp_ieee_overflow 0
		.amdhsa_exception_fp_ieee_underflow 0
		.amdhsa_exception_fp_ieee_inexact 0
		.amdhsa_exception_int_div_zero 0
	.end_amdhsa_kernel
	.section	.text._ZN2at6native6mbtopk10gatherTopKIfmLi2EEEvNS_4cuda6detail10TensorInfoIKT_T0_EES8_S8_bjS8_NS5_IS6_S8_EES8_NS5_IlS8_EES8_jjPS6_PjSD_j,"axG",@progbits,_ZN2at6native6mbtopk10gatherTopKIfmLi2EEEvNS_4cuda6detail10TensorInfoIKT_T0_EES8_S8_bjS8_NS5_IS6_S8_EES8_NS5_IlS8_EES8_jjPS6_PjSD_j,comdat
.Lfunc_end194:
	.size	_ZN2at6native6mbtopk10gatherTopKIfmLi2EEEvNS_4cuda6detail10TensorInfoIKT_T0_EES8_S8_bjS8_NS5_IS6_S8_EES8_NS5_IlS8_EES8_jjPS6_PjSD_j, .Lfunc_end194-_ZN2at6native6mbtopk10gatherTopKIfmLi2EEEvNS_4cuda6detail10TensorInfoIKT_T0_EES8_S8_bjS8_NS5_IS6_S8_EES8_NS5_IlS8_EES8_jjPS6_PjSD_j
                                        ; -- End function
	.set _ZN2at6native6mbtopk10gatherTopKIfmLi2EEEvNS_4cuda6detail10TensorInfoIKT_T0_EES8_S8_bjS8_NS5_IS6_S8_EES8_NS5_IlS8_EES8_jjPS6_PjSD_j.num_vgpr, 24
	.set _ZN2at6native6mbtopk10gatherTopKIfmLi2EEEvNS_4cuda6detail10TensorInfoIKT_T0_EES8_S8_bjS8_NS5_IS6_S8_EES8_NS5_IlS8_EES8_jjPS6_PjSD_j.num_agpr, 0
	.set _ZN2at6native6mbtopk10gatherTopKIfmLi2EEEvNS_4cuda6detail10TensorInfoIKT_T0_EES8_S8_bjS8_NS5_IS6_S8_EES8_NS5_IlS8_EES8_jjPS6_PjSD_j.numbered_sgpr, 50
	.set _ZN2at6native6mbtopk10gatherTopKIfmLi2EEEvNS_4cuda6detail10TensorInfoIKT_T0_EES8_S8_bjS8_NS5_IS6_S8_EES8_NS5_IlS8_EES8_jjPS6_PjSD_j.num_named_barrier, 0
	.set _ZN2at6native6mbtopk10gatherTopKIfmLi2EEEvNS_4cuda6detail10TensorInfoIKT_T0_EES8_S8_bjS8_NS5_IS6_S8_EES8_NS5_IlS8_EES8_jjPS6_PjSD_j.private_seg_size, 0
	.set _ZN2at6native6mbtopk10gatherTopKIfmLi2EEEvNS_4cuda6detail10TensorInfoIKT_T0_EES8_S8_bjS8_NS5_IS6_S8_EES8_NS5_IlS8_EES8_jjPS6_PjSD_j.uses_vcc, 1
	.set _ZN2at6native6mbtopk10gatherTopKIfmLi2EEEvNS_4cuda6detail10TensorInfoIKT_T0_EES8_S8_bjS8_NS5_IS6_S8_EES8_NS5_IlS8_EES8_jjPS6_PjSD_j.uses_flat_scratch, 0
	.set _ZN2at6native6mbtopk10gatherTopKIfmLi2EEEvNS_4cuda6detail10TensorInfoIKT_T0_EES8_S8_bjS8_NS5_IS6_S8_EES8_NS5_IlS8_EES8_jjPS6_PjSD_j.has_dyn_sized_stack, 0
	.set _ZN2at6native6mbtopk10gatherTopKIfmLi2EEEvNS_4cuda6detail10TensorInfoIKT_T0_EES8_S8_bjS8_NS5_IS6_S8_EES8_NS5_IlS8_EES8_jjPS6_PjSD_j.has_recursion, 0
	.set _ZN2at6native6mbtopk10gatherTopKIfmLi2EEEvNS_4cuda6detail10TensorInfoIKT_T0_EES8_S8_bjS8_NS5_IS6_S8_EES8_NS5_IlS8_EES8_jjPS6_PjSD_j.has_indirect_call, 0
	.section	.AMDGPU.csdata,"",@progbits
; Kernel info:
; codeLenInByte = 3056
; TotalNumSgprs: 52
; NumVgprs: 24
; ScratchSize: 0
; MemoryBound: 0
; FloatMode: 240
; IeeeMode: 1
; LDSByteSize: 1068 bytes/workgroup (compile time only)
; SGPRBlocks: 0
; VGPRBlocks: 1
; NumSGPRsForWavesPerEU: 52
; NumVGPRsForWavesPerEU: 24
; NamedBarCnt: 0
; Occupancy: 16
; WaveLimiterHint : 1
; COMPUTE_PGM_RSRC2:SCRATCH_EN: 0
; COMPUTE_PGM_RSRC2:USER_SGPR: 2
; COMPUTE_PGM_RSRC2:TRAP_HANDLER: 0
; COMPUTE_PGM_RSRC2:TGID_X_EN: 1
; COMPUTE_PGM_RSRC2:TGID_Y_EN: 1
; COMPUTE_PGM_RSRC2:TGID_Z_EN: 1
; COMPUTE_PGM_RSRC2:TIDIG_COMP_CNT: 0
	.section	.text._ZN2at6native6sbtopk10gatherTopKIfmLi2ELb0EEEvNS_4cuda6detail10TensorInfoIKT_T0_EES8_S8_bS8_S8_NS5_IS6_S8_EES8_NS5_IlS8_EES8_PS6_,"axG",@progbits,_ZN2at6native6sbtopk10gatherTopKIfmLi2ELb0EEEvNS_4cuda6detail10TensorInfoIKT_T0_EES8_S8_bS8_S8_NS5_IS6_S8_EES8_NS5_IlS8_EES8_PS6_,comdat
	.protected	_ZN2at6native6sbtopk10gatherTopKIfmLi2ELb0EEEvNS_4cuda6detail10TensorInfoIKT_T0_EES8_S8_bS8_S8_NS5_IS6_S8_EES8_NS5_IlS8_EES8_PS6_ ; -- Begin function _ZN2at6native6sbtopk10gatherTopKIfmLi2ELb0EEEvNS_4cuda6detail10TensorInfoIKT_T0_EES8_S8_bS8_S8_NS5_IS6_S8_EES8_NS5_IlS8_EES8_PS6_
	.globl	_ZN2at6native6sbtopk10gatherTopKIfmLi2ELb0EEEvNS_4cuda6detail10TensorInfoIKT_T0_EES8_S8_bS8_S8_NS5_IS6_S8_EES8_NS5_IlS8_EES8_PS6_
	.p2align	8
	.type	_ZN2at6native6sbtopk10gatherTopKIfmLi2ELb0EEEvNS_4cuda6detail10TensorInfoIKT_T0_EES8_S8_bS8_S8_NS5_IS6_S8_EES8_NS5_IlS8_EES8_PS6_,@function
_ZN2at6native6sbtopk10gatherTopKIfmLi2ELb0EEEvNS_4cuda6detail10TensorInfoIKT_T0_EES8_S8_bS8_S8_NS5_IS6_S8_EES8_NS5_IlS8_EES8_PS6_: ; @_ZN2at6native6sbtopk10gatherTopKIfmLi2ELb0EEEvNS_4cuda6detail10TensorInfoIKT_T0_EES8_S8_bS8_S8_NS5_IS6_S8_EES8_NS5_IlS8_EES8_PS6_
; %bb.0:
	s_clause 0x1
	s_load_b128 s[28:31], s[0:1], 0x1b8
	s_load_b64 s[12:13], s[0:1], 0x520
	s_bfe_u32 s2, ttmp6, 0x40010
	s_and_b32 s3, ttmp7, 0xffff
	s_add_co_i32 s2, s2, 1
	s_bfe_u32 s5, ttmp6, 0x4000c
	s_mul_i32 s2, s3, s2
	s_bfe_u32 s4, ttmp6, 0x40004
	s_add_co_i32 s5, s5, 1
	s_bfe_u32 s6, ttmp6, 0x40014
	s_add_co_i32 s4, s4, s2
	s_and_b32 s2, ttmp6, 15
	s_mul_i32 s5, ttmp9, s5
	s_lshr_b32 s7, ttmp7, 16
	s_add_co_i32 s6, s6, 1
	s_add_co_i32 s2, s2, s5
	s_mul_i32 s5, s7, s6
	s_bfe_u32 s6, ttmp6, 0x40008
	s_getreg_b32 s8, hwreg(HW_REG_IB_STS2, 6, 4)
	s_add_co_i32 s6, s6, s5
	s_cmp_eq_u32 s8, 0
	s_mov_b32 s51, 0
	s_cselect_b32 s5, s7, s6
	s_cselect_b32 s3, s3, s4
	s_wait_kmcnt 0x0
	s_mul_i32 s5, s13, s5
	s_cselect_b32 s13, ttmp9, s2
	s_add_co_i32 s2, s5, s3
	s_delay_alu instid0(SALU_CYCLE_1) | instskip(NEXT) | instid1(SALU_CYCLE_1)
	s_mul_i32 s2, s2, s12
	s_add_co_i32 s50, s2, s13
	s_delay_alu instid0(SALU_CYCLE_1)
	v_cmp_le_u64_e64 s2, s[28:29], s[50:51]
	s_and_b32 vcc_lo, exec_lo, s2
	s_cbranch_vccnz .LBB195_493
; %bb.1:
	s_clause 0x1
	s_load_b64 s[2:3], s[0:1], 0x10
	s_load_b64 s[54:55], s[0:1], 0x1d8
	s_mov_b64 s[52:53], 0
	s_mov_b64 s[6:7], 0
	s_wait_kmcnt 0x0
	v_cmp_lt_u64_e64 s4, s[50:51], s[2:3]
	s_and_b32 vcc_lo, exec_lo, s4
	s_cbranch_vccz .LBB195_494
; %bb.2:
	s_load_b64 s[56:57], s[0:1], 0x380
	v_cmp_lt_u64_e64 s4, s[50:51], s[54:55]
	s_and_b32 vcc_lo, exec_lo, s4
	s_cbranch_vccz .LBB195_495
.LBB195_3:
	s_wait_kmcnt 0x0
	v_cmp_lt_u64_e64 s4, s[50:51], s[56:57]
	s_mov_b64 s[58:59], 0
	s_and_b32 vcc_lo, exec_lo, s4
	s_cbranch_vccnz .LBB195_5
.LBB195_4:
	v_cvt_f32_u32_e32 v1, s56
	s_sub_co_i32 s5, 0, s56
	s_mov_b32 s59, 0
	s_delay_alu instid0(VALU_DEP_1) | instskip(SKIP_1) | instid1(TRANS32_DEP_1)
	v_rcp_iflag_f32_e32 v1, v1
	v_nop
	v_mul_f32_e32 v1, 0x4f7ffffe, v1
	s_delay_alu instid0(VALU_DEP_1) | instskip(NEXT) | instid1(VALU_DEP_1)
	v_cvt_u32_f32_e32 v1, v1
	v_readfirstlane_b32 s4, v1
	s_mul_i32 s5, s5, s4
	s_delay_alu instid0(SALU_CYCLE_1) | instskip(NEXT) | instid1(SALU_CYCLE_1)
	s_mul_hi_u32 s5, s4, s5
	s_add_co_i32 s4, s4, s5
	s_delay_alu instid0(SALU_CYCLE_1) | instskip(NEXT) | instid1(SALU_CYCLE_1)
	s_mul_hi_u32 s4, s50, s4
	s_mul_i32 s5, s4, s56
	s_add_co_i32 s8, s4, 1
	s_sub_co_i32 s5, s50, s5
	s_delay_alu instid0(SALU_CYCLE_1)
	s_sub_co_i32 s9, s5, s56
	s_cmp_ge_u32 s5, s56
	s_cselect_b32 s4, s8, s4
	s_cselect_b32 s5, s9, s5
	s_add_co_i32 s8, s4, 1
	s_cmp_ge_u32 s5, s56
	s_cselect_b32 s58, s8, s4
.LBB195_5:
	s_clause 0x2
	s_load_b128 s[8:11], s[0:1], 0xd0
	s_load_b64 s[16:17], s[0:1], 0x0
	s_load_b128 s[36:39], s[0:1], 0x1a0
	v_cmp_eq_u32_e64 s5, 0, v0
	s_add_nc_u64 s[14:15], s[0:1], 0x520
	s_mov_b32 s29, 0
	s_and_saveexec_b32 s4, s5
	s_cbranch_execz .LBB195_7
; %bb.6:
	s_wait_kmcnt 0x0
	v_dual_mov_b32 v2, 0 :: v_dual_mov_b32 v4, s36
	s_delay_alu instid0(VALU_DEP_1)
	v_dual_mov_b32 v5, s37 :: v_dual_mov_b32 v3, v2
	ds_store_b32 v2, v2 offset:5144
	ds_store_b128 v2, v[2:5] offset:5120
.LBB195_7:
	s_or_b32 exec_lo, exec_lo, s4
	s_clause 0x1
	s_load_b128 s[20:23], s[0:1], 0x440
	; meta instruction
	s_load_b64 s[18:19], s[0:1], 0x370
	v_dual_mov_b32 v3, 0 :: v_dual_add_nc_u32 v2, 2, v0
	s_mul_u64 s[2:3], s[6:7], s[2:3]
	v_lshlrev_b32_e32 v16, 2, v0
	s_wait_kmcnt 0x0
	s_mul_u64 s[8:9], s[6:7], s[8:9]
	v_mov_b32_e32 v1, v3
	v_max_u64 v[6:7], s[36:37], v[2:3]
	s_clause 0x1
	s_load_b64 s[6:7], s[0:1], 0x1c8
	s_load_b32 s4, s[0:1], 0x1b0
	s_wait_dscnt 0x0
	v_mul_u64_e32 v[4:5], s[30:31], v[0:1]
	s_barrier_signal -1
	s_barrier_wait -1
	s_sub_nc_u64 s[2:3], s[50:51], s[2:3]
	v_mbcnt_lo_u32_b32 v13, -1, 0
	s_lshl_b64 s[8:9], s[8:9], 2
	s_mul_u64 s[10:11], s[2:3], s[10:11]
	v_writelane_b32 v45, s20, 0
	v_dual_mov_b32 v9, -1 :: v_dual_mov_b32 v17, v3
	v_not_b32_e32 v8, v0
	s_add_nc_u64 s[8:9], s[16:17], s[8:9]
	v_writelane_b32 v45, s21, 1
	s_lshl_b64 s[10:11], s[10:11], 2
	v_cmp_gt_u32_e32 vcc_lo, 32, v0
	s_add_nc_u64 s[34:35], s[8:9], s[10:11]
	v_lshlrev_b64_e64 v[10:11], v13, -1
	v_writelane_b32 v45, s22, 2
	s_wait_kmcnt 0x0
	s_bitcmp1_b32 s4, 0
	v_cmp_lt_u64_e64 s33, 0x300, s[36:37]
	s_cselect_b32 s47, -1, 0
	v_cmp_gt_u64_e64 s3, s[36:37], v[0:1]
	v_writelane_b32 v45, s23, 3
	s_load_b128 s[20:23], s[0:1], 0x298
	s_xor_b32 s89, s47, -1
	v_mov_b64_e32 v[26:27], s[38:39]
	s_mov_b32 s49, s29
	v_writelane_b32 v45, s18, 4
	v_cmp_eq_u32_e64 s2, 0, v13
	v_not_b32_e32 v12, v10
	v_dual_lshlrev_b32 v35, 4, v0 :: v_dual_mov_b32 v25, 0
	v_writelane_b32 v45, s19, 5
	s_load_b32 s18, s[14:15], 0xc
	v_lshl_add_u64 v[14:15], v[4:5], 2, s[34:35]
	v_add_nc_u64_e32 v[4:5], v[6:7], v[8:9]
	v_add_nc_u32_e32 v32, 0xc00, v16
	v_mov_b32_e32 v22, 1.0
	v_lshl_or_b32 v36, v13, 3, 0xc00
	v_dual_mov_b32 v34, 0 :: v_dual_mov_b32 v37, 0
	s_mov_b32 s68, s30
	v_and_b32_e32 v18, -2, v4
	s_wait_kmcnt 0x0
	v_writelane_b32 v45, s20, 6
	v_mov_b32_e32 v19, v5
	s_mov_b32 s69, s31
	s_mov_b32 s96, 30
	;; [unrolled: 1-line block ×3, first 2 shown]
	v_writelane_b32 v45, s21, 7
	v_add_nc_u64_e32 v[20:21], v[18:19], v[0:1]
	v_cmp_ne_u64_e64 s4, v[4:5], v[18:19]
	s_mov_b32 s97, 0
	s_mov_b32 s100, 0
	v_writelane_b32 v45, s22, 8
	s_and_b32 s48, s18, 0xffff
	s_bfe_u32 s8, s18, 0xb0005
	s_add_nc_u64 s[64:65], s[48:49], -1
                                        ; implicit-def: $sgpr99
                                        ; implicit-def: $sgpr103
                                        ; implicit-def: $sgpr102
                                        ; implicit-def: $sgpr104
                                        ; implicit-def: $sgpr101
                                        ; implicit-def: $sgpr62
                                        ; implicit-def: $sgpr63
                                        ; implicit-def: $vcc_hi
                                        ; implicit-def: $sgpr61
                                        ; implicit-def: $sgpr60
	v_writelane_b32 v45, s23, 9
	s_add_nc_u64 s[66:67], s[64:65], s[36:37]
	v_writelane_b32 v45, s6, 10
	v_writelane_b32 v45, s7, 11
	v_cmp_gt_i32_e64 s7, 4, v13
	v_cmp_gt_u32_e64 s6, 2, v0
	v_writelane_b32 v45, s4, 12
	s_and_b32 s88, vcc_lo, s7
	s_cmp_gt_u32 s48, 31
	s_movk_i32 s7, 0x3e0
	s_cselect_b32 s90, -1, 0
	s_cmp_lt_u32 s13, s12
	v_and_or_b32 v33, v0, s7, 0xc00
	s_cselect_b32 s28, 12, 18
	s_add_co_i32 s9, s8, -1
	s_bfe_u32 s91, s48, 0x30005
	s_and_b32 s9, s9, 0xffff
	v_cmp_lt_u64_e64 s7, 1, v[4:5]
	s_cmp_gt_u32 s9, 6
	s_add_nc_u64 s[70:71], s[14:15], s[28:29]
	s_cselect_b32 s92, -1, 0
	s_and_b32 s93, s8, 0x7f8
	s_cmp_lg_u32 s91, 0
	s_cselect_b32 s94, -1, 0
	s_lshl_b32 s95, s48, 2
	s_and_b64 s[72:73], s[36:37], 0xffffffff00000000
	s_branch .LBB195_10
.LBB195_8:                              ;   in Loop: Header=BB195_10 Depth=1
	s_or_b32 exec_lo, exec_lo, s12
	v_mov_b64_e32 v[26:27], v[4:5]
	s_and_not1_b32 s4, s60, exec_lo
	s_and_b32 s8, s11, exec_lo
	s_and_not1_b32 s61, s61, exec_lo
	s_or_b32 s60, s4, s8
	s_and_not1_b32 vcc_hi, vcc_hi, exec_lo
	s_and_not1_b32 s63, s63, exec_lo
	s_and_not1_b32 s62, s62, exec_lo
	s_or_not1_b32 s10, s10, exec_lo
.LBB195_9:                              ;   in Loop: Header=BB195_10 Depth=1
	s_or_b32 exec_lo, exec_lo, s9
	s_delay_alu instid0(SALU_CYCLE_1) | instskip(NEXT) | instid1(SALU_CYCLE_1)
	s_and_b32 s9, exec_lo, s10
	s_or_b32 s97, s9, s97
	s_and_not1_b32 s9, s101, exec_lo
	s_and_b32 s10, s60, exec_lo
	s_and_not1_b32 s11, s104, exec_lo
	s_or_b32 s101, s9, s10
	s_and_b32 s9, s61, exec_lo
	s_and_not1_b32 s10, s102, exec_lo
	s_and_b32 s12, vcc_hi, exec_lo
	s_or_b32 s104, s11, s9
	s_or_b32 s102, s10, s12
	s_and_not1_b32 s9, s103, exec_lo
	s_and_b32 s10, s63, exec_lo
	s_and_not1_b32 s11, s99, exec_lo
	s_and_b32 s12, s62, exec_lo
	s_or_b32 s103, s9, s10
	s_or_b32 s99, s11, s12
	s_and_not1_b32 exec_lo, exec_lo, s97
	s_cbranch_execz .LBB195_489
.LBB195_10:                             ; =>This Loop Header: Depth=1
                                        ;     Child Loop BB195_16 Depth 2
                                        ;     Child Loop BB195_30 Depth 2
	;; [unrolled: 1-line block ×25, first 2 shown]
	ds_load_b128 v[4:7], v3 offset:5120
	s_wait_dscnt 0x0
	v_readfirstlane_b32 s75, v5
	v_readfirstlane_b32 s74, v4
	s_cmp_lg_u64 s[74:75], 0
	s_cbranch_scc1 .LBB195_43
; %bb.11:                               ;   in Loop: Header=BB195_10 Depth=1
	s_and_b32 vcc_lo, exec_lo, s33
	s_cbranch_vccz .LBB195_24
; %bb.12:                               ;   in Loop: Header=BB195_10 Depth=1
	v_cmp_gt_u64_e32 vcc_lo, 0x301, v[6:7]
	s_mov_b32 s11, 0
	s_mov_b32 s9, 0
	s_cbranch_vccz .LBB195_25
; %bb.13:                               ;   in Loop: Header=BB195_10 Depth=1
	s_and_saveexec_b32 s12, s3
	s_cbranch_execz .LBB195_98
; %bb.14:                               ;   in Loop: Header=BB195_10 Depth=1
	global_load_u16 v2, v3, s[70:71]
	global_load_b32 v6, v[14:15], off
	v_mov_b64_e32 v[4:5], v[0:1]
	s_mov_b32 s13, 0
	s_wait_loadcnt 0x1
	v_and_b32_e32 v2, 0xffff, v2
	s_branch .LBB195_16
.LBB195_15:                             ;   in Loop: Header=BB195_16 Depth=2
	s_or_b32 exec_lo, exec_lo, s10
	v_mov_b32_e32 v6, v7
	s_and_not1_b32 exec_lo, exec_lo, s13
	s_cbranch_execz .LBB195_98
.LBB195_16:                             ;   Parent Loop BB195_10 Depth=1
                                        ; =>  This Inner Loop Header: Depth=2
	s_delay_alu instid0(VALU_DEP_1) | instskip(SKIP_3) | instid1(VALU_DEP_2)
	v_add_nc_u64_e32 v[4:5], v[4:5], v[2:3]
	s_wait_dscnt 0x0
	v_dual_mov_b32 v8, 0 :: v_dual_mov_b32 v7, 0
	s_mov_b32 s10, exec_lo
	v_cmp_le_u64_e32 vcc_lo, s[36:37], v[4:5]
	s_wait_xcnt 0x0
	v_cmpx_gt_u64_e64 s[36:37], v[4:5]
	s_cbranch_execz .LBB195_18
; %bb.17:                               ;   in Loop: Header=BB195_16 Depth=2
	v_mul_u64_e32 v[10:11], s[30:31], v[4:5]
	s_delay_alu instid0(VALU_DEP_1)
	v_lshl_add_u64 v[10:11], v[10:11], 2, s[34:35]
	global_load_b32 v7, v[10:11], off
.LBB195_18:                             ;   in Loop: Header=BB195_16 Depth=2
	s_wait_xcnt 0x0
	s_or_b32 exec_lo, exec_lo, s10
	s_wait_loadcnt 0x0
	v_cmp_lt_i32_e64 s9, -1, v6
	s_delay_alu instid0(VALU_DEP_1) | instskip(SKIP_1) | instid1(VALU_DEP_2)
	v_cndmask_b32_e64 v9, -1, 0x80000000, s9
	v_cmp_o_f32_e64 s9, v6, v6
	v_xor_b32_e32 v9, v9, v6
	s_delay_alu instid0(VALU_DEP_1) | instskip(NEXT) | instid1(VALU_DEP_1)
	v_cndmask_b32_e64 v9, -1, v9, s9
	v_and_b32_e32 v9, v9, v37
	s_delay_alu instid0(VALU_DEP_1) | instskip(SKIP_2) | instid1(SALU_CYCLE_1)
	v_cmp_eq_u32_e64 s9, v9, v34
	s_cmp_lg_u32 s9, 0
	s_cselect_b32 s10, -1, 0
	s_and_b32 s10, s2, s10
	s_delay_alu instid0(SALU_CYCLE_1)
	s_and_saveexec_b32 s14, s10
	s_cbranch_execz .LBB195_22
; %bb.19:                               ;   in Loop: Header=BB195_16 Depth=2
	s_mov_b32 s17, exec_lo
	s_bcnt1_i32_b32 s15, s9
	v_mbcnt_lo_u32_b32 v8, s17, 0
	s_mov_b32 s16, exec_lo
                                        ; implicit-def: $vgpr9
	s_delay_alu instid0(VALU_DEP_1)
	v_cmpx_eq_u32_e32 0, v8
; %bb.20:                               ;   in Loop: Header=BB195_16 Depth=2
	s_bcnt1_i32_b32 s10, s17
	s_delay_alu instid0(SALU_CYCLE_1) | instskip(NEXT) | instid1(SALU_CYCLE_1)
	s_mul_i32 s10, s15, s10
	v_mov_b32_e32 v9, s10
	ds_add_rtn_u32 v9, v3, v9 offset:5144
; %bb.21:                               ;   in Loop: Header=BB195_16 Depth=2
	s_or_b32 exec_lo, exec_lo, s16
	s_wait_dscnt 0x0
	v_readfirstlane_b32 s10, v9
	s_delay_alu instid0(VALU_DEP_1)
	v_mad_u32_u24 v8, s15, v8, s10
.LBB195_22:                             ;   in Loop: Header=BB195_16 Depth=2
	s_or_b32 exec_lo, exec_lo, s14
	ds_bpermute_b32 v8, v3, v8
	s_and_b32 s10, exec_lo, vcc_lo
	s_delay_alu instid0(SALU_CYCLE_1)
	s_or_b32 s13, s10, s13
	s_and_saveexec_b32 s10, s9
	s_cbranch_execz .LBB195_15
; %bb.23:                               ;   in Loop: Header=BB195_16 Depth=2
	v_and_b32_e32 v9, s9, v12
	s_delay_alu instid0(VALU_DEP_1) | instskip(NEXT) | instid1(VALU_DEP_1)
	v_bcnt_u32_b32 v9, v9, 0
	v_lshlrev_b32_e32 v9, 2, v9
	s_wait_dscnt 0x0
	s_delay_alu instid0(VALU_DEP_1)
	v_lshl_add_u32 v8, v8, 2, v9
	ds_store_b32 v8, v6
	s_branch .LBB195_15
.LBB195_24:                             ;   in Loop: Header=BB195_10 Depth=1
	s_mov_b32 s11, -1
	s_mov_b32 s9, 0
.LBB195_25:                             ;   in Loop: Header=BB195_10 Depth=1
	s_and_b32 vcc_lo, exec_lo, s11
	s_cbranch_vccz .LBB195_41
.LBB195_26:                             ;   in Loop: Header=BB195_10 Depth=1
	s_and_saveexec_b32 s9, s3
	s_cbranch_execz .LBB195_38
; %bb.27:                               ;   in Loop: Header=BB195_10 Depth=1
	global_load_u16 v4, v3, s[70:71]
	global_load_b32 v10, v[14:15], off
	s_mov_b32 s12, exec_lo
	v_mov_b32_e32 v8, v0
	s_wait_loadcnt 0x1
	v_and_b32_e32 v2, 0xffff, v4
	v_readfirstlane_b32 s10, v4
	s_delay_alu instid0(VALU_DEP_2) | instskip(SKIP_1) | instid1(VALU_DEP_1)
	v_add_nc_u32_e32 v2, v2, v0
	s_wait_xcnt 0x0
	v_cmpx_gt_u64_e64 s[36:37], v[2:3]
	s_cbranch_execz .LBB195_37
; %bb.28:                               ;   in Loop: Header=BB195_10 Depth=1
	s_and_b32 s28, s10, 0xffff
	v_mov_b64_e32 v[6:7], v[0:1]
	v_mov_b64_e32 v[4:5], v[2:3]
	s_cmp_eq_u32 s28, 1
	s_mov_b32 s11, -1
	s_cselect_b32 s10, -1, 0
                                        ; implicit-def: $vgpr11
                                        ; implicit-def: $vgpr8_vgpr9
	s_delay_alu instid0(SALU_CYCLE_1) | instskip(NEXT) | instid1(SALU_CYCLE_1)
	s_and_b32 s13, s7, s10
	s_and_saveexec_b32 s10, s13
	s_cbranch_execz .LBB195_32
; %bb.29:                               ;   in Loop: Header=BB195_10 Depth=1
	v_add_nc_u64_e32 v[4:5], 1, v[2:3]
	v_mov_b64_e32 v[8:9], v[18:19]
	v_mov_b32_e32 v23, v16
	s_mov_b32 s11, 0
	s_delay_alu instid0(VALU_DEP_3)
	v_mov_b64_e32 v[6:7], v[4:5]
	v_mov_b64_e32 v[4:5], v[2:3]
.LBB195_30:                             ;   Parent Loop BB195_10 Depth=1
                                        ; =>  This Inner Loop Header: Depth=2
	s_delay_alu instid0(VALU_DEP_1) | instskip(NEXT) | instid1(VALU_DEP_3)
	v_mul_u64_e32 v[28:29], s[68:69], v[4:5]
	v_mul_u64_e32 v[30:31], s[30:31], v[6:7]
	v_add_nc_u64_e32 v[8:9], -2, v[8:9]
	v_add_nc_u64_e32 v[6:7], 2, v[6:7]
	v_add_nc_u64_e32 v[4:5], 2, v[4:5]
	s_delay_alu instid0(VALU_DEP_3)
	v_cmp_eq_u64_e32 vcc_lo, 0, v[8:9]
	s_or_b32 s11, vcc_lo, s11
	v_lshl_add_u64 v[28:29], v[28:29], 2, s[34:35]
	v_lshl_add_u64 v[30:31], v[30:31], 2, s[34:35]
	s_clause 0x1
	global_load_b32 v24, v[28:29], off
	global_load_b32 v11, v[30:31], off
	s_wait_loadcnt 0x1
	ds_store_2addr_b32 v23, v10, v24 offset1:1
	s_wait_loadcnt 0x0
	v_dual_mov_b32 v10, v11 :: v_dual_add_nc_u32 v23, 8, v23
	s_wait_xcnt 0x0
	s_and_not1_b32 exec_lo, exec_lo, s11
	s_cbranch_execnz .LBB195_30
; %bb.31:                               ;   in Loop: Header=BB195_10 Depth=1
	s_or_b32 exec_lo, exec_lo, s11
	v_add_nc_u64_e32 v[4:5], v[2:3], v[18:19]
	v_mov_b64_e32 v[6:7], v[20:21]
	v_readlane_b32 s4, v45, 12
	v_mov_b32_e32 v10, v11
	s_or_not1_b32 s11, s4, exec_lo
	v_add_nc_u64_e32 v[8:9], -1, v[4:5]
.LBB195_32:                             ;   in Loop: Header=BB195_10 Depth=1
	s_or_b32 exec_lo, exec_lo, s10
	s_and_saveexec_b32 s13, s11
	s_cbranch_execz .LBB195_36
; %bb.33:                               ;   in Loop: Header=BB195_10 Depth=1
	s_sub_nc_u64 s[10:11], 0, s[28:29]
	s_mov_b32 s14, 0
.LBB195_34:                             ;   Parent Loop BB195_10 Depth=1
                                        ; =>  This Inner Loop Header: Depth=2
	v_mov_b64_e32 v[8:9], v[4:5]
	s_delay_alu instid0(VALU_DEP_1) | instskip(NEXT) | instid1(VALU_DEP_1)
	v_mul_u64_e32 v[4:5], s[30:31], v[8:9]
	v_lshl_add_u64 v[4:5], v[4:5], 2, s[34:35]
	global_load_b32 v11, v[4:5], off
	s_wait_xcnt 0x0
	v_add_nc_u64_e32 v[4:5], s[28:29], v[8:9]
	v_lshlrev_b32_e32 v2, 2, v6
	v_mov_b64_e32 v[6:7], v[8:9]
	s_wait_loadcnt 0x1
	ds_store_b32 v2, v10
	v_cmp_le_u64_e32 vcc_lo, s[36:37], v[4:5]
	s_or_b32 s14, vcc_lo, s14
	s_wait_loadcnt 0x0
	v_mov_b32_e32 v10, v11
	s_and_not1_b32 exec_lo, exec_lo, s14
	s_cbranch_execnz .LBB195_34
; %bb.35:                               ;   in Loop: Header=BB195_10 Depth=1
	s_or_b32 exec_lo, exec_lo, s14
	v_add_nc_u64_e32 v[8:9], s[10:11], v[4:5]
.LBB195_36:                             ;   in Loop: Header=BB195_10 Depth=1
	s_or_b32 exec_lo, exec_lo, s13
	s_wait_loadcnt 0x0
	v_mov_b32_e32 v10, v11
.LBB195_37:                             ;   in Loop: Header=BB195_10 Depth=1
	s_or_b32 exec_lo, exec_lo, s12
	s_delay_alu instid0(VALU_DEP_2)
	v_lshlrev_b32_e32 v2, 2, v8
	s_wait_loadcnt 0x0
	ds_store_b32 v2, v10
.LBB195_38:                             ;   in Loop: Header=BB195_10 Depth=1
	s_or_b32 exec_lo, exec_lo, s9
	s_wait_dscnt 0x0
	s_barrier_signal -1
	s_barrier_wait -1
	s_and_saveexec_b32 s9, s5
; %bb.39:                               ;   in Loop: Header=BB195_10 Depth=1
	v_mov_b64_e32 v[4:5], s[36:37]
	ds_store_b64 v3, v[4:5] offset:5120
; %bb.40:                               ;   in Loop: Header=BB195_10 Depth=1
	s_or_b32 exec_lo, exec_lo, s9
	s_mov_b32 s9, -1
	s_wait_dscnt 0x0
	s_barrier_signal -1
	s_barrier_wait -1
.LBB195_41:                             ;   in Loop: Header=BB195_10 Depth=1
	s_and_b32 vcc_lo, exec_lo, s9
	s_mov_b64 s[74:75], 0
	s_cbranch_vccz .LBB195_43
; %bb.42:                               ;   in Loop: Header=BB195_10 Depth=1
	ds_load_b64 v[4:5], v3 offset:5120
	s_wait_dscnt 0x0
	v_readfirstlane_b32 s74, v4
	v_readfirstlane_b32 s75, v5
.LBB195_43:                             ;   in Loop: Header=BB195_10 Depth=1
	s_delay_alu instid0(VALU_DEP_2)
	s_cmp_lt_i32 s74, 1
	s_mov_b32 s9, -1
                                        ; implicit-def: $vgpr4_vgpr5
                                        ; implicit-def: $vgpr8_vgpr9
	s_cbranch_scc1 .LBB195_53
; %bb.44:                               ;   in Loop: Header=BB195_10 Depth=1
	s_and_b32 vcc_lo, exec_lo, s9
	s_cbranch_vccnz .LBB195_67
.LBB195_45:                             ;   in Loop: Header=BB195_10 Depth=1
	s_lshl_b32 s9, s100, 7
	s_and_saveexec_b32 s10, s2
	s_cbranch_execz .LBB195_47
.LBB195_46:                             ;   in Loop: Header=BB195_10 Depth=1
	v_lshl_add_u32 v2, s9, 3, v33
	ds_store_b128 v2, v[4:7]
	ds_store_b128 v2, v[8:11] offset:16
.LBB195_47:                             ;   in Loop: Header=BB195_10 Depth=1
	s_or_b32 exec_lo, exec_lo, s10
	s_wait_dscnt 0x0
	s_barrier_signal -1
	s_barrier_wait -1
	s_and_saveexec_b32 s10, s88
	s_cbranch_execz .LBB195_81
; %bb.48:                               ;   in Loop: Header=BB195_10 Depth=1
	v_mov_b64_e32 v[4:5], 0
	s_and_not1_b32 vcc_lo, exec_lo, s90
	s_cbranch_vccnz .LBB195_80
; %bb.49:                               ;   in Loop: Header=BB195_10 Depth=1
	v_mov_b64_e32 v[4:5], 0
	s_and_not1_b32 vcc_lo, exec_lo, s92
	s_cbranch_vccnz .LBB195_77
; %bb.50:                               ;   in Loop: Header=BB195_10 Depth=1
	v_lshl_add_u32 v2, s100, 10, v36
	s_mov_b32 s11, 0
.LBB195_51:                             ;   Parent Loop BB195_10 Depth=1
                                        ; =>  This Inner Loop Header: Depth=2
	ds_load_2addr_b64 v[6:9], v2 offset1:4
	ds_load_2addr_b64 v[28:31], v2 offset0:8 offset1:12
	s_add_co_i32 s11, s11, 8
	s_delay_alu instid0(SALU_CYCLE_1) | instskip(SKIP_2) | instid1(VALU_DEP_1)
	s_cmp_eq_u32 s93, s11
	s_wait_dscnt 0x1
	v_add_nc_u64_e32 v[4:5], v[6:7], v[4:5]
	v_add_nc_u64_e32 v[8:9], v[8:9], v[4:5]
	ds_load_2addr_b64 v[4:7], v2 offset0:16 offset1:20
	s_wait_dscnt 0x1
	v_add_nc_u64_e32 v[8:9], v[28:29], v[8:9]
	s_delay_alu instid0(VALU_DEP_1) | instskip(SKIP_4) | instid1(VALU_DEP_1)
	v_add_nc_u64_e32 v[28:29], v[30:31], v[8:9]
	ds_load_2addr_b64 v[8:11], v2 offset0:24 offset1:28
	v_add_nc_u32_e32 v2, 0x100, v2
	s_wait_dscnt 0x1
	v_add_nc_u64_e32 v[4:5], v[4:5], v[28:29]
	v_add_nc_u64_e32 v[4:5], v[6:7], v[4:5]
	s_wait_dscnt 0x0
	s_delay_alu instid0(VALU_DEP_1) | instskip(NEXT) | instid1(VALU_DEP_1)
	v_add_nc_u64_e32 v[4:5], v[8:9], v[4:5]
	v_add_nc_u64_e32 v[4:5], v[10:11], v[4:5]
	s_cbranch_scc0 .LBB195_51
; %bb.52:                               ;   in Loop: Header=BB195_10 Depth=1
	s_mov_b32 s11, s93
	s_and_not1_b32 vcc_lo, exec_lo, s94
	s_cbranch_vccz .LBB195_78
	s_branch .LBB195_80
.LBB195_53:                             ;   in Loop: Header=BB195_10 Depth=1
	global_load_u16 v2, v3, s[70:71]
	s_mov_b32 s21, s29
	s_wait_loadcnt 0x0
	v_readfirstlane_b32 s9, v2
	s_and_b32 s9, 0xffff, s9
	s_delay_alu instid0(SALU_CYCLE_1)
	s_lshl_b32 s20, s9, 2
	s_cmp_lg_u64 s[72:73], 0
	s_cbranch_scc0 .LBB195_76
; %bb.54:                               ;   in Loop: Header=BB195_10 Depth=1
	s_cvt_f32_u32 s9, s20
	s_sub_nc_u64 s[12:13], 0, s[20:21]
	s_delay_alu instid0(SALU_CYCLE_2) | instskip(NEXT) | instid1(SALU_CYCLE_3)
	s_fmamk_f32 s9, s98, 0x0, s9
	v_s_rcp_f32 s9, s9
	s_delay_alu instid0(TRANS32_DEP_1) | instskip(NEXT) | instid1(SALU_CYCLE_3)
	s_mul_f32 s9, s9, 0x5f7ffffc
	s_mul_f32 s10, s9, 0x2f800000
	s_delay_alu instid0(SALU_CYCLE_3) | instskip(NEXT) | instid1(SALU_CYCLE_3)
	s_trunc_f32 s10, s10
	s_fmamk_f32 s9, s10, 0xcf800000, s9
	s_cvt_u32_f32 s11, s10
	s_delay_alu instid0(SALU_CYCLE_2) | instskip(NEXT) | instid1(SALU_CYCLE_3)
	s_cvt_u32_f32 s10, s9
	s_mul_u64 s[14:15], s[12:13], s[10:11]
	s_delay_alu instid0(SALU_CYCLE_1)
	s_mul_hi_u32 s17, s10, s15
	s_mul_i32 s16, s10, s15
	s_mul_hi_u32 s28, s10, s14
	s_mul_i32 s18, s11, s14
	s_add_nc_u64 s[16:17], s[28:29], s[16:17]
	s_mul_hi_u32 s9, s11, s14
	s_mul_hi_u32 s19, s11, s15
	s_mul_i32 s14, s11, s15
	s_add_co_u32 s15, s16, s18
	s_add_co_ci_u32 s28, s17, s9
	s_add_co_ci_u32 s15, s19, 0
	s_delay_alu instid0(SALU_CYCLE_1) | instskip(NEXT) | instid1(SALU_CYCLE_1)
	s_add_nc_u64 s[14:15], s[28:29], s[14:15]
	s_add_co_u32 s10, s10, s14
	s_cselect_b32 s9, -1, 0
	s_delay_alu instid0(SALU_CYCLE_1) | instskip(SKIP_1) | instid1(SALU_CYCLE_1)
	s_cmp_lg_u32 s9, 0
	s_add_co_ci_u32 s11, s11, s15
	s_mul_u64 s[12:13], s[12:13], s[10:11]
	s_delay_alu instid0(SALU_CYCLE_1)
	s_mul_hi_u32 s15, s10, s13
	s_mul_i32 s14, s10, s13
	s_mul_hi_u32 s28, s10, s12
	s_mul_i32 s16, s11, s12
	s_add_nc_u64 s[14:15], s[28:29], s[14:15]
	s_mul_hi_u32 s9, s11, s12
	s_mul_hi_u32 s17, s11, s13
	s_mul_i32 s12, s11, s13
	s_add_co_u32 s13, s14, s16
	s_add_co_ci_u32 s28, s15, s9
	s_add_co_ci_u32 s13, s17, 0
	s_delay_alu instid0(SALU_CYCLE_1) | instskip(NEXT) | instid1(SALU_CYCLE_1)
	s_add_nc_u64 s[12:13], s[28:29], s[12:13]
	s_add_co_u32 s9, s10, s12
	s_cselect_b32 s10, -1, 0
	s_mul_hi_u32 s28, s36, s9
	s_cmp_lg_u32 s10, 0
	s_mul_hi_u32 s14, s37, s9
	s_add_co_ci_u32 s12, s11, s13
	s_mul_i32 s9, s37, s9
	s_mul_hi_u32 s11, s36, s12
	s_mul_i32 s10, s36, s12
	s_mul_hi_u32 s13, s37, s12
	s_add_nc_u64 s[10:11], s[28:29], s[10:11]
	s_mul_i32 s12, s37, s12
	s_add_co_u32 s9, s10, s9
	s_add_co_ci_u32 s28, s11, s14
	s_add_co_ci_u32 s13, s13, 0
	s_delay_alu instid0(SALU_CYCLE_1) | instskip(NEXT) | instid1(SALU_CYCLE_1)
	s_add_nc_u64 s[10:11], s[28:29], s[12:13]
	s_and_b64 s[12:13], s[10:11], 0xffffffff00000000
	s_delay_alu instid0(SALU_CYCLE_1) | instskip(NEXT) | instid1(SALU_CYCLE_1)
	s_or_b32 s12, s12, s10
	s_mul_u64 s[10:11], s[20:21], s[12:13]
	s_delay_alu instid0(SALU_CYCLE_1) | instskip(SKIP_1) | instid1(SALU_CYCLE_1)
	s_sub_co_u32 s9, s36, s10
	s_cselect_b32 s10, -1, 0
	s_cmp_lg_u32 s10, 0
	s_sub_co_ci_u32 s10, s37, s11
	s_sub_co_u32 s11, s9, s20
	s_cselect_b32 s12, -1, 0
	s_delay_alu instid0(SALU_CYCLE_1) | instskip(SKIP_3) | instid1(SALU_CYCLE_1)
	s_cmp_lg_u32 s12, 0
	s_sub_co_ci_u32 s12, s10, 0
	s_sub_co_u32 s13, s11, s20
	s_cselect_b32 s14, -1, 0
	s_cmp_lg_u32 s14, 0
	s_sub_co_ci_u32 s14, s12, 0
	s_cmp_ge_u32 s11, s20
	s_cselect_b32 s15, -1, 0
	s_cmp_eq_u32 s12, 0
	s_cselect_b32 s15, s15, -1
	s_delay_alu instid0(SALU_CYCLE_1)
	s_cmp_lg_u32 s15, 0
	s_cselect_b32 s12, s14, s12
	s_cselect_b32 s13, s13, s11
	s_cmp_ge_u32 s9, s20
	s_cselect_b32 s11, -1, 0
	s_cmp_eq_u32 s10, 0
	s_cselect_b32 s11, s11, -1
	s_delay_alu instid0(SALU_CYCLE_1)
	s_cmp_lg_u32 s11, 0
	s_cselect_b32 s11, s12, s10
	s_cselect_b32 s10, s13, s9
	s_cbranch_execnz .LBB195_56
.LBB195_55:                             ;   in Loop: Header=BB195_10 Depth=1
	v_cvt_f32_u32_e32 v4, s20
	s_sub_co_i32 s10, 0, s20
	s_delay_alu instid0(VALU_DEP_1) | instskip(SKIP_1) | instid1(TRANS32_DEP_1)
	v_rcp_iflag_f32_e32 v4, v4
	v_nop
	v_mul_f32_e32 v4, 0x4f7ffffe, v4
	s_delay_alu instid0(VALU_DEP_1) | instskip(NEXT) | instid1(VALU_DEP_1)
	v_cvt_u32_f32_e32 v4, v4
	v_readfirstlane_b32 s9, v4
	s_mul_i32 s10, s10, s9
	s_delay_alu instid0(SALU_CYCLE_1) | instskip(NEXT) | instid1(SALU_CYCLE_1)
	s_mul_hi_u32 s10, s9, s10
	s_add_co_i32 s9, s9, s10
	s_delay_alu instid0(SALU_CYCLE_1) | instskip(NEXT) | instid1(SALU_CYCLE_1)
	s_mul_hi_u32 s9, s36, s9
	s_mul_i32 s9, s9, s20
	s_delay_alu instid0(SALU_CYCLE_1) | instskip(NEXT) | instid1(SALU_CYCLE_1)
	s_sub_co_i32 s9, s36, s9
	s_sub_co_i32 s10, s9, s20
	s_cmp_ge_u32 s9, s20
	s_cselect_b32 s9, s10, s9
	s_delay_alu instid0(SALU_CYCLE_1) | instskip(SKIP_2) | instid1(SALU_CYCLE_1)
	s_sub_co_i32 s10, s9, s20
	s_cmp_ge_u32 s9, s20
	s_cselect_b32 s28, s10, s9
	s_mov_b64 s[10:11], s[28:29]
.LBB195_56:                             ;   in Loop: Header=BB195_10 Depth=1
	v_mov_b64_e32 v[4:5], 0
	v_mov_b64_e32 v[6:7], 0
	;; [unrolled: 1-line block ×4, first 2 shown]
	s_sub_nc_u64 s[22:23], s[36:37], s[10:11]
	s_mov_b32 s19, exec_lo
	s_wait_xcnt 0x0
	v_cmpx_gt_u64_e64 s[22:23], v[16:17]
	s_cbranch_execz .LBB195_60
; %bb.57:                               ;   in Loop: Header=BB195_10 Depth=1
	v_mov_b64_e32 v[28:29], v[16:17]
	s_mov_b64 s[24:25], 0
	s_mov_b32 s40, 0
	s_mov_b64 s[26:27], 0
	s_mov_b64 s[76:77], 0
	;; [unrolled: 1-line block ×3, first 2 shown]
.LBB195_58:                             ;   Parent Loop BB195_10 Depth=1
                                        ; =>  This Inner Loop Header: Depth=2
	s_delay_alu instid0(VALU_DEP_1) | instskip(SKIP_2) | instid1(VALU_DEP_1)
	v_mul_u64_e32 v[4:5], s[30:31], v[28:29]
	s_lshl_b64 s[10:11], s[30:31], 2
	v_add_nc_u64_e32 v[28:29], s[20:21], v[28:29]
	v_cmp_le_u64_e32 vcc_lo, s[22:23], v[28:29]
	s_delay_alu instid0(VALU_DEP_3)
	v_lshl_add_u64 v[4:5], v[4:5], 2, s[34:35]
	global_load_b32 v6, v[4:5], off
	s_wait_xcnt 0x0
	v_add_nc_u64_e32 v[4:5], s[10:11], v[4:5]
	global_load_b32 v7, v[4:5], off
	s_wait_xcnt 0x0
	v_add_nc_u64_e32 v[4:5], s[10:11], v[4:5]
	;; [unrolled: 3-line block ×3, first 2 shown]
	global_load_b32 v4, v[4:5], off
	s_wait_loadcnt 0x3
	v_cmp_lt_i32_e64 s9, -1, v6
	s_wait_xcnt 0x0
	s_delay_alu instid0(VALU_DEP_1) | instskip(SKIP_3) | instid1(VALU_DEP_3)
	v_cndmask_b32_e64 v5, -1, 0x80000000, s9
	v_cmp_o_f32_e64 s9, v6, v6
	s_wait_loadcnt 0x2
	v_cmp_lt_i32_e64 s10, -1, v7
	v_xor_b32_e32 v5, v5, v6
	s_delay_alu instid0(VALU_DEP_2) | instskip(NEXT) | instid1(VALU_DEP_2)
	v_cndmask_b32_e64 v6, -1, 0x80000000, s10
	v_cndmask_b32_e64 v5, -1, v5, s9
	s_wait_loadcnt 0x1
	v_cmp_lt_i32_e64 s10, -1, v8
	v_cmp_o_f32_e64 s9, v7, v7
	v_xor_b32_e32 v6, v6, v7
	s_delay_alu instid0(VALU_DEP_3) | instskip(NEXT) | instid1(VALU_DEP_2)
	v_cndmask_b32_e64 v7, -1, 0x80000000, s10
	v_cndmask_b32_e64 v6, -1, v6, s9
	v_cmp_o_f32_e64 s9, v8, v8
	s_wait_loadcnt 0x0
	v_cmp_lt_i32_e64 s15, -1, v4
	v_xor_b32_e32 v7, v7, v8
	v_and_b32_e32 v9, v5, v37
	v_bfe_u32 v5, v5, s96, 2
	v_and_b32_e32 v8, v6, v37
	v_bfe_u32 v6, v6, s96, 2
	v_cndmask_b32_e64 v7, -1, v7, s9
	v_cmp_eq_u32_e64 s10, v9, v34
	v_cmp_eq_u32_e64 s11, 0, v5
	;; [unrolled: 1-line block ×5, first 2 shown]
	v_cndmask_b32_e64 v5, -1, 0x80000000, s15
	s_and_b32 s9, s10, s11
	v_cmp_eq_u32_e64 s11, 0, v6
	v_cndmask_b32_e64 v9, 0, 1, s9
	s_and_b32 s9, s10, s12
	v_xor_b32_e32 v5, v5, v4
	v_cndmask_b32_e64 v10, 0, 1, s9
	s_and_b32 s9, s10, s13
	v_cmp_eq_u32_e64 s12, 1, v6
	v_cndmask_b32_e64 v11, 0, 1, s9
	s_and_b32 s9, s10, s14
	v_cmp_eq_u32_e64 s10, v8, v34
	v_cndmask_b32_e64 v23, 0, 1, s9
	v_cmp_o_f32_e64 s9, v4, v4
	v_cmp_eq_u32_e64 s13, 2, v6
	v_cmp_eq_u32_e64 s14, 3, v6
	v_and_b32_e32 v4, v7, v37
	v_bfe_u32 v6, v7, s96, 2
	v_cndmask_b32_e64 v5, -1, v5, s9
	s_and_b32 s9, s10, s11
	v_cmp_ne_u32_e64 s15, 0, v9
	v_cndmask_b32_e64 v7, 0, 1, s9
	s_and_b32 s9, s10, s12
	v_cmp_ne_u32_e64 s16, 0, v10
	v_cndmask_b32_e64 v8, 0, 1, s9
	s_and_b32 s9, s10, s13
	v_cmp_eq_u32_e64 s11, 1, v6
	v_cndmask_b32_e64 v9, 0, 1, s9
	s_and_b32 s9, s10, s14
	v_cmp_eq_u32_e64 s10, 0, v6
	v_cndmask_b32_e64 v10, 0, 1, s9
	v_cmp_eq_u32_e64 s9, v4, v34
	v_cmp_eq_u32_e64 s12, 2, v6
	;; [unrolled: 1-line block ×3, first 2 shown]
	v_and_b32_e32 v4, v5, v37
	v_bfe_u32 v5, v5, s96, 2
	s_and_b32 s10, s9, s10
	v_cmp_ne_u32_e64 s14, 0, v7
	v_cndmask_b32_e64 v6, 0, 1, s10
	s_and_b32 s10, s9, s11
	s_bcnt1_i32_b32 s28, s15
	v_cndmask_b32_e64 v7, 0, 1, s10
	s_and_b32 s10, s9, s12
	s_and_b32 s9, s9, s13
	s_bcnt1_i32_b32 s41, s16
	v_cmp_ne_u32_e64 s15, 0, v8
	v_cmp_ne_u32_e64 s16, 0, v9
	v_cndmask_b32_e64 v8, 0, 1, s10
	v_cndmask_b32_e64 v9, 0, 1, s9
	v_cmp_eq_u32_e64 s9, v4, v34
	v_cmp_eq_u32_e64 s10, 0, v5
	;; [unrolled: 1-line block ×3, first 2 shown]
	v_cmp_ne_u32_e64 s17, 0, v11
	v_cmp_eq_u32_e64 s12, 2, v5
	v_cmp_eq_u32_e64 s13, 3, v5
	s_bcnt1_i32_b32 s14, s14
	s_and_b32 s10, s9, s10
	s_bcnt1_i32_b32 s15, s15
	s_add_co_i32 s28, s14, s28
	v_cmp_ne_u32_e64 s14, 0, v6
	v_cndmask_b32_e64 v4, 0, 1, s10
	s_and_b32 s10, s9, s11
	s_bcnt1_i32_b32 s42, s17
	s_bcnt1_i32_b32 s16, s16
	s_add_co_i32 s41, s15, s41
	v_cmp_ne_u32_e64 s15, 0, v7
	v_cndmask_b32_e64 v5, 0, 1, s10
	s_and_b32 s10, s9, s12
	s_and_b32 s9, s9, s13
	v_cmp_ne_u32_e64 s18, 0, v23
	v_cmp_ne_u32_e64 s17, 0, v10
	s_add_co_i32 s42, s16, s42
	v_cmp_ne_u32_e64 s16, 0, v8
	v_cndmask_b32_e64 v7, 0, 1, s9
	s_bcnt1_i32_b32 s9, s14
	v_cndmask_b32_e64 v6, 0, 1, s10
	s_bcnt1_i32_b32 s10, s15
	s_add_co_i32 s14, s28, s9
	v_cmp_ne_u32_e64 s9, 0, v4
	s_bcnt1_i32_b32 s18, s18
	s_bcnt1_i32_b32 s17, s17
	;; [unrolled: 1-line block ×3, first 2 shown]
	s_add_co_i32 s15, s41, s10
	v_cmp_ne_u32_e64 s10, 0, v5
	s_add_co_i32 s18, s17, s18
	v_cmp_ne_u32_e64 s17, 0, v9
	;; [unrolled: 2-line block ×3, first 2 shown]
	s_bcnt1_i32_b32 s9, s9
	v_cmp_ne_u32_e64 s12, 0, v7
	s_bcnt1_i32_b32 s10, s10
	s_add_co_i32 s28, s14, s9
	s_bcnt1_i32_b32 s13, s17
	s_bcnt1_i32_b32 s11, s11
	s_add_nc_u64 s[78:79], s[78:79], s[28:29]
	s_add_co_i32 s28, s15, s10
	s_add_co_i32 s13, s18, s13
	s_bcnt1_i32_b32 s12, s12
	s_add_nc_u64 s[76:77], s[76:77], s[28:29]
	s_add_co_i32 s28, s16, s11
	v_mov_b64_e32 v[4:5], s[78:79]
	s_add_nc_u64 s[26:27], s[26:27], s[28:29]
	s_add_co_i32 s28, s13, s12
	v_mov_b64_e32 v[6:7], s[76:77]
	s_add_nc_u64 s[24:25], s[24:25], s[28:29]
	v_mov_b64_e32 v[8:9], s[26:27]
	v_mov_b64_e32 v[10:11], s[24:25]
	s_or_b32 s40, vcc_lo, s40
	s_delay_alu instid0(SALU_CYCLE_1)
	s_and_not1_b32 exec_lo, exec_lo, s40
	s_cbranch_execnz .LBB195_58
; %bb.59:                               ;   in Loop: Header=BB195_10 Depth=1
	s_or_b32 exec_lo, exec_lo, s40
.LBB195_60:                             ;   in Loop: Header=BB195_10 Depth=1
	s_delay_alu instid0(SALU_CYCLE_1) | instskip(SKIP_3) | instid1(VALU_DEP_2)
	s_or_b32 exec_lo, exec_lo, s19
	v_add_nc_u64_e32 v[28:29], s[22:23], v[0:1]
	v_and_b32_e32 v2, 0xffff, v2
	s_mov_b32 s12, exec_lo
	v_cmpx_gt_u64_e64 s[36:37], v[28:29]
	s_cbranch_execz .LBB195_66
; %bb.61:                               ;   in Loop: Header=BB195_10 Depth=1
	v_mul_u64_e32 v[30:31], s[30:31], v[28:29]
	s_mov_b32 s13, 0
	s_delay_alu instid0(VALU_DEP_1)
	v_lshl_add_u64 v[30:31], v[30:31], 2, s[34:35]
	global_load_b32 v24, v[30:31], off
	s_branch .LBB195_63
.LBB195_62:                             ;   in Loop: Header=BB195_63 Depth=2
	s_wait_xcnt 0x0
	s_or_b32 exec_lo, exec_lo, s10
	s_wait_loadcnt 0x0
	v_cmp_lt_i32_e64 s9, -1, v24
	s_and_b32 s11, exec_lo, vcc_lo
	s_delay_alu instid0(SALU_CYCLE_1) | instskip(SKIP_2) | instid1(VALU_DEP_2)
	s_or_b32 s13, s11, s13
	v_cndmask_b32_e64 v30, -1, 0x80000000, s9
	v_cmp_o_f32_e64 s9, v24, v24
	v_xor_b32_e32 v30, v30, v24
	s_delay_alu instid0(VALU_DEP_1) | instskip(NEXT) | instid1(VALU_DEP_1)
	v_cndmask_b32_e64 v24, -1, v30, s9
	v_and_b32_e32 v30, v24, v37
	v_bfe_u32 v24, v24, s96, 2
	s_delay_alu instid0(VALU_DEP_2) | instskip(NEXT) | instid1(VALU_DEP_2)
	v_cmp_eq_u32_e64 s9, v30, v34
	v_cmp_eq_u32_e64 s10, 0, v24
	v_cmp_eq_u32_e32 vcc_lo, 1, v24
	s_and_b32 s10, s9, s10
	s_and_b32 s11, s9, vcc_lo
	v_cndmask_b32_e64 v30, 0, 1, s10
	v_cmp_eq_u32_e64 s10, 2, v24
	v_cmp_eq_u32_e32 vcc_lo, 3, v24
	v_cndmask_b32_e64 v31, 0, 1, s11
	s_delay_alu instid0(VALU_DEP_4)
	v_cmp_ne_u32_e64 s11, 0, v30
	s_and_b32 s10, s9, s10
	s_and_b32 s9, s9, vcc_lo
	v_cndmask_b32_e64 v24, 0, 1, s10
	v_cndmask_b32_e64 v30, 0, 1, s9
	v_cmp_ne_u32_e64 s10, 0, v31
	s_bcnt1_i32_b32 s28, s11
	v_cmp_ne_u32_e32 vcc_lo, 0, v24
	v_cmp_ne_u32_e64 s9, 0, v30
	v_add_nc_u64_e32 v[4:5], s[28:29], v[4:5]
	s_bcnt1_i32_b32 s28, s10
	v_mov_b32_e32 v24, v23
	v_add_nc_u64_e32 v[6:7], s[28:29], v[6:7]
	s_bcnt1_i32_b32 s28, vcc_lo
	s_delay_alu instid0(SALU_CYCLE_1) | instskip(SKIP_1) | instid1(SALU_CYCLE_1)
	v_add_nc_u64_e32 v[8:9], s[28:29], v[8:9]
	s_bcnt1_i32_b32 s28, s9
	v_add_nc_u64_e32 v[10:11], s[28:29], v[10:11]
	s_and_not1_b32 exec_lo, exec_lo, s13
	s_cbranch_execz .LBB195_65
.LBB195_63:                             ;   Parent Loop BB195_10 Depth=1
                                        ; =>  This Inner Loop Header: Depth=2
	v_add_nc_u64_e32 v[28:29], v[28:29], v[2:3]
	v_mov_b32_e32 v23, 0
	s_mov_b32 s10, exec_lo
	s_delay_alu instid0(VALU_DEP_2)
	v_cmp_le_u64_e32 vcc_lo, s[36:37], v[28:29]
	s_wait_xcnt 0x0
	v_cmpx_gt_u64_e64 s[36:37], v[28:29]
	s_cbranch_execz .LBB195_62
; %bb.64:                               ;   in Loop: Header=BB195_63 Depth=2
	v_mul_u64_e32 v[30:31], s[30:31], v[28:29]
	s_delay_alu instid0(VALU_DEP_1)
	v_lshl_add_u64 v[30:31], v[30:31], 2, s[34:35]
	global_load_b32 v23, v[30:31], off
	s_branch .LBB195_62
.LBB195_65:                             ;   in Loop: Header=BB195_10 Depth=1
	s_or_b32 exec_lo, exec_lo, s13
.LBB195_66:                             ;   in Loop: Header=BB195_10 Depth=1
	s_delay_alu instid0(SALU_CYCLE_1)
	s_or_b32 exec_lo, exec_lo, s12
	s_branch .LBB195_45
.LBB195_67:                             ;   in Loop: Header=BB195_10 Depth=1
	global_load_u16 v2, v3, s[70:71]
	s_mov_b32 s79, s29
	v_mov_b64_e32 v[6:7], 0
	v_mov_b64_e32 v[8:9], 0
	;; [unrolled: 1-line block ×3, first 2 shown]
	s_mov_b32 s41, exec_lo
	s_wait_loadcnt 0x0
	v_readfirstlane_b32 s9, v2
	v_and_b32_e32 v2, 0xffff, v2
	s_and_b32 s40, 0xffff, s9
	s_delay_alu instid0(SALU_CYCLE_1) | instskip(NEXT) | instid1(SALU_CYCLE_1)
	s_lshl_b32 s76, s40, 2
	s_cvt_f32_u32 s9, s76
	s_sub_co_i32 s10, 0, s76
	s_delay_alu instid0(SALU_CYCLE_2) | instskip(SKIP_1) | instid1(TRANS32_DEP_1)
	v_rcp_iflag_f32_e32 v4, s9
	v_nop
	v_readfirstlane_b32 s9, v4
	s_mul_f32 s9, s9, 0x4f7ffffe
	s_delay_alu instid0(SALU_CYCLE_3) | instskip(NEXT) | instid1(SALU_CYCLE_3)
	s_cvt_u32_f32 s9, s9
	s_mul_i32 s10, s10, s9
	s_delay_alu instid0(SALU_CYCLE_1) | instskip(NEXT) | instid1(SALU_CYCLE_1)
	s_mul_hi_u32 s10, s9, s10
	s_add_co_i32 s9, s9, s10
	s_delay_alu instid0(SALU_CYCLE_1) | instskip(NEXT) | instid1(SALU_CYCLE_1)
	s_mul_hi_u32 s9, s74, s9
	s_mul_i32 s10, s9, s76
	s_add_co_i32 s11, s9, 1
	s_sub_co_i32 s10, s74, s10
	s_delay_alu instid0(SALU_CYCLE_1)
	s_sub_co_i32 s12, s10, s76
	s_cmp_ge_u32 s10, s76
	s_cselect_b32 s9, s11, s9
	s_cselect_b32 s10, s12, s10
	s_add_co_i32 s11, s9, 1
	s_cmp_ge_u32 s10, s76
	s_cselect_b32 s78, s11, s9
	s_delay_alu instid0(SALU_CYCLE_1) | instskip(NEXT) | instid1(VALU_DEP_1)
	v_mul_u64_e32 v[4:5], s[78:79], v[2:3]
	v_lshlrev_b64_e32 v[28:29], 2, v[4:5]
	v_mov_b64_e32 v[4:5], 0
	s_wait_xcnt 0x0
	s_delay_alu instid0(VALU_DEP_2)
	v_cmpx_gt_u64_e64 v[28:29], v[16:17]
	s_cbranch_execz .LBB195_71
; %bb.68:                               ;   in Loop: Header=BB195_10 Depth=1
	v_mov_b64_e32 v[30:31], v[16:17]
	v_mov_b32_e32 v23, v35
	s_mov_b32 s77, s29
	s_mov_b32 s42, s96
	s_lshl_b32 s43, s40, 4
	s_mov_b64 s[80:81], 0
	s_mov_b32 s79, 0
	s_mov_b64 s[82:83], 0
	s_mov_b64 s[84:85], 0
	;; [unrolled: 1-line block ×3, first 2 shown]
.LBB195_69:                             ;   Parent Loop BB195_10 Depth=1
                                        ; =>  This Inner Loop Header: Depth=2
	ds_load_b128 v[4:7], v23
	v_add_nc_u64_e32 v[30:31], s[76:77], v[30:31]
	s_delay_alu instid0(VALU_DEP_1)
	v_cmp_ge_u64_e32 vcc_lo, v[30:31], v[28:29]
	s_wait_dscnt 0x0
	v_cmp_lt_i32_e64 s9, -1, v5
	v_cmp_lt_i32_e64 s10, -1, v4
	;; [unrolled: 1-line block ×4, first 2 shown]
	v_cmp_o_f32_e64 s13, v5, v5
	v_cndmask_b32_e64 v9, -1, 0x80000000, s9
	v_cndmask_b32_e64 v8, -1, 0x80000000, s10
	v_add_nc_u32_e32 v23, s43, v23
	v_cmp_o_f32_e64 s16, v4, v4
	v_cndmask_b32_e64 v10, -1, 0x80000000, s12
	v_cndmask_b32_e64 v11, -1, 0x80000000, s11
	v_xor_b32_e32 v4, v8, v4
	v_xor_b32_e32 v5, v9, v5
	v_cmp_o_f32_e64 s14, v6, v6
	v_cmp_o_f32_e64 s15, v7, v7
	s_delay_alu instid0(VALU_DEP_4) | instskip(NEXT) | instid1(VALU_DEP_4)
	v_dual_cndmask_b32 v4, -1, v4, s16 :: v_dual_bitop2_b32 v7, v10, v7 bitop3:0x14
	v_dual_cndmask_b32 v5, -1, v5, s13 :: v_dual_bitop2_b32 v6, v11, v6 bitop3:0x14
	s_delay_alu instid0(VALU_DEP_2) | instskip(NEXT) | instid1(VALU_DEP_2)
	v_dual_cndmask_b32 v7, -1, v7, s15 :: v_dual_bitop2_b32 v8, v4, v37 bitop3:0x40
	v_dual_lshrrev_b32 v4, s96, v4 :: v_dual_bitop2_b32 v9, v5, v37 bitop3:0x40
	s_delay_alu instid0(VALU_DEP_3) | instskip(NEXT) | instid1(VALU_DEP_3)
	v_dual_cndmask_b32 v6, -1, v6, s14 :: v_dual_lshrrev_b32 v5, s42, v5
	v_dual_lshrrev_b32 v7, s42, v7 :: v_dual_bitop2_b32 v11, v7, v37 bitop3:0x40
	s_delay_alu instid0(VALU_DEP_3) | instskip(NEXT) | instid1(VALU_DEP_3)
	v_and_b32_e32 v4, 3, v4
	v_dual_lshrrev_b32 v6, s96, v6 :: v_dual_bitop2_b32 v10, v6, v37 bitop3:0x40
	s_delay_alu instid0(VALU_DEP_4) | instskip(NEXT) | instid1(VALU_DEP_4)
	v_and_b32_e32 v5, 3, v5
	v_and_b32_e32 v7, 3, v7
	v_cmp_eq_u32_e64 s9, v8, v34
	v_cmp_eq_u32_e64 s10, v9, v34
	v_and_b32_e32 v6, 3, v6
	v_cmp_eq_u32_e64 s13, 0, v4
	v_cmp_eq_u32_e64 s14, 0, v5
	;; [unrolled: 1-line block ×13, first 2 shown]
	s_and_b32 s13, s9, s13
	s_and_b32 s14, s10, s14
	v_cmp_eq_u32_e64 s24, 1, v7
	v_cmp_eq_u32_e64 s25, 2, v6
	;; [unrolled: 1-line block ×5, first 2 shown]
	s_and_b32 s15, s9, s15
	s_and_b32 s16, s10, s16
	;; [unrolled: 1-line block ×3, first 2 shown]
	v_cndmask_b32_e64 v4, 0, 1, s13
	v_cndmask_b32_e64 v5, 0, 1, s14
	s_and_b32 s17, s9, s17
	s_and_b32 s18, s10, s18
	;; [unrolled: 1-line block ×4, first 2 shown]
	v_cndmask_b32_e64 v6, 0, 1, s15
	v_cndmask_b32_e64 v7, 0, 1, s16
	;; [unrolled: 1-line block ×3, first 2 shown]
	s_and_b32 s9, s9, s20
	s_and_b32 s10, s10, s19
	;; [unrolled: 1-line block ×4, first 2 shown]
	v_cndmask_b32_e64 v8, 0, 1, s17
	v_cndmask_b32_e64 v9, 0, 1, s18
	;; [unrolled: 1-line block ×4, first 2 shown]
	s_and_b32 s26, s12, s26
	s_and_b32 s11, s11, s28
	s_and_b32 s12, s12, s27
	v_cndmask_b32_e64 v41, 0, 1, s9
	v_cndmask_b32_e64 v42, 0, 1, s10
	v_cmp_ne_u32_e64 s9, 0, v4
	v_cmp_ne_u32_e64 s10, 0, v5
	v_cndmask_b32_e64 v38, 0, 1, s24
	v_cndmask_b32_e64 v39, 0, 1, s25
	;; [unrolled: 1-line block ×4, first 2 shown]
	v_cmp_ne_u32_e64 s11, 0, v6
	v_cmp_ne_u32_e64 s12, 0, v7
	v_cmp_ne_u32_e64 s15, 0, v10
	v_cndmask_b32_e64 v40, 0, 1, s26
	v_cmp_ne_u32_e64 s13, 0, v8
	v_cmp_ne_u32_e64 s14, 0, v9
	;; [unrolled: 1-line block ×4, first 2 shown]
	s_bcnt1_i32_b32 s9, s9
	s_bcnt1_i32_b32 s10, s10
	v_cmp_ne_u32_e64 s18, 0, v38
	v_cmp_ne_u32_e64 s19, 0, v39
	;; [unrolled: 1-line block ×4, first 2 shown]
	s_bcnt1_i32_b32 s11, s11
	s_bcnt1_i32_b32 s12, s12
	;; [unrolled: 1-line block ×3, first 2 shown]
	s_add_co_i32 s9, s10, s9
	v_cmp_ne_u32_e64 s20, 0, v40
	v_cmp_ne_u32_e64 s23, 0, v43
	s_bcnt1_i32_b32 s13, s13
	s_bcnt1_i32_b32 s14, s14
	;; [unrolled: 1-line block ×4, first 2 shown]
	s_add_co_i32 s10, s12, s11
	s_add_co_i32 s9, s9, s15
	v_cmp_ne_u32_e64 s24, 0, v44
	s_bcnt1_i32_b32 s18, s18
	s_bcnt1_i32_b32 s19, s19
	;; [unrolled: 1-line block ×4, first 2 shown]
	s_add_co_i32 s11, s14, s13
	s_add_co_i32 s10, s10, s17
	;; [unrolled: 1-line block ×3, first 2 shown]
	s_bcnt1_i32_b32 s20, s20
	s_bcnt1_i32_b32 s23, s23
	s_add_co_i32 s12, s22, s21
	s_add_co_i32 s11, s11, s19
	s_add_nc_u64 s[86:87], s[86:87], s[28:29]
	s_add_co_i32 s28, s10, s18
	s_bcnt1_i32_b32 s24, s24
	s_add_co_i32 s12, s12, s23
	s_add_nc_u64 s[84:85], s[84:85], s[28:29]
	s_add_co_i32 s28, s11, s20
	v_mov_b64_e32 v[4:5], s[86:87]
	s_add_nc_u64 s[82:83], s[82:83], s[28:29]
	s_add_co_i32 s28, s12, s24
	v_mov_b64_e32 v[6:7], s[84:85]
	s_add_nc_u64 s[80:81], s[80:81], s[28:29]
	v_mov_b64_e32 v[8:9], s[82:83]
	v_mov_b64_e32 v[10:11], s[80:81]
	s_or_b32 s79, vcc_lo, s79
	s_delay_alu instid0(SALU_CYCLE_1)
	s_and_not1_b32 exec_lo, exec_lo, s79
	s_cbranch_execnz .LBB195_69
; %bb.70:                               ;   in Loop: Header=BB195_10 Depth=1
	s_or_b32 exec_lo, exec_lo, s79
.LBB195_71:                             ;   in Loop: Header=BB195_10 Depth=1
	s_delay_alu instid0(SALU_CYCLE_1) | instskip(SKIP_3) | instid1(VALU_DEP_1)
	s_or_b32 exec_lo, exec_lo, s41
	v_add_nc_u64_e32 v[28:29], v[28:29], v[0:1]
	s_and_b64 s[14:15], s[74:75], 0x7fffffff
	s_mov_b32 s16, exec_lo
	v_cmpx_gt_u64_e64 s[14:15], v[28:29]
	s_cbranch_execz .LBB195_75
; %bb.72:                               ;   in Loop: Header=BB195_10 Depth=1
	s_mul_i32 s9, s78, s40
	s_mov_b32 s17, 0
	v_lshl_add_u32 v23, s9, 4, v16
.LBB195_73:                             ;   Parent Loop BB195_10 Depth=1
                                        ; =>  This Inner Loop Header: Depth=2
	ds_load_b32 v24, v23
	v_add_nc_u64_e32 v[28:29], v[28:29], v[2:3]
	v_add_nc_u32_e32 v23, s76, v23
	s_delay_alu instid0(VALU_DEP_2) | instskip(SKIP_2) | instid1(VALU_DEP_1)
	v_cmp_le_u64_e32 vcc_lo, s[14:15], v[28:29]
	s_wait_dscnt 0x0
	v_cmp_lt_i32_e64 s9, -1, v24
	v_cndmask_b32_e64 v30, -1, 0x80000000, s9
	v_cmp_o_f32_e64 s9, v24, v24
	s_delay_alu instid0(VALU_DEP_2) | instskip(NEXT) | instid1(VALU_DEP_1)
	v_xor_b32_e32 v30, v30, v24
	v_cndmask_b32_e64 v24, -1, v30, s9
	s_delay_alu instid0(VALU_DEP_1) | instskip(SKIP_1) | instid1(VALU_DEP_2)
	v_and_b32_e32 v30, v24, v37
	v_bfe_u32 v24, v24, s96, 2
	v_cmp_eq_u32_e64 s9, v30, v34
	s_delay_alu instid0(VALU_DEP_2) | instskip(SKIP_4) | instid1(SALU_CYCLE_1)
	v_cmp_eq_u32_e64 s10, 0, v24
	v_cmp_eq_u32_e64 s11, 1, v24
	;; [unrolled: 1-line block ×4, first 2 shown]
	s_and_b32 s10, s9, s10
	v_cndmask_b32_e64 v24, 0, 1, s10
	s_and_b32 s10, s9, s11
	s_delay_alu instid0(SALU_CYCLE_1)
	v_cndmask_b32_e64 v30, 0, 1, s10
	s_and_b32 s10, s9, s12
	s_and_b32 s9, s9, s13
	v_cndmask_b32_e64 v31, 0, 1, s10
	v_cndmask_b32_e64 v38, 0, 1, s9
	v_cmp_ne_u32_e64 s9, 0, v24
	v_cmp_ne_u32_e64 s10, 0, v30
	s_delay_alu instid0(VALU_DEP_4) | instskip(NEXT) | instid1(VALU_DEP_4)
	v_cmp_ne_u32_e64 s11, 0, v31
	v_cmp_ne_u32_e64 s12, 0, v38
	s_bcnt1_i32_b32 s28, s9
	s_delay_alu instid0(SALU_CYCLE_1) | instskip(SKIP_1) | instid1(SALU_CYCLE_1)
	v_add_nc_u64_e32 v[4:5], s[28:29], v[4:5]
	s_bcnt1_i32_b32 s28, s10
	v_add_nc_u64_e32 v[6:7], s[28:29], v[6:7]
	s_bcnt1_i32_b32 s28, s11
	s_delay_alu instid0(SALU_CYCLE_1)
	v_add_nc_u64_e32 v[8:9], s[28:29], v[8:9]
	s_bcnt1_i32_b32 s28, s12
	s_or_b32 s17, vcc_lo, s17
	v_add_nc_u64_e32 v[10:11], s[28:29], v[10:11]
	s_and_not1_b32 exec_lo, exec_lo, s17
	s_cbranch_execnz .LBB195_73
; %bb.74:                               ;   in Loop: Header=BB195_10 Depth=1
	s_or_b32 exec_lo, exec_lo, s17
.LBB195_75:                             ;   in Loop: Header=BB195_10 Depth=1
	s_delay_alu instid0(SALU_CYCLE_1)
	s_or_b32 exec_lo, exec_lo, s16
	s_lshl_b32 s9, s100, 7
	s_and_saveexec_b32 s10, s2
	s_cbranch_execnz .LBB195_46
	s_branch .LBB195_47
.LBB195_76:                             ;   in Loop: Header=BB195_10 Depth=1
                                        ; implicit-def: $sgpr10_sgpr11
	s_branch .LBB195_55
.LBB195_77:                             ;   in Loop: Header=BB195_10 Depth=1
	s_mov_b32 s11, 0
	s_and_not1_b32 vcc_lo, exec_lo, s94
	s_cbranch_vccnz .LBB195_80
.LBB195_78:                             ;   in Loop: Header=BB195_10 Depth=1
	s_lshl_b32 s12, s100, 10
	s_lshl_b32 s11, s11, 5
	s_delay_alu instid0(SALU_CYCLE_1)
	v_add3_u32 v2, s12, s11, v36
	s_mov_b32 s11, s91
.LBB195_79:                             ;   Parent Loop BB195_10 Depth=1
                                        ; =>  This Inner Loop Header: Depth=2
	ds_load_b64 v[6:7], v2
	v_add_nc_u32_e32 v2, 32, v2
	s_add_co_i32 s11, s11, -1
	s_delay_alu instid0(SALU_CYCLE_1)
	s_cmp_lg_u32 s11, 0
	s_wait_dscnt 0x0
	v_add_nc_u64_e32 v[4:5], v[6:7], v[4:5]
	s_cbranch_scc1 .LBB195_79
.LBB195_80:                             ;   in Loop: Header=BB195_10 Depth=1
	v_add_lshl_u32 v2, s9, v13, 3
	ds_store_b64 v2, v[4:5] offset:3072
.LBB195_81:                             ;   in Loop: Header=BB195_10 Depth=1
	s_or_b32 exec_lo, exec_lo, s10
	s_lshl_b32 s9, s9, 3
	s_wait_dscnt 0x0
	v_mov_b32_e32 v2, s9
	s_barrier_signal -1
	s_barrier_wait -1
	v_cmp_eq_u64_e64 s9, 1, v[26:27]
	ds_load_b128 v[4:7], v2 offset:3072
	ds_load_b128 v[8:11], v2 offset:3088
	s_lshl_b32 s24, 3, s96
	s_mov_b32 s77, -1
	s_not_b32 s25, s24
	s_mov_b32 s26, 0
	s_and_not1_b32 vcc_lo, exec_lo, s89
	s_mov_b32 s74, 0
	s_mov_b32 s27, 0
                                        ; implicit-def: $sgpr75
                                        ; implicit-def: $sgpr76
                                        ; implicit-def: $vgpr2
	s_wait_dscnt 0x1
	v_readfirstlane_b32 s13, v5
	v_readfirstlane_b32 s12, v4
	;; [unrolled: 1-line block ×4, first 2 shown]
	s_wait_dscnt 0x0
	v_readfirstlane_b32 s17, v9
	v_readfirstlane_b32 s16, v8
	;; [unrolled: 1-line block ×4, first 2 shown]
                                        ; implicit-def: $vgpr4_vgpr5
                                        ; implicit-def: $vgpr10
                                        ; implicit-def: $vgpr11
                                        ; implicit-def: $vgpr7
	s_cbranch_vccnz .LBB195_284
; %bb.82:                               ;   in Loop: Header=BB195_10 Depth=1
	s_cmp_eq_u64 s[12:13], 1
	v_dual_mov_b32 v10, v34 :: v_dual_mov_b32 v11, v37
	v_mov_b32_e32 v7, v25
	s_cselect_b32 s10, -1, 0
                                        ; implicit-def: $sgpr76
                                        ; implicit-def: $sgpr75
	s_delay_alu instid0(SALU_CYCLE_1)
	s_and_b32 s79, s10, s9
	s_mov_b32 s10, -1
	s_and_saveexec_b32 s27, s79
	s_cbranch_execz .LBB195_119
; %bb.83:                               ;   in Loop: Header=BB195_10 Depth=1
	ds_load_b64 v[4:5], v3 offset:5120
	s_wait_dscnt 0x0
	s_barrier_signal -1
	s_barrier_wait -1
	v_readfirstlane_b32 s10, v4
	v_readfirstlane_b32 s11, v5
	s_and_saveexec_b32 s20, s6
; %bb.84:                               ;   in Loop: Header=BB195_10 Depth=1
	ds_store_b32 v32, v3
; %bb.85:                               ;   in Loop: Header=BB195_10 Depth=1
	s_or_b32 exec_lo, exec_lo, s20
	v_and_b32_e32 v10, s25, v34
	v_or_b32_e32 v11, s24, v37
	s_mov_b32 s75, -1
	s_mov_b32 s76, 0
	s_cmp_eq_u64 s[10:11], 0
	s_mov_b32 s22, 0
	s_mov_b32 s23, -1
	s_wait_dscnt 0x0
	s_barrier_signal -1
	s_barrier_wait -1
                                        ; implicit-def: $vgpr7
	s_cbranch_scc1 .LBB195_103
; %bb.86:                               ;   in Loop: Header=BB195_10 Depth=1
	s_add_nc_u64 s[20:21], s[10:11], s[64:65]
	s_delay_alu instid0(SALU_CYCLE_1) | instskip(NEXT) | instid1(SALU_CYCLE_1)
	s_and_b64 s[22:23], s[20:21], 0xffffffff00000000
	s_cmp_lg_u64 s[22:23], 0
	s_cbranch_scc0 .LBB195_146
; %bb.87:                               ;   in Loop: Header=BB195_10 Depth=1
	s_cvt_f32_u32 s4, s48
	s_sub_nc_u64 s[40:41], 0, s[48:49]
	s_delay_alu instid0(SALU_CYCLE_2) | instskip(NEXT) | instid1(SALU_CYCLE_3)
	s_fmamk_f32 s4, s98, 0x0, s4
	v_s_rcp_f32 s4, s4
	s_delay_alu instid0(TRANS32_DEP_1) | instskip(NEXT) | instid1(SALU_CYCLE_3)
	s_mul_f32 s4, s4, 0x5f7ffffc
	s_mul_f32 s8, s4, 0x2f800000
	s_delay_alu instid0(SALU_CYCLE_3) | instskip(NEXT) | instid1(SALU_CYCLE_3)
	s_trunc_f32 s8, s8
	s_fmamk_f32 s4, s8, 0xcf800000, s4
	s_cvt_u32_f32 s23, s8
	s_delay_alu instid0(SALU_CYCLE_2) | instskip(NEXT) | instid1(SALU_CYCLE_3)
	s_cvt_u32_f32 s22, s4
	s_mul_u64 s[42:43], s[40:41], s[22:23]
	s_delay_alu instid0(SALU_CYCLE_1)
	s_mul_hi_u32 s45, s22, s43
	s_mul_i32 s44, s22, s43
	s_mul_hi_u32 s28, s22, s42
	s_mul_i32 s8, s23, s42
	s_add_nc_u64 s[44:45], s[28:29], s[44:45]
	s_mul_hi_u32 s4, s23, s42
	s_mul_hi_u32 s46, s23, s43
	s_add_co_u32 s8, s44, s8
	s_add_co_ci_u32 s28, s45, s4
	s_mul_i32 s42, s23, s43
	s_add_co_ci_u32 s43, s46, 0
	s_delay_alu instid0(SALU_CYCLE_1) | instskip(NEXT) | instid1(SALU_CYCLE_1)
	s_add_nc_u64 s[42:43], s[28:29], s[42:43]
	s_add_co_u32 s22, s22, s42
	s_cselect_b32 s4, -1, 0
	s_delay_alu instid0(SALU_CYCLE_1) | instskip(SKIP_1) | instid1(SALU_CYCLE_1)
	s_cmp_lg_u32 s4, 0
	s_add_co_ci_u32 s23, s23, s43
	s_mul_u64 s[40:41], s[40:41], s[22:23]
	s_delay_alu instid0(SALU_CYCLE_1)
	s_mul_hi_u32 s43, s22, s41
	s_mul_i32 s42, s22, s41
	s_mul_hi_u32 s28, s22, s40
	s_mul_i32 s8, s23, s40
	s_add_nc_u64 s[42:43], s[28:29], s[42:43]
	s_mul_hi_u32 s4, s23, s40
	s_mul_hi_u32 s44, s23, s41
	s_add_co_u32 s8, s42, s8
	s_add_co_ci_u32 s28, s43, s4
	s_mul_i32 s40, s23, s41
	s_add_co_ci_u32 s41, s44, 0
	s_delay_alu instid0(SALU_CYCLE_1) | instskip(NEXT) | instid1(SALU_CYCLE_1)
	s_add_nc_u64 s[40:41], s[28:29], s[40:41]
	s_add_co_u32 s4, s22, s40
	s_cselect_b32 s8, -1, 0
	s_mul_hi_u32 s28, s20, s4
	s_cmp_lg_u32 s8, 0
	s_mul_hi_u32 s8, s21, s4
	s_add_co_ci_u32 s40, s23, s41
	s_mul_i32 s4, s21, s4
	s_mul_hi_u32 s23, s20, s40
	s_mul_i32 s22, s20, s40
	s_mul_hi_u32 s41, s21, s40
	s_add_nc_u64 s[22:23], s[28:29], s[22:23]
	s_mul_i32 s40, s21, s40
	s_add_co_u32 s4, s22, s4
	s_add_co_ci_u32 s28, s23, s8
	s_add_co_ci_u32 s41, s41, 0
	s_delay_alu instid0(SALU_CYCLE_1) | instskip(NEXT) | instid1(SALU_CYCLE_1)
	s_add_nc_u64 s[22:23], s[28:29], s[40:41]
	s_and_b64 s[40:41], s[22:23], 0xffffffff00000000
	s_delay_alu instid0(SALU_CYCLE_1) | instskip(NEXT) | instid1(SALU_CYCLE_1)
	s_or_b32 s40, s40, s22
	s_mul_u64 s[22:23], s[48:49], s[40:41]
	s_delay_alu instid0(SALU_CYCLE_1) | instskip(SKIP_1) | instid1(SALU_CYCLE_1)
	s_sub_co_u32 s4, s20, s22
	s_cselect_b32 s8, -1, 0
	s_cmp_lg_u32 s8, 0
	s_sub_co_ci_u32 s8, s21, s23
	s_sub_co_u32 s22, s4, s48
	s_cselect_b32 s23, -1, 0
	s_delay_alu instid0(SALU_CYCLE_1) | instskip(SKIP_3) | instid1(SALU_CYCLE_1)
	s_cmp_lg_u32 s23, 0
	s_sub_co_ci_u32 s23, s8, 0
	s_sub_co_u32 s28, s22, s48
	s_cselect_b32 s40, -1, 0
	s_cmp_lg_u32 s40, 0
	s_sub_co_ci_u32 s40, s23, 0
	s_cmp_ge_u32 s22, s48
	s_cselect_b32 s41, -1, 0
	s_cmp_eq_u32 s23, 0
	s_cselect_b32 s41, s41, -1
	s_delay_alu instid0(SALU_CYCLE_1)
	s_cmp_lg_u32 s41, 0
	s_cselect_b32 s23, s40, s23
	s_cselect_b32 s22, s28, s22
	s_cmp_ge_u32 s4, s48
	s_cselect_b32 s28, -1, 0
	s_cmp_eq_u32 s8, 0
	s_cselect_b32 s28, s28, -1
	s_delay_alu instid0(SALU_CYCLE_1)
	s_cmp_lg_u32 s28, 0
	s_cselect_b32 s23, s23, s8
	s_cselect_b32 s22, s22, s4
	s_cbranch_execnz .LBB195_89
.LBB195_88:                             ;   in Loop: Header=BB195_10 Depth=1
	v_cvt_f32_u32_e32 v2, s48
	s_sub_co_i32 s8, 0, s48
	s_delay_alu instid0(VALU_DEP_1) | instskip(SKIP_1) | instid1(TRANS32_DEP_1)
	v_rcp_iflag_f32_e32 v2, v2
	v_nop
	v_mul_f32_e32 v2, 0x4f7ffffe, v2
	s_delay_alu instid0(VALU_DEP_1) | instskip(NEXT) | instid1(VALU_DEP_1)
	v_cvt_u32_f32_e32 v2, v2
	v_readfirstlane_b32 s4, v2
	s_mul_i32 s8, s8, s4
	s_delay_alu instid0(SALU_CYCLE_1) | instskip(NEXT) | instid1(SALU_CYCLE_1)
	s_mul_hi_u32 s8, s4, s8
	s_add_co_i32 s4, s4, s8
	s_delay_alu instid0(SALU_CYCLE_1) | instskip(NEXT) | instid1(SALU_CYCLE_1)
	s_mul_hi_u32 s4, s20, s4
	s_mul_i32 s4, s4, s48
	s_delay_alu instid0(SALU_CYCLE_1) | instskip(NEXT) | instid1(SALU_CYCLE_1)
	s_sub_co_i32 s4, s20, s4
	s_sub_co_i32 s8, s4, s48
	s_cmp_ge_u32 s4, s48
	s_cselect_b32 s4, s8, s4
	s_delay_alu instid0(SALU_CYCLE_1) | instskip(SKIP_2) | instid1(SALU_CYCLE_1)
	s_sub_co_i32 s8, s4, s48
	s_cmp_ge_u32 s4, s48
	s_cselect_b32 s28, s8, s4
	s_mov_b64 s[22:23], s[28:29]
.LBB195_89:                             ;   in Loop: Header=BB195_10 Depth=1
	s_delay_alu instid0(SALU_CYCLE_1)
	s_sub_nc_u64 s[20:21], s[20:21], s[22:23]
	s_mov_b32 s23, 0
	s_mov_b32 s22, 0
	s_mov_b32 s28, exec_lo
                                        ; implicit-def: $vgpr7
	v_cmpx_gt_u64_e64 s[20:21], v[0:1]
	s_cbranch_execz .LBB195_102
; %bb.90:                               ;   in Loop: Header=BB195_10 Depth=1
	v_mov_b64_e32 v[4:5], v[0:1]
	v_mov_b32_e32 v2, v16
                                        ; implicit-def: $sgpr40
	s_branch .LBB195_94
.LBB195_91:                             ;   in Loop: Header=BB195_94 Depth=2
	s_or_b32 exec_lo, exec_lo, s41
	s_wait_dscnt 0x0
	s_barrier_signal -1
	s_barrier_wait -1
	ds_load_b64 v[6:7], v3 offset:3072
	s_wait_dscnt 0x0
	s_barrier_signal -1
	s_barrier_wait -1
	v_cmp_neq_f32_e32 vcc_lo, 0, v6
	s_cbranch_vccnz .LBB195_97
; %bb.92:                               ;   in Loop: Header=BB195_94 Depth=2
	v_add_nc_u64_e32 v[4:5], s[48:49], v[4:5]
	v_add_nc_u32_e32 v2, s95, v2
	s_mov_b32 s41, 0
	s_delay_alu instid0(VALU_DEP_2)
	v_cmp_le_u64_e32 vcc_lo, s[20:21], v[4:5]
	s_or_not1_b32 s42, vcc_lo, exec_lo
.LBB195_93:                             ;   in Loop: Header=BB195_94 Depth=2
	s_delay_alu instid0(SALU_CYCLE_1) | instskip(NEXT) | instid1(SALU_CYCLE_1)
	s_and_b32 s4, exec_lo, s42
	s_or_b32 s22, s4, s22
	s_and_not1_b32 s4, s40, exec_lo
	s_and_b32 s8, s41, exec_lo
	s_delay_alu instid0(SALU_CYCLE_1)
	s_or_b32 s40, s4, s8
	s_and_not1_b32 exec_lo, exec_lo, s22
	s_cbranch_execz .LBB195_101
.LBB195_94:                             ;   Parent Loop BB195_10 Depth=1
                                        ; =>  This Inner Loop Header: Depth=2
	s_mov_b32 s41, exec_lo
	s_delay_alu instid0(VALU_DEP_2)
	v_cmpx_gt_u64_e64 s[10:11], v[4:5]
	s_cbranch_execz .LBB195_91
; %bb.95:                               ;   in Loop: Header=BB195_94 Depth=2
	ds_load_b32 v23, v2
	s_wait_dscnt 0x0
	v_cmp_lt_i32_e32 vcc_lo, -1, v23
	v_cndmask_b32_e64 v6, -1, 0x80000000, vcc_lo
	v_cmp_o_f32_e32 vcc_lo, v23, v23
	s_delay_alu instid0(VALU_DEP_2) | instskip(NEXT) | instid1(VALU_DEP_1)
	v_xor_b32_e32 v6, v6, v23
	v_cndmask_b32_e32 v6, -1, v6, vcc_lo
	s_delay_alu instid0(VALU_DEP_1) | instskip(NEXT) | instid1(VALU_DEP_1)
	v_and_b32_e32 v6, v6, v11
	v_cmp_eq_u32_e32 vcc_lo, v6, v10
	s_and_b32 exec_lo, exec_lo, vcc_lo
	s_cbranch_execz .LBB195_91
; %bb.96:                               ;   in Loop: Header=BB195_94 Depth=2
	ds_store_b64 v3, v[22:23] offset:3072
	s_branch .LBB195_91
.LBB195_97:                             ;   in Loop: Header=BB195_94 Depth=2
	s_mov_b32 s42, -1
	s_mov_b32 s41, -1
                                        ; implicit-def: $vgpr4_vgpr5
                                        ; implicit-def: $vgpr2
	s_branch .LBB195_93
.LBB195_98:                             ;   in Loop: Header=BB195_10 Depth=1
	s_or_b32 exec_lo, exec_lo, s12
	s_wait_dscnt 0x0
	s_barrier_signal -1
	s_barrier_wait -1
	s_and_saveexec_b32 s9, s5
	s_cbranch_execz .LBB195_100
; %bb.99:                               ;   in Loop: Header=BB195_10 Depth=1
	ds_load_b32 v4, v3 offset:5144
	s_wait_dscnt 0x0
	v_ashrrev_i32_e32 v5, 31, v4
	ds_store_b64 v3, v[4:5] offset:5120
.LBB195_100:                            ;   in Loop: Header=BB195_10 Depth=1
	s_or_b32 exec_lo, exec_lo, s9
	s_wait_dscnt 0x0
	s_barrier_signal -1
	s_mov_b32 s9, -1
	s_barrier_wait -1
	s_and_b32 vcc_lo, exec_lo, s11
	s_cbranch_vccnz .LBB195_26
	s_branch .LBB195_41
.LBB195_101:                            ;   in Loop: Header=BB195_10 Depth=1
	s_or_b32 exec_lo, exec_lo, s22
	s_delay_alu instid0(SALU_CYCLE_1)
	s_and_b32 s22, s40, exec_lo
.LBB195_102:                            ;   in Loop: Header=BB195_10 Depth=1
	s_or_b32 exec_lo, exec_lo, s28
.LBB195_103:                            ;   in Loop: Header=BB195_10 Depth=1
	s_delay_alu instid0(SALU_CYCLE_1)
	s_and_b32 vcc_lo, exec_lo, s23
	s_cbranch_vccz .LBB195_118
; %bb.104:                              ;   in Loop: Header=BB195_10 Depth=1
	s_and_b64 s[10:11], s[66:67], 0xffffffff00000000
	s_delay_alu instid0(SALU_CYCLE_1)
	s_cmp_lg_u64 s[10:11], 0
	s_cbranch_scc0 .LBB195_147
; %bb.105:                              ;   in Loop: Header=BB195_10 Depth=1
	s_cvt_f32_u32 s4, s48
	s_sub_nc_u64 s[20:21], 0, s[48:49]
	s_delay_alu instid0(SALU_CYCLE_2) | instskip(NEXT) | instid1(SALU_CYCLE_3)
	s_fmamk_f32 s4, s98, 0x0, s4
	v_s_rcp_f32 s4, s4
	s_delay_alu instid0(TRANS32_DEP_1) | instskip(NEXT) | instid1(SALU_CYCLE_3)
	s_mul_f32 s4, s4, 0x5f7ffffc
	s_mul_f32 s8, s4, 0x2f800000
	s_delay_alu instid0(SALU_CYCLE_3) | instskip(NEXT) | instid1(SALU_CYCLE_3)
	s_trunc_f32 s8, s8
	s_fmamk_f32 s4, s8, 0xcf800000, s4
	s_cvt_u32_f32 s11, s8
	s_delay_alu instid0(SALU_CYCLE_2) | instskip(NEXT) | instid1(SALU_CYCLE_3)
	s_cvt_u32_f32 s10, s4
	s_mul_u64 s[40:41], s[20:21], s[10:11]
	s_delay_alu instid0(SALU_CYCLE_1)
	s_mul_hi_u32 s43, s10, s41
	s_mul_i32 s42, s10, s41
	s_mul_hi_u32 s28, s10, s40
	s_mul_i32 s8, s11, s40
	s_add_nc_u64 s[42:43], s[28:29], s[42:43]
	s_mul_hi_u32 s4, s11, s40
	s_mul_hi_u32 s23, s11, s41
	s_add_co_u32 s8, s42, s8
	s_add_co_ci_u32 s28, s43, s4
	s_mul_i32 s40, s11, s41
	s_add_co_ci_u32 s41, s23, 0
	s_delay_alu instid0(SALU_CYCLE_1) | instskip(NEXT) | instid1(SALU_CYCLE_1)
	s_add_nc_u64 s[40:41], s[28:29], s[40:41]
	s_add_co_u32 s10, s10, s40
	s_cselect_b32 s4, -1, 0
	s_delay_alu instid0(SALU_CYCLE_1) | instskip(SKIP_1) | instid1(SALU_CYCLE_1)
	s_cmp_lg_u32 s4, 0
	s_add_co_ci_u32 s11, s11, s41
	s_mul_u64 s[20:21], s[20:21], s[10:11]
	s_delay_alu instid0(SALU_CYCLE_1)
	s_mul_hi_u32 s41, s10, s21
	s_mul_i32 s40, s10, s21
	s_mul_hi_u32 s28, s10, s20
	s_mul_i32 s8, s11, s20
	s_add_nc_u64 s[40:41], s[28:29], s[40:41]
	s_mul_hi_u32 s4, s11, s20
	s_mul_hi_u32 s23, s11, s21
	s_add_co_u32 s8, s40, s8
	s_add_co_ci_u32 s28, s41, s4
	s_mul_i32 s20, s11, s21
	s_add_co_ci_u32 s21, s23, 0
	s_delay_alu instid0(SALU_CYCLE_1) | instskip(NEXT) | instid1(SALU_CYCLE_1)
	s_add_nc_u64 s[20:21], s[28:29], s[20:21]
	s_add_co_u32 s4, s10, s20
	s_cselect_b32 s8, -1, 0
	s_mul_hi_u32 s28, s66, s4
	s_cmp_lg_u32 s8, 0
	s_mul_hi_u32 s8, s67, s4
	s_add_co_ci_u32 s20, s11, s21
	s_mul_i32 s4, s67, s4
	s_mul_hi_u32 s11, s66, s20
	s_mul_i32 s10, s66, s20
	s_mul_hi_u32 s21, s67, s20
	s_add_nc_u64 s[10:11], s[28:29], s[10:11]
	s_mul_i32 s20, s67, s20
	s_add_co_u32 s4, s10, s4
	s_add_co_ci_u32 s28, s11, s8
	s_add_co_ci_u32 s21, s21, 0
	s_delay_alu instid0(SALU_CYCLE_1) | instskip(NEXT) | instid1(SALU_CYCLE_1)
	s_add_nc_u64 s[10:11], s[28:29], s[20:21]
	s_and_b64 s[20:21], s[10:11], 0xffffffff00000000
	s_delay_alu instid0(SALU_CYCLE_1) | instskip(NEXT) | instid1(SALU_CYCLE_1)
	s_or_b32 s20, s20, s10
	s_mul_u64 s[10:11], s[48:49], s[20:21]
	s_delay_alu instid0(SALU_CYCLE_1) | instskip(SKIP_1) | instid1(SALU_CYCLE_1)
	s_sub_co_u32 s4, s66, s10
	s_cselect_b32 s8, -1, 0
	s_cmp_lg_u32 s8, 0
	s_sub_co_ci_u32 s8, s67, s11
	s_sub_co_u32 s10, s4, s48
	s_cselect_b32 s11, -1, 0
	s_delay_alu instid0(SALU_CYCLE_1) | instskip(SKIP_3) | instid1(SALU_CYCLE_1)
	s_cmp_lg_u32 s11, 0
	s_sub_co_ci_u32 s11, s8, 0
	s_sub_co_u32 s20, s10, s48
	s_cselect_b32 s21, -1, 0
	s_cmp_lg_u32 s21, 0
	s_sub_co_ci_u32 s21, s11, 0
	s_cmp_ge_u32 s10, s48
	s_cselect_b32 s23, -1, 0
	s_cmp_eq_u32 s11, 0
	s_cselect_b32 s23, s23, -1
	s_delay_alu instid0(SALU_CYCLE_1)
	s_cmp_lg_u32 s23, 0
	s_cselect_b32 s11, s21, s11
	s_cselect_b32 s10, s20, s10
	s_cmp_ge_u32 s4, s48
	s_cselect_b32 s20, -1, 0
	s_cmp_eq_u32 s8, 0
	s_cselect_b32 s20, s20, -1
	s_delay_alu instid0(SALU_CYCLE_1)
	s_cmp_lg_u32 s20, 0
	s_cselect_b32 s11, s11, s8
	s_cselect_b32 s10, s10, s4
	s_cbranch_execnz .LBB195_107
.LBB195_106:                            ;   in Loop: Header=BB195_10 Depth=1
	v_cvt_f32_u32_e32 v2, s48
	s_sub_co_i32 s8, 0, s48
	s_delay_alu instid0(VALU_DEP_1) | instskip(SKIP_1) | instid1(TRANS32_DEP_1)
	v_rcp_iflag_f32_e32 v2, v2
	v_nop
	v_mul_f32_e32 v2, 0x4f7ffffe, v2
	s_delay_alu instid0(VALU_DEP_1) | instskip(NEXT) | instid1(VALU_DEP_1)
	v_cvt_u32_f32_e32 v2, v2
	v_readfirstlane_b32 s4, v2
	s_mul_i32 s8, s8, s4
	s_delay_alu instid0(SALU_CYCLE_1) | instskip(NEXT) | instid1(SALU_CYCLE_1)
	s_mul_hi_u32 s8, s4, s8
	s_add_co_i32 s4, s4, s8
	s_delay_alu instid0(SALU_CYCLE_1) | instskip(NEXT) | instid1(SALU_CYCLE_1)
	s_mul_hi_u32 s4, s66, s4
	s_mul_i32 s4, s4, s48
	s_delay_alu instid0(SALU_CYCLE_1) | instskip(NEXT) | instid1(SALU_CYCLE_1)
	s_sub_co_i32 s4, s66, s4
	s_sub_co_i32 s8, s4, s48
	s_cmp_ge_u32 s4, s48
	s_cselect_b32 s4, s8, s4
	s_delay_alu instid0(SALU_CYCLE_1) | instskip(SKIP_2) | instid1(SALU_CYCLE_1)
	s_sub_co_i32 s8, s4, s48
	s_cmp_ge_u32 s4, s48
	s_cselect_b32 s28, s8, s4
	s_mov_b64 s[10:11], s[28:29]
.LBB195_107:                            ;   in Loop: Header=BB195_10 Depth=1
	s_delay_alu instid0(SALU_CYCLE_1)
	s_sub_nc_u64 s[10:11], s[66:67], s[10:11]
	s_mov_b32 s20, exec_lo
                                        ; implicit-def: $vgpr7
	v_cmpx_gt_u64_e64 s[10:11], v[0:1]
	s_cbranch_execz .LBB195_117
; %bb.108:                              ;   in Loop: Header=BB195_10 Depth=1
	v_mov_b64_e32 v[4:5], v[0:1]
	s_mov_b32 s21, 0
                                        ; implicit-def: $sgpr23
	s_branch .LBB195_112
.LBB195_109:                            ;   in Loop: Header=BB195_112 Depth=2
	s_or_b32 exec_lo, exec_lo, s28
	s_wait_dscnt 0x0
	s_barrier_signal -1
	s_barrier_wait -1
	ds_load_b64 v[6:7], v3 offset:3072
	s_wait_dscnt 0x0
	s_barrier_signal -1
	s_barrier_wait -1
	v_cmp_neq_f32_e32 vcc_lo, 0, v6
	s_cbranch_vccnz .LBB195_115
; %bb.110:                              ;   in Loop: Header=BB195_112 Depth=2
	v_add_nc_u64_e32 v[4:5], s[48:49], v[4:5]
	s_mov_b32 s28, 0
	s_delay_alu instid0(VALU_DEP_1)
	v_cmp_le_u64_e32 vcc_lo, s[10:11], v[4:5]
	s_or_not1_b32 s40, vcc_lo, exec_lo
.LBB195_111:                            ;   in Loop: Header=BB195_112 Depth=2
	s_delay_alu instid0(SALU_CYCLE_1) | instskip(NEXT) | instid1(SALU_CYCLE_1)
	s_and_b32 s4, exec_lo, s40
	s_or_b32 s21, s4, s21
	s_and_not1_b32 s4, s23, exec_lo
	s_and_b32 s8, s28, exec_lo
	s_delay_alu instid0(SALU_CYCLE_1)
	s_or_b32 s23, s4, s8
	s_and_not1_b32 exec_lo, exec_lo, s21
	s_cbranch_execz .LBB195_116
.LBB195_112:                            ;   Parent Loop BB195_10 Depth=1
                                        ; =>  This Inner Loop Header: Depth=2
	s_mov_b32 s28, exec_lo
	s_delay_alu instid0(VALU_DEP_1)
	v_cmpx_gt_u64_e64 s[36:37], v[4:5]
	s_cbranch_execz .LBB195_109
; %bb.113:                              ;   in Loop: Header=BB195_112 Depth=2
	v_mul_u64_e32 v[6:7], s[30:31], v[4:5]
	s_delay_alu instid0(VALU_DEP_1)
	v_lshl_add_u64 v[6:7], v[6:7], 2, s[34:35]
	global_load_b32 v23, v[6:7], off
	s_wait_loadcnt 0x0
	v_cmp_lt_i32_e32 vcc_lo, -1, v23
	v_cndmask_b32_e64 v2, -1, 0x80000000, vcc_lo
	v_cmp_o_f32_e32 vcc_lo, v23, v23
	s_delay_alu instid0(VALU_DEP_2) | instskip(NEXT) | instid1(VALU_DEP_1)
	v_xor_b32_e32 v2, v2, v23
	v_cndmask_b32_e32 v2, -1, v2, vcc_lo
	s_delay_alu instid0(VALU_DEP_1) | instskip(NEXT) | instid1(VALU_DEP_1)
	v_and_b32_e32 v2, v2, v11
	v_cmp_eq_u32_e32 vcc_lo, v2, v10
	s_wait_xcnt 0x0
	s_and_b32 exec_lo, exec_lo, vcc_lo
	s_cbranch_execz .LBB195_109
; %bb.114:                              ;   in Loop: Header=BB195_112 Depth=2
	ds_store_b64 v3, v[22:23] offset:3072
	s_branch .LBB195_109
.LBB195_115:                            ;   in Loop: Header=BB195_112 Depth=2
	s_mov_b32 s40, -1
	s_mov_b32 s28, -1
                                        ; implicit-def: $vgpr4_vgpr5
	s_branch .LBB195_111
.LBB195_116:                            ;   in Loop: Header=BB195_10 Depth=1
	s_or_b32 exec_lo, exec_lo, s21
	s_delay_alu instid0(SALU_CYCLE_1) | instskip(SKIP_1) | instid1(SALU_CYCLE_1)
	s_and_not1_b32 s4, s22, exec_lo
	s_and_b32 s8, s23, exec_lo
	s_or_b32 s22, s4, s8
.LBB195_117:                            ;   in Loop: Header=BB195_10 Depth=1
	s_or_b32 exec_lo, exec_lo, s20
	s_mov_b32 s75, 0
	s_mov_b32 s76, -1
.LBB195_118:                            ;   in Loop: Header=BB195_10 Depth=1
	s_or_not1_b32 s10, s22, exec_lo
.LBB195_119:                            ;   in Loop: Header=BB195_10 Depth=1
	s_or_b32 exec_lo, exec_lo, s27
	s_mov_b32 s77, 0
	s_mov_b32 s74, 0
	;; [unrolled: 1-line block ×3, first 2 shown]
                                        ; implicit-def: $vgpr4_vgpr5
                                        ; implicit-def: $vgpr2
	s_and_saveexec_b32 s78, s10
	s_cbranch_execz .LBB195_283
; %bb.120:                              ;   in Loop: Header=BB195_10 Depth=1
	v_mov_b64_e32 v[4:5], 1
	v_mov_b32_e32 v2, 1
	s_xor_b32 s4, s79, -1
	s_mov_b32 s11, 0
	s_and_saveexec_b32 s10, s4
	s_cbranch_execz .LBB195_129
; %bb.121:                              ;   in Loop: Header=BB195_10 Depth=1
	s_mov_b32 s4, exec_lo
	v_cmpx_ge_u64_e64 s[12:13], v[26:27]
	s_xor_b32 s11, exec_lo, s4
	s_cbranch_execz .LBB195_126
; %bb.122:                              ;   in Loop: Header=BB195_10 Depth=1
	ds_load_b64 v[4:5], v3 offset:5120
	v_and_b32_e32 v10, s25, v10
	v_or_b32_e32 v11, s24, v11
	s_wait_dscnt 0x0
	v_cmp_ne_u64_e32 vcc_lo, 0, v[4:5]
	s_cbranch_vccnz .LBB195_126
; %bb.123:                              ;   in Loop: Header=BB195_10 Depth=1
	s_and_saveexec_b32 s20, s5
; %bb.124:                              ;   in Loop: Header=BB195_10 Depth=1
	v_mov_b64_e32 v[4:5], s[12:13]
	ds_store_b64 v3, v[4:5] offset:5128
; %bb.125:                              ;   in Loop: Header=BB195_10 Depth=1
	s_or_b32 exec_lo, exec_lo, s20
	s_wait_dscnt 0x0
	s_barrier_signal -1
	s_barrier_wait -1
.LBB195_126:                            ;   in Loop: Header=BB195_10 Depth=1
	s_or_saveexec_b32 s11, s11
	v_mov_b64_e32 v[4:5], v[26:27]
	v_mov_b32_e32 v2, 8
	s_mov_b32 s20, 0
	s_xor_b32 exec_lo, exec_lo, s11
; %bb.127:                              ;   in Loop: Header=BB195_10 Depth=1
	v_sub_nc_u64_e64 v[4:5], v[26:27], s[12:13]
	v_mov_b32_e32 v2, 0
	s_mov_b32 s20, exec_lo
; %bb.128:                              ;   in Loop: Header=BB195_10 Depth=1
	s_or_b32 exec_lo, exec_lo, s11
	s_delay_alu instid0(SALU_CYCLE_1)
	s_and_b32 s11, s20, exec_lo
.LBB195_129:                            ;   in Loop: Header=BB195_10 Depth=1
	s_or_b32 exec_lo, exec_lo, s10
	s_mov_b32 s10, -1
                                        ; implicit-def: $sgpr74
                                        ; implicit-def: $sgpr79
	s_and_saveexec_b32 s4, s11
	s_delay_alu instid0(SALU_CYCLE_1)
	s_xor_b32 s27, exec_lo, s4
	s_cbranch_execz .LBB195_280
; %bb.130:                              ;   in Loop: Header=BB195_10 Depth=1
	v_cmp_eq_u64_e32 vcc_lo, 1, v[4:5]
	s_cmp_eq_u64 s[14:15], 1
                                        ; implicit-def: $sgpr79
                                        ; implicit-def: $sgpr74
	s_cselect_b32 s10, -1, 0
	s_delay_alu instid0(SALU_CYCLE_1)
	s_and_b32 s81, s10, vcc_lo
	s_mov_b32 s10, -1
	s_and_saveexec_b32 s80, s81
	s_cbranch_execz .LBB195_166
; %bb.131:                              ;   in Loop: Header=BB195_10 Depth=1
	ds_load_b64 v[6:7], v3 offset:5120
	s_wait_dscnt 0x0
	s_barrier_signal -1
	s_barrier_wait -1
	v_readfirstlane_b32 s10, v6
	v_readfirstlane_b32 s11, v7
	s_and_saveexec_b32 s20, s6
; %bb.132:                              ;   in Loop: Header=BB195_10 Depth=1
	ds_store_b32 v32, v3
; %bb.133:                              ;   in Loop: Header=BB195_10 Depth=1
	s_or_b32 exec_lo, exec_lo, s20
	s_lshl_b32 s20, 1, s96
	v_or_b32_e32 v11, s24, v11
	v_and_or_b32 v10, v10, s25, s20
	s_mov_b32 s74, -1
	s_mov_b32 s79, 0
	s_cmp_eq_u64 s[10:11], 0
	s_mov_b32 s22, 0
	s_mov_b32 s23, -1
	s_wait_dscnt 0x0
	s_barrier_signal -1
	s_barrier_wait -1
                                        ; implicit-def: $vgpr7
	s_cbranch_scc1 .LBB195_150
; %bb.134:                              ;   in Loop: Header=BB195_10 Depth=1
	s_add_nc_u64 s[20:21], s[10:11], s[64:65]
	s_delay_alu instid0(SALU_CYCLE_1) | instskip(NEXT) | instid1(SALU_CYCLE_1)
	s_and_b64 s[22:23], s[20:21], 0xffffffff00000000
	s_cmp_lg_u64 s[22:23], 0
	s_cbranch_scc0 .LBB195_193
; %bb.135:                              ;   in Loop: Header=BB195_10 Depth=1
	s_cvt_f32_u32 s22, s48
	s_sub_nc_u64 s[40:41], 0, s[48:49]
	s_delay_alu instid0(SALU_CYCLE_2) | instskip(NEXT) | instid1(SALU_CYCLE_3)
	s_fmamk_f32 s22, s98, 0x0, s22
	v_s_rcp_f32 s22, s22
	s_delay_alu instid0(TRANS32_DEP_1) | instskip(NEXT) | instid1(SALU_CYCLE_3)
	s_mul_f32 s22, s22, 0x5f7ffffc
	s_mul_f32 s23, s22, 0x2f800000
	s_delay_alu instid0(SALU_CYCLE_3) | instskip(NEXT) | instid1(SALU_CYCLE_3)
	s_trunc_f32 s23, s23
	s_fmamk_f32 s22, s23, 0xcf800000, s22
	s_cvt_u32_f32 s23, s23
	s_delay_alu instid0(SALU_CYCLE_2) | instskip(NEXT) | instid1(SALU_CYCLE_3)
	s_cvt_u32_f32 s22, s22
	s_mul_u64 s[42:43], s[40:41], s[22:23]
	s_delay_alu instid0(SALU_CYCLE_1)
	s_mul_hi_u32 s83, s22, s43
	s_mul_i32 s82, s22, s43
	s_mul_hi_u32 s28, s22, s42
	s_mul_i32 s45, s23, s42
	s_add_nc_u64 s[82:83], s[28:29], s[82:83]
	s_mul_hi_u32 s44, s23, s42
	s_mul_hi_u32 s46, s23, s43
	s_add_co_u32 s28, s82, s45
	s_add_co_ci_u32 s28, s83, s44
	s_mul_i32 s42, s23, s43
	s_add_co_ci_u32 s43, s46, 0
	s_delay_alu instid0(SALU_CYCLE_1) | instskip(NEXT) | instid1(SALU_CYCLE_1)
	s_add_nc_u64 s[42:43], s[28:29], s[42:43]
	s_add_co_u32 s22, s22, s42
	s_cselect_b32 s28, -1, 0
	s_delay_alu instid0(SALU_CYCLE_1) | instskip(SKIP_1) | instid1(SALU_CYCLE_1)
	s_cmp_lg_u32 s28, 0
	s_add_co_ci_u32 s23, s23, s43
	s_mul_u64 s[40:41], s[40:41], s[22:23]
	s_delay_alu instid0(SALU_CYCLE_1)
	s_mul_hi_u32 s43, s22, s41
	s_mul_i32 s42, s22, s41
	s_mul_hi_u32 s28, s22, s40
	s_mul_i32 s45, s23, s40
	s_add_nc_u64 s[42:43], s[28:29], s[42:43]
	s_mul_hi_u32 s44, s23, s40
	s_mul_hi_u32 s46, s23, s41
	s_add_co_u32 s28, s42, s45
	s_add_co_ci_u32 s28, s43, s44
	s_mul_i32 s40, s23, s41
	s_add_co_ci_u32 s41, s46, 0
	s_delay_alu instid0(SALU_CYCLE_1) | instskip(NEXT) | instid1(SALU_CYCLE_1)
	s_add_nc_u64 s[40:41], s[28:29], s[40:41]
	s_add_co_u32 s22, s22, s40
	s_cselect_b32 s40, -1, 0
	s_mul_hi_u32 s28, s20, s22
	s_cmp_lg_u32 s40, 0
	s_mul_hi_u32 s42, s21, s22
	s_add_co_ci_u32 s40, s23, s41
	s_mul_i32 s41, s21, s22
	s_mul_hi_u32 s23, s20, s40
	s_mul_i32 s22, s20, s40
	s_mul_hi_u32 s43, s21, s40
	s_add_nc_u64 s[22:23], s[28:29], s[22:23]
	s_mul_i32 s40, s21, s40
	s_add_co_u32 s22, s22, s41
	s_add_co_ci_u32 s28, s23, s42
	s_add_co_ci_u32 s41, s43, 0
	s_delay_alu instid0(SALU_CYCLE_1) | instskip(NEXT) | instid1(SALU_CYCLE_1)
	s_add_nc_u64 s[22:23], s[28:29], s[40:41]
	s_and_b64 s[40:41], s[22:23], 0xffffffff00000000
	s_delay_alu instid0(SALU_CYCLE_1) | instskip(NEXT) | instid1(SALU_CYCLE_1)
	s_or_b32 s40, s40, s22
	s_mul_u64 s[22:23], s[48:49], s[40:41]
	s_delay_alu instid0(SALU_CYCLE_1) | instskip(SKIP_1) | instid1(SALU_CYCLE_1)
	s_sub_co_u32 s22, s20, s22
	s_cselect_b32 s28, -1, 0
	s_cmp_lg_u32 s28, 0
	s_sub_co_ci_u32 s23, s21, s23
	s_sub_co_u32 s28, s22, s48
	s_cselect_b32 s40, -1, 0
	s_delay_alu instid0(SALU_CYCLE_1) | instskip(SKIP_3) | instid1(SALU_CYCLE_1)
	s_cmp_lg_u32 s40, 0
	s_sub_co_ci_u32 s40, s23, 0
	s_sub_co_u32 s41, s28, s48
	s_cselect_b32 s42, -1, 0
	s_cmp_lg_u32 s42, 0
	s_sub_co_ci_u32 s42, s40, 0
	s_cmp_ge_u32 s28, s48
	s_cselect_b32 s43, -1, 0
	s_cmp_eq_u32 s40, 0
	s_cselect_b32 s43, s43, -1
	s_delay_alu instid0(SALU_CYCLE_1)
	s_cmp_lg_u32 s43, 0
	s_cselect_b32 s40, s42, s40
	s_cselect_b32 s28, s41, s28
	s_cmp_ge_u32 s22, s48
	s_cselect_b32 s41, -1, 0
	s_cmp_eq_u32 s23, 0
	s_cselect_b32 s41, s41, -1
	s_delay_alu instid0(SALU_CYCLE_1)
	s_cmp_lg_u32 s41, 0
	s_cselect_b32 s23, s40, s23
	s_cselect_b32 s22, s28, s22
	s_cbranch_execnz .LBB195_137
.LBB195_136:                            ;   in Loop: Header=BB195_10 Depth=1
	v_cvt_f32_u32_e32 v6, s48
	s_sub_co_i32 s23, 0, s48
	s_delay_alu instid0(VALU_DEP_1) | instskip(SKIP_1) | instid1(TRANS32_DEP_1)
	v_rcp_iflag_f32_e32 v6, v6
	v_nop
	v_mul_f32_e32 v6, 0x4f7ffffe, v6
	s_delay_alu instid0(VALU_DEP_1) | instskip(NEXT) | instid1(VALU_DEP_1)
	v_cvt_u32_f32_e32 v6, v6
	v_readfirstlane_b32 s22, v6
	s_mul_i32 s23, s23, s22
	s_delay_alu instid0(SALU_CYCLE_1) | instskip(NEXT) | instid1(SALU_CYCLE_1)
	s_mul_hi_u32 s23, s22, s23
	s_add_co_i32 s22, s22, s23
	s_delay_alu instid0(SALU_CYCLE_1) | instskip(NEXT) | instid1(SALU_CYCLE_1)
	s_mul_hi_u32 s22, s20, s22
	s_mul_i32 s22, s22, s48
	s_delay_alu instid0(SALU_CYCLE_1) | instskip(NEXT) | instid1(SALU_CYCLE_1)
	s_sub_co_i32 s22, s20, s22
	s_sub_co_i32 s23, s22, s48
	s_cmp_ge_u32 s22, s48
	s_cselect_b32 s22, s23, s22
	s_delay_alu instid0(SALU_CYCLE_1) | instskip(SKIP_2) | instid1(SALU_CYCLE_1)
	s_sub_co_i32 s23, s22, s48
	s_cmp_ge_u32 s22, s48
	s_cselect_b32 s28, s23, s22
	s_mov_b64 s[22:23], s[28:29]
.LBB195_137:                            ;   in Loop: Header=BB195_10 Depth=1
	s_delay_alu instid0(SALU_CYCLE_1)
	s_sub_nc_u64 s[20:21], s[20:21], s[22:23]
	s_mov_b32 s23, 0
	s_mov_b32 s22, 0
	s_mov_b32 s28, exec_lo
                                        ; implicit-def: $vgpr7
	v_cmpx_gt_u64_e64 s[20:21], v[0:1]
	s_cbranch_execz .LBB195_149
; %bb.138:                              ;   in Loop: Header=BB195_10 Depth=1
	v_mov_b64_e32 v[8:9], v[0:1]
	v_mov_b32_e32 v24, v16
                                        ; implicit-def: $sgpr40
	s_branch .LBB195_142
.LBB195_139:                            ;   in Loop: Header=BB195_142 Depth=2
	s_or_b32 exec_lo, exec_lo, s41
	s_wait_dscnt 0x0
	s_barrier_signal -1
	s_barrier_wait -1
	ds_load_b64 v[6:7], v3 offset:3072
	s_wait_dscnt 0x0
	s_barrier_signal -1
	s_barrier_wait -1
	v_cmp_neq_f32_e32 vcc_lo, 0, v6
	s_cbranch_vccnz .LBB195_145
; %bb.140:                              ;   in Loop: Header=BB195_142 Depth=2
	v_add_nc_u64_e32 v[8:9], s[48:49], v[8:9]
	v_add_nc_u32_e32 v24, s95, v24
	s_mov_b32 s41, 0
	s_delay_alu instid0(VALU_DEP_2)
	v_cmp_le_u64_e32 vcc_lo, s[20:21], v[8:9]
	s_or_not1_b32 s42, vcc_lo, exec_lo
.LBB195_141:                            ;   in Loop: Header=BB195_142 Depth=2
	s_delay_alu instid0(SALU_CYCLE_1) | instskip(NEXT) | instid1(SALU_CYCLE_1)
	s_and_b32 s4, exec_lo, s42
	s_or_b32 s22, s4, s22
	s_and_not1_b32 s4, s40, exec_lo
	s_and_b32 s8, s41, exec_lo
	s_delay_alu instid0(SALU_CYCLE_1)
	s_or_b32 s40, s4, s8
	s_and_not1_b32 exec_lo, exec_lo, s22
	s_cbranch_execz .LBB195_148
.LBB195_142:                            ;   Parent Loop BB195_10 Depth=1
                                        ; =>  This Inner Loop Header: Depth=2
	s_mov_b32 s41, exec_lo
	s_delay_alu instid0(VALU_DEP_2)
	v_cmpx_gt_u64_e64 s[10:11], v[8:9]
	s_cbranch_execz .LBB195_139
; %bb.143:                              ;   in Loop: Header=BB195_142 Depth=2
	ds_load_b32 v23, v24
	s_wait_dscnt 0x0
	v_cmp_lt_i32_e32 vcc_lo, -1, v23
	v_cndmask_b32_e64 v6, -1, 0x80000000, vcc_lo
	v_cmp_o_f32_e32 vcc_lo, v23, v23
	s_delay_alu instid0(VALU_DEP_2) | instskip(NEXT) | instid1(VALU_DEP_1)
	v_xor_b32_e32 v6, v6, v23
	v_cndmask_b32_e32 v6, -1, v6, vcc_lo
	s_delay_alu instid0(VALU_DEP_1) | instskip(NEXT) | instid1(VALU_DEP_1)
	v_and_b32_e32 v6, v6, v11
	v_cmp_eq_u32_e32 vcc_lo, v6, v10
	s_and_b32 exec_lo, exec_lo, vcc_lo
	s_cbranch_execz .LBB195_139
; %bb.144:                              ;   in Loop: Header=BB195_142 Depth=2
	ds_store_b64 v3, v[22:23] offset:3072
	s_branch .LBB195_139
.LBB195_145:                            ;   in Loop: Header=BB195_142 Depth=2
	s_mov_b32 s42, -1
	s_mov_b32 s41, -1
                                        ; implicit-def: $vgpr8_vgpr9
                                        ; implicit-def: $vgpr24
	s_branch .LBB195_141
.LBB195_146:                            ;   in Loop: Header=BB195_10 Depth=1
                                        ; implicit-def: $sgpr22_sgpr23
	s_branch .LBB195_88
.LBB195_147:                            ;   in Loop: Header=BB195_10 Depth=1
                                        ; implicit-def: $sgpr10_sgpr11
	s_branch .LBB195_106
.LBB195_148:                            ;   in Loop: Header=BB195_10 Depth=1
	s_or_b32 exec_lo, exec_lo, s22
	s_delay_alu instid0(SALU_CYCLE_1)
	s_and_b32 s22, s40, exec_lo
.LBB195_149:                            ;   in Loop: Header=BB195_10 Depth=1
	s_or_b32 exec_lo, exec_lo, s28
.LBB195_150:                            ;   in Loop: Header=BB195_10 Depth=1
	s_delay_alu instid0(SALU_CYCLE_1)
	s_and_b32 vcc_lo, exec_lo, s23
	s_cbranch_vccz .LBB195_165
; %bb.151:                              ;   in Loop: Header=BB195_10 Depth=1
	s_and_b64 s[10:11], s[66:67], 0xffffffff00000000
	s_delay_alu instid0(SALU_CYCLE_1)
	s_cmp_lg_u64 s[10:11], 0
	s_cbranch_scc0 .LBB195_194
; %bb.152:                              ;   in Loop: Header=BB195_10 Depth=1
	s_cvt_f32_u32 s10, s48
	s_sub_nc_u64 s[20:21], 0, s[48:49]
	s_delay_alu instid0(SALU_CYCLE_2) | instskip(NEXT) | instid1(SALU_CYCLE_3)
	s_fmamk_f32 s10, s98, 0x0, s10
	v_s_rcp_f32 s10, s10
	s_delay_alu instid0(TRANS32_DEP_1) | instskip(NEXT) | instid1(SALU_CYCLE_3)
	s_mul_f32 s10, s10, 0x5f7ffffc
	s_mul_f32 s11, s10, 0x2f800000
	s_delay_alu instid0(SALU_CYCLE_3) | instskip(NEXT) | instid1(SALU_CYCLE_3)
	s_trunc_f32 s11, s11
	s_fmamk_f32 s10, s11, 0xcf800000, s10
	s_cvt_u32_f32 s11, s11
	s_delay_alu instid0(SALU_CYCLE_2) | instskip(NEXT) | instid1(SALU_CYCLE_3)
	s_cvt_u32_f32 s10, s10
	s_mul_u64 s[40:41], s[20:21], s[10:11]
	s_delay_alu instid0(SALU_CYCLE_1)
	s_mul_hi_u32 s43, s10, s41
	s_mul_i32 s42, s10, s41
	s_mul_hi_u32 s28, s10, s40
	s_mul_i32 s44, s11, s40
	s_add_nc_u64 s[42:43], s[28:29], s[42:43]
	s_mul_hi_u32 s23, s11, s40
	s_mul_hi_u32 s45, s11, s41
	s_add_co_u32 s28, s42, s44
	s_add_co_ci_u32 s28, s43, s23
	s_mul_i32 s40, s11, s41
	s_add_co_ci_u32 s41, s45, 0
	s_delay_alu instid0(SALU_CYCLE_1) | instskip(NEXT) | instid1(SALU_CYCLE_1)
	s_add_nc_u64 s[40:41], s[28:29], s[40:41]
	s_add_co_u32 s10, s10, s40
	s_cselect_b32 s23, -1, 0
	s_delay_alu instid0(SALU_CYCLE_1) | instskip(SKIP_1) | instid1(SALU_CYCLE_1)
	s_cmp_lg_u32 s23, 0
	s_add_co_ci_u32 s11, s11, s41
	s_mul_u64 s[20:21], s[20:21], s[10:11]
	s_delay_alu instid0(SALU_CYCLE_1)
	s_mul_hi_u32 s41, s10, s21
	s_mul_i32 s40, s10, s21
	s_mul_hi_u32 s28, s10, s20
	s_mul_i32 s42, s11, s20
	s_add_nc_u64 s[40:41], s[28:29], s[40:41]
	s_mul_hi_u32 s23, s11, s20
	s_mul_hi_u32 s43, s11, s21
	s_mul_i32 s20, s11, s21
	s_add_co_u32 s21, s40, s42
	s_add_co_ci_u32 s28, s41, s23
	s_add_co_ci_u32 s21, s43, 0
	s_delay_alu instid0(SALU_CYCLE_1) | instskip(NEXT) | instid1(SALU_CYCLE_1)
	s_add_nc_u64 s[20:21], s[28:29], s[20:21]
	s_add_co_u32 s10, s10, s20
	s_cselect_b32 s20, -1, 0
	s_mul_hi_u32 s28, s66, s10
	s_cmp_lg_u32 s20, 0
	s_mul_hi_u32 s23, s67, s10
	s_add_co_ci_u32 s20, s11, s21
	s_mul_i32 s21, s67, s10
	s_mul_hi_u32 s11, s66, s20
	s_mul_i32 s10, s66, s20
	s_mul_hi_u32 s40, s67, s20
	s_add_nc_u64 s[10:11], s[28:29], s[10:11]
	s_mul_i32 s20, s67, s20
	s_add_co_u32 s10, s10, s21
	s_add_co_ci_u32 s28, s11, s23
	s_add_co_ci_u32 s21, s40, 0
	s_delay_alu instid0(SALU_CYCLE_1) | instskip(NEXT) | instid1(SALU_CYCLE_1)
	s_add_nc_u64 s[10:11], s[28:29], s[20:21]
	s_and_b64 s[20:21], s[10:11], 0xffffffff00000000
	s_delay_alu instid0(SALU_CYCLE_1) | instskip(NEXT) | instid1(SALU_CYCLE_1)
	s_or_b32 s20, s20, s10
	s_mul_u64 s[10:11], s[48:49], s[20:21]
	s_delay_alu instid0(SALU_CYCLE_1) | instskip(SKIP_1) | instid1(SALU_CYCLE_1)
	s_sub_co_u32 s10, s66, s10
	s_cselect_b32 s20, -1, 0
	s_cmp_lg_u32 s20, 0
	s_sub_co_ci_u32 s11, s67, s11
	s_sub_co_u32 s20, s10, s48
	s_cselect_b32 s21, -1, 0
	s_delay_alu instid0(SALU_CYCLE_1) | instskip(SKIP_3) | instid1(SALU_CYCLE_1)
	s_cmp_lg_u32 s21, 0
	s_sub_co_ci_u32 s21, s11, 0
	s_sub_co_u32 s23, s20, s48
	s_cselect_b32 s28, -1, 0
	s_cmp_lg_u32 s28, 0
	s_sub_co_ci_u32 s28, s21, 0
	s_cmp_ge_u32 s20, s48
	s_cselect_b32 s40, -1, 0
	s_cmp_eq_u32 s21, 0
	s_cselect_b32 s40, s40, -1
	s_delay_alu instid0(SALU_CYCLE_1)
	s_cmp_lg_u32 s40, 0
	s_cselect_b32 s21, s28, s21
	s_cselect_b32 s20, s23, s20
	s_cmp_ge_u32 s10, s48
	s_cselect_b32 s23, -1, 0
	s_cmp_eq_u32 s11, 0
	s_cselect_b32 s23, s23, -1
	s_delay_alu instid0(SALU_CYCLE_1)
	s_cmp_lg_u32 s23, 0
	s_cselect_b32 s11, s21, s11
	s_cselect_b32 s10, s20, s10
	s_cbranch_execnz .LBB195_154
.LBB195_153:                            ;   in Loop: Header=BB195_10 Depth=1
	v_cvt_f32_u32_e32 v6, s48
	s_sub_co_i32 s11, 0, s48
	s_delay_alu instid0(VALU_DEP_1) | instskip(SKIP_1) | instid1(TRANS32_DEP_1)
	v_rcp_iflag_f32_e32 v6, v6
	v_nop
	v_mul_f32_e32 v6, 0x4f7ffffe, v6
	s_delay_alu instid0(VALU_DEP_1) | instskip(NEXT) | instid1(VALU_DEP_1)
	v_cvt_u32_f32_e32 v6, v6
	v_readfirstlane_b32 s10, v6
	s_mul_i32 s11, s11, s10
	s_delay_alu instid0(SALU_CYCLE_1) | instskip(NEXT) | instid1(SALU_CYCLE_1)
	s_mul_hi_u32 s11, s10, s11
	s_add_co_i32 s10, s10, s11
	s_delay_alu instid0(SALU_CYCLE_1) | instskip(NEXT) | instid1(SALU_CYCLE_1)
	s_mul_hi_u32 s10, s66, s10
	s_mul_i32 s10, s10, s48
	s_delay_alu instid0(SALU_CYCLE_1) | instskip(NEXT) | instid1(SALU_CYCLE_1)
	s_sub_co_i32 s10, s66, s10
	s_sub_co_i32 s11, s10, s48
	s_cmp_ge_u32 s10, s48
	s_cselect_b32 s10, s11, s10
	s_delay_alu instid0(SALU_CYCLE_1) | instskip(SKIP_2) | instid1(SALU_CYCLE_1)
	s_sub_co_i32 s11, s10, s48
	s_cmp_ge_u32 s10, s48
	s_cselect_b32 s28, s11, s10
	s_mov_b64 s[10:11], s[28:29]
.LBB195_154:                            ;   in Loop: Header=BB195_10 Depth=1
	s_delay_alu instid0(SALU_CYCLE_1)
	s_sub_nc_u64 s[10:11], s[66:67], s[10:11]
	s_mov_b32 s20, exec_lo
                                        ; implicit-def: $vgpr7
	v_nop
	v_cmpx_gt_u64_e64 s[10:11], v[0:1]
	s_cbranch_execz .LBB195_164
; %bb.155:                              ;   in Loop: Header=BB195_10 Depth=1
	v_mov_b64_e32 v[8:9], v[0:1]
	s_mov_b32 s21, 0
                                        ; implicit-def: $sgpr23
	s_branch .LBB195_159
.LBB195_156:                            ;   in Loop: Header=BB195_159 Depth=2
	s_or_b32 exec_lo, exec_lo, s28
	s_wait_dscnt 0x0
	s_barrier_signal -1
	s_barrier_wait -1
	ds_load_b64 v[6:7], v3 offset:3072
	s_wait_dscnt 0x0
	s_barrier_signal -1
	s_barrier_wait -1
	v_cmp_eq_f32_e32 vcc_lo, 0, v6
	s_cbranch_vccz .LBB195_162
; %bb.157:                              ;   in Loop: Header=BB195_159 Depth=2
	v_add_nc_u64_e32 v[8:9], s[48:49], v[8:9]
	s_mov_b32 s28, 0
	s_delay_alu instid0(VALU_DEP_1)
	v_cmp_le_u64_e32 vcc_lo, s[10:11], v[8:9]
	s_or_not1_b32 s40, vcc_lo, exec_lo
.LBB195_158:                            ;   in Loop: Header=BB195_159 Depth=2
	s_delay_alu instid0(SALU_CYCLE_1) | instskip(NEXT) | instid1(SALU_CYCLE_1)
	s_and_b32 s4, exec_lo, s40
	s_or_b32 s21, s4, s21
	s_and_not1_b32 s4, s23, exec_lo
	s_and_b32 s8, s28, exec_lo
	s_delay_alu instid0(SALU_CYCLE_1)
	s_or_b32 s23, s4, s8
	s_and_not1_b32 exec_lo, exec_lo, s21
	s_cbranch_execz .LBB195_163
.LBB195_159:                            ;   Parent Loop BB195_10 Depth=1
                                        ; =>  This Inner Loop Header: Depth=2
	s_mov_b32 s28, exec_lo
	s_delay_alu instid0(VALU_DEP_1)
	v_cmpx_gt_u64_e64 s[36:37], v[8:9]
	s_cbranch_execz .LBB195_156
; %bb.160:                              ;   in Loop: Header=BB195_159 Depth=2
	v_mul_u64_e32 v[6:7], s[30:31], v[8:9]
	s_delay_alu instid0(VALU_DEP_1)
	v_lshl_add_u64 v[6:7], v[6:7], 2, s[34:35]
	global_load_b32 v23, v[6:7], off
	s_wait_loadcnt 0x0
	v_cmp_lt_i32_e32 vcc_lo, -1, v23
	s_wait_xcnt 0x0
	v_cndmask_b32_e64 v6, -1, 0x80000000, vcc_lo
	v_cmp_o_f32_e32 vcc_lo, v23, v23
	s_delay_alu instid0(VALU_DEP_2) | instskip(NEXT) | instid1(VALU_DEP_1)
	v_xor_b32_e32 v6, v6, v23
	v_cndmask_b32_e32 v6, -1, v6, vcc_lo
	s_delay_alu instid0(VALU_DEP_1) | instskip(NEXT) | instid1(VALU_DEP_1)
	v_and_b32_e32 v6, v6, v11
	v_cmp_eq_u32_e32 vcc_lo, v6, v10
	s_and_b32 exec_lo, exec_lo, vcc_lo
	s_cbranch_execz .LBB195_156
; %bb.161:                              ;   in Loop: Header=BB195_159 Depth=2
	ds_store_b64 v3, v[22:23] offset:3072
	s_branch .LBB195_156
.LBB195_162:                            ;   in Loop: Header=BB195_159 Depth=2
	s_mov_b32 s40, -1
	s_mov_b32 s28, -1
                                        ; implicit-def: $vgpr8_vgpr9
	s_branch .LBB195_158
.LBB195_163:                            ;   in Loop: Header=BB195_10 Depth=1
	s_or_b32 exec_lo, exec_lo, s21
	s_delay_alu instid0(SALU_CYCLE_1) | instskip(SKIP_1) | instid1(SALU_CYCLE_1)
	s_and_not1_b32 s4, s22, exec_lo
	s_and_b32 s8, s23, exec_lo
	s_or_b32 s22, s4, s8
.LBB195_164:                            ;   in Loop: Header=BB195_10 Depth=1
	s_or_b32 exec_lo, exec_lo, s20
	s_mov_b32 s74, 0
	s_mov_b32 s79, -1
.LBB195_165:                            ;   in Loop: Header=BB195_10 Depth=1
	s_or_not1_b32 s10, s22, exec_lo
.LBB195_166:                            ;   in Loop: Header=BB195_10 Depth=1
	s_or_b32 exec_lo, exec_lo, s80
	s_mov_b32 s11, 0
	s_and_saveexec_b32 s80, s10
	s_cbranch_execz .LBB195_279
; %bb.167:                              ;   in Loop: Header=BB195_10 Depth=1
	v_mov_b64_e32 v[8:9], 1
	v_mov_b32_e32 v2, 1
	s_xor_b32 s20, s81, -1
	s_delay_alu instid0(SALU_CYCLE_1)
	s_and_saveexec_b32 s10, s20
	s_cbranch_execz .LBB195_176
; %bb.168:                              ;   in Loop: Header=BB195_10 Depth=1
	s_mov_b32 s11, exec_lo
	v_cmpx_ge_u64_e64 s[14:15], v[4:5]
	s_xor_b32 s11, exec_lo, s11
	s_cbranch_execz .LBB195_173
; %bb.169:                              ;   in Loop: Header=BB195_10 Depth=1
	ds_load_b64 v[8:9], v3 offset:5120
	s_lshl_b32 s20, 1, s96
	v_or_b32_e32 v11, s24, v11
	v_and_or_b32 v10, v10, s25, s20
	s_wait_dscnt 0x0
	v_cmp_ne_u64_e32 vcc_lo, 0, v[8:9]
	s_cbranch_vccnz .LBB195_173
; %bb.170:                              ;   in Loop: Header=BB195_10 Depth=1
	s_and_saveexec_b32 s20, s5
; %bb.171:                              ;   in Loop: Header=BB195_10 Depth=1
	v_mov_b64_e32 v[8:9], s[14:15]
	ds_store_b64 v3, v[8:9] offset:5128
; %bb.172:                              ;   in Loop: Header=BB195_10 Depth=1
	s_or_b32 exec_lo, exec_lo, s20
	s_wait_dscnt 0x0
	s_barrier_signal -1
	s_barrier_wait -1
.LBB195_173:                            ;   in Loop: Header=BB195_10 Depth=1
	s_or_saveexec_b32 s11, s11
	v_mov_b32_e32 v2, 8
	s_mov_b32 s20, 0
	s_xor_b32 exec_lo, exec_lo, s11
; %bb.174:                              ;   in Loop: Header=BB195_10 Depth=1
	v_sub_nc_u64_e64 v[4:5], v[4:5], s[14:15]
	v_mov_b32_e32 v2, 0
	s_mov_b32 s20, exec_lo
; %bb.175:                              ;   in Loop: Header=BB195_10 Depth=1
	s_or_b32 exec_lo, exec_lo, s11
	s_delay_alu instid0(VALU_DEP_2)
	v_mov_b64_e32 v[8:9], v[4:5]
	s_and_b32 s11, s20, exec_lo
.LBB195_176:                            ;   in Loop: Header=BB195_10 Depth=1
	s_or_b32 exec_lo, exec_lo, s10
	s_mov_b32 s10, -1
                                        ; implicit-def: $sgpr82
                                        ; implicit-def: $sgpr83
	s_and_saveexec_b32 s81, s11
	s_cbranch_execz .LBB195_278
; %bb.177:                              ;   in Loop: Header=BB195_10 Depth=1
	s_delay_alu instid0(VALU_DEP_1) | instskip(SKIP_2) | instid1(SALU_CYCLE_1)
	v_cmp_eq_u64_e32 vcc_lo, 1, v[8:9]
	s_cmp_eq_u64 s[16:17], 1
                                        ; implicit-def: $sgpr83
                                        ; implicit-def: $sgpr82
	s_cselect_b32 s10, -1, 0
	s_and_b32 s85, s10, vcc_lo
	s_mov_b32 s10, -1
	s_and_saveexec_b32 s84, s85
	s_cbranch_execz .LBB195_213
; %bb.178:                              ;   in Loop: Header=BB195_10 Depth=1
	ds_load_b64 v[4:5], v3 offset:5120
	s_wait_dscnt 0x0
	s_barrier_signal -1
	s_barrier_wait -1
	v_readfirstlane_b32 s10, v4
	v_readfirstlane_b32 s11, v5
	s_and_saveexec_b32 s20, s6
; %bb.179:                              ;   in Loop: Header=BB195_10 Depth=1
	ds_store_b32 v32, v3
; %bb.180:                              ;   in Loop: Header=BB195_10 Depth=1
	s_or_b32 exec_lo, exec_lo, s20
	s_lshl_b32 s20, 2, s96
	v_or_b32_e32 v11, s24, v11
	v_and_or_b32 v10, v10, s25, s20
	s_mov_b32 s82, -1
	s_mov_b32 s83, 0
	s_cmp_eq_u64 s[10:11], 0
	s_mov_b32 s22, 0
	s_mov_b32 s23, -1
	s_wait_dscnt 0x0
	s_barrier_signal -1
	s_barrier_wait -1
                                        ; implicit-def: $vgpr7
	s_cbranch_scc1 .LBB195_197
; %bb.181:                              ;   in Loop: Header=BB195_10 Depth=1
	s_add_nc_u64 s[20:21], s[10:11], s[64:65]
	s_delay_alu instid0(SALU_CYCLE_1) | instskip(NEXT) | instid1(SALU_CYCLE_1)
	s_and_b64 s[22:23], s[20:21], 0xffffffff00000000
	s_cmp_lg_u64 s[22:23], 0
	s_cbranch_scc0 .LBB195_230
; %bb.182:                              ;   in Loop: Header=BB195_10 Depth=1
	s_cvt_f32_u32 s22, s48
	s_sub_nc_u64 s[40:41], 0, s[48:49]
	s_delay_alu instid0(SALU_CYCLE_2) | instskip(NEXT) | instid1(SALU_CYCLE_3)
	s_fmamk_f32 s22, s98, 0x0, s22
	v_s_rcp_f32 s22, s22
	s_delay_alu instid0(TRANS32_DEP_1) | instskip(NEXT) | instid1(SALU_CYCLE_3)
	s_mul_f32 s22, s22, 0x5f7ffffc
	s_mul_f32 s23, s22, 0x2f800000
	s_delay_alu instid0(SALU_CYCLE_3) | instskip(NEXT) | instid1(SALU_CYCLE_3)
	s_trunc_f32 s23, s23
	s_fmamk_f32 s22, s23, 0xcf800000, s22
	s_cvt_u32_f32 s23, s23
	s_delay_alu instid0(SALU_CYCLE_2) | instskip(NEXT) | instid1(SALU_CYCLE_3)
	s_cvt_u32_f32 s22, s22
	s_mul_u64 s[42:43], s[40:41], s[22:23]
	s_delay_alu instid0(SALU_CYCLE_1)
	s_mul_hi_u32 s87, s22, s43
	s_mul_i32 s86, s22, s43
	s_mul_hi_u32 s28, s22, s42
	s_mul_i32 s45, s23, s42
	s_add_nc_u64 s[86:87], s[28:29], s[86:87]
	s_mul_hi_u32 s44, s23, s42
	s_mul_hi_u32 s46, s23, s43
	s_add_co_u32 s28, s86, s45
	s_add_co_ci_u32 s28, s87, s44
	s_mul_i32 s42, s23, s43
	s_add_co_ci_u32 s43, s46, 0
	s_delay_alu instid0(SALU_CYCLE_1) | instskip(NEXT) | instid1(SALU_CYCLE_1)
	s_add_nc_u64 s[42:43], s[28:29], s[42:43]
	s_add_co_u32 s22, s22, s42
	s_cselect_b32 s28, -1, 0
	s_delay_alu instid0(SALU_CYCLE_1) | instskip(SKIP_1) | instid1(SALU_CYCLE_1)
	s_cmp_lg_u32 s28, 0
	s_add_co_ci_u32 s23, s23, s43
	s_mul_u64 s[40:41], s[40:41], s[22:23]
	s_delay_alu instid0(SALU_CYCLE_1)
	s_mul_hi_u32 s43, s22, s41
	s_mul_i32 s42, s22, s41
	s_mul_hi_u32 s28, s22, s40
	s_mul_i32 s45, s23, s40
	s_add_nc_u64 s[42:43], s[28:29], s[42:43]
	s_mul_hi_u32 s44, s23, s40
	s_mul_hi_u32 s46, s23, s41
	s_add_co_u32 s28, s42, s45
	s_add_co_ci_u32 s28, s43, s44
	s_mul_i32 s40, s23, s41
	s_add_co_ci_u32 s41, s46, 0
	s_delay_alu instid0(SALU_CYCLE_1) | instskip(NEXT) | instid1(SALU_CYCLE_1)
	s_add_nc_u64 s[40:41], s[28:29], s[40:41]
	s_add_co_u32 s22, s22, s40
	s_cselect_b32 s40, -1, 0
	s_mul_hi_u32 s28, s20, s22
	s_cmp_lg_u32 s40, 0
	s_mul_hi_u32 s42, s21, s22
	s_add_co_ci_u32 s40, s23, s41
	s_mul_i32 s41, s21, s22
	s_mul_hi_u32 s23, s20, s40
	s_mul_i32 s22, s20, s40
	s_mul_hi_u32 s43, s21, s40
	s_add_nc_u64 s[22:23], s[28:29], s[22:23]
	s_mul_i32 s40, s21, s40
	s_add_co_u32 s22, s22, s41
	s_add_co_ci_u32 s28, s23, s42
	s_add_co_ci_u32 s41, s43, 0
	s_delay_alu instid0(SALU_CYCLE_1) | instskip(NEXT) | instid1(SALU_CYCLE_1)
	s_add_nc_u64 s[22:23], s[28:29], s[40:41]
	s_and_b64 s[40:41], s[22:23], 0xffffffff00000000
	s_delay_alu instid0(SALU_CYCLE_1) | instskip(NEXT) | instid1(SALU_CYCLE_1)
	s_or_b32 s40, s40, s22
	s_mul_u64 s[22:23], s[48:49], s[40:41]
	s_delay_alu instid0(SALU_CYCLE_1) | instskip(SKIP_1) | instid1(SALU_CYCLE_1)
	s_sub_co_u32 s22, s20, s22
	s_cselect_b32 s28, -1, 0
	s_cmp_lg_u32 s28, 0
	s_sub_co_ci_u32 s23, s21, s23
	s_sub_co_u32 s28, s22, s48
	s_cselect_b32 s40, -1, 0
	s_delay_alu instid0(SALU_CYCLE_1) | instskip(SKIP_3) | instid1(SALU_CYCLE_1)
	s_cmp_lg_u32 s40, 0
	s_sub_co_ci_u32 s40, s23, 0
	s_sub_co_u32 s41, s28, s48
	s_cselect_b32 s42, -1, 0
	s_cmp_lg_u32 s42, 0
	s_sub_co_ci_u32 s42, s40, 0
	s_cmp_ge_u32 s28, s48
	s_cselect_b32 s43, -1, 0
	s_cmp_eq_u32 s40, 0
	s_cselect_b32 s43, s43, -1
	s_delay_alu instid0(SALU_CYCLE_1)
	s_cmp_lg_u32 s43, 0
	s_cselect_b32 s40, s42, s40
	s_cselect_b32 s28, s41, s28
	s_cmp_ge_u32 s22, s48
	s_cselect_b32 s41, -1, 0
	s_cmp_eq_u32 s23, 0
	s_cselect_b32 s41, s41, -1
	s_delay_alu instid0(SALU_CYCLE_1)
	s_cmp_lg_u32 s41, 0
	s_cselect_b32 s23, s40, s23
	s_cselect_b32 s22, s28, s22
	s_cbranch_execnz .LBB195_184
.LBB195_183:                            ;   in Loop: Header=BB195_10 Depth=1
	v_cvt_f32_u32_e32 v4, s48
	s_sub_co_i32 s23, 0, s48
	s_delay_alu instid0(VALU_DEP_1) | instskip(SKIP_1) | instid1(TRANS32_DEP_1)
	v_rcp_iflag_f32_e32 v4, v4
	v_nop
	v_mul_f32_e32 v4, 0x4f7ffffe, v4
	s_delay_alu instid0(VALU_DEP_1) | instskip(NEXT) | instid1(VALU_DEP_1)
	v_cvt_u32_f32_e32 v4, v4
	v_readfirstlane_b32 s22, v4
	s_mul_i32 s23, s23, s22
	s_delay_alu instid0(SALU_CYCLE_1) | instskip(NEXT) | instid1(SALU_CYCLE_1)
	s_mul_hi_u32 s23, s22, s23
	s_add_co_i32 s22, s22, s23
	s_delay_alu instid0(SALU_CYCLE_1) | instskip(NEXT) | instid1(SALU_CYCLE_1)
	s_mul_hi_u32 s22, s20, s22
	s_mul_i32 s22, s22, s48
	s_delay_alu instid0(SALU_CYCLE_1) | instskip(NEXT) | instid1(SALU_CYCLE_1)
	s_sub_co_i32 s22, s20, s22
	s_sub_co_i32 s23, s22, s48
	s_cmp_ge_u32 s22, s48
	s_cselect_b32 s22, s23, s22
	s_delay_alu instid0(SALU_CYCLE_1) | instskip(SKIP_2) | instid1(SALU_CYCLE_1)
	s_sub_co_i32 s23, s22, s48
	s_cmp_ge_u32 s22, s48
	s_cselect_b32 s28, s23, s22
	s_mov_b64 s[22:23], s[28:29]
.LBB195_184:                            ;   in Loop: Header=BB195_10 Depth=1
	s_delay_alu instid0(SALU_CYCLE_1)
	s_sub_nc_u64 s[20:21], s[20:21], s[22:23]
	s_mov_b32 s23, 0
	s_mov_b32 s22, 0
	s_mov_b32 s28, exec_lo
                                        ; implicit-def: $vgpr7
	v_cmpx_gt_u64_e64 s[20:21], v[0:1]
	s_cbranch_execz .LBB195_196
; %bb.185:                              ;   in Loop: Header=BB195_10 Depth=1
	v_mov_b64_e32 v[4:5], v[0:1]
	v_mov_b32_e32 v24, v16
                                        ; implicit-def: $sgpr40
	s_branch .LBB195_189
.LBB195_186:                            ;   in Loop: Header=BB195_189 Depth=2
	s_or_b32 exec_lo, exec_lo, s41
	s_wait_dscnt 0x0
	s_barrier_signal -1
	s_barrier_wait -1
	ds_load_b64 v[6:7], v3 offset:3072
	s_wait_dscnt 0x0
	s_barrier_signal -1
	s_barrier_wait -1
	v_cmp_neq_f32_e32 vcc_lo, 0, v6
	s_cbranch_vccnz .LBB195_192
; %bb.187:                              ;   in Loop: Header=BB195_189 Depth=2
	v_add_nc_u64_e32 v[4:5], s[48:49], v[4:5]
	v_add_nc_u32_e32 v24, s95, v24
	s_mov_b32 s41, 0
	s_delay_alu instid0(VALU_DEP_2)
	v_cmp_le_u64_e32 vcc_lo, s[20:21], v[4:5]
	s_or_not1_b32 s42, vcc_lo, exec_lo
.LBB195_188:                            ;   in Loop: Header=BB195_189 Depth=2
	s_delay_alu instid0(SALU_CYCLE_1) | instskip(NEXT) | instid1(SALU_CYCLE_1)
	s_and_b32 s4, exec_lo, s42
	s_or_b32 s22, s4, s22
	s_and_not1_b32 s4, s40, exec_lo
	s_and_b32 s8, s41, exec_lo
	s_delay_alu instid0(SALU_CYCLE_1)
	s_or_b32 s40, s4, s8
	s_and_not1_b32 exec_lo, exec_lo, s22
	s_cbranch_execz .LBB195_195
.LBB195_189:                            ;   Parent Loop BB195_10 Depth=1
                                        ; =>  This Inner Loop Header: Depth=2
	s_mov_b32 s41, exec_lo
	s_delay_alu instid0(VALU_DEP_2)
	v_cmpx_gt_u64_e64 s[10:11], v[4:5]
	s_cbranch_execz .LBB195_186
; %bb.190:                              ;   in Loop: Header=BB195_189 Depth=2
	ds_load_b32 v23, v24
	s_wait_dscnt 0x0
	v_cmp_lt_i32_e32 vcc_lo, -1, v23
	v_cndmask_b32_e64 v6, -1, 0x80000000, vcc_lo
	v_cmp_o_f32_e32 vcc_lo, v23, v23
	s_delay_alu instid0(VALU_DEP_2) | instskip(NEXT) | instid1(VALU_DEP_1)
	v_xor_b32_e32 v6, v6, v23
	v_cndmask_b32_e32 v6, -1, v6, vcc_lo
	s_delay_alu instid0(VALU_DEP_1) | instskip(NEXT) | instid1(VALU_DEP_1)
	v_and_b32_e32 v6, v6, v11
	v_cmp_eq_u32_e32 vcc_lo, v6, v10
	s_and_b32 exec_lo, exec_lo, vcc_lo
	s_cbranch_execz .LBB195_186
; %bb.191:                              ;   in Loop: Header=BB195_189 Depth=2
	ds_store_b64 v3, v[22:23] offset:3072
	s_branch .LBB195_186
.LBB195_192:                            ;   in Loop: Header=BB195_189 Depth=2
	s_mov_b32 s42, -1
	s_mov_b32 s41, -1
                                        ; implicit-def: $vgpr4_vgpr5
                                        ; implicit-def: $vgpr24
	s_branch .LBB195_188
.LBB195_193:                            ;   in Loop: Header=BB195_10 Depth=1
                                        ; implicit-def: $sgpr22_sgpr23
	s_branch .LBB195_136
.LBB195_194:                            ;   in Loop: Header=BB195_10 Depth=1
                                        ; implicit-def: $sgpr10_sgpr11
	s_branch .LBB195_153
.LBB195_195:                            ;   in Loop: Header=BB195_10 Depth=1
	s_or_b32 exec_lo, exec_lo, s22
	s_delay_alu instid0(SALU_CYCLE_1)
	s_and_b32 s22, s40, exec_lo
.LBB195_196:                            ;   in Loop: Header=BB195_10 Depth=1
	s_or_b32 exec_lo, exec_lo, s28
.LBB195_197:                            ;   in Loop: Header=BB195_10 Depth=1
	s_delay_alu instid0(SALU_CYCLE_1)
	s_and_b32 vcc_lo, exec_lo, s23
	s_cbranch_vccz .LBB195_212
; %bb.198:                              ;   in Loop: Header=BB195_10 Depth=1
	s_and_b64 s[10:11], s[66:67], 0xffffffff00000000
	s_delay_alu instid0(SALU_CYCLE_1)
	s_cmp_lg_u64 s[10:11], 0
	s_cbranch_scc0 .LBB195_231
; %bb.199:                              ;   in Loop: Header=BB195_10 Depth=1
	s_cvt_f32_u32 s10, s48
	s_sub_nc_u64 s[20:21], 0, s[48:49]
	s_delay_alu instid0(SALU_CYCLE_2) | instskip(NEXT) | instid1(SALU_CYCLE_3)
	s_fmamk_f32 s10, s98, 0x0, s10
	v_s_rcp_f32 s10, s10
	s_delay_alu instid0(TRANS32_DEP_1) | instskip(NEXT) | instid1(SALU_CYCLE_3)
	s_mul_f32 s10, s10, 0x5f7ffffc
	s_mul_f32 s11, s10, 0x2f800000
	s_delay_alu instid0(SALU_CYCLE_3) | instskip(NEXT) | instid1(SALU_CYCLE_3)
	s_trunc_f32 s11, s11
	s_fmamk_f32 s10, s11, 0xcf800000, s10
	s_cvt_u32_f32 s11, s11
	s_delay_alu instid0(SALU_CYCLE_2) | instskip(NEXT) | instid1(SALU_CYCLE_3)
	s_cvt_u32_f32 s10, s10
	s_mul_u64 s[40:41], s[20:21], s[10:11]
	s_delay_alu instid0(SALU_CYCLE_1)
	s_mul_hi_u32 s43, s10, s41
	s_mul_i32 s42, s10, s41
	s_mul_hi_u32 s28, s10, s40
	s_mul_i32 s44, s11, s40
	s_add_nc_u64 s[42:43], s[28:29], s[42:43]
	s_mul_hi_u32 s23, s11, s40
	s_mul_hi_u32 s45, s11, s41
	s_add_co_u32 s28, s42, s44
	s_add_co_ci_u32 s28, s43, s23
	s_mul_i32 s40, s11, s41
	s_add_co_ci_u32 s41, s45, 0
	s_delay_alu instid0(SALU_CYCLE_1) | instskip(NEXT) | instid1(SALU_CYCLE_1)
	s_add_nc_u64 s[40:41], s[28:29], s[40:41]
	s_add_co_u32 s10, s10, s40
	s_cselect_b32 s23, -1, 0
	s_delay_alu instid0(SALU_CYCLE_1) | instskip(SKIP_1) | instid1(SALU_CYCLE_1)
	s_cmp_lg_u32 s23, 0
	s_add_co_ci_u32 s11, s11, s41
	s_mul_u64 s[20:21], s[20:21], s[10:11]
	s_delay_alu instid0(SALU_CYCLE_1)
	s_mul_hi_u32 s41, s10, s21
	s_mul_i32 s40, s10, s21
	s_mul_hi_u32 s28, s10, s20
	s_mul_i32 s42, s11, s20
	s_add_nc_u64 s[40:41], s[28:29], s[40:41]
	s_mul_hi_u32 s23, s11, s20
	s_mul_hi_u32 s43, s11, s21
	s_mul_i32 s20, s11, s21
	s_add_co_u32 s21, s40, s42
	s_add_co_ci_u32 s28, s41, s23
	s_add_co_ci_u32 s21, s43, 0
	s_delay_alu instid0(SALU_CYCLE_1) | instskip(NEXT) | instid1(SALU_CYCLE_1)
	s_add_nc_u64 s[20:21], s[28:29], s[20:21]
	s_add_co_u32 s10, s10, s20
	s_cselect_b32 s20, -1, 0
	s_mul_hi_u32 s28, s66, s10
	s_cmp_lg_u32 s20, 0
	s_mul_hi_u32 s23, s67, s10
	s_add_co_ci_u32 s20, s11, s21
	s_mul_i32 s21, s67, s10
	s_mul_hi_u32 s11, s66, s20
	s_mul_i32 s10, s66, s20
	s_mul_hi_u32 s40, s67, s20
	s_add_nc_u64 s[10:11], s[28:29], s[10:11]
	s_mul_i32 s20, s67, s20
	s_add_co_u32 s10, s10, s21
	s_add_co_ci_u32 s28, s11, s23
	s_add_co_ci_u32 s21, s40, 0
	s_delay_alu instid0(SALU_CYCLE_1) | instskip(NEXT) | instid1(SALU_CYCLE_1)
	s_add_nc_u64 s[10:11], s[28:29], s[20:21]
	s_and_b64 s[20:21], s[10:11], 0xffffffff00000000
	s_delay_alu instid0(SALU_CYCLE_1) | instskip(NEXT) | instid1(SALU_CYCLE_1)
	s_or_b32 s20, s20, s10
	s_mul_u64 s[10:11], s[48:49], s[20:21]
	s_delay_alu instid0(SALU_CYCLE_1) | instskip(SKIP_1) | instid1(SALU_CYCLE_1)
	s_sub_co_u32 s10, s66, s10
	s_cselect_b32 s20, -1, 0
	s_cmp_lg_u32 s20, 0
	s_sub_co_ci_u32 s11, s67, s11
	s_sub_co_u32 s20, s10, s48
	s_cselect_b32 s21, -1, 0
	s_delay_alu instid0(SALU_CYCLE_1) | instskip(SKIP_3) | instid1(SALU_CYCLE_1)
	s_cmp_lg_u32 s21, 0
	s_sub_co_ci_u32 s21, s11, 0
	s_sub_co_u32 s23, s20, s48
	s_cselect_b32 s28, -1, 0
	s_cmp_lg_u32 s28, 0
	s_sub_co_ci_u32 s28, s21, 0
	s_cmp_ge_u32 s20, s48
	s_cselect_b32 s40, -1, 0
	s_cmp_eq_u32 s21, 0
	s_cselect_b32 s40, s40, -1
	s_delay_alu instid0(SALU_CYCLE_1)
	s_cmp_lg_u32 s40, 0
	s_cselect_b32 s21, s28, s21
	s_cselect_b32 s20, s23, s20
	s_cmp_ge_u32 s10, s48
	s_cselect_b32 s23, -1, 0
	s_cmp_eq_u32 s11, 0
	s_cselect_b32 s23, s23, -1
	s_delay_alu instid0(SALU_CYCLE_1)
	s_cmp_lg_u32 s23, 0
	s_cselect_b32 s11, s21, s11
	s_cselect_b32 s10, s20, s10
	s_cbranch_execnz .LBB195_201
.LBB195_200:                            ;   in Loop: Header=BB195_10 Depth=1
	v_cvt_f32_u32_e32 v4, s48
	s_sub_co_i32 s11, 0, s48
	s_delay_alu instid0(VALU_DEP_1) | instskip(SKIP_1) | instid1(TRANS32_DEP_1)
	v_rcp_iflag_f32_e32 v4, v4
	v_nop
	v_mul_f32_e32 v4, 0x4f7ffffe, v4
	s_delay_alu instid0(VALU_DEP_1) | instskip(NEXT) | instid1(VALU_DEP_1)
	v_cvt_u32_f32_e32 v4, v4
	v_readfirstlane_b32 s10, v4
	s_mul_i32 s11, s11, s10
	s_delay_alu instid0(SALU_CYCLE_1) | instskip(NEXT) | instid1(SALU_CYCLE_1)
	s_mul_hi_u32 s11, s10, s11
	s_add_co_i32 s10, s10, s11
	s_delay_alu instid0(SALU_CYCLE_1) | instskip(NEXT) | instid1(SALU_CYCLE_1)
	s_mul_hi_u32 s10, s66, s10
	s_mul_i32 s10, s10, s48
	s_delay_alu instid0(SALU_CYCLE_1) | instskip(NEXT) | instid1(SALU_CYCLE_1)
	s_sub_co_i32 s10, s66, s10
	s_sub_co_i32 s11, s10, s48
	s_cmp_ge_u32 s10, s48
	s_cselect_b32 s10, s11, s10
	s_delay_alu instid0(SALU_CYCLE_1) | instskip(SKIP_2) | instid1(SALU_CYCLE_1)
	s_sub_co_i32 s11, s10, s48
	s_cmp_ge_u32 s10, s48
	s_cselect_b32 s28, s11, s10
	s_mov_b64 s[10:11], s[28:29]
.LBB195_201:                            ;   in Loop: Header=BB195_10 Depth=1
	s_delay_alu instid0(SALU_CYCLE_1)
	s_sub_nc_u64 s[10:11], s[66:67], s[10:11]
	s_mov_b32 s20, exec_lo
                                        ; implicit-def: $vgpr7
	v_nop
	v_cmpx_gt_u64_e64 s[10:11], v[0:1]
	s_cbranch_execz .LBB195_211
; %bb.202:                              ;   in Loop: Header=BB195_10 Depth=1
	v_mov_b64_e32 v[4:5], v[0:1]
	s_mov_b32 s21, 0
                                        ; implicit-def: $sgpr23
	s_branch .LBB195_206
.LBB195_203:                            ;   in Loop: Header=BB195_206 Depth=2
	s_or_b32 exec_lo, exec_lo, s28
	s_wait_dscnt 0x0
	s_barrier_signal -1
	s_barrier_wait -1
	ds_load_b64 v[6:7], v3 offset:3072
	s_wait_dscnt 0x0
	s_barrier_signal -1
	s_barrier_wait -1
	v_cmp_eq_f32_e32 vcc_lo, 0, v6
	s_cbranch_vccz .LBB195_209
; %bb.204:                              ;   in Loop: Header=BB195_206 Depth=2
	v_add_nc_u64_e32 v[4:5], s[48:49], v[4:5]
	s_mov_b32 s28, 0
	s_delay_alu instid0(VALU_DEP_1)
	v_cmp_le_u64_e32 vcc_lo, s[10:11], v[4:5]
	s_or_not1_b32 s40, vcc_lo, exec_lo
.LBB195_205:                            ;   in Loop: Header=BB195_206 Depth=2
	s_delay_alu instid0(SALU_CYCLE_1) | instskip(NEXT) | instid1(SALU_CYCLE_1)
	s_and_b32 s4, exec_lo, s40
	s_or_b32 s21, s4, s21
	s_and_not1_b32 s4, s23, exec_lo
	s_and_b32 s8, s28, exec_lo
	s_delay_alu instid0(SALU_CYCLE_1)
	s_or_b32 s23, s4, s8
	s_and_not1_b32 exec_lo, exec_lo, s21
	s_cbranch_execz .LBB195_210
.LBB195_206:                            ;   Parent Loop BB195_10 Depth=1
                                        ; =>  This Inner Loop Header: Depth=2
	s_mov_b32 s28, exec_lo
	s_delay_alu instid0(VALU_DEP_1)
	v_cmpx_gt_u64_e64 s[36:37], v[4:5]
	s_cbranch_execz .LBB195_203
; %bb.207:                              ;   in Loop: Header=BB195_206 Depth=2
	v_mul_u64_e32 v[6:7], s[30:31], v[4:5]
	s_delay_alu instid0(VALU_DEP_1)
	v_lshl_add_u64 v[6:7], v[6:7], 2, s[34:35]
	global_load_b32 v23, v[6:7], off
	s_wait_loadcnt 0x0
	v_cmp_lt_i32_e32 vcc_lo, -1, v23
	s_wait_xcnt 0x0
	v_cndmask_b32_e64 v6, -1, 0x80000000, vcc_lo
	v_cmp_o_f32_e32 vcc_lo, v23, v23
	s_delay_alu instid0(VALU_DEP_2) | instskip(NEXT) | instid1(VALU_DEP_1)
	v_xor_b32_e32 v6, v6, v23
	v_cndmask_b32_e32 v6, -1, v6, vcc_lo
	s_delay_alu instid0(VALU_DEP_1) | instskip(NEXT) | instid1(VALU_DEP_1)
	v_and_b32_e32 v6, v6, v11
	v_cmp_eq_u32_e32 vcc_lo, v6, v10
	s_and_b32 exec_lo, exec_lo, vcc_lo
	s_cbranch_execz .LBB195_203
; %bb.208:                              ;   in Loop: Header=BB195_206 Depth=2
	ds_store_b64 v3, v[22:23] offset:3072
	s_branch .LBB195_203
.LBB195_209:                            ;   in Loop: Header=BB195_206 Depth=2
	s_mov_b32 s40, -1
	s_mov_b32 s28, -1
                                        ; implicit-def: $vgpr4_vgpr5
	s_branch .LBB195_205
.LBB195_210:                            ;   in Loop: Header=BB195_10 Depth=1
	s_or_b32 exec_lo, exec_lo, s21
	s_delay_alu instid0(SALU_CYCLE_1) | instskip(SKIP_1) | instid1(SALU_CYCLE_1)
	s_and_not1_b32 s4, s22, exec_lo
	s_and_b32 s8, s23, exec_lo
	s_or_b32 s22, s4, s8
.LBB195_211:                            ;   in Loop: Header=BB195_10 Depth=1
	s_or_b32 exec_lo, exec_lo, s20
	s_mov_b32 s82, 0
	s_mov_b32 s83, -1
.LBB195_212:                            ;   in Loop: Header=BB195_10 Depth=1
	s_or_not1_b32 s10, s22, exec_lo
.LBB195_213:                            ;   in Loop: Header=BB195_10 Depth=1
	s_or_b32 exec_lo, exec_lo, s84
	s_mov_b32 s11, 0
	s_and_saveexec_b32 s84, s10
	s_cbranch_execz .LBB195_277
; %bb.214:                              ;   in Loop: Header=BB195_10 Depth=1
	v_mov_b64_e32 v[4:5], 1
	v_mov_b32_e32 v2, 1
	s_xor_b32 s20, s85, -1
	s_delay_alu instid0(SALU_CYCLE_1)
	s_and_saveexec_b32 s10, s20
	s_cbranch_execz .LBB195_223
; %bb.215:                              ;   in Loop: Header=BB195_10 Depth=1
	s_mov_b32 s11, exec_lo
	v_cmpx_ge_u64_e64 s[16:17], v[8:9]
	s_xor_b32 s11, exec_lo, s11
	s_cbranch_execz .LBB195_220
; %bb.216:                              ;   in Loop: Header=BB195_10 Depth=1
	ds_load_b64 v[4:5], v3 offset:5120
	s_lshl_b32 s20, 2, s96
	v_or_b32_e32 v11, s24, v11
	v_and_or_b32 v10, v10, s25, s20
	s_wait_dscnt 0x0
	v_cmp_ne_u64_e32 vcc_lo, 0, v[4:5]
	s_cbranch_vccnz .LBB195_220
; %bb.217:                              ;   in Loop: Header=BB195_10 Depth=1
	s_and_saveexec_b32 s20, s5
; %bb.218:                              ;   in Loop: Header=BB195_10 Depth=1
	v_mov_b64_e32 v[4:5], s[16:17]
	ds_store_b64 v3, v[4:5] offset:5128
; %bb.219:                              ;   in Loop: Header=BB195_10 Depth=1
	s_or_b32 exec_lo, exec_lo, s20
	s_wait_dscnt 0x0
	s_barrier_signal -1
	s_barrier_wait -1
.LBB195_220:                            ;   in Loop: Header=BB195_10 Depth=1
	s_or_saveexec_b32 s11, s11
	v_mov_b32_e32 v2, 8
	s_mov_b32 s20, 0
	s_xor_b32 exec_lo, exec_lo, s11
; %bb.221:                              ;   in Loop: Header=BB195_10 Depth=1
	v_sub_nc_u64_e64 v[8:9], v[8:9], s[16:17]
	v_mov_b32_e32 v2, 0
	s_mov_b32 s20, exec_lo
; %bb.222:                              ;   in Loop: Header=BB195_10 Depth=1
	s_or_b32 exec_lo, exec_lo, s11
	s_delay_alu instid0(VALU_DEP_2)
	v_mov_b64_e32 v[4:5], v[8:9]
	s_and_b32 s11, s20, exec_lo
.LBB195_223:                            ;   in Loop: Header=BB195_10 Depth=1
	s_or_b32 exec_lo, exec_lo, s10
	s_mov_b32 s10, -1
                                        ; implicit-def: $sgpr41
                                        ; implicit-def: $sgpr40
	s_and_saveexec_b32 s85, s11
	s_cbranch_execz .LBB195_276
; %bb.224:                              ;   in Loop: Header=BB195_10 Depth=1
	s_delay_alu instid0(VALU_DEP_1) | instskip(SKIP_3) | instid1(SALU_CYCLE_1)
	v_cmp_eq_u64_e32 vcc_lo, 1, v[4:5]
	s_cmp_eq_u64 s[18:19], 1
	s_mov_b32 s11, -1
	s_cselect_b32 s10, -1, 0
                                        ; implicit-def: $sgpr41
                                        ; implicit-def: $sgpr40
	s_and_b32 s86, s10, vcc_lo
	s_delay_alu instid0(SALU_CYCLE_1)
	s_and_saveexec_b32 s87, s86
	s_cbranch_execz .LBB195_264
; %bb.225:                              ;   in Loop: Header=BB195_10 Depth=1
	ds_load_b64 v[6:7], v3 offset:5120
	s_wait_dscnt 0x0
	s_barrier_signal -1
	s_barrier_wait -1
	v_readfirstlane_b32 s10, v6
	v_readfirstlane_b32 s11, v7
	s_and_saveexec_b32 s20, s6
; %bb.226:                              ;   in Loop: Header=BB195_10 Depth=1
	ds_store_b32 v32, v3
; %bb.227:                              ;   in Loop: Header=BB195_10 Depth=1
	s_or_b32 exec_lo, exec_lo, s20
	v_or_b32_e32 v10, s24, v10
	v_or_b32_e32 v11, s24, v11
	s_mov_b32 s40, -1
	s_mov_b32 s41, 0
	s_cmp_eq_u64 s[10:11], 0
	s_mov_b32 s22, 0
	s_mov_b32 s23, -1
	s_wait_dscnt 0x0
	s_barrier_signal -1
	s_barrier_wait -1
                                        ; implicit-def: $vgpr7
	s_cbranch_scc1 .LBB195_246
; %bb.228:                              ;   in Loop: Header=BB195_10 Depth=1
	s_add_nc_u64 s[20:21], s[10:11], s[64:65]
	s_wait_kmcnt 0x0
	s_mov_b64 s[56:57], s[58:59]
	s_and_b64 s[22:23], s[20:21], 0xffffffff00000000
	s_mov_b64 s[58:59], s[52:53]
	s_mov_b64 s[52:53], s[54:55]
	s_mov_b32 s54, s47
	s_cmp_lg_u64 s[22:23], 0
	s_cbranch_scc0 .LBB195_232
; %bb.229:                              ;   in Loop: Header=BB195_10 Depth=1
	s_cvt_f32_u32 s22, s48
	s_sub_nc_u64 s[42:43], 0, s[48:49]
	s_delay_alu instid0(SALU_CYCLE_2) | instskip(NEXT) | instid1(SALU_CYCLE_3)
	s_fmamk_f32 s22, s98, 0x0, s22
	v_s_rcp_f32 s22, s22
	s_delay_alu instid0(TRANS32_DEP_1) | instskip(NEXT) | instid1(SALU_CYCLE_3)
	s_mul_f32 s22, s22, 0x5f7ffffc
	s_mul_f32 s23, s22, 0x2f800000
	s_delay_alu instid0(SALU_CYCLE_3) | instskip(NEXT) | instid1(SALU_CYCLE_3)
	s_trunc_f32 s23, s23
	s_fmamk_f32 s22, s23, 0xcf800000, s22
	s_cvt_u32_f32 s23, s23
	s_delay_alu instid0(SALU_CYCLE_2) | instskip(NEXT) | instid1(SALU_CYCLE_3)
	s_cvt_u32_f32 s22, s22
	s_mul_u64 s[44:45], s[42:43], s[22:23]
	s_delay_alu instid0(SALU_CYCLE_1)
	s_mul_hi_u32 s47, s22, s45
	s_mul_i32 s46, s22, s45
	s_mul_hi_u32 s28, s22, s44
	s_mul_i32 s8, s23, s44
	s_add_nc_u64 s[46:47], s[28:29], s[46:47]
	s_mul_hi_u32 vcc_lo, s23, s44
	s_mul_hi_u32 s4, s23, s45
	s_add_co_u32 s8, s46, s8
	s_add_co_ci_u32 s28, s47, vcc_lo
	s_mul_i32 s44, s23, s45
	s_add_co_ci_u32 s45, s4, 0
	s_delay_alu instid0(SALU_CYCLE_1) | instskip(NEXT) | instid1(SALU_CYCLE_1)
	s_add_nc_u64 s[44:45], s[28:29], s[44:45]
	s_add_co_u32 s22, s22, s44
	s_cselect_b32 s4, -1, 0
	s_delay_alu instid0(SALU_CYCLE_1) | instskip(SKIP_1) | instid1(SALU_CYCLE_1)
	s_cmp_lg_u32 s4, 0
	s_add_co_ci_u32 s23, s23, s45
	s_mul_u64 s[42:43], s[42:43], s[22:23]
	s_delay_alu instid0(SALU_CYCLE_1)
	s_mul_hi_u32 s45, s22, s43
	s_mul_i32 s44, s22, s43
	s_mul_hi_u32 s28, s22, s42
	s_mul_i32 s8, s23, s42
	s_add_nc_u64 s[44:45], s[28:29], s[44:45]
	s_mul_hi_u32 s4, s23, s42
	s_mul_hi_u32 s46, s23, s43
	s_add_co_u32 s8, s44, s8
	s_add_co_ci_u32 s28, s45, s4
	s_mul_i32 s42, s23, s43
	s_add_co_ci_u32 s43, s46, 0
	s_delay_alu instid0(SALU_CYCLE_1) | instskip(NEXT) | instid1(SALU_CYCLE_1)
	s_add_nc_u64 s[42:43], s[28:29], s[42:43]
	s_add_co_u32 s4, s22, s42
	s_cselect_b32 s8, -1, 0
	s_mul_hi_u32 s28, s20, s4
	s_cmp_lg_u32 s8, 0
	s_mul_hi_u32 s8, s21, s4
	s_add_co_ci_u32 s42, s23, s43
	s_mul_i32 s4, s21, s4
	s_mul_hi_u32 s23, s20, s42
	s_mul_i32 s22, s20, s42
	s_mul_hi_u32 s43, s21, s42
	s_add_nc_u64 s[22:23], s[28:29], s[22:23]
	s_mul_i32 s42, s21, s42
	s_add_co_u32 s4, s22, s4
	s_add_co_ci_u32 s28, s23, s8
	s_add_co_ci_u32 s43, s43, 0
	s_delay_alu instid0(SALU_CYCLE_1) | instskip(NEXT) | instid1(SALU_CYCLE_1)
	s_add_nc_u64 s[22:23], s[28:29], s[42:43]
	s_and_b64 s[42:43], s[22:23], 0xffffffff00000000
	s_delay_alu instid0(SALU_CYCLE_1) | instskip(NEXT) | instid1(SALU_CYCLE_1)
	s_or_b32 s42, s42, s22
	s_mul_u64 s[22:23], s[48:49], s[42:43]
	s_delay_alu instid0(SALU_CYCLE_1) | instskip(SKIP_1) | instid1(SALU_CYCLE_1)
	s_sub_co_u32 s4, s20, s22
	s_cselect_b32 s8, -1, 0
	s_cmp_lg_u32 s8, 0
	s_sub_co_ci_u32 s8, s21, s23
	s_sub_co_u32 s22, s4, s48
	s_cselect_b32 s23, -1, 0
	s_delay_alu instid0(SALU_CYCLE_1) | instskip(SKIP_3) | instid1(SALU_CYCLE_1)
	s_cmp_lg_u32 s23, 0
	s_sub_co_ci_u32 s23, s8, 0
	s_sub_co_u32 s28, s22, s48
	s_cselect_b32 s42, -1, 0
	s_cmp_lg_u32 s42, 0
	s_sub_co_ci_u32 s42, s23, 0
	s_cmp_ge_u32 s22, s48
	s_cselect_b32 s43, -1, 0
	s_cmp_eq_u32 s23, 0
	s_cselect_b32 s43, s43, -1
	s_delay_alu instid0(SALU_CYCLE_1)
	s_cmp_lg_u32 s43, 0
	s_cselect_b32 s23, s42, s23
	s_cselect_b32 s22, s28, s22
	s_cmp_ge_u32 s4, s48
	s_cselect_b32 s28, -1, 0
	s_cmp_eq_u32 s8, 0
	s_cselect_b32 s28, s28, -1
	s_delay_alu instid0(SALU_CYCLE_1)
	s_cmp_lg_u32 s28, 0
	s_mov_b32 s28, 0
	s_cselect_b32 s23, s23, s8
	s_cselect_b32 s22, s22, s4
	s_branch .LBB195_233
.LBB195_230:                            ;   in Loop: Header=BB195_10 Depth=1
                                        ; implicit-def: $sgpr22_sgpr23
	s_branch .LBB195_183
.LBB195_231:                            ;   in Loop: Header=BB195_10 Depth=1
                                        ; implicit-def: $sgpr10_sgpr11
	s_branch .LBB195_200
.LBB195_232:                            ;   in Loop: Header=BB195_10 Depth=1
	s_mov_b32 s28, -1
                                        ; implicit-def: $sgpr22_sgpr23
.LBB195_233:                            ;   in Loop: Header=BB195_10 Depth=1
	s_delay_alu instid0(SALU_CYCLE_1)
	s_and_not1_b32 vcc_lo, exec_lo, s28
	s_cbranch_vccnz .LBB195_235
; %bb.234:                              ;   in Loop: Header=BB195_10 Depth=1
	v_cvt_f32_u32_e32 v6, s48
	s_sub_co_i32 s23, 0, s48
	s_delay_alu instid0(VALU_DEP_1) | instskip(SKIP_1) | instid1(TRANS32_DEP_1)
	v_rcp_iflag_f32_e32 v6, v6
	v_nop
	v_mul_f32_e32 v6, 0x4f7ffffe, v6
	s_delay_alu instid0(VALU_DEP_1) | instskip(NEXT) | instid1(VALU_DEP_1)
	v_cvt_u32_f32_e32 v6, v6
	v_readfirstlane_b32 s22, v6
	s_mul_i32 s23, s23, s22
	s_delay_alu instid0(SALU_CYCLE_1) | instskip(NEXT) | instid1(SALU_CYCLE_1)
	s_mul_hi_u32 s23, s22, s23
	s_add_co_i32 s22, s22, s23
	s_delay_alu instid0(SALU_CYCLE_1) | instskip(NEXT) | instid1(SALU_CYCLE_1)
	s_mul_hi_u32 s22, s20, s22
	s_mul_i32 s22, s22, s48
	s_delay_alu instid0(SALU_CYCLE_1) | instskip(NEXT) | instid1(SALU_CYCLE_1)
	s_sub_co_i32 s22, s20, s22
	s_sub_co_i32 s23, s22, s48
	s_cmp_ge_u32 s22, s48
	s_cselect_b32 s22, s23, s22
	s_delay_alu instid0(SALU_CYCLE_1) | instskip(SKIP_2) | instid1(SALU_CYCLE_1)
	s_sub_co_i32 s23, s22, s48
	s_cmp_ge_u32 s22, s48
	s_cselect_b32 s28, s23, s22
	s_mov_b64 s[22:23], s[28:29]
.LBB195_235:                            ;   in Loop: Header=BB195_10 Depth=1
	s_delay_alu instid0(SALU_CYCLE_1)
	s_sub_nc_u64 s[20:21], s[20:21], s[22:23]
	s_mov_b32 s23, 0
	s_mov_b32 s22, 0
	s_mov_b32 s28, exec_lo
                                        ; implicit-def: $vgpr7
	v_cmpx_gt_u64_e64 s[20:21], v[0:1]
	s_mov_b32 s47, s54
	s_mov_b64 s[54:55], s[52:53]
	s_mov_b64 s[52:53], s[58:59]
	;; [unrolled: 1-line block ×3, first 2 shown]
	s_load_b64 s[56:57], s[0:1], 0x380
	s_cbranch_execz .LBB195_245
; %bb.236:                              ;   in Loop: Header=BB195_10 Depth=1
	v_mov_b64_e32 v[8:9], v[0:1]
	v_mov_b32_e32 v24, v16
                                        ; implicit-def: $sgpr42
	s_branch .LBB195_240
.LBB195_237:                            ;   in Loop: Header=BB195_240 Depth=2
	s_or_b32 exec_lo, exec_lo, s43
	s_wait_dscnt 0x0
	s_barrier_signal -1
	s_barrier_wait -1
	ds_load_b64 v[6:7], v3 offset:3072
	s_wait_dscnt 0x0
	s_barrier_signal -1
	s_barrier_wait -1
	v_cmp_neq_f32_e32 vcc_lo, 0, v6
	s_cbranch_vccnz .LBB195_243
; %bb.238:                              ;   in Loop: Header=BB195_240 Depth=2
	v_add_nc_u64_e32 v[8:9], s[48:49], v[8:9]
	v_add_nc_u32_e32 v24, s95, v24
	s_mov_b32 s43, 0
	s_delay_alu instid0(VALU_DEP_2)
	v_cmp_le_u64_e32 vcc_lo, s[20:21], v[8:9]
	s_or_not1_b32 vcc_lo, vcc_lo, exec_lo
.LBB195_239:                            ;   in Loop: Header=BB195_240 Depth=2
	s_delay_alu instid0(SALU_CYCLE_1) | instskip(NEXT) | instid1(SALU_CYCLE_1)
	s_and_b32 s4, exec_lo, vcc_lo
	s_or_b32 s22, s4, s22
	s_and_not1_b32 s4, s42, exec_lo
	s_and_b32 s8, s43, exec_lo
	s_delay_alu instid0(SALU_CYCLE_1)
	s_or_b32 s42, s4, s8
	s_and_not1_b32 exec_lo, exec_lo, s22
	s_cbranch_execz .LBB195_244
.LBB195_240:                            ;   Parent Loop BB195_10 Depth=1
                                        ; =>  This Inner Loop Header: Depth=2
	s_mov_b32 s43, exec_lo
	s_delay_alu instid0(VALU_DEP_2)
	v_cmpx_gt_u64_e64 s[10:11], v[8:9]
	s_cbranch_execz .LBB195_237
; %bb.241:                              ;   in Loop: Header=BB195_240 Depth=2
	ds_load_b32 v23, v24
	s_wait_dscnt 0x0
	v_cmp_lt_i32_e32 vcc_lo, -1, v23
	v_cndmask_b32_e64 v6, -1, 0x80000000, vcc_lo
	v_cmp_o_f32_e32 vcc_lo, v23, v23
	s_delay_alu instid0(VALU_DEP_2) | instskip(NEXT) | instid1(VALU_DEP_1)
	v_xor_b32_e32 v6, v6, v23
	v_cndmask_b32_e32 v6, -1, v6, vcc_lo
	s_delay_alu instid0(VALU_DEP_1) | instskip(NEXT) | instid1(VALU_DEP_1)
	v_and_b32_e32 v6, v6, v11
	v_cmp_eq_u32_e32 vcc_lo, v6, v10
	s_and_b32 exec_lo, exec_lo, vcc_lo
	s_cbranch_execz .LBB195_237
; %bb.242:                              ;   in Loop: Header=BB195_240 Depth=2
	ds_store_b64 v3, v[22:23] offset:3072
	s_branch .LBB195_237
.LBB195_243:                            ;   in Loop: Header=BB195_240 Depth=2
	s_mov_b32 vcc_lo, -1
	s_mov_b32 s43, -1
                                        ; implicit-def: $vgpr8_vgpr9
                                        ; implicit-def: $vgpr24
	s_branch .LBB195_239
.LBB195_244:                            ;   in Loop: Header=BB195_10 Depth=1
	s_or_b32 exec_lo, exec_lo, s22
	s_delay_alu instid0(SALU_CYCLE_1)
	s_and_b32 s22, s42, exec_lo
.LBB195_245:                            ;   in Loop: Header=BB195_10 Depth=1
	s_or_b32 exec_lo, exec_lo, s28
.LBB195_246:                            ;   in Loop: Header=BB195_10 Depth=1
	s_delay_alu instid0(SALU_CYCLE_1)
	s_and_b32 vcc_lo, exec_lo, s23
	s_cbranch_vccz .LBB195_263
; %bb.247:                              ;   in Loop: Header=BB195_10 Depth=1
	s_and_b64 s[10:11], s[66:67], 0xffffffff00000000
	s_delay_alu instid0(SALU_CYCLE_1)
	s_cmp_lg_u64 s[10:11], 0
	s_cbranch_scc0 .LBB195_249
; %bb.248:                              ;   in Loop: Header=BB195_10 Depth=1
	s_cvt_f32_u32 s4, s48
	s_sub_nc_u64 s[20:21], 0, s[48:49]
	s_delay_alu instid0(SALU_CYCLE_2) | instskip(NEXT) | instid1(SALU_CYCLE_3)
	s_fmamk_f32 s4, s98, 0x0, s4
	v_s_rcp_f32 s4, s4
	s_delay_alu instid0(TRANS32_DEP_1) | instskip(NEXT) | instid1(SALU_CYCLE_3)
	s_mul_f32 s4, s4, 0x5f7ffffc
	s_mul_f32 s8, s4, 0x2f800000
	s_delay_alu instid0(SALU_CYCLE_3) | instskip(NEXT) | instid1(SALU_CYCLE_3)
	s_trunc_f32 s8, s8
	s_fmamk_f32 s4, s8, 0xcf800000, s4
	s_cvt_u32_f32 s11, s8
	s_delay_alu instid0(SALU_CYCLE_2) | instskip(NEXT) | instid1(SALU_CYCLE_3)
	s_cvt_u32_f32 s10, s4
	s_mul_u64 s[40:41], s[20:21], s[10:11]
	s_delay_alu instid0(SALU_CYCLE_1)
	s_mul_hi_u32 s43, s10, s41
	s_mul_i32 s42, s10, s41
	s_mul_hi_u32 s28, s10, s40
	s_mul_i32 s8, s11, s40
	s_add_nc_u64 s[42:43], s[28:29], s[42:43]
	s_mul_hi_u32 s4, s11, s40
	s_mul_hi_u32 s23, s11, s41
	s_add_co_u32 s8, s42, s8
	s_add_co_ci_u32 s28, s43, s4
	s_mul_i32 s40, s11, s41
	s_add_co_ci_u32 s41, s23, 0
	s_delay_alu instid0(SALU_CYCLE_1) | instskip(NEXT) | instid1(SALU_CYCLE_1)
	s_add_nc_u64 s[40:41], s[28:29], s[40:41]
	s_add_co_u32 s10, s10, s40
	s_cselect_b32 s4, -1, 0
	s_delay_alu instid0(SALU_CYCLE_1) | instskip(SKIP_1) | instid1(SALU_CYCLE_1)
	s_cmp_lg_u32 s4, 0
	s_add_co_ci_u32 s11, s11, s41
	s_mul_u64 s[20:21], s[20:21], s[10:11]
	s_delay_alu instid0(SALU_CYCLE_1)
	s_mul_hi_u32 s41, s10, s21
	s_mul_i32 s40, s10, s21
	s_mul_hi_u32 s28, s10, s20
	s_mul_i32 s8, s11, s20
	s_add_nc_u64 s[40:41], s[28:29], s[40:41]
	s_mul_hi_u32 s4, s11, s20
	s_mul_hi_u32 s23, s11, s21
	s_add_co_u32 s8, s40, s8
	s_add_co_ci_u32 s28, s41, s4
	s_mul_i32 s20, s11, s21
	s_add_co_ci_u32 s21, s23, 0
	s_delay_alu instid0(SALU_CYCLE_1) | instskip(NEXT) | instid1(SALU_CYCLE_1)
	s_add_nc_u64 s[20:21], s[28:29], s[20:21]
	s_add_co_u32 s4, s10, s20
	s_cselect_b32 s8, -1, 0
	s_mul_hi_u32 s28, s66, s4
	s_cmp_lg_u32 s8, 0
	s_mul_hi_u32 s8, s67, s4
	s_add_co_ci_u32 s20, s11, s21
	s_mul_i32 s4, s67, s4
	s_mul_hi_u32 s11, s66, s20
	s_mul_i32 s10, s66, s20
	s_mul_hi_u32 s21, s67, s20
	s_add_nc_u64 s[10:11], s[28:29], s[10:11]
	s_mul_i32 s20, s67, s20
	s_add_co_u32 s4, s10, s4
	s_add_co_ci_u32 s28, s11, s8
	s_add_co_ci_u32 s21, s21, 0
	s_delay_alu instid0(SALU_CYCLE_1) | instskip(NEXT) | instid1(SALU_CYCLE_1)
	s_add_nc_u64 s[10:11], s[28:29], s[20:21]
	s_and_b64 s[20:21], s[10:11], 0xffffffff00000000
	s_delay_alu instid0(SALU_CYCLE_1) | instskip(NEXT) | instid1(SALU_CYCLE_1)
	s_or_b32 s20, s20, s10
	s_mul_u64 s[10:11], s[48:49], s[20:21]
	s_delay_alu instid0(SALU_CYCLE_1) | instskip(SKIP_1) | instid1(SALU_CYCLE_1)
	s_sub_co_u32 s4, s66, s10
	s_cselect_b32 s8, -1, 0
	s_cmp_lg_u32 s8, 0
	s_sub_co_ci_u32 s8, s67, s11
	s_sub_co_u32 s10, s4, s48
	s_cselect_b32 s11, -1, 0
	s_delay_alu instid0(SALU_CYCLE_1) | instskip(SKIP_3) | instid1(SALU_CYCLE_1)
	s_cmp_lg_u32 s11, 0
	s_sub_co_ci_u32 s11, s8, 0
	s_sub_co_u32 s20, s10, s48
	s_cselect_b32 s21, -1, 0
	s_cmp_lg_u32 s21, 0
	s_sub_co_ci_u32 s21, s11, 0
	s_cmp_ge_u32 s10, s48
	s_cselect_b32 s23, -1, 0
	s_cmp_eq_u32 s11, 0
	s_cselect_b32 s23, s23, -1
	s_delay_alu instid0(SALU_CYCLE_1)
	s_cmp_lg_u32 s23, 0
	s_cselect_b32 s11, s21, s11
	s_cselect_b32 s10, s20, s10
	s_cmp_ge_u32 s4, s48
	s_cselect_b32 s20, -1, 0
	s_cmp_eq_u32 s8, 0
	s_cselect_b32 s20, s20, -1
	s_delay_alu instid0(SALU_CYCLE_1)
	s_cmp_lg_u32 s20, 0
	s_mov_b32 s20, 0
	s_cselect_b32 s11, s11, s8
	s_cselect_b32 s10, s10, s4
	s_branch .LBB195_250
.LBB195_249:                            ;   in Loop: Header=BB195_10 Depth=1
	s_mov_b32 s20, -1
                                        ; implicit-def: $sgpr10_sgpr11
.LBB195_250:                            ;   in Loop: Header=BB195_10 Depth=1
	s_delay_alu instid0(SALU_CYCLE_1)
	s_and_not1_b32 vcc_lo, exec_lo, s20
	s_cbranch_vccnz .LBB195_252
; %bb.251:                              ;   in Loop: Header=BB195_10 Depth=1
	v_cvt_f32_u32_e32 v6, s48
	s_sub_co_i32 s8, 0, s48
	s_delay_alu instid0(VALU_DEP_1) | instskip(SKIP_1) | instid1(TRANS32_DEP_1)
	v_rcp_iflag_f32_e32 v6, v6
	v_nop
	v_mul_f32_e32 v6, 0x4f7ffffe, v6
	s_delay_alu instid0(VALU_DEP_1) | instskip(NEXT) | instid1(VALU_DEP_1)
	v_cvt_u32_f32_e32 v6, v6
	v_readfirstlane_b32 s4, v6
	s_mul_i32 s8, s8, s4
	s_delay_alu instid0(SALU_CYCLE_1) | instskip(NEXT) | instid1(SALU_CYCLE_1)
	s_mul_hi_u32 s8, s4, s8
	s_add_co_i32 s4, s4, s8
	s_delay_alu instid0(SALU_CYCLE_1) | instskip(NEXT) | instid1(SALU_CYCLE_1)
	s_mul_hi_u32 s4, s66, s4
	s_mul_i32 s4, s4, s48
	s_delay_alu instid0(SALU_CYCLE_1) | instskip(NEXT) | instid1(SALU_CYCLE_1)
	s_sub_co_i32 s4, s66, s4
	s_sub_co_i32 s8, s4, s48
	s_cmp_ge_u32 s4, s48
	s_cselect_b32 s4, s8, s4
	s_delay_alu instid0(SALU_CYCLE_1) | instskip(SKIP_2) | instid1(SALU_CYCLE_1)
	s_sub_co_i32 s8, s4, s48
	s_cmp_ge_u32 s4, s48
	s_cselect_b32 s28, s8, s4
	s_mov_b64 s[10:11], s[28:29]
.LBB195_252:                            ;   in Loop: Header=BB195_10 Depth=1
	s_delay_alu instid0(SALU_CYCLE_1)
	s_sub_nc_u64 s[10:11], s[66:67], s[10:11]
	s_mov_b32 s20, exec_lo
                                        ; implicit-def: $vgpr7
	v_cmpx_gt_u64_e64 s[10:11], v[0:1]
	s_cbranch_execz .LBB195_262
; %bb.253:                              ;   in Loop: Header=BB195_10 Depth=1
	v_mov_b64_e32 v[8:9], v[0:1]
	s_mov_b32 s21, 0
                                        ; implicit-def: $sgpr23
	s_branch .LBB195_257
.LBB195_254:                            ;   in Loop: Header=BB195_257 Depth=2
	s_or_b32 exec_lo, exec_lo, s28
	s_wait_dscnt 0x0
	s_barrier_signal -1
	s_barrier_wait -1
	ds_load_b64 v[6:7], v3 offset:3072
	s_wait_dscnt 0x0
	s_barrier_signal -1
	s_barrier_wait -1
	v_cmp_eq_f32_e32 vcc_lo, 0, v6
	s_cbranch_vccz .LBB195_260
; %bb.255:                              ;   in Loop: Header=BB195_257 Depth=2
	v_add_nc_u64_e32 v[8:9], s[48:49], v[8:9]
	s_mov_b32 s28, 0
	s_delay_alu instid0(VALU_DEP_1)
	v_cmp_le_u64_e32 vcc_lo, s[10:11], v[8:9]
	s_or_not1_b32 s40, vcc_lo, exec_lo
.LBB195_256:                            ;   in Loop: Header=BB195_257 Depth=2
	s_delay_alu instid0(SALU_CYCLE_1) | instskip(NEXT) | instid1(SALU_CYCLE_1)
	s_and_b32 s4, exec_lo, s40
	s_or_b32 s21, s4, s21
	s_and_not1_b32 s4, s23, exec_lo
	s_and_b32 s8, s28, exec_lo
	s_delay_alu instid0(SALU_CYCLE_1)
	s_or_b32 s23, s4, s8
	s_and_not1_b32 exec_lo, exec_lo, s21
	s_cbranch_execz .LBB195_261
.LBB195_257:                            ;   Parent Loop BB195_10 Depth=1
                                        ; =>  This Inner Loop Header: Depth=2
	s_mov_b32 s28, exec_lo
	s_delay_alu instid0(VALU_DEP_1)
	v_cmpx_gt_u64_e64 s[36:37], v[8:9]
	s_cbranch_execz .LBB195_254
; %bb.258:                              ;   in Loop: Header=BB195_257 Depth=2
	v_mul_u64_e32 v[6:7], s[30:31], v[8:9]
	s_delay_alu instid0(VALU_DEP_1)
	v_lshl_add_u64 v[6:7], v[6:7], 2, s[34:35]
	global_load_b32 v23, v[6:7], off
	s_wait_loadcnt 0x0
	v_cmp_lt_i32_e32 vcc_lo, -1, v23
	v_cndmask_b32_e64 v6, -1, 0x80000000, vcc_lo
	v_cmp_o_f32_e32 vcc_lo, v23, v23
	s_delay_alu instid0(VALU_DEP_2) | instskip(NEXT) | instid1(VALU_DEP_1)
	v_xor_b32_e32 v6, v6, v23
	v_cndmask_b32_e32 v6, -1, v6, vcc_lo
	s_delay_alu instid0(VALU_DEP_1) | instskip(NEXT) | instid1(VALU_DEP_1)
	v_and_b32_e32 v6, v6, v11
	v_cmp_eq_u32_e32 vcc_lo, v6, v10
	s_and_b32 exec_lo, exec_lo, vcc_lo
	s_cbranch_execz .LBB195_254
; %bb.259:                              ;   in Loop: Header=BB195_257 Depth=2
	ds_store_b64 v3, v[22:23] offset:3072
	s_branch .LBB195_254
.LBB195_260:                            ;   in Loop: Header=BB195_257 Depth=2
	s_mov_b32 s40, -1
	s_mov_b32 s28, -1
                                        ; implicit-def: $vgpr8_vgpr9
	s_branch .LBB195_256
.LBB195_261:                            ;   in Loop: Header=BB195_10 Depth=1
	s_or_b32 exec_lo, exec_lo, s21
	s_delay_alu instid0(SALU_CYCLE_1) | instskip(SKIP_1) | instid1(SALU_CYCLE_1)
	s_and_not1_b32 s4, s22, exec_lo
	s_and_b32 s8, s23, exec_lo
	s_or_b32 s22, s4, s8
.LBB195_262:                            ;   in Loop: Header=BB195_10 Depth=1
	s_or_b32 exec_lo, exec_lo, s20
	s_mov_b32 s40, 0
	s_mov_b32 s41, -1
.LBB195_263:                            ;   in Loop: Header=BB195_10 Depth=1
	s_or_not1_b32 s11, s22, exec_lo
.LBB195_264:                            ;   in Loop: Header=BB195_10 Depth=1
	s_or_b32 exec_lo, exec_lo, s87
	s_mov_b32 s20, 0
	s_and_saveexec_b32 s10, s11
	s_cbranch_execz .LBB195_275
; %bb.265:                              ;   in Loop: Header=BB195_10 Depth=1
	v_mov_b64_e32 v[8:9], 1
	v_mov_b32_e32 v2, 1
	s_xor_b32 s4, s86, -1
	s_delay_alu instid0(SALU_CYCLE_1)
	s_and_saveexec_b32 s11, s4
	s_cbranch_execz .LBB195_274
; %bb.266:                              ;   in Loop: Header=BB195_10 Depth=1
	s_mov_b32 s4, exec_lo
	v_cmpx_ge_u64_e64 s[18:19], v[4:5]
	s_xor_b32 s20, exec_lo, s4
	s_cbranch_execz .LBB195_271
; %bb.267:                              ;   in Loop: Header=BB195_10 Depth=1
	ds_load_b64 v[8:9], v3 offset:5120
	v_or_b32_e32 v10, s24, v10
	v_or_b32_e32 v11, s24, v11
	s_wait_dscnt 0x0
	v_cmp_ne_u64_e32 vcc_lo, 0, v[8:9]
	s_cbranch_vccnz .LBB195_271
; %bb.268:                              ;   in Loop: Header=BB195_10 Depth=1
	s_and_saveexec_b32 s21, s5
; %bb.269:                              ;   in Loop: Header=BB195_10 Depth=1
	v_mov_b64_e32 v[8:9], s[18:19]
	ds_store_b64 v3, v[8:9] offset:5128
; %bb.270:                              ;   in Loop: Header=BB195_10 Depth=1
	s_or_b32 exec_lo, exec_lo, s21
	s_wait_dscnt 0x0
	s_barrier_signal -1
	s_barrier_wait -1
.LBB195_271:                            ;   in Loop: Header=BB195_10 Depth=1
	s_and_not1_saveexec_b32 s20, s20
; %bb.272:                              ;   in Loop: Header=BB195_10 Depth=1
	v_sub_nc_u64_e64 v[4:5], v[4:5], s[18:19]
; %bb.273:                              ;   in Loop: Header=BB195_10 Depth=1
	s_or_b32 exec_lo, exec_lo, s20
	s_delay_alu instid0(VALU_DEP_1)
	v_mov_b64_e32 v[8:9], v[4:5]
	v_mov_b32_e32 v2, 8
.LBB195_274:                            ;   in Loop: Header=BB195_10 Depth=1
	s_or_b32 exec_lo, exec_lo, s11
	s_delay_alu instid0(VALU_DEP_2)
	v_mov_b64_e32 v[4:5], v[8:9]
	s_mov_b32 s20, exec_lo
.LBB195_275:                            ;   in Loop: Header=BB195_10 Depth=1
	s_or_b32 exec_lo, exec_lo, s10
	s_delay_alu instid0(SALU_CYCLE_1)
	s_or_not1_b32 s10, s20, exec_lo
.LBB195_276:                            ;   in Loop: Header=BB195_10 Depth=1
	s_or_b32 exec_lo, exec_lo, s85
	s_delay_alu instid0(VALU_DEP_1)
	v_mov_b64_e32 v[8:9], v[4:5]
	s_and_not1_b32 s11, s83, exec_lo
	s_and_b32 s20, s41, exec_lo
	s_and_not1_b32 s21, s82, exec_lo
	s_and_b32 s22, s40, exec_lo
	s_or_b32 s83, s11, s20
	s_or_b32 s82, s21, s22
	s_and_b32 s11, s10, exec_lo
.LBB195_277:                            ;   in Loop: Header=BB195_10 Depth=1
	s_or_b32 exec_lo, exec_lo, s84
	s_delay_alu instid0(SALU_CYCLE_1)
	s_or_not1_b32 s10, s11, exec_lo
.LBB195_278:                            ;   in Loop: Header=BB195_10 Depth=1
	s_or_b32 exec_lo, exec_lo, s81
	v_mov_b64_e32 v[4:5], v[8:9]
	s_and_not1_b32 s11, s79, exec_lo
	s_and_b32 s20, s83, exec_lo
	s_and_not1_b32 s21, s74, exec_lo
	s_and_b32 s22, s82, exec_lo
	s_or_b32 s79, s11, s20
	s_or_b32 s74, s21, s22
	s_and_b32 s11, s10, exec_lo
.LBB195_279:                            ;   in Loop: Header=BB195_10 Depth=1
	s_or_b32 exec_lo, exec_lo, s80
	s_delay_alu instid0(SALU_CYCLE_1)
	s_or_not1_b32 s10, s11, exec_lo
.LBB195_280:                            ;   in Loop: Header=BB195_10 Depth=1
	s_or_b32 exec_lo, exec_lo, s27
	s_mov_b32 s11, 0
	s_mov_b32 s20, 0
	s_and_saveexec_b32 s21, s10
	s_delay_alu instid0(SALU_CYCLE_1)
	s_xor_b32 s21, exec_lo, s21
; %bb.281:                              ;   in Loop: Header=BB195_10 Depth=1
	v_cmp_ne_u32_e32 vcc_lo, 8, v2
	v_cmp_eq_u32_e64 s10, 8, v2
	s_and_b32 s20, vcc_lo, exec_lo
	s_and_b32 s11, s10, exec_lo
; %bb.282:                              ;   in Loop: Header=BB195_10 Depth=1
	s_or_b32 exec_lo, exec_lo, s21
	s_delay_alu instid0(SALU_CYCLE_1)
	s_and_not1_b32 s10, s76, exec_lo
	s_and_b32 s21, s79, exec_lo
	s_and_not1_b32 s22, s75, exec_lo
	s_and_b32 s23, s74, exec_lo
	s_or_b32 s76, s10, s21
	s_or_b32 s75, s22, s23
	s_and_b32 s27, s20, exec_lo
	s_and_b32 s74, s11, exec_lo
.LBB195_283:                            ;   in Loop: Header=BB195_10 Depth=1
	s_or_b32 exec_lo, exec_lo, s78
.LBB195_284:                            ;   in Loop: Header=BB195_10 Depth=1
	s_delay_alu instid0(SALU_CYCLE_1)
	s_and_b32 vcc_lo, exec_lo, s77
	s_cbranch_vccz .LBB195_301
; %bb.285:                              ;   in Loop: Header=BB195_10 Depth=1
	s_cmp_eq_u64 s[18:19], 1
                                        ; implicit-def: $sgpr77
                                        ; implicit-def: $sgpr26
	s_cselect_b32 s10, -1, 0
	s_delay_alu instid0(SALU_CYCLE_1)
	s_and_b32 s9, s10, s9
	s_mov_b32 s10, -1
	s_and_saveexec_b32 s75, s9
	s_cbranch_execz .LBB195_320
; %bb.286:                              ;   in Loop: Header=BB195_10 Depth=1
	ds_load_b64 v[4:5], v3 offset:5120
	s_wait_dscnt 0x0
	s_barrier_signal -1
	s_barrier_wait -1
	v_readfirstlane_b32 s10, v4
	v_readfirstlane_b32 s11, v5
	s_and_saveexec_b32 s20, s6
; %bb.287:                              ;   in Loop: Header=BB195_10 Depth=1
	ds_store_b32 v32, v3
; %bb.288:                              ;   in Loop: Header=BB195_10 Depth=1
	s_or_b32 exec_lo, exec_lo, s20
	v_or_b32_e32 v34, s24, v34
	v_or_b32_e32 v37, s24, v37
	s_mov_b32 s26, -1
	s_mov_b32 s77, 0
	s_cmp_eq_u64 s[10:11], 0
	s_mov_b32 s22, 0
	s_mov_b32 s23, -1
	s_wait_dscnt 0x0
	s_barrier_signal -1
	s_barrier_wait -1
                                        ; implicit-def: $vgpr25
	s_cbranch_scc1 .LBB195_304
; %bb.289:                              ;   in Loop: Header=BB195_10 Depth=1
	s_add_nc_u64 s[20:21], s[10:11], s[64:65]
	s_delay_alu instid0(SALU_CYCLE_1) | instskip(NEXT) | instid1(SALU_CYCLE_1)
	s_and_b64 s[22:23], s[20:21], 0xffffffff00000000
	s_cmp_lg_u64 s[22:23], 0
	s_cbranch_scc0 .LBB195_347
; %bb.290:                              ;   in Loop: Header=BB195_10 Depth=1
	s_cvt_f32_u32 s22, s48
	s_sub_nc_u64 s[40:41], 0, s[48:49]
	s_delay_alu instid0(SALU_CYCLE_2) | instskip(NEXT) | instid1(SALU_CYCLE_3)
	s_fmamk_f32 s22, s98, 0x0, s22
	v_s_rcp_f32 s22, s22
	s_delay_alu instid0(TRANS32_DEP_1) | instskip(NEXT) | instid1(SALU_CYCLE_3)
	s_mul_f32 s22, s22, 0x5f7ffffc
	s_mul_f32 s23, s22, 0x2f800000
	s_delay_alu instid0(SALU_CYCLE_3) | instskip(NEXT) | instid1(SALU_CYCLE_3)
	s_trunc_f32 s23, s23
	s_fmamk_f32 s22, s23, 0xcf800000, s22
	s_cvt_u32_f32 s23, s23
	s_delay_alu instid0(SALU_CYCLE_2) | instskip(NEXT) | instid1(SALU_CYCLE_3)
	s_cvt_u32_f32 s22, s22
	s_mul_u64 s[42:43], s[40:41], s[22:23]
	s_delay_alu instid0(SALU_CYCLE_1)
	s_mul_hi_u32 s79, s22, s43
	s_mul_i32 s78, s22, s43
	s_mul_hi_u32 s28, s22, s42
	s_mul_i32 s45, s23, s42
	s_add_nc_u64 s[78:79], s[28:29], s[78:79]
	s_mul_hi_u32 s44, s23, s42
	s_mul_hi_u32 s46, s23, s43
	s_add_co_u32 s28, s78, s45
	s_add_co_ci_u32 s28, s79, s44
	s_mul_i32 s42, s23, s43
	s_add_co_ci_u32 s43, s46, 0
	s_delay_alu instid0(SALU_CYCLE_1) | instskip(NEXT) | instid1(SALU_CYCLE_1)
	s_add_nc_u64 s[42:43], s[28:29], s[42:43]
	s_add_co_u32 s22, s22, s42
	s_cselect_b32 s28, -1, 0
	s_delay_alu instid0(SALU_CYCLE_1) | instskip(SKIP_1) | instid1(SALU_CYCLE_1)
	s_cmp_lg_u32 s28, 0
	s_add_co_ci_u32 s23, s23, s43
	s_mul_u64 s[40:41], s[40:41], s[22:23]
	s_delay_alu instid0(SALU_CYCLE_1)
	s_mul_hi_u32 s43, s22, s41
	s_mul_i32 s42, s22, s41
	s_mul_hi_u32 s28, s22, s40
	s_mul_i32 s45, s23, s40
	s_add_nc_u64 s[42:43], s[28:29], s[42:43]
	s_mul_hi_u32 s44, s23, s40
	s_mul_hi_u32 s46, s23, s41
	s_add_co_u32 s28, s42, s45
	s_add_co_ci_u32 s28, s43, s44
	s_mul_i32 s40, s23, s41
	s_add_co_ci_u32 s41, s46, 0
	s_delay_alu instid0(SALU_CYCLE_1) | instskip(NEXT) | instid1(SALU_CYCLE_1)
	s_add_nc_u64 s[40:41], s[28:29], s[40:41]
	s_add_co_u32 s22, s22, s40
	s_cselect_b32 s40, -1, 0
	s_mul_hi_u32 s28, s20, s22
	s_cmp_lg_u32 s40, 0
	s_mul_hi_u32 s42, s21, s22
	s_add_co_ci_u32 s40, s23, s41
	s_mul_i32 s41, s21, s22
	s_mul_hi_u32 s23, s20, s40
	s_mul_i32 s22, s20, s40
	s_mul_hi_u32 s43, s21, s40
	s_add_nc_u64 s[22:23], s[28:29], s[22:23]
	s_mul_i32 s40, s21, s40
	s_add_co_u32 s22, s22, s41
	s_add_co_ci_u32 s28, s23, s42
	s_add_co_ci_u32 s41, s43, 0
	s_delay_alu instid0(SALU_CYCLE_1) | instskip(NEXT) | instid1(SALU_CYCLE_1)
	s_add_nc_u64 s[22:23], s[28:29], s[40:41]
	s_and_b64 s[40:41], s[22:23], 0xffffffff00000000
	s_delay_alu instid0(SALU_CYCLE_1) | instskip(NEXT) | instid1(SALU_CYCLE_1)
	s_or_b32 s40, s40, s22
	s_mul_u64 s[22:23], s[48:49], s[40:41]
	s_delay_alu instid0(SALU_CYCLE_1) | instskip(SKIP_1) | instid1(SALU_CYCLE_1)
	s_sub_co_u32 s22, s20, s22
	s_cselect_b32 s28, -1, 0
	s_cmp_lg_u32 s28, 0
	s_sub_co_ci_u32 s23, s21, s23
	s_sub_co_u32 s28, s22, s48
	s_cselect_b32 s40, -1, 0
	s_delay_alu instid0(SALU_CYCLE_1) | instskip(SKIP_3) | instid1(SALU_CYCLE_1)
	s_cmp_lg_u32 s40, 0
	s_sub_co_ci_u32 s40, s23, 0
	s_sub_co_u32 s41, s28, s48
	s_cselect_b32 s42, -1, 0
	s_cmp_lg_u32 s42, 0
	s_sub_co_ci_u32 s42, s40, 0
	s_cmp_ge_u32 s28, s48
	s_cselect_b32 s43, -1, 0
	s_cmp_eq_u32 s40, 0
	s_cselect_b32 s43, s43, -1
	s_delay_alu instid0(SALU_CYCLE_1)
	s_cmp_lg_u32 s43, 0
	s_cselect_b32 s40, s42, s40
	s_cselect_b32 s28, s41, s28
	s_cmp_ge_u32 s22, s48
	s_cselect_b32 s41, -1, 0
	s_cmp_eq_u32 s23, 0
	s_cselect_b32 s41, s41, -1
	s_delay_alu instid0(SALU_CYCLE_1)
	s_cmp_lg_u32 s41, 0
	s_cselect_b32 s23, s40, s23
	s_cselect_b32 s22, s28, s22
	s_cbranch_execnz .LBB195_292
.LBB195_291:                            ;   in Loop: Header=BB195_10 Depth=1
	v_cvt_f32_u32_e32 v2, s48
	s_sub_co_i32 s23, 0, s48
	s_delay_alu instid0(VALU_DEP_1) | instskip(SKIP_1) | instid1(TRANS32_DEP_1)
	v_rcp_iflag_f32_e32 v2, v2
	v_nop
	v_mul_f32_e32 v2, 0x4f7ffffe, v2
	s_delay_alu instid0(VALU_DEP_1) | instskip(NEXT) | instid1(VALU_DEP_1)
	v_cvt_u32_f32_e32 v2, v2
	v_readfirstlane_b32 s22, v2
	s_mul_i32 s23, s23, s22
	s_delay_alu instid0(SALU_CYCLE_1) | instskip(NEXT) | instid1(SALU_CYCLE_1)
	s_mul_hi_u32 s23, s22, s23
	s_add_co_i32 s22, s22, s23
	s_delay_alu instid0(SALU_CYCLE_1) | instskip(NEXT) | instid1(SALU_CYCLE_1)
	s_mul_hi_u32 s22, s20, s22
	s_mul_i32 s22, s22, s48
	s_delay_alu instid0(SALU_CYCLE_1) | instskip(NEXT) | instid1(SALU_CYCLE_1)
	s_sub_co_i32 s22, s20, s22
	s_sub_co_i32 s23, s22, s48
	s_cmp_ge_u32 s22, s48
	s_cselect_b32 s22, s23, s22
	s_delay_alu instid0(SALU_CYCLE_1) | instskip(SKIP_2) | instid1(SALU_CYCLE_1)
	s_sub_co_i32 s23, s22, s48
	s_cmp_ge_u32 s22, s48
	s_cselect_b32 s28, s23, s22
	s_mov_b64 s[22:23], s[28:29]
.LBB195_292:                            ;   in Loop: Header=BB195_10 Depth=1
	s_delay_alu instid0(SALU_CYCLE_1)
	s_sub_nc_u64 s[20:21], s[20:21], s[22:23]
	s_mov_b32 s23, 0
	s_mov_b32 s22, 0
	s_mov_b32 s28, exec_lo
                                        ; implicit-def: $vgpr25
	v_cmpx_gt_u64_e64 s[20:21], v[0:1]
	s_cbranch_execz .LBB195_303
; %bb.293:                              ;   in Loop: Header=BB195_10 Depth=1
	v_mov_b64_e32 v[4:5], v[0:1]
	v_mov_b32_e32 v2, v16
                                        ; implicit-def: $sgpr40
	s_branch .LBB195_297
.LBB195_294:                            ;   in Loop: Header=BB195_297 Depth=2
	s_or_b32 exec_lo, exec_lo, s41
	s_wait_dscnt 0x0
	s_barrier_signal -1
	s_barrier_wait -1
	ds_load_b64 v[24:25], v3 offset:3072
	s_wait_dscnt 0x0
	s_barrier_signal -1
	s_barrier_wait -1
	v_cmp_neq_f32_e32 vcc_lo, 0, v24
	s_cbranch_vccnz .LBB195_300
; %bb.295:                              ;   in Loop: Header=BB195_297 Depth=2
	v_add_nc_u64_e32 v[4:5], s[48:49], v[4:5]
	v_add_nc_u32_e32 v2, s95, v2
	s_mov_b32 s41, 0
	s_delay_alu instid0(VALU_DEP_2)
	v_cmp_le_u64_e32 vcc_lo, s[20:21], v[4:5]
	s_or_not1_b32 s42, vcc_lo, exec_lo
.LBB195_296:                            ;   in Loop: Header=BB195_297 Depth=2
	s_delay_alu instid0(SALU_CYCLE_1) | instskip(NEXT) | instid1(SALU_CYCLE_1)
	s_and_b32 s4, exec_lo, s42
	s_or_b32 s22, s4, s22
	s_and_not1_b32 s4, s40, exec_lo
	s_and_b32 s8, s41, exec_lo
	s_delay_alu instid0(SALU_CYCLE_1)
	s_or_b32 s40, s4, s8
	s_and_not1_b32 exec_lo, exec_lo, s22
	s_cbranch_execz .LBB195_302
.LBB195_297:                            ;   Parent Loop BB195_10 Depth=1
                                        ; =>  This Inner Loop Header: Depth=2
	s_mov_b32 s41, exec_lo
	s_delay_alu instid0(VALU_DEP_2)
	v_cmpx_gt_u64_e64 s[10:11], v[4:5]
	s_cbranch_execz .LBB195_294
; %bb.298:                              ;   in Loop: Header=BB195_297 Depth=2
	ds_load_b32 v23, v2
	s_wait_dscnt 0x0
	v_cmp_lt_i32_e32 vcc_lo, -1, v23
	v_cndmask_b32_e64 v6, -1, 0x80000000, vcc_lo
	v_cmp_o_f32_e32 vcc_lo, v23, v23
	s_delay_alu instid0(VALU_DEP_2) | instskip(NEXT) | instid1(VALU_DEP_1)
	v_xor_b32_e32 v6, v6, v23
	v_cndmask_b32_e32 v6, -1, v6, vcc_lo
	s_delay_alu instid0(VALU_DEP_1) | instskip(NEXT) | instid1(VALU_DEP_1)
	v_and_b32_e32 v6, v6, v37
	v_cmp_eq_u32_e32 vcc_lo, v6, v34
	s_and_b32 exec_lo, exec_lo, vcc_lo
	s_cbranch_execz .LBB195_294
; %bb.299:                              ;   in Loop: Header=BB195_297 Depth=2
	ds_store_b64 v3, v[22:23] offset:3072
	s_branch .LBB195_294
.LBB195_300:                            ;   in Loop: Header=BB195_297 Depth=2
	s_mov_b32 s42, -1
	s_mov_b32 s41, -1
                                        ; implicit-def: $vgpr4_vgpr5
                                        ; implicit-def: $vgpr2
	s_branch .LBB195_296
.LBB195_301:                            ;   in Loop: Header=BB195_10 Depth=1
	v_dual_mov_b32 v34, v10 :: v_dual_mov_b32 v37, v11
	v_mov_b32_e32 v25, v7
	s_mov_b32 s77, 0
	s_and_saveexec_b32 s9, s74
	s_cbranch_execnz .LBB195_485
	s_branch .LBB195_486
.LBB195_302:                            ;   in Loop: Header=BB195_10 Depth=1
	s_or_b32 exec_lo, exec_lo, s22
	s_delay_alu instid0(SALU_CYCLE_1)
	s_and_b32 s22, s40, exec_lo
.LBB195_303:                            ;   in Loop: Header=BB195_10 Depth=1
	s_or_b32 exec_lo, exec_lo, s28
.LBB195_304:                            ;   in Loop: Header=BB195_10 Depth=1
	s_delay_alu instid0(SALU_CYCLE_1)
	s_and_b32 vcc_lo, exec_lo, s23
	s_cbranch_vccz .LBB195_319
; %bb.305:                              ;   in Loop: Header=BB195_10 Depth=1
	s_and_b64 s[10:11], s[66:67], 0xffffffff00000000
	s_delay_alu instid0(SALU_CYCLE_1)
	s_cmp_lg_u64 s[10:11], 0
	s_cbranch_scc0 .LBB195_348
; %bb.306:                              ;   in Loop: Header=BB195_10 Depth=1
	s_cvt_f32_u32 s10, s48
	s_sub_nc_u64 s[20:21], 0, s[48:49]
	s_delay_alu instid0(SALU_CYCLE_2) | instskip(NEXT) | instid1(SALU_CYCLE_3)
	s_fmamk_f32 s10, s98, 0x0, s10
	v_s_rcp_f32 s10, s10
	s_delay_alu instid0(TRANS32_DEP_1) | instskip(NEXT) | instid1(SALU_CYCLE_3)
	s_mul_f32 s10, s10, 0x5f7ffffc
	s_mul_f32 s11, s10, 0x2f800000
	s_delay_alu instid0(SALU_CYCLE_3) | instskip(NEXT) | instid1(SALU_CYCLE_3)
	s_trunc_f32 s11, s11
	s_fmamk_f32 s10, s11, 0xcf800000, s10
	s_cvt_u32_f32 s11, s11
	s_delay_alu instid0(SALU_CYCLE_2) | instskip(NEXT) | instid1(SALU_CYCLE_3)
	s_cvt_u32_f32 s10, s10
	s_mul_u64 s[40:41], s[20:21], s[10:11]
	s_delay_alu instid0(SALU_CYCLE_1)
	s_mul_hi_u32 s43, s10, s41
	s_mul_i32 s42, s10, s41
	s_mul_hi_u32 s28, s10, s40
	s_mul_i32 s26, s11, s40
	s_add_nc_u64 s[42:43], s[28:29], s[42:43]
	s_mul_hi_u32 s23, s11, s40
	s_mul_hi_u32 s44, s11, s41
	s_add_co_u32 s26, s42, s26
	s_add_co_ci_u32 s28, s43, s23
	s_mul_i32 s40, s11, s41
	s_add_co_ci_u32 s41, s44, 0
	s_delay_alu instid0(SALU_CYCLE_1) | instskip(NEXT) | instid1(SALU_CYCLE_1)
	s_add_nc_u64 s[40:41], s[28:29], s[40:41]
	s_add_co_u32 s10, s10, s40
	s_cselect_b32 s23, -1, 0
	s_delay_alu instid0(SALU_CYCLE_1) | instskip(SKIP_1) | instid1(SALU_CYCLE_1)
	s_cmp_lg_u32 s23, 0
	s_add_co_ci_u32 s11, s11, s41
	s_mul_u64 s[20:21], s[20:21], s[10:11]
	s_delay_alu instid0(SALU_CYCLE_1)
	s_mul_hi_u32 s41, s10, s21
	s_mul_i32 s40, s10, s21
	s_mul_hi_u32 s28, s10, s20
	s_mul_i32 s26, s11, s20
	s_add_nc_u64 s[40:41], s[28:29], s[40:41]
	s_mul_hi_u32 s23, s11, s20
	s_mul_hi_u32 s42, s11, s21
	s_mul_i32 s20, s11, s21
	s_add_co_u32 s21, s40, s26
	s_add_co_ci_u32 s28, s41, s23
	s_add_co_ci_u32 s21, s42, 0
	s_delay_alu instid0(SALU_CYCLE_1) | instskip(NEXT) | instid1(SALU_CYCLE_1)
	s_add_nc_u64 s[20:21], s[28:29], s[20:21]
	s_add_co_u32 s10, s10, s20
	s_cselect_b32 s20, -1, 0
	s_mul_hi_u32 s28, s66, s10
	s_cmp_lg_u32 s20, 0
	s_mul_hi_u32 s23, s67, s10
	s_add_co_ci_u32 s20, s11, s21
	s_mul_i32 s21, s67, s10
	s_mul_hi_u32 s11, s66, s20
	s_mul_i32 s10, s66, s20
	s_mul_hi_u32 s26, s67, s20
	s_add_nc_u64 s[10:11], s[28:29], s[10:11]
	s_mul_i32 s20, s67, s20
	s_add_co_u32 s10, s10, s21
	s_add_co_ci_u32 s28, s11, s23
	s_add_co_ci_u32 s21, s26, 0
	s_delay_alu instid0(SALU_CYCLE_1) | instskip(NEXT) | instid1(SALU_CYCLE_1)
	s_add_nc_u64 s[10:11], s[28:29], s[20:21]
	s_and_b64 s[20:21], s[10:11], 0xffffffff00000000
	s_delay_alu instid0(SALU_CYCLE_1) | instskip(NEXT) | instid1(SALU_CYCLE_1)
	s_or_b32 s20, s20, s10
	s_mul_u64 s[10:11], s[48:49], s[20:21]
	s_delay_alu instid0(SALU_CYCLE_1) | instskip(SKIP_1) | instid1(SALU_CYCLE_1)
	s_sub_co_u32 s10, s66, s10
	s_cselect_b32 s20, -1, 0
	s_cmp_lg_u32 s20, 0
	s_sub_co_ci_u32 s11, s67, s11
	s_sub_co_u32 s20, s10, s48
	s_cselect_b32 s21, -1, 0
	s_delay_alu instid0(SALU_CYCLE_1) | instskip(SKIP_3) | instid1(SALU_CYCLE_1)
	s_cmp_lg_u32 s21, 0
	s_sub_co_ci_u32 s21, s11, 0
	s_sub_co_u32 s23, s20, s48
	s_cselect_b32 s26, -1, 0
	s_cmp_lg_u32 s26, 0
	s_sub_co_ci_u32 s26, s21, 0
	s_cmp_ge_u32 s20, s48
	s_cselect_b32 s28, -1, 0
	s_cmp_eq_u32 s21, 0
	s_cselect_b32 s28, s28, -1
	s_delay_alu instid0(SALU_CYCLE_1)
	s_cmp_lg_u32 s28, 0
	s_cselect_b32 s21, s26, s21
	s_cselect_b32 s20, s23, s20
	s_cmp_ge_u32 s10, s48
	s_cselect_b32 s23, -1, 0
	s_cmp_eq_u32 s11, 0
	s_cselect_b32 s23, s23, -1
	s_delay_alu instid0(SALU_CYCLE_1)
	s_cmp_lg_u32 s23, 0
	s_cselect_b32 s11, s21, s11
	s_cselect_b32 s10, s20, s10
	s_cbranch_execnz .LBB195_308
.LBB195_307:                            ;   in Loop: Header=BB195_10 Depth=1
	v_cvt_f32_u32_e32 v2, s48
	s_sub_co_i32 s11, 0, s48
	s_delay_alu instid0(VALU_DEP_1) | instskip(SKIP_1) | instid1(TRANS32_DEP_1)
	v_rcp_iflag_f32_e32 v2, v2
	v_nop
	v_mul_f32_e32 v2, 0x4f7ffffe, v2
	s_delay_alu instid0(VALU_DEP_1) | instskip(NEXT) | instid1(VALU_DEP_1)
	v_cvt_u32_f32_e32 v2, v2
	v_readfirstlane_b32 s10, v2
	s_mul_i32 s11, s11, s10
	s_delay_alu instid0(SALU_CYCLE_1) | instskip(NEXT) | instid1(SALU_CYCLE_1)
	s_mul_hi_u32 s11, s10, s11
	s_add_co_i32 s10, s10, s11
	s_delay_alu instid0(SALU_CYCLE_1) | instskip(NEXT) | instid1(SALU_CYCLE_1)
	s_mul_hi_u32 s10, s66, s10
	s_mul_i32 s10, s10, s48
	s_delay_alu instid0(SALU_CYCLE_1) | instskip(NEXT) | instid1(SALU_CYCLE_1)
	s_sub_co_i32 s10, s66, s10
	s_sub_co_i32 s11, s10, s48
	s_cmp_ge_u32 s10, s48
	s_cselect_b32 s10, s11, s10
	s_delay_alu instid0(SALU_CYCLE_1) | instskip(SKIP_2) | instid1(SALU_CYCLE_1)
	s_sub_co_i32 s11, s10, s48
	s_cmp_ge_u32 s10, s48
	s_cselect_b32 s28, s11, s10
	s_mov_b64 s[10:11], s[28:29]
.LBB195_308:                            ;   in Loop: Header=BB195_10 Depth=1
	s_delay_alu instid0(SALU_CYCLE_1)
	s_sub_nc_u64 s[10:11], s[66:67], s[10:11]
	s_mov_b32 s20, exec_lo
                                        ; implicit-def: $vgpr25
	v_nop
	v_cmpx_gt_u64_e64 s[10:11], v[0:1]
	s_cbranch_execz .LBB195_318
; %bb.309:                              ;   in Loop: Header=BB195_10 Depth=1
	v_mov_b64_e32 v[4:5], v[0:1]
	s_mov_b32 s21, 0
                                        ; implicit-def: $sgpr23
	s_branch .LBB195_313
.LBB195_310:                            ;   in Loop: Header=BB195_313 Depth=2
	s_or_b32 exec_lo, exec_lo, s26
	s_wait_dscnt 0x0
	s_barrier_signal -1
	s_barrier_wait -1
	ds_load_b64 v[24:25], v3 offset:3072
	s_wait_dscnt 0x0
	s_barrier_signal -1
	s_barrier_wait -1
	v_cmp_neq_f32_e32 vcc_lo, 0, v24
	s_cbranch_vccnz .LBB195_316
; %bb.311:                              ;   in Loop: Header=BB195_313 Depth=2
	v_add_nc_u64_e32 v[4:5], s[48:49], v[4:5]
	s_mov_b32 s26, 0
	s_delay_alu instid0(VALU_DEP_1)
	v_cmp_le_u64_e32 vcc_lo, s[10:11], v[4:5]
	s_or_not1_b32 s28, vcc_lo, exec_lo
.LBB195_312:                            ;   in Loop: Header=BB195_313 Depth=2
	s_delay_alu instid0(SALU_CYCLE_1) | instskip(NEXT) | instid1(SALU_CYCLE_1)
	s_and_b32 s4, exec_lo, s28
	s_or_b32 s21, s4, s21
	s_and_not1_b32 s4, s23, exec_lo
	s_and_b32 s8, s26, exec_lo
	s_delay_alu instid0(SALU_CYCLE_1)
	s_or_b32 s23, s4, s8
	s_and_not1_b32 exec_lo, exec_lo, s21
	s_cbranch_execz .LBB195_317
.LBB195_313:                            ;   Parent Loop BB195_10 Depth=1
                                        ; =>  This Inner Loop Header: Depth=2
	s_mov_b32 s26, exec_lo
	s_delay_alu instid0(VALU_DEP_1)
	v_cmpx_gt_u64_e64 s[36:37], v[4:5]
	s_cbranch_execz .LBB195_310
; %bb.314:                              ;   in Loop: Header=BB195_313 Depth=2
	v_mul_u64_e32 v[6:7], s[30:31], v[4:5]
	s_delay_alu instid0(VALU_DEP_1)
	v_lshl_add_u64 v[6:7], v[6:7], 2, s[34:35]
	global_load_b32 v23, v[6:7], off
	s_wait_loadcnt 0x0
	v_cmp_lt_i32_e32 vcc_lo, -1, v23
	v_cndmask_b32_e64 v2, -1, 0x80000000, vcc_lo
	v_cmp_o_f32_e32 vcc_lo, v23, v23
	s_delay_alu instid0(VALU_DEP_2) | instskip(NEXT) | instid1(VALU_DEP_1)
	v_xor_b32_e32 v2, v2, v23
	v_cndmask_b32_e32 v2, -1, v2, vcc_lo
	s_delay_alu instid0(VALU_DEP_1) | instskip(NEXT) | instid1(VALU_DEP_1)
	v_and_b32_e32 v2, v2, v37
	v_cmp_eq_u32_e32 vcc_lo, v2, v34
	s_and_b32 exec_lo, exec_lo, vcc_lo
	s_cbranch_execz .LBB195_310
; %bb.315:                              ;   in Loop: Header=BB195_313 Depth=2
	ds_store_b64 v3, v[22:23] offset:3072
	s_branch .LBB195_310
.LBB195_316:                            ;   in Loop: Header=BB195_313 Depth=2
	s_mov_b32 s28, -1
	s_mov_b32 s26, -1
                                        ; implicit-def: $vgpr4_vgpr5
	s_branch .LBB195_312
.LBB195_317:                            ;   in Loop: Header=BB195_10 Depth=1
	s_or_b32 exec_lo, exec_lo, s21
	s_delay_alu instid0(SALU_CYCLE_1) | instskip(SKIP_1) | instid1(SALU_CYCLE_1)
	s_and_not1_b32 s4, s22, exec_lo
	s_and_b32 s8, s23, exec_lo
	s_or_b32 s22, s4, s8
.LBB195_318:                            ;   in Loop: Header=BB195_10 Depth=1
	s_or_b32 exec_lo, exec_lo, s20
	s_mov_b32 s26, 0
	s_mov_b32 s77, -1
.LBB195_319:                            ;   in Loop: Header=BB195_10 Depth=1
	s_or_not1_b32 s10, s22, exec_lo
.LBB195_320:                            ;   in Loop: Header=BB195_10 Depth=1
	s_or_b32 exec_lo, exec_lo, s75
                                        ; implicit-def: $vgpr4_vgpr5
                                        ; implicit-def: $vgpr2
	s_and_saveexec_b32 s22, s10
	s_cbranch_execz .LBB195_484
; %bb.321:                              ;   in Loop: Header=BB195_10 Depth=1
	v_mov_b64_e32 v[4:5], 1
	v_mov_b32_e32 v2, 1
	s_xor_b32 s10, s9, -1
	s_mov_b32 s11, 0
	s_and_saveexec_b32 s9, s10
	s_cbranch_execz .LBB195_330
; %bb.322:                              ;   in Loop: Header=BB195_10 Depth=1
	s_mov_b32 s10, exec_lo
	v_cmpx_ge_u64_e64 s[18:19], v[26:27]
	s_xor_b32 s10, exec_lo, s10
	s_cbranch_execz .LBB195_327
; %bb.323:                              ;   in Loop: Header=BB195_10 Depth=1
	ds_load_b64 v[4:5], v3 offset:5120
	v_or_b32_e32 v34, s24, v34
	v_or_b32_e32 v37, s24, v37
	s_wait_dscnt 0x0
	v_cmp_ne_u64_e32 vcc_lo, 0, v[4:5]
	s_cbranch_vccnz .LBB195_327
; %bb.324:                              ;   in Loop: Header=BB195_10 Depth=1
	s_and_saveexec_b32 s11, s5
; %bb.325:                              ;   in Loop: Header=BB195_10 Depth=1
	v_mov_b64_e32 v[4:5], s[18:19]
	ds_store_b64 v3, v[4:5] offset:5128
; %bb.326:                              ;   in Loop: Header=BB195_10 Depth=1
	s_or_b32 exec_lo, exec_lo, s11
	s_wait_dscnt 0x0
	s_barrier_signal -1
	s_barrier_wait -1
.LBB195_327:                            ;   in Loop: Header=BB195_10 Depth=1
	s_or_saveexec_b32 s10, s10
	v_mov_b32_e32 v2, 5
	s_mov_b32 s11, 0
	s_xor_b32 exec_lo, exec_lo, s10
; %bb.328:                              ;   in Loop: Header=BB195_10 Depth=1
	v_sub_nc_u64_e64 v[26:27], v[26:27], s[18:19]
	v_mov_b32_e32 v2, 0
	s_mov_b32 s11, exec_lo
; %bb.329:                              ;   in Loop: Header=BB195_10 Depth=1
	s_or_b32 exec_lo, exec_lo, s10
	s_delay_alu instid0(VALU_DEP_2)
	v_mov_b64_e32 v[4:5], v[26:27]
	s_and_b32 s11, s11, exec_lo
.LBB195_330:                            ;   in Loop: Header=BB195_10 Depth=1
	s_or_b32 exec_lo, exec_lo, s9
	s_mov_b32 s10, -1
                                        ; implicit-def: $sgpr23
                                        ; implicit-def: $sgpr75
	s_and_saveexec_b32 s9, s11
	s_delay_alu instid0(SALU_CYCLE_1)
	s_xor_b32 s9, exec_lo, s9
	s_cbranch_execz .LBB195_481
; %bb.331:                              ;   in Loop: Header=BB195_10 Depth=1
	v_cmp_eq_u64_e32 vcc_lo, 1, v[4:5]
	s_cmp_eq_u64 s[16:17], 1
                                        ; implicit-def: $sgpr75
                                        ; implicit-def: $sgpr23
	s_cselect_b32 s10, -1, 0
	s_delay_alu instid0(SALU_CYCLE_1)
	s_and_b32 s76, s10, vcc_lo
	s_mov_b32 s10, -1
	s_and_saveexec_b32 s78, s76
	s_cbranch_execz .LBB195_367
; %bb.332:                              ;   in Loop: Header=BB195_10 Depth=1
	ds_load_b64 v[6:7], v3 offset:5120
	s_wait_dscnt 0x0
	s_barrier_signal -1
	s_barrier_wait -1
	v_readfirstlane_b32 s10, v6
	v_readfirstlane_b32 s11, v7
	s_and_saveexec_b32 s18, s6
; %bb.333:                              ;   in Loop: Header=BB195_10 Depth=1
	ds_store_b32 v32, v3
; %bb.334:                              ;   in Loop: Header=BB195_10 Depth=1
	s_or_b32 exec_lo, exec_lo, s18
	s_lshl_b32 s18, 2, s96
	v_or_b32_e32 v37, s24, v37
	v_and_or_b32 v34, v34, s25, s18
	s_mov_b32 s23, -1
	s_mov_b32 s75, 0
	s_cmp_eq_u64 s[10:11], 0
	s_mov_b32 s20, 0
	s_mov_b32 s21, -1
	s_wait_dscnt 0x0
	s_barrier_signal -1
	s_barrier_wait -1
                                        ; implicit-def: $vgpr25
	s_cbranch_scc1 .LBB195_351
; %bb.335:                              ;   in Loop: Header=BB195_10 Depth=1
	s_add_nc_u64 s[18:19], s[10:11], s[64:65]
	s_delay_alu instid0(SALU_CYCLE_1) | instskip(NEXT) | instid1(SALU_CYCLE_1)
	s_and_b64 s[20:21], s[18:19], 0xffffffff00000000
	s_cmp_lg_u64 s[20:21], 0
	s_cbranch_scc0 .LBB195_394
; %bb.336:                              ;   in Loop: Header=BB195_10 Depth=1
	s_cvt_f32_u32 s20, s48
	s_sub_nc_u64 s[40:41], 0, s[48:49]
	s_delay_alu instid0(SALU_CYCLE_2) | instskip(NEXT) | instid1(SALU_CYCLE_3)
	s_fmamk_f32 s20, s98, 0x0, s20
	v_s_rcp_f32 s20, s20
	s_delay_alu instid0(TRANS32_DEP_1) | instskip(NEXT) | instid1(SALU_CYCLE_3)
	s_mul_f32 s20, s20, 0x5f7ffffc
	s_mul_f32 s21, s20, 0x2f800000
	s_delay_alu instid0(SALU_CYCLE_3) | instskip(NEXT) | instid1(SALU_CYCLE_3)
	s_trunc_f32 s21, s21
	s_fmamk_f32 s20, s21, 0xcf800000, s20
	s_cvt_u32_f32 s21, s21
	s_delay_alu instid0(SALU_CYCLE_2) | instskip(NEXT) | instid1(SALU_CYCLE_3)
	s_cvt_u32_f32 s20, s20
	s_mul_u64 s[42:43], s[40:41], s[20:21]
	s_delay_alu instid0(SALU_CYCLE_1)
	s_mul_hi_u32 s81, s20, s43
	s_mul_i32 s80, s20, s43
	s_mul_hi_u32 s28, s20, s42
	s_mul_i32 s45, s21, s42
	s_add_nc_u64 s[80:81], s[28:29], s[80:81]
	s_mul_hi_u32 s44, s21, s42
	s_mul_hi_u32 s46, s21, s43
	s_add_co_u32 s28, s80, s45
	s_add_co_ci_u32 s28, s81, s44
	s_mul_i32 s42, s21, s43
	s_add_co_ci_u32 s43, s46, 0
	s_delay_alu instid0(SALU_CYCLE_1) | instskip(NEXT) | instid1(SALU_CYCLE_1)
	s_add_nc_u64 s[42:43], s[28:29], s[42:43]
	s_add_co_u32 s20, s20, s42
	s_cselect_b32 s28, -1, 0
	s_delay_alu instid0(SALU_CYCLE_1) | instskip(SKIP_1) | instid1(SALU_CYCLE_1)
	s_cmp_lg_u32 s28, 0
	s_add_co_ci_u32 s21, s21, s43
	s_mul_u64 s[40:41], s[40:41], s[20:21]
	s_delay_alu instid0(SALU_CYCLE_1)
	s_mul_hi_u32 s43, s20, s41
	s_mul_i32 s42, s20, s41
	s_mul_hi_u32 s28, s20, s40
	s_mul_i32 s45, s21, s40
	s_add_nc_u64 s[42:43], s[28:29], s[42:43]
	s_mul_hi_u32 s44, s21, s40
	s_mul_hi_u32 s46, s21, s41
	s_add_co_u32 s28, s42, s45
	s_add_co_ci_u32 s28, s43, s44
	s_mul_i32 s40, s21, s41
	s_add_co_ci_u32 s41, s46, 0
	s_delay_alu instid0(SALU_CYCLE_1) | instskip(NEXT) | instid1(SALU_CYCLE_1)
	s_add_nc_u64 s[40:41], s[28:29], s[40:41]
	s_add_co_u32 s20, s20, s40
	s_cselect_b32 s40, -1, 0
	s_mul_hi_u32 s28, s18, s20
	s_cmp_lg_u32 s40, 0
	s_mul_hi_u32 s42, s19, s20
	s_add_co_ci_u32 s40, s21, s41
	s_mul_i32 s41, s19, s20
	s_mul_hi_u32 s21, s18, s40
	s_mul_i32 s20, s18, s40
	s_mul_hi_u32 s43, s19, s40
	s_add_nc_u64 s[20:21], s[28:29], s[20:21]
	s_mul_i32 s40, s19, s40
	s_add_co_u32 s20, s20, s41
	s_add_co_ci_u32 s28, s21, s42
	s_add_co_ci_u32 s41, s43, 0
	s_delay_alu instid0(SALU_CYCLE_1) | instskip(NEXT) | instid1(SALU_CYCLE_1)
	s_add_nc_u64 s[20:21], s[28:29], s[40:41]
	s_and_b64 s[40:41], s[20:21], 0xffffffff00000000
	s_delay_alu instid0(SALU_CYCLE_1) | instskip(NEXT) | instid1(SALU_CYCLE_1)
	s_or_b32 s40, s40, s20
	s_mul_u64 s[20:21], s[48:49], s[40:41]
	s_delay_alu instid0(SALU_CYCLE_1) | instskip(SKIP_1) | instid1(SALU_CYCLE_1)
	s_sub_co_u32 s20, s18, s20
	s_cselect_b32 s28, -1, 0
	s_cmp_lg_u32 s28, 0
	s_sub_co_ci_u32 s21, s19, s21
	s_sub_co_u32 s28, s20, s48
	s_cselect_b32 s40, -1, 0
	s_delay_alu instid0(SALU_CYCLE_1) | instskip(SKIP_3) | instid1(SALU_CYCLE_1)
	s_cmp_lg_u32 s40, 0
	s_sub_co_ci_u32 s40, s21, 0
	s_sub_co_u32 s41, s28, s48
	s_cselect_b32 s42, -1, 0
	s_cmp_lg_u32 s42, 0
	s_sub_co_ci_u32 s42, s40, 0
	s_cmp_ge_u32 s28, s48
	s_cselect_b32 s43, -1, 0
	s_cmp_eq_u32 s40, 0
	s_cselect_b32 s43, s43, -1
	s_delay_alu instid0(SALU_CYCLE_1)
	s_cmp_lg_u32 s43, 0
	s_cselect_b32 s40, s42, s40
	s_cselect_b32 s28, s41, s28
	s_cmp_ge_u32 s20, s48
	s_cselect_b32 s41, -1, 0
	s_cmp_eq_u32 s21, 0
	s_cselect_b32 s41, s41, -1
	s_delay_alu instid0(SALU_CYCLE_1)
	s_cmp_lg_u32 s41, 0
	s_cselect_b32 s21, s40, s21
	s_cselect_b32 s20, s28, s20
	s_cbranch_execnz .LBB195_338
.LBB195_337:                            ;   in Loop: Header=BB195_10 Depth=1
	v_cvt_f32_u32_e32 v6, s48
	s_sub_co_i32 s21, 0, s48
	s_delay_alu instid0(VALU_DEP_1) | instskip(SKIP_1) | instid1(TRANS32_DEP_1)
	v_rcp_iflag_f32_e32 v6, v6
	v_nop
	v_mul_f32_e32 v6, 0x4f7ffffe, v6
	s_delay_alu instid0(VALU_DEP_1) | instskip(NEXT) | instid1(VALU_DEP_1)
	v_cvt_u32_f32_e32 v6, v6
	v_readfirstlane_b32 s20, v6
	s_mul_i32 s21, s21, s20
	s_delay_alu instid0(SALU_CYCLE_1) | instskip(NEXT) | instid1(SALU_CYCLE_1)
	s_mul_hi_u32 s21, s20, s21
	s_add_co_i32 s20, s20, s21
	s_delay_alu instid0(SALU_CYCLE_1) | instskip(NEXT) | instid1(SALU_CYCLE_1)
	s_mul_hi_u32 s20, s18, s20
	s_mul_i32 s20, s20, s48
	s_delay_alu instid0(SALU_CYCLE_1) | instskip(NEXT) | instid1(SALU_CYCLE_1)
	s_sub_co_i32 s20, s18, s20
	s_sub_co_i32 s21, s20, s48
	s_cmp_ge_u32 s20, s48
	s_cselect_b32 s20, s21, s20
	s_delay_alu instid0(SALU_CYCLE_1) | instskip(SKIP_2) | instid1(SALU_CYCLE_1)
	s_sub_co_i32 s21, s20, s48
	s_cmp_ge_u32 s20, s48
	s_cselect_b32 s28, s21, s20
	s_mov_b64 s[20:21], s[28:29]
.LBB195_338:                            ;   in Loop: Header=BB195_10 Depth=1
	s_delay_alu instid0(SALU_CYCLE_1)
	s_sub_nc_u64 s[18:19], s[18:19], s[20:21]
	s_mov_b32 s21, 0
	s_mov_b32 s20, 0
	s_mov_b32 s28, exec_lo
                                        ; implicit-def: $vgpr25
	v_cmpx_gt_u64_e64 s[18:19], v[0:1]
	s_cbranch_execz .LBB195_350
; %bb.339:                              ;   in Loop: Header=BB195_10 Depth=1
	v_mov_b64_e32 v[6:7], v[0:1]
	v_mov_b32_e32 v8, v16
                                        ; implicit-def: $sgpr40
	s_branch .LBB195_343
.LBB195_340:                            ;   in Loop: Header=BB195_343 Depth=2
	s_or_b32 exec_lo, exec_lo, s41
	s_wait_dscnt 0x0
	s_barrier_signal -1
	s_barrier_wait -1
	ds_load_b64 v[24:25], v3 offset:3072
	s_wait_dscnt 0x0
	s_barrier_signal -1
	s_barrier_wait -1
	v_cmp_neq_f32_e32 vcc_lo, 0, v24
	s_cbranch_vccnz .LBB195_346
; %bb.341:                              ;   in Loop: Header=BB195_343 Depth=2
	v_add_nc_u64_e32 v[6:7], s[48:49], v[6:7]
	v_add_nc_u32_e32 v8, s95, v8
	s_mov_b32 s41, 0
	s_delay_alu instid0(VALU_DEP_2)
	v_cmp_le_u64_e32 vcc_lo, s[18:19], v[6:7]
	s_or_not1_b32 s42, vcc_lo, exec_lo
.LBB195_342:                            ;   in Loop: Header=BB195_343 Depth=2
	s_delay_alu instid0(SALU_CYCLE_1) | instskip(NEXT) | instid1(SALU_CYCLE_1)
	s_and_b32 s4, exec_lo, s42
	s_or_b32 s20, s4, s20
	s_and_not1_b32 s4, s40, exec_lo
	s_and_b32 s8, s41, exec_lo
	s_delay_alu instid0(SALU_CYCLE_1)
	s_or_b32 s40, s4, s8
	s_and_not1_b32 exec_lo, exec_lo, s20
	s_cbranch_execz .LBB195_349
.LBB195_343:                            ;   Parent Loop BB195_10 Depth=1
                                        ; =>  This Inner Loop Header: Depth=2
	s_mov_b32 s41, exec_lo
	s_delay_alu instid0(VALU_DEP_2)
	v_cmpx_gt_u64_e64 s[10:11], v[6:7]
	s_cbranch_execz .LBB195_340
; %bb.344:                              ;   in Loop: Header=BB195_343 Depth=2
	ds_load_b32 v23, v8
	s_wait_dscnt 0x0
	v_cmp_lt_i32_e32 vcc_lo, -1, v23
	v_cndmask_b32_e64 v9, -1, 0x80000000, vcc_lo
	v_cmp_o_f32_e32 vcc_lo, v23, v23
	s_delay_alu instid0(VALU_DEP_2) | instskip(NEXT) | instid1(VALU_DEP_1)
	v_xor_b32_e32 v9, v9, v23
	v_cndmask_b32_e32 v9, -1, v9, vcc_lo
	s_delay_alu instid0(VALU_DEP_1) | instskip(NEXT) | instid1(VALU_DEP_1)
	v_and_b32_e32 v9, v9, v37
	v_cmp_eq_u32_e32 vcc_lo, v9, v34
	s_and_b32 exec_lo, exec_lo, vcc_lo
	s_cbranch_execz .LBB195_340
; %bb.345:                              ;   in Loop: Header=BB195_343 Depth=2
	ds_store_b64 v3, v[22:23] offset:3072
	s_branch .LBB195_340
.LBB195_346:                            ;   in Loop: Header=BB195_343 Depth=2
	s_mov_b32 s42, -1
	s_mov_b32 s41, -1
                                        ; implicit-def: $vgpr6_vgpr7
                                        ; implicit-def: $vgpr8
	s_branch .LBB195_342
.LBB195_347:                            ;   in Loop: Header=BB195_10 Depth=1
                                        ; implicit-def: $sgpr22_sgpr23
	s_branch .LBB195_291
.LBB195_348:                            ;   in Loop: Header=BB195_10 Depth=1
                                        ; implicit-def: $sgpr10_sgpr11
	s_branch .LBB195_307
.LBB195_349:                            ;   in Loop: Header=BB195_10 Depth=1
	s_or_b32 exec_lo, exec_lo, s20
	s_delay_alu instid0(SALU_CYCLE_1)
	s_and_b32 s20, s40, exec_lo
.LBB195_350:                            ;   in Loop: Header=BB195_10 Depth=1
	s_or_b32 exec_lo, exec_lo, s28
.LBB195_351:                            ;   in Loop: Header=BB195_10 Depth=1
	s_delay_alu instid0(SALU_CYCLE_1)
	s_and_b32 vcc_lo, exec_lo, s21
	s_cbranch_vccz .LBB195_366
; %bb.352:                              ;   in Loop: Header=BB195_10 Depth=1
	s_and_b64 s[10:11], s[66:67], 0xffffffff00000000
	s_delay_alu instid0(SALU_CYCLE_1)
	s_cmp_lg_u64 s[10:11], 0
	s_cbranch_scc0 .LBB195_395
; %bb.353:                              ;   in Loop: Header=BB195_10 Depth=1
	s_cvt_f32_u32 s10, s48
	s_sub_nc_u64 s[18:19], 0, s[48:49]
	s_delay_alu instid0(SALU_CYCLE_2) | instskip(NEXT) | instid1(SALU_CYCLE_3)
	s_fmamk_f32 s10, s98, 0x0, s10
	v_s_rcp_f32 s10, s10
	s_delay_alu instid0(TRANS32_DEP_1) | instskip(NEXT) | instid1(SALU_CYCLE_3)
	s_mul_f32 s10, s10, 0x5f7ffffc
	s_mul_f32 s11, s10, 0x2f800000
	s_delay_alu instid0(SALU_CYCLE_3) | instskip(NEXT) | instid1(SALU_CYCLE_3)
	s_trunc_f32 s11, s11
	s_fmamk_f32 s10, s11, 0xcf800000, s10
	s_cvt_u32_f32 s11, s11
	s_delay_alu instid0(SALU_CYCLE_2) | instskip(NEXT) | instid1(SALU_CYCLE_3)
	s_cvt_u32_f32 s10, s10
	s_mul_u64 s[40:41], s[18:19], s[10:11]
	s_delay_alu instid0(SALU_CYCLE_1)
	s_mul_hi_u32 s43, s10, s41
	s_mul_i32 s42, s10, s41
	s_mul_hi_u32 s28, s10, s40
	s_mul_i32 s23, s11, s40
	s_add_nc_u64 s[42:43], s[28:29], s[42:43]
	s_mul_hi_u32 s21, s11, s40
	s_mul_hi_u32 s44, s11, s41
	s_add_co_u32 s23, s42, s23
	s_add_co_ci_u32 s28, s43, s21
	s_mul_i32 s40, s11, s41
	s_add_co_ci_u32 s41, s44, 0
	s_delay_alu instid0(SALU_CYCLE_1) | instskip(NEXT) | instid1(SALU_CYCLE_1)
	s_add_nc_u64 s[40:41], s[28:29], s[40:41]
	s_add_co_u32 s10, s10, s40
	s_cselect_b32 s21, -1, 0
	s_delay_alu instid0(SALU_CYCLE_1) | instskip(SKIP_1) | instid1(SALU_CYCLE_1)
	s_cmp_lg_u32 s21, 0
	s_add_co_ci_u32 s11, s11, s41
	s_mul_u64 s[18:19], s[18:19], s[10:11]
	s_delay_alu instid0(SALU_CYCLE_1)
	s_mul_hi_u32 s41, s10, s19
	s_mul_i32 s40, s10, s19
	s_mul_hi_u32 s28, s10, s18
	s_mul_i32 s23, s11, s18
	s_add_nc_u64 s[40:41], s[28:29], s[40:41]
	s_mul_hi_u32 s21, s11, s18
	s_mul_hi_u32 s42, s11, s19
	s_mul_i32 s18, s11, s19
	s_add_co_u32 s19, s40, s23
	s_add_co_ci_u32 s28, s41, s21
	s_add_co_ci_u32 s19, s42, 0
	s_delay_alu instid0(SALU_CYCLE_1) | instskip(NEXT) | instid1(SALU_CYCLE_1)
	s_add_nc_u64 s[18:19], s[28:29], s[18:19]
	s_add_co_u32 s10, s10, s18
	s_cselect_b32 s18, -1, 0
	s_mul_hi_u32 s28, s66, s10
	s_cmp_lg_u32 s18, 0
	s_mul_hi_u32 s21, s67, s10
	s_add_co_ci_u32 s18, s11, s19
	s_mul_i32 s19, s67, s10
	s_mul_hi_u32 s11, s66, s18
	s_mul_i32 s10, s66, s18
	s_mul_hi_u32 s23, s67, s18
	s_add_nc_u64 s[10:11], s[28:29], s[10:11]
	s_mul_i32 s18, s67, s18
	s_add_co_u32 s10, s10, s19
	s_add_co_ci_u32 s28, s11, s21
	s_add_co_ci_u32 s19, s23, 0
	s_delay_alu instid0(SALU_CYCLE_1) | instskip(NEXT) | instid1(SALU_CYCLE_1)
	s_add_nc_u64 s[10:11], s[28:29], s[18:19]
	s_and_b64 s[18:19], s[10:11], 0xffffffff00000000
	s_delay_alu instid0(SALU_CYCLE_1) | instskip(NEXT) | instid1(SALU_CYCLE_1)
	s_or_b32 s18, s18, s10
	s_mul_u64 s[10:11], s[48:49], s[18:19]
	s_delay_alu instid0(SALU_CYCLE_1) | instskip(SKIP_1) | instid1(SALU_CYCLE_1)
	s_sub_co_u32 s10, s66, s10
	s_cselect_b32 s18, -1, 0
	s_cmp_lg_u32 s18, 0
	s_sub_co_ci_u32 s11, s67, s11
	s_sub_co_u32 s18, s10, s48
	s_cselect_b32 s19, -1, 0
	s_delay_alu instid0(SALU_CYCLE_1) | instskip(SKIP_3) | instid1(SALU_CYCLE_1)
	s_cmp_lg_u32 s19, 0
	s_sub_co_ci_u32 s19, s11, 0
	s_sub_co_u32 s21, s18, s48
	s_cselect_b32 s23, -1, 0
	s_cmp_lg_u32 s23, 0
	s_sub_co_ci_u32 s23, s19, 0
	s_cmp_ge_u32 s18, s48
	s_cselect_b32 s28, -1, 0
	s_cmp_eq_u32 s19, 0
	s_cselect_b32 s28, s28, -1
	s_delay_alu instid0(SALU_CYCLE_1)
	s_cmp_lg_u32 s28, 0
	s_cselect_b32 s19, s23, s19
	s_cselect_b32 s18, s21, s18
	s_cmp_ge_u32 s10, s48
	s_cselect_b32 s21, -1, 0
	s_cmp_eq_u32 s11, 0
	s_cselect_b32 s21, s21, -1
	s_delay_alu instid0(SALU_CYCLE_1)
	s_cmp_lg_u32 s21, 0
	s_cselect_b32 s11, s19, s11
	s_cselect_b32 s10, s18, s10
	s_cbranch_execnz .LBB195_355
.LBB195_354:                            ;   in Loop: Header=BB195_10 Depth=1
	v_cvt_f32_u32_e32 v6, s48
	s_sub_co_i32 s11, 0, s48
	s_delay_alu instid0(VALU_DEP_1) | instskip(SKIP_1) | instid1(TRANS32_DEP_1)
	v_rcp_iflag_f32_e32 v6, v6
	v_nop
	v_mul_f32_e32 v6, 0x4f7ffffe, v6
	s_delay_alu instid0(VALU_DEP_1) | instskip(NEXT) | instid1(VALU_DEP_1)
	v_cvt_u32_f32_e32 v6, v6
	v_readfirstlane_b32 s10, v6
	s_mul_i32 s11, s11, s10
	s_delay_alu instid0(SALU_CYCLE_1) | instskip(NEXT) | instid1(SALU_CYCLE_1)
	s_mul_hi_u32 s11, s10, s11
	s_add_co_i32 s10, s10, s11
	s_delay_alu instid0(SALU_CYCLE_1) | instskip(NEXT) | instid1(SALU_CYCLE_1)
	s_mul_hi_u32 s10, s66, s10
	s_mul_i32 s10, s10, s48
	s_delay_alu instid0(SALU_CYCLE_1) | instskip(NEXT) | instid1(SALU_CYCLE_1)
	s_sub_co_i32 s10, s66, s10
	s_sub_co_i32 s11, s10, s48
	s_cmp_ge_u32 s10, s48
	s_cselect_b32 s10, s11, s10
	s_delay_alu instid0(SALU_CYCLE_1) | instskip(SKIP_2) | instid1(SALU_CYCLE_1)
	s_sub_co_i32 s11, s10, s48
	s_cmp_ge_u32 s10, s48
	s_cselect_b32 s28, s11, s10
	s_mov_b64 s[10:11], s[28:29]
.LBB195_355:                            ;   in Loop: Header=BB195_10 Depth=1
	s_delay_alu instid0(SALU_CYCLE_1)
	s_sub_nc_u64 s[10:11], s[66:67], s[10:11]
	s_mov_b32 s18, exec_lo
                                        ; implicit-def: $vgpr25
	v_nop
	v_cmpx_gt_u64_e64 s[10:11], v[0:1]
	s_cbranch_execz .LBB195_365
; %bb.356:                              ;   in Loop: Header=BB195_10 Depth=1
	v_mov_b64_e32 v[6:7], v[0:1]
	s_mov_b32 s19, 0
                                        ; implicit-def: $sgpr21
	s_branch .LBB195_360
.LBB195_357:                            ;   in Loop: Header=BB195_360 Depth=2
	s_or_b32 exec_lo, exec_lo, s23
	s_wait_dscnt 0x0
	s_barrier_signal -1
	s_barrier_wait -1
	ds_load_b64 v[24:25], v3 offset:3072
	s_wait_dscnt 0x0
	s_barrier_signal -1
	s_barrier_wait -1
	v_cmp_eq_f32_e32 vcc_lo, 0, v24
	s_cbranch_vccz .LBB195_363
; %bb.358:                              ;   in Loop: Header=BB195_360 Depth=2
	v_add_nc_u64_e32 v[6:7], s[48:49], v[6:7]
	s_mov_b32 s23, 0
	s_delay_alu instid0(VALU_DEP_1)
	v_cmp_le_u64_e32 vcc_lo, s[10:11], v[6:7]
	s_or_not1_b32 s28, vcc_lo, exec_lo
.LBB195_359:                            ;   in Loop: Header=BB195_360 Depth=2
	s_delay_alu instid0(SALU_CYCLE_1) | instskip(NEXT) | instid1(SALU_CYCLE_1)
	s_and_b32 s4, exec_lo, s28
	s_or_b32 s19, s4, s19
	s_and_not1_b32 s4, s21, exec_lo
	s_and_b32 s8, s23, exec_lo
	s_delay_alu instid0(SALU_CYCLE_1)
	s_or_b32 s21, s4, s8
	s_and_not1_b32 exec_lo, exec_lo, s19
	s_cbranch_execz .LBB195_364
.LBB195_360:                            ;   Parent Loop BB195_10 Depth=1
                                        ; =>  This Inner Loop Header: Depth=2
	s_mov_b32 s23, exec_lo
	s_delay_alu instid0(VALU_DEP_1)
	v_cmpx_gt_u64_e64 s[36:37], v[6:7]
	s_cbranch_execz .LBB195_357
; %bb.361:                              ;   in Loop: Header=BB195_360 Depth=2
	v_mul_u64_e32 v[8:9], s[30:31], v[6:7]
	s_delay_alu instid0(VALU_DEP_1)
	v_lshl_add_u64 v[8:9], v[8:9], 2, s[34:35]
	global_load_b32 v23, v[8:9], off
	s_wait_loadcnt 0x0
	v_cmp_lt_i32_e32 vcc_lo, -1, v23
	v_cndmask_b32_e64 v8, -1, 0x80000000, vcc_lo
	v_cmp_o_f32_e32 vcc_lo, v23, v23
	s_delay_alu instid0(VALU_DEP_2) | instskip(NEXT) | instid1(VALU_DEP_1)
	v_xor_b32_e32 v8, v8, v23
	v_cndmask_b32_e32 v8, -1, v8, vcc_lo
	s_delay_alu instid0(VALU_DEP_1) | instskip(NEXT) | instid1(VALU_DEP_1)
	v_and_b32_e32 v8, v8, v37
	v_cmp_eq_u32_e32 vcc_lo, v8, v34
	s_and_b32 exec_lo, exec_lo, vcc_lo
	s_cbranch_execz .LBB195_357
; %bb.362:                              ;   in Loop: Header=BB195_360 Depth=2
	ds_store_b64 v3, v[22:23] offset:3072
	s_branch .LBB195_357
.LBB195_363:                            ;   in Loop: Header=BB195_360 Depth=2
	s_mov_b32 s28, -1
	s_mov_b32 s23, -1
                                        ; implicit-def: $vgpr6_vgpr7
	s_branch .LBB195_359
.LBB195_364:                            ;   in Loop: Header=BB195_10 Depth=1
	s_or_b32 exec_lo, exec_lo, s19
	s_delay_alu instid0(SALU_CYCLE_1) | instskip(SKIP_1) | instid1(SALU_CYCLE_1)
	s_and_not1_b32 s4, s20, exec_lo
	s_and_b32 s8, s21, exec_lo
	s_or_b32 s20, s4, s8
.LBB195_365:                            ;   in Loop: Header=BB195_10 Depth=1
	s_or_b32 exec_lo, exec_lo, s18
	s_mov_b32 s23, 0
	s_mov_b32 s75, -1
.LBB195_366:                            ;   in Loop: Header=BB195_10 Depth=1
	s_or_not1_b32 s10, s20, exec_lo
.LBB195_367:                            ;   in Loop: Header=BB195_10 Depth=1
	s_or_b32 exec_lo, exec_lo, s78
	s_mov_b32 s11, 0
	s_and_saveexec_b32 s20, s10
	s_cbranch_execz .LBB195_480
; %bb.368:                              ;   in Loop: Header=BB195_10 Depth=1
	v_mov_b64_e32 v[6:7], 1
	v_mov_b32_e32 v2, 1
	s_xor_b32 s18, s76, -1
	s_delay_alu instid0(SALU_CYCLE_1)
	s_and_saveexec_b32 s10, s18
	s_cbranch_execz .LBB195_377
; %bb.369:                              ;   in Loop: Header=BB195_10 Depth=1
	s_mov_b32 s11, exec_lo
	v_cmpx_ge_u64_e64 s[16:17], v[4:5]
	s_xor_b32 s11, exec_lo, s11
	s_cbranch_execz .LBB195_374
; %bb.370:                              ;   in Loop: Header=BB195_10 Depth=1
	ds_load_b64 v[6:7], v3 offset:5120
	s_lshl_b32 s18, 2, s96
	v_or_b32_e32 v37, s24, v37
	v_and_or_b32 v34, v34, s25, s18
	s_wait_dscnt 0x0
	v_cmp_ne_u64_e32 vcc_lo, 0, v[6:7]
	s_cbranch_vccnz .LBB195_374
; %bb.371:                              ;   in Loop: Header=BB195_10 Depth=1
	s_and_saveexec_b32 s18, s5
; %bb.372:                              ;   in Loop: Header=BB195_10 Depth=1
	v_mov_b64_e32 v[6:7], s[16:17]
	ds_store_b64 v3, v[6:7] offset:5128
; %bb.373:                              ;   in Loop: Header=BB195_10 Depth=1
	s_or_b32 exec_lo, exec_lo, s18
	s_wait_dscnt 0x0
	s_barrier_signal -1
	s_barrier_wait -1
.LBB195_374:                            ;   in Loop: Header=BB195_10 Depth=1
	s_or_saveexec_b32 s11, s11
	v_mov_b32_e32 v2, 5
	s_mov_b32 s18, 0
	s_xor_b32 exec_lo, exec_lo, s11
; %bb.375:                              ;   in Loop: Header=BB195_10 Depth=1
	v_sub_nc_u64_e64 v[4:5], v[4:5], s[16:17]
	v_mov_b32_e32 v2, 0
	s_mov_b32 s18, exec_lo
; %bb.376:                              ;   in Loop: Header=BB195_10 Depth=1
	s_or_b32 exec_lo, exec_lo, s11
	s_delay_alu instid0(VALU_DEP_2)
	v_mov_b64_e32 v[6:7], v[4:5]
	s_and_b32 s11, s18, exec_lo
.LBB195_377:                            ;   in Loop: Header=BB195_10 Depth=1
	s_or_b32 exec_lo, exec_lo, s10
	s_mov_b32 s10, -1
                                        ; implicit-def: $sgpr76
                                        ; implicit-def: $sgpr78
	s_and_saveexec_b32 s21, s11
	s_cbranch_execz .LBB195_479
; %bb.378:                              ;   in Loop: Header=BB195_10 Depth=1
	s_delay_alu instid0(VALU_DEP_1) | instskip(SKIP_2) | instid1(SALU_CYCLE_1)
	v_cmp_eq_u64_e32 vcc_lo, 1, v[6:7]
	s_cmp_eq_u64 s[14:15], 1
                                        ; implicit-def: $sgpr78
                                        ; implicit-def: $sgpr76
	s_cselect_b32 s10, -1, 0
	s_and_b32 s79, s10, vcc_lo
	s_mov_b32 s10, -1
	s_and_saveexec_b32 s80, s79
	s_cbranch_execz .LBB195_414
; %bb.379:                              ;   in Loop: Header=BB195_10 Depth=1
	ds_load_b64 v[4:5], v3 offset:5120
	s_wait_dscnt 0x0
	s_barrier_signal -1
	s_barrier_wait -1
	v_readfirstlane_b32 s10, v4
	v_readfirstlane_b32 s11, v5
	s_and_saveexec_b32 s16, s6
; %bb.380:                              ;   in Loop: Header=BB195_10 Depth=1
	ds_store_b32 v32, v3
; %bb.381:                              ;   in Loop: Header=BB195_10 Depth=1
	s_or_b32 exec_lo, exec_lo, s16
	s_lshl_b32 s16, 1, s96
	v_or_b32_e32 v37, s24, v37
	v_and_or_b32 v34, v34, s25, s16
	s_mov_b32 s76, -1
	s_mov_b32 s78, 0
	s_cmp_eq_u64 s[10:11], 0
	s_mov_b32 s18, 0
	s_mov_b32 s19, -1
	s_wait_dscnt 0x0
	s_barrier_signal -1
	s_barrier_wait -1
                                        ; implicit-def: $vgpr25
	s_cbranch_scc1 .LBB195_398
; %bb.382:                              ;   in Loop: Header=BB195_10 Depth=1
	s_add_nc_u64 s[16:17], s[10:11], s[64:65]
	s_delay_alu instid0(SALU_CYCLE_1) | instskip(NEXT) | instid1(SALU_CYCLE_1)
	s_and_b64 s[18:19], s[16:17], 0xffffffff00000000
	s_cmp_lg_u64 s[18:19], 0
	s_cbranch_scc0 .LBB195_431
; %bb.383:                              ;   in Loop: Header=BB195_10 Depth=1
	s_cvt_f32_u32 s18, s48
	s_sub_nc_u64 s[40:41], 0, s[48:49]
	s_delay_alu instid0(SALU_CYCLE_2) | instskip(NEXT) | instid1(SALU_CYCLE_3)
	s_fmamk_f32 s18, s98, 0x0, s18
	v_s_rcp_f32 s18, s18
	s_delay_alu instid0(TRANS32_DEP_1) | instskip(NEXT) | instid1(SALU_CYCLE_3)
	s_mul_f32 s18, s18, 0x5f7ffffc
	s_mul_f32 s19, s18, 0x2f800000
	s_delay_alu instid0(SALU_CYCLE_3) | instskip(NEXT) | instid1(SALU_CYCLE_3)
	s_trunc_f32 s19, s19
	s_fmamk_f32 s18, s19, 0xcf800000, s18
	s_cvt_u32_f32 s19, s19
	s_delay_alu instid0(SALU_CYCLE_2) | instskip(NEXT) | instid1(SALU_CYCLE_3)
	s_cvt_u32_f32 s18, s18
	s_mul_u64 s[42:43], s[40:41], s[18:19]
	s_delay_alu instid0(SALU_CYCLE_1)
	s_mul_hi_u32 s83, s18, s43
	s_mul_i32 s82, s18, s43
	s_mul_hi_u32 s28, s18, s42
	s_mul_i32 s45, s19, s42
	s_add_nc_u64 s[82:83], s[28:29], s[82:83]
	s_mul_hi_u32 s44, s19, s42
	s_mul_hi_u32 s46, s19, s43
	s_add_co_u32 s28, s82, s45
	s_add_co_ci_u32 s28, s83, s44
	s_mul_i32 s42, s19, s43
	s_add_co_ci_u32 s43, s46, 0
	s_delay_alu instid0(SALU_CYCLE_1) | instskip(NEXT) | instid1(SALU_CYCLE_1)
	s_add_nc_u64 s[42:43], s[28:29], s[42:43]
	s_add_co_u32 s18, s18, s42
	s_cselect_b32 s28, -1, 0
	s_delay_alu instid0(SALU_CYCLE_1) | instskip(SKIP_1) | instid1(SALU_CYCLE_1)
	s_cmp_lg_u32 s28, 0
	s_add_co_ci_u32 s19, s19, s43
	s_mul_u64 s[40:41], s[40:41], s[18:19]
	s_delay_alu instid0(SALU_CYCLE_1)
	s_mul_hi_u32 s43, s18, s41
	s_mul_i32 s42, s18, s41
	s_mul_hi_u32 s28, s18, s40
	s_mul_i32 s45, s19, s40
	s_add_nc_u64 s[42:43], s[28:29], s[42:43]
	s_mul_hi_u32 s44, s19, s40
	s_mul_hi_u32 s46, s19, s41
	s_add_co_u32 s28, s42, s45
	s_add_co_ci_u32 s28, s43, s44
	s_mul_i32 s40, s19, s41
	s_add_co_ci_u32 s41, s46, 0
	s_delay_alu instid0(SALU_CYCLE_1) | instskip(NEXT) | instid1(SALU_CYCLE_1)
	s_add_nc_u64 s[40:41], s[28:29], s[40:41]
	s_add_co_u32 s18, s18, s40
	s_cselect_b32 s40, -1, 0
	s_mul_hi_u32 s28, s16, s18
	s_cmp_lg_u32 s40, 0
	s_mul_hi_u32 s42, s17, s18
	s_add_co_ci_u32 s40, s19, s41
	s_mul_i32 s41, s17, s18
	s_mul_hi_u32 s19, s16, s40
	s_mul_i32 s18, s16, s40
	s_mul_hi_u32 s43, s17, s40
	s_add_nc_u64 s[18:19], s[28:29], s[18:19]
	s_mul_i32 s40, s17, s40
	s_add_co_u32 s18, s18, s41
	s_add_co_ci_u32 s28, s19, s42
	s_add_co_ci_u32 s41, s43, 0
	s_delay_alu instid0(SALU_CYCLE_1) | instskip(NEXT) | instid1(SALU_CYCLE_1)
	s_add_nc_u64 s[18:19], s[28:29], s[40:41]
	s_and_b64 s[40:41], s[18:19], 0xffffffff00000000
	s_delay_alu instid0(SALU_CYCLE_1) | instskip(NEXT) | instid1(SALU_CYCLE_1)
	s_or_b32 s40, s40, s18
	s_mul_u64 s[18:19], s[48:49], s[40:41]
	s_delay_alu instid0(SALU_CYCLE_1) | instskip(SKIP_1) | instid1(SALU_CYCLE_1)
	s_sub_co_u32 s18, s16, s18
	s_cselect_b32 s28, -1, 0
	s_cmp_lg_u32 s28, 0
	s_sub_co_ci_u32 s19, s17, s19
	s_sub_co_u32 s28, s18, s48
	s_cselect_b32 s40, -1, 0
	s_delay_alu instid0(SALU_CYCLE_1) | instskip(SKIP_3) | instid1(SALU_CYCLE_1)
	s_cmp_lg_u32 s40, 0
	s_sub_co_ci_u32 s40, s19, 0
	s_sub_co_u32 s41, s28, s48
	s_cselect_b32 s42, -1, 0
	s_cmp_lg_u32 s42, 0
	s_sub_co_ci_u32 s42, s40, 0
	s_cmp_ge_u32 s28, s48
	s_cselect_b32 s43, -1, 0
	s_cmp_eq_u32 s40, 0
	s_cselect_b32 s43, s43, -1
	s_delay_alu instid0(SALU_CYCLE_1)
	s_cmp_lg_u32 s43, 0
	s_cselect_b32 s40, s42, s40
	s_cselect_b32 s28, s41, s28
	s_cmp_ge_u32 s18, s48
	s_cselect_b32 s41, -1, 0
	s_cmp_eq_u32 s19, 0
	s_cselect_b32 s41, s41, -1
	s_delay_alu instid0(SALU_CYCLE_1)
	s_cmp_lg_u32 s41, 0
	s_cselect_b32 s19, s40, s19
	s_cselect_b32 s18, s28, s18
	s_cbranch_execnz .LBB195_385
.LBB195_384:                            ;   in Loop: Header=BB195_10 Depth=1
	v_cvt_f32_u32_e32 v4, s48
	s_sub_co_i32 s19, 0, s48
	s_delay_alu instid0(VALU_DEP_1) | instskip(SKIP_1) | instid1(TRANS32_DEP_1)
	v_rcp_iflag_f32_e32 v4, v4
	v_nop
	v_mul_f32_e32 v4, 0x4f7ffffe, v4
	s_delay_alu instid0(VALU_DEP_1) | instskip(NEXT) | instid1(VALU_DEP_1)
	v_cvt_u32_f32_e32 v4, v4
	v_readfirstlane_b32 s18, v4
	s_mul_i32 s19, s19, s18
	s_delay_alu instid0(SALU_CYCLE_1) | instskip(NEXT) | instid1(SALU_CYCLE_1)
	s_mul_hi_u32 s19, s18, s19
	s_add_co_i32 s18, s18, s19
	s_delay_alu instid0(SALU_CYCLE_1) | instskip(NEXT) | instid1(SALU_CYCLE_1)
	s_mul_hi_u32 s18, s16, s18
	s_mul_i32 s18, s18, s48
	s_delay_alu instid0(SALU_CYCLE_1) | instskip(NEXT) | instid1(SALU_CYCLE_1)
	s_sub_co_i32 s18, s16, s18
	s_sub_co_i32 s19, s18, s48
	s_cmp_ge_u32 s18, s48
	s_cselect_b32 s18, s19, s18
	s_delay_alu instid0(SALU_CYCLE_1) | instskip(SKIP_2) | instid1(SALU_CYCLE_1)
	s_sub_co_i32 s19, s18, s48
	s_cmp_ge_u32 s18, s48
	s_cselect_b32 s28, s19, s18
	s_mov_b64 s[18:19], s[28:29]
.LBB195_385:                            ;   in Loop: Header=BB195_10 Depth=1
	s_delay_alu instid0(SALU_CYCLE_1)
	s_sub_nc_u64 s[16:17], s[16:17], s[18:19]
	s_mov_b32 s19, 0
	s_mov_b32 s18, 0
	s_mov_b32 s28, exec_lo
                                        ; implicit-def: $vgpr25
	v_cmpx_gt_u64_e64 s[16:17], v[0:1]
	s_cbranch_execz .LBB195_397
; %bb.386:                              ;   in Loop: Header=BB195_10 Depth=1
	v_mov_b64_e32 v[4:5], v[0:1]
	v_mov_b32_e32 v8, v16
                                        ; implicit-def: $sgpr40
	s_branch .LBB195_390
.LBB195_387:                            ;   in Loop: Header=BB195_390 Depth=2
	s_or_b32 exec_lo, exec_lo, s41
	s_wait_dscnt 0x0
	s_barrier_signal -1
	s_barrier_wait -1
	ds_load_b64 v[24:25], v3 offset:3072
	s_wait_dscnt 0x0
	s_barrier_signal -1
	s_barrier_wait -1
	v_cmp_neq_f32_e32 vcc_lo, 0, v24
	s_cbranch_vccnz .LBB195_393
; %bb.388:                              ;   in Loop: Header=BB195_390 Depth=2
	v_add_nc_u64_e32 v[4:5], s[48:49], v[4:5]
	v_add_nc_u32_e32 v8, s95, v8
	s_mov_b32 s41, 0
	s_delay_alu instid0(VALU_DEP_2)
	v_cmp_le_u64_e32 vcc_lo, s[16:17], v[4:5]
	s_or_not1_b32 s42, vcc_lo, exec_lo
.LBB195_389:                            ;   in Loop: Header=BB195_390 Depth=2
	s_delay_alu instid0(SALU_CYCLE_1) | instskip(NEXT) | instid1(SALU_CYCLE_1)
	s_and_b32 s4, exec_lo, s42
	s_or_b32 s18, s4, s18
	s_and_not1_b32 s4, s40, exec_lo
	s_and_b32 s8, s41, exec_lo
	s_delay_alu instid0(SALU_CYCLE_1)
	s_or_b32 s40, s4, s8
	s_and_not1_b32 exec_lo, exec_lo, s18
	s_cbranch_execz .LBB195_396
.LBB195_390:                            ;   Parent Loop BB195_10 Depth=1
                                        ; =>  This Inner Loop Header: Depth=2
	s_mov_b32 s41, exec_lo
	s_delay_alu instid0(VALU_DEP_2)
	v_cmpx_gt_u64_e64 s[10:11], v[4:5]
	s_cbranch_execz .LBB195_387
; %bb.391:                              ;   in Loop: Header=BB195_390 Depth=2
	ds_load_b32 v23, v8
	s_wait_dscnt 0x0
	v_cmp_lt_i32_e32 vcc_lo, -1, v23
	v_cndmask_b32_e64 v9, -1, 0x80000000, vcc_lo
	v_cmp_o_f32_e32 vcc_lo, v23, v23
	s_delay_alu instid0(VALU_DEP_2) | instskip(NEXT) | instid1(VALU_DEP_1)
	v_xor_b32_e32 v9, v9, v23
	v_cndmask_b32_e32 v9, -1, v9, vcc_lo
	s_delay_alu instid0(VALU_DEP_1) | instskip(NEXT) | instid1(VALU_DEP_1)
	v_and_b32_e32 v9, v9, v37
	v_cmp_eq_u32_e32 vcc_lo, v9, v34
	s_and_b32 exec_lo, exec_lo, vcc_lo
	s_cbranch_execz .LBB195_387
; %bb.392:                              ;   in Loop: Header=BB195_390 Depth=2
	ds_store_b64 v3, v[22:23] offset:3072
	s_branch .LBB195_387
.LBB195_393:                            ;   in Loop: Header=BB195_390 Depth=2
	s_mov_b32 s42, -1
	s_mov_b32 s41, -1
                                        ; implicit-def: $vgpr4_vgpr5
                                        ; implicit-def: $vgpr8
	s_branch .LBB195_389
.LBB195_394:                            ;   in Loop: Header=BB195_10 Depth=1
                                        ; implicit-def: $sgpr20_sgpr21
	s_branch .LBB195_337
.LBB195_395:                            ;   in Loop: Header=BB195_10 Depth=1
                                        ; implicit-def: $sgpr10_sgpr11
	s_branch .LBB195_354
.LBB195_396:                            ;   in Loop: Header=BB195_10 Depth=1
	s_or_b32 exec_lo, exec_lo, s18
	s_delay_alu instid0(SALU_CYCLE_1)
	s_and_b32 s18, s40, exec_lo
.LBB195_397:                            ;   in Loop: Header=BB195_10 Depth=1
	s_or_b32 exec_lo, exec_lo, s28
.LBB195_398:                            ;   in Loop: Header=BB195_10 Depth=1
	s_delay_alu instid0(SALU_CYCLE_1)
	s_and_b32 vcc_lo, exec_lo, s19
	s_cbranch_vccz .LBB195_413
; %bb.399:                              ;   in Loop: Header=BB195_10 Depth=1
	s_and_b64 s[10:11], s[66:67], 0xffffffff00000000
	s_delay_alu instid0(SALU_CYCLE_1)
	s_cmp_lg_u64 s[10:11], 0
	s_cbranch_scc0 .LBB195_432
; %bb.400:                              ;   in Loop: Header=BB195_10 Depth=1
	s_cvt_f32_u32 s10, s48
	s_sub_nc_u64 s[16:17], 0, s[48:49]
	s_delay_alu instid0(SALU_CYCLE_2) | instskip(NEXT) | instid1(SALU_CYCLE_3)
	s_fmamk_f32 s10, s98, 0x0, s10
	v_s_rcp_f32 s10, s10
	s_delay_alu instid0(TRANS32_DEP_1) | instskip(NEXT) | instid1(SALU_CYCLE_3)
	s_mul_f32 s10, s10, 0x5f7ffffc
	s_mul_f32 s11, s10, 0x2f800000
	s_delay_alu instid0(SALU_CYCLE_3) | instskip(NEXT) | instid1(SALU_CYCLE_3)
	s_trunc_f32 s11, s11
	s_fmamk_f32 s10, s11, 0xcf800000, s10
	s_cvt_u32_f32 s11, s11
	s_delay_alu instid0(SALU_CYCLE_2) | instskip(NEXT) | instid1(SALU_CYCLE_3)
	s_cvt_u32_f32 s10, s10
	s_mul_u64 s[40:41], s[16:17], s[10:11]
	s_delay_alu instid0(SALU_CYCLE_1)
	s_mul_hi_u32 s43, s10, s41
	s_mul_i32 s42, s10, s41
	s_mul_hi_u32 s28, s10, s40
	s_mul_i32 s44, s11, s40
	s_add_nc_u64 s[42:43], s[28:29], s[42:43]
	s_mul_hi_u32 s19, s11, s40
	s_mul_hi_u32 s45, s11, s41
	s_add_co_u32 s28, s42, s44
	s_add_co_ci_u32 s28, s43, s19
	s_mul_i32 s40, s11, s41
	s_add_co_ci_u32 s41, s45, 0
	s_delay_alu instid0(SALU_CYCLE_1) | instskip(NEXT) | instid1(SALU_CYCLE_1)
	s_add_nc_u64 s[40:41], s[28:29], s[40:41]
	s_add_co_u32 s10, s10, s40
	s_cselect_b32 s19, -1, 0
	s_delay_alu instid0(SALU_CYCLE_1) | instskip(SKIP_1) | instid1(SALU_CYCLE_1)
	s_cmp_lg_u32 s19, 0
	s_add_co_ci_u32 s11, s11, s41
	s_mul_u64 s[16:17], s[16:17], s[10:11]
	s_delay_alu instid0(SALU_CYCLE_1)
	s_mul_hi_u32 s41, s10, s17
	s_mul_i32 s40, s10, s17
	s_mul_hi_u32 s28, s10, s16
	s_mul_i32 s42, s11, s16
	s_add_nc_u64 s[40:41], s[28:29], s[40:41]
	s_mul_hi_u32 s19, s11, s16
	s_mul_hi_u32 s43, s11, s17
	s_mul_i32 s16, s11, s17
	s_add_co_u32 s17, s40, s42
	s_add_co_ci_u32 s28, s41, s19
	s_add_co_ci_u32 s17, s43, 0
	s_delay_alu instid0(SALU_CYCLE_1) | instskip(NEXT) | instid1(SALU_CYCLE_1)
	s_add_nc_u64 s[16:17], s[28:29], s[16:17]
	s_add_co_u32 s10, s10, s16
	s_cselect_b32 s16, -1, 0
	s_mul_hi_u32 s28, s66, s10
	s_cmp_lg_u32 s16, 0
	s_mul_hi_u32 s19, s67, s10
	s_add_co_ci_u32 s16, s11, s17
	s_mul_i32 s17, s67, s10
	s_mul_hi_u32 s11, s66, s16
	s_mul_i32 s10, s66, s16
	s_mul_hi_u32 s40, s67, s16
	s_add_nc_u64 s[10:11], s[28:29], s[10:11]
	s_mul_i32 s16, s67, s16
	s_add_co_u32 s10, s10, s17
	s_add_co_ci_u32 s28, s11, s19
	s_add_co_ci_u32 s17, s40, 0
	s_delay_alu instid0(SALU_CYCLE_1) | instskip(NEXT) | instid1(SALU_CYCLE_1)
	s_add_nc_u64 s[10:11], s[28:29], s[16:17]
	s_and_b64 s[16:17], s[10:11], 0xffffffff00000000
	s_delay_alu instid0(SALU_CYCLE_1) | instskip(NEXT) | instid1(SALU_CYCLE_1)
	s_or_b32 s16, s16, s10
	s_mul_u64 s[10:11], s[48:49], s[16:17]
	s_delay_alu instid0(SALU_CYCLE_1) | instskip(SKIP_1) | instid1(SALU_CYCLE_1)
	s_sub_co_u32 s10, s66, s10
	s_cselect_b32 s16, -1, 0
	s_cmp_lg_u32 s16, 0
	s_sub_co_ci_u32 s11, s67, s11
	s_sub_co_u32 s16, s10, s48
	s_cselect_b32 s17, -1, 0
	s_delay_alu instid0(SALU_CYCLE_1) | instskip(SKIP_3) | instid1(SALU_CYCLE_1)
	s_cmp_lg_u32 s17, 0
	s_sub_co_ci_u32 s17, s11, 0
	s_sub_co_u32 s19, s16, s48
	s_cselect_b32 s28, -1, 0
	s_cmp_lg_u32 s28, 0
	s_sub_co_ci_u32 s28, s17, 0
	s_cmp_ge_u32 s16, s48
	s_cselect_b32 s40, -1, 0
	s_cmp_eq_u32 s17, 0
	s_cselect_b32 s40, s40, -1
	s_delay_alu instid0(SALU_CYCLE_1)
	s_cmp_lg_u32 s40, 0
	s_cselect_b32 s17, s28, s17
	s_cselect_b32 s16, s19, s16
	s_cmp_ge_u32 s10, s48
	s_cselect_b32 s19, -1, 0
	s_cmp_eq_u32 s11, 0
	s_cselect_b32 s19, s19, -1
	s_delay_alu instid0(SALU_CYCLE_1)
	s_cmp_lg_u32 s19, 0
	s_cselect_b32 s11, s17, s11
	s_cselect_b32 s10, s16, s10
	s_cbranch_execnz .LBB195_402
.LBB195_401:                            ;   in Loop: Header=BB195_10 Depth=1
	v_cvt_f32_u32_e32 v4, s48
	s_sub_co_i32 s11, 0, s48
	s_delay_alu instid0(VALU_DEP_1) | instskip(SKIP_1) | instid1(TRANS32_DEP_1)
	v_rcp_iflag_f32_e32 v4, v4
	v_nop
	v_mul_f32_e32 v4, 0x4f7ffffe, v4
	s_delay_alu instid0(VALU_DEP_1) | instskip(NEXT) | instid1(VALU_DEP_1)
	v_cvt_u32_f32_e32 v4, v4
	v_readfirstlane_b32 s10, v4
	s_mul_i32 s11, s11, s10
	s_delay_alu instid0(SALU_CYCLE_1) | instskip(NEXT) | instid1(SALU_CYCLE_1)
	s_mul_hi_u32 s11, s10, s11
	s_add_co_i32 s10, s10, s11
	s_delay_alu instid0(SALU_CYCLE_1) | instskip(NEXT) | instid1(SALU_CYCLE_1)
	s_mul_hi_u32 s10, s66, s10
	s_mul_i32 s10, s10, s48
	s_delay_alu instid0(SALU_CYCLE_1) | instskip(NEXT) | instid1(SALU_CYCLE_1)
	s_sub_co_i32 s10, s66, s10
	s_sub_co_i32 s11, s10, s48
	s_cmp_ge_u32 s10, s48
	s_cselect_b32 s10, s11, s10
	s_delay_alu instid0(SALU_CYCLE_1) | instskip(SKIP_2) | instid1(SALU_CYCLE_1)
	s_sub_co_i32 s11, s10, s48
	s_cmp_ge_u32 s10, s48
	s_cselect_b32 s28, s11, s10
	s_mov_b64 s[10:11], s[28:29]
.LBB195_402:                            ;   in Loop: Header=BB195_10 Depth=1
	s_delay_alu instid0(SALU_CYCLE_1)
	s_sub_nc_u64 s[10:11], s[66:67], s[10:11]
	s_mov_b32 s16, exec_lo
                                        ; implicit-def: $vgpr25
	v_nop
	v_cmpx_gt_u64_e64 s[10:11], v[0:1]
	s_cbranch_execz .LBB195_412
; %bb.403:                              ;   in Loop: Header=BB195_10 Depth=1
	v_mov_b64_e32 v[4:5], v[0:1]
	s_mov_b32 s17, 0
                                        ; implicit-def: $sgpr19
	s_branch .LBB195_407
.LBB195_404:                            ;   in Loop: Header=BB195_407 Depth=2
	s_or_b32 exec_lo, exec_lo, s28
	s_wait_dscnt 0x0
	s_barrier_signal -1
	s_barrier_wait -1
	ds_load_b64 v[24:25], v3 offset:3072
	s_wait_dscnt 0x0
	s_barrier_signal -1
	s_barrier_wait -1
	v_cmp_eq_f32_e32 vcc_lo, 0, v24
	s_cbranch_vccz .LBB195_410
; %bb.405:                              ;   in Loop: Header=BB195_407 Depth=2
	v_add_nc_u64_e32 v[4:5], s[48:49], v[4:5]
	s_mov_b32 s28, 0
	s_delay_alu instid0(VALU_DEP_1)
	v_cmp_le_u64_e32 vcc_lo, s[10:11], v[4:5]
	s_or_not1_b32 s40, vcc_lo, exec_lo
.LBB195_406:                            ;   in Loop: Header=BB195_407 Depth=2
	s_delay_alu instid0(SALU_CYCLE_1) | instskip(NEXT) | instid1(SALU_CYCLE_1)
	s_and_b32 s4, exec_lo, s40
	s_or_b32 s17, s4, s17
	s_and_not1_b32 s4, s19, exec_lo
	s_and_b32 s8, s28, exec_lo
	s_delay_alu instid0(SALU_CYCLE_1)
	s_or_b32 s19, s4, s8
	s_and_not1_b32 exec_lo, exec_lo, s17
	s_cbranch_execz .LBB195_411
.LBB195_407:                            ;   Parent Loop BB195_10 Depth=1
                                        ; =>  This Inner Loop Header: Depth=2
	s_mov_b32 s28, exec_lo
	s_delay_alu instid0(VALU_DEP_1)
	v_cmpx_gt_u64_e64 s[36:37], v[4:5]
	s_cbranch_execz .LBB195_404
; %bb.408:                              ;   in Loop: Header=BB195_407 Depth=2
	v_mul_u64_e32 v[8:9], s[30:31], v[4:5]
	s_delay_alu instid0(VALU_DEP_1)
	v_lshl_add_u64 v[8:9], v[8:9], 2, s[34:35]
	global_load_b32 v23, v[8:9], off
	s_wait_loadcnt 0x0
	v_cmp_lt_i32_e32 vcc_lo, -1, v23
	v_cndmask_b32_e64 v8, -1, 0x80000000, vcc_lo
	v_cmp_o_f32_e32 vcc_lo, v23, v23
	s_delay_alu instid0(VALU_DEP_2) | instskip(NEXT) | instid1(VALU_DEP_1)
	v_xor_b32_e32 v8, v8, v23
	v_cndmask_b32_e32 v8, -1, v8, vcc_lo
	s_delay_alu instid0(VALU_DEP_1) | instskip(NEXT) | instid1(VALU_DEP_1)
	v_and_b32_e32 v8, v8, v37
	v_cmp_eq_u32_e32 vcc_lo, v8, v34
	s_and_b32 exec_lo, exec_lo, vcc_lo
	s_cbranch_execz .LBB195_404
; %bb.409:                              ;   in Loop: Header=BB195_407 Depth=2
	ds_store_b64 v3, v[22:23] offset:3072
	s_branch .LBB195_404
.LBB195_410:                            ;   in Loop: Header=BB195_407 Depth=2
	s_mov_b32 s40, -1
	s_mov_b32 s28, -1
                                        ; implicit-def: $vgpr4_vgpr5
	s_branch .LBB195_406
.LBB195_411:                            ;   in Loop: Header=BB195_10 Depth=1
	s_or_b32 exec_lo, exec_lo, s17
	s_delay_alu instid0(SALU_CYCLE_1) | instskip(SKIP_1) | instid1(SALU_CYCLE_1)
	s_and_not1_b32 s4, s18, exec_lo
	s_and_b32 s8, s19, exec_lo
	s_or_b32 s18, s4, s8
.LBB195_412:                            ;   in Loop: Header=BB195_10 Depth=1
	s_or_b32 exec_lo, exec_lo, s16
	s_mov_b32 s76, 0
	s_mov_b32 s78, -1
.LBB195_413:                            ;   in Loop: Header=BB195_10 Depth=1
	s_or_not1_b32 s10, s18, exec_lo
.LBB195_414:                            ;   in Loop: Header=BB195_10 Depth=1
	s_or_b32 exec_lo, exec_lo, s80
	s_mov_b32 s11, 0
	s_and_saveexec_b32 s18, s10
	s_cbranch_execz .LBB195_478
; %bb.415:                              ;   in Loop: Header=BB195_10 Depth=1
	v_mov_b64_e32 v[4:5], 1
	v_mov_b32_e32 v2, 1
	s_xor_b32 s16, s79, -1
	s_delay_alu instid0(SALU_CYCLE_1)
	s_and_saveexec_b32 s10, s16
	s_cbranch_execz .LBB195_424
; %bb.416:                              ;   in Loop: Header=BB195_10 Depth=1
	s_mov_b32 s11, exec_lo
	v_cmpx_ge_u64_e64 s[14:15], v[6:7]
	s_xor_b32 s11, exec_lo, s11
	s_cbranch_execz .LBB195_421
; %bb.417:                              ;   in Loop: Header=BB195_10 Depth=1
	ds_load_b64 v[4:5], v3 offset:5120
	s_lshl_b32 s16, 1, s96
	v_or_b32_e32 v37, s24, v37
	v_and_or_b32 v34, v34, s25, s16
	s_wait_dscnt 0x0
	v_cmp_ne_u64_e32 vcc_lo, 0, v[4:5]
	s_cbranch_vccnz .LBB195_421
; %bb.418:                              ;   in Loop: Header=BB195_10 Depth=1
	s_and_saveexec_b32 s16, s5
; %bb.419:                              ;   in Loop: Header=BB195_10 Depth=1
	v_mov_b64_e32 v[4:5], s[14:15]
	ds_store_b64 v3, v[4:5] offset:5128
; %bb.420:                              ;   in Loop: Header=BB195_10 Depth=1
	s_or_b32 exec_lo, exec_lo, s16
	s_wait_dscnt 0x0
	s_barrier_signal -1
	s_barrier_wait -1
.LBB195_421:                            ;   in Loop: Header=BB195_10 Depth=1
	s_or_saveexec_b32 s11, s11
	v_mov_b32_e32 v2, 5
	s_mov_b32 s16, 0
	s_xor_b32 exec_lo, exec_lo, s11
; %bb.422:                              ;   in Loop: Header=BB195_10 Depth=1
	v_sub_nc_u64_e64 v[6:7], v[6:7], s[14:15]
	v_mov_b32_e32 v2, 0
	s_mov_b32 s16, exec_lo
; %bb.423:                              ;   in Loop: Header=BB195_10 Depth=1
	s_or_b32 exec_lo, exec_lo, s11
	s_delay_alu instid0(VALU_DEP_2)
	v_mov_b64_e32 v[4:5], v[6:7]
	s_and_b32 s11, s16, exec_lo
.LBB195_424:                            ;   in Loop: Header=BB195_10 Depth=1
	s_or_b32 exec_lo, exec_lo, s10
	s_mov_b32 s10, -1
                                        ; implicit-def: $sgpr40
                                        ; implicit-def: $sgpr81
	s_and_saveexec_b32 s19, s11
	s_cbranch_execz .LBB195_477
; %bb.425:                              ;   in Loop: Header=BB195_10 Depth=1
	s_delay_alu instid0(VALU_DEP_1) | instskip(SKIP_3) | instid1(SALU_CYCLE_1)
	v_cmp_eq_u64_e32 vcc_lo, 1, v[4:5]
	s_cmp_eq_u64 s[12:13], 1
	s_mov_b32 s11, -1
	s_cselect_b32 s10, -1, 0
                                        ; implicit-def: $sgpr40
                                        ; implicit-def: $sgpr81
	s_and_b32 s79, s10, vcc_lo
	s_delay_alu instid0(SALU_CYCLE_1)
	s_and_saveexec_b32 s80, s79
	s_cbranch_execz .LBB195_465
; %bb.426:                              ;   in Loop: Header=BB195_10 Depth=1
	ds_load_b64 v[6:7], v3 offset:5120
	s_wait_dscnt 0x0
	s_barrier_signal -1
	s_barrier_wait -1
	v_readfirstlane_b32 s10, v6
	v_readfirstlane_b32 s11, v7
	s_and_saveexec_b32 s14, s6
; %bb.427:                              ;   in Loop: Header=BB195_10 Depth=1
	ds_store_b32 v32, v3
; %bb.428:                              ;   in Loop: Header=BB195_10 Depth=1
	s_or_b32 exec_lo, exec_lo, s14
	v_and_b32_e32 v34, s25, v34
	v_or_b32_e32 v37, s24, v37
	s_mov_b32 s81, -1
	s_mov_b32 s40, 0
	s_cmp_eq_u64 s[10:11], 0
	s_mov_b32 s16, 0
	s_mov_b32 s17, -1
	s_wait_dscnt 0x0
	s_barrier_signal -1
	s_barrier_wait -1
                                        ; implicit-def: $vgpr25
	s_cbranch_scc1 .LBB195_447
; %bb.429:                              ;   in Loop: Header=BB195_10 Depth=1
	s_add_nc_u64 s[14:15], s[10:11], s[64:65]
	s_delay_alu instid0(SALU_CYCLE_1) | instskip(NEXT) | instid1(SALU_CYCLE_1)
	s_and_b64 s[16:17], s[14:15], 0xffffffff00000000
	s_cmp_lg_u64 s[16:17], 0
	s_cbranch_scc0 .LBB195_433
; %bb.430:                              ;   in Loop: Header=BB195_10 Depth=1
	s_cvt_f32_u32 s16, s48
	s_sub_nc_u64 s[42:43], 0, s[48:49]
	s_delay_alu instid0(SALU_CYCLE_2) | instskip(NEXT) | instid1(SALU_CYCLE_3)
	s_fmamk_f32 s16, s98, 0x0, s16
	v_s_rcp_f32 s16, s16
	s_delay_alu instid0(TRANS32_DEP_1) | instskip(NEXT) | instid1(SALU_CYCLE_3)
	s_mul_f32 s16, s16, 0x5f7ffffc
	s_mul_f32 s17, s16, 0x2f800000
	s_delay_alu instid0(SALU_CYCLE_3) | instskip(NEXT) | instid1(SALU_CYCLE_3)
	s_trunc_f32 s17, s17
	s_fmamk_f32 s16, s17, 0xcf800000, s16
	s_cvt_u32_f32 s17, s17
	s_delay_alu instid0(SALU_CYCLE_2) | instskip(NEXT) | instid1(SALU_CYCLE_3)
	s_cvt_u32_f32 s16, s16
	s_mul_u64 s[82:83], s[42:43], s[16:17]
	s_delay_alu instid0(SALU_CYCLE_1)
	s_mul_hi_u32 s85, s16, s83
	s_mul_i32 s84, s16, s83
	s_mul_hi_u32 s28, s16, s82
	s_mul_i32 s44, s17, s82
	s_add_nc_u64 s[84:85], s[28:29], s[84:85]
	s_mul_hi_u32 s41, s17, s82
	s_mul_hi_u32 s45, s17, s83
	s_add_co_u32 s28, s84, s44
	s_add_co_ci_u32 s28, s85, s41
	s_mul_i32 s82, s17, s83
	s_add_co_ci_u32 s83, s45, 0
	s_delay_alu instid0(SALU_CYCLE_1) | instskip(NEXT) | instid1(SALU_CYCLE_1)
	s_add_nc_u64 s[82:83], s[28:29], s[82:83]
	s_add_co_u32 s16, s16, s82
	s_cselect_b32 s28, -1, 0
	s_delay_alu instid0(SALU_CYCLE_1) | instskip(SKIP_1) | instid1(SALU_CYCLE_1)
	s_cmp_lg_u32 s28, 0
	s_add_co_ci_u32 s17, s17, s83
	s_mul_u64 s[42:43], s[42:43], s[16:17]
	s_delay_alu instid0(SALU_CYCLE_1)
	s_mul_hi_u32 s83, s16, s43
	s_mul_i32 s82, s16, s43
	s_mul_hi_u32 s28, s16, s42
	s_mul_i32 s44, s17, s42
	s_add_nc_u64 s[82:83], s[28:29], s[82:83]
	s_mul_hi_u32 s41, s17, s42
	s_mul_hi_u32 s45, s17, s43
	s_add_co_u32 s28, s82, s44
	s_add_co_ci_u32 s28, s83, s41
	s_mul_i32 s42, s17, s43
	s_add_co_ci_u32 s43, s45, 0
	s_delay_alu instid0(SALU_CYCLE_1) | instskip(NEXT) | instid1(SALU_CYCLE_1)
	s_add_nc_u64 s[42:43], s[28:29], s[42:43]
	s_add_co_u32 s16, s16, s42
	s_cselect_b32 s41, -1, 0
	s_mul_hi_u32 s28, s14, s16
	s_cmp_lg_u32 s41, 0
	s_mul_hi_u32 s41, s15, s16
	s_add_co_ci_u32 s42, s17, s43
	s_mul_i32 s43, s15, s16
	s_mul_hi_u32 s17, s14, s42
	s_mul_i32 s16, s14, s42
	s_mul_hi_u32 s44, s15, s42
	s_add_nc_u64 s[16:17], s[28:29], s[16:17]
	s_mul_i32 s42, s15, s42
	s_add_co_u32 s16, s16, s43
	s_add_co_ci_u32 s28, s17, s41
	s_add_co_ci_u32 s43, s44, 0
	s_delay_alu instid0(SALU_CYCLE_1) | instskip(NEXT) | instid1(SALU_CYCLE_1)
	s_add_nc_u64 s[16:17], s[28:29], s[42:43]
	s_and_b64 s[42:43], s[16:17], 0xffffffff00000000
	s_delay_alu instid0(SALU_CYCLE_1) | instskip(NEXT) | instid1(SALU_CYCLE_1)
	s_or_b32 s42, s42, s16
	s_mul_u64 s[16:17], s[48:49], s[42:43]
	s_delay_alu instid0(SALU_CYCLE_1) | instskip(SKIP_1) | instid1(SALU_CYCLE_1)
	s_sub_co_u32 s16, s14, s16
	s_cselect_b32 s28, -1, 0
	s_cmp_lg_u32 s28, 0
	s_sub_co_ci_u32 s17, s15, s17
	s_sub_co_u32 s28, s16, s48
	s_cselect_b32 s41, -1, 0
	s_delay_alu instid0(SALU_CYCLE_1) | instskip(SKIP_3) | instid1(SALU_CYCLE_1)
	s_cmp_lg_u32 s41, 0
	s_sub_co_ci_u32 s41, s17, 0
	s_sub_co_u32 s42, s28, s48
	s_cselect_b32 s43, -1, 0
	s_cmp_lg_u32 s43, 0
	s_sub_co_ci_u32 s43, s41, 0
	s_cmp_ge_u32 s28, s48
	s_cselect_b32 s44, -1, 0
	s_cmp_eq_u32 s41, 0
	s_cselect_b32 s44, s44, -1
	s_delay_alu instid0(SALU_CYCLE_1)
	s_cmp_lg_u32 s44, 0
	s_cselect_b32 s41, s43, s41
	s_cselect_b32 s28, s42, s28
	s_cmp_ge_u32 s16, s48
	s_cselect_b32 s42, -1, 0
	s_cmp_eq_u32 s17, 0
	s_cselect_b32 s42, s42, -1
	s_delay_alu instid0(SALU_CYCLE_1)
	s_cmp_lg_u32 s42, 0
	s_cselect_b32 s17, s41, s17
	s_cselect_b32 s16, s28, s16
	s_mov_b32 s28, 0
	s_branch .LBB195_434
.LBB195_431:                            ;   in Loop: Header=BB195_10 Depth=1
                                        ; implicit-def: $sgpr18_sgpr19
	s_branch .LBB195_384
.LBB195_432:                            ;   in Loop: Header=BB195_10 Depth=1
                                        ; implicit-def: $sgpr10_sgpr11
	s_branch .LBB195_401
.LBB195_433:                            ;   in Loop: Header=BB195_10 Depth=1
	s_mov_b32 s28, -1
                                        ; implicit-def: $sgpr16_sgpr17
.LBB195_434:                            ;   in Loop: Header=BB195_10 Depth=1
	s_delay_alu instid0(SALU_CYCLE_1)
	s_and_not1_b32 vcc_lo, exec_lo, s28
	s_cbranch_vccnz .LBB195_436
; %bb.435:                              ;   in Loop: Header=BB195_10 Depth=1
	v_cvt_f32_u32_e32 v6, s48
	s_sub_co_i32 s17, 0, s48
	s_delay_alu instid0(VALU_DEP_1) | instskip(SKIP_1) | instid1(TRANS32_DEP_1)
	v_rcp_iflag_f32_e32 v6, v6
	v_nop
	v_mul_f32_e32 v6, 0x4f7ffffe, v6
	s_delay_alu instid0(VALU_DEP_1) | instskip(NEXT) | instid1(VALU_DEP_1)
	v_cvt_u32_f32_e32 v6, v6
	v_readfirstlane_b32 s16, v6
	s_mul_i32 s17, s17, s16
	s_delay_alu instid0(SALU_CYCLE_1) | instskip(NEXT) | instid1(SALU_CYCLE_1)
	s_mul_hi_u32 s17, s16, s17
	s_add_co_i32 s16, s16, s17
	s_delay_alu instid0(SALU_CYCLE_1) | instskip(NEXT) | instid1(SALU_CYCLE_1)
	s_mul_hi_u32 s16, s14, s16
	s_mul_i32 s16, s16, s48
	s_delay_alu instid0(SALU_CYCLE_1) | instskip(NEXT) | instid1(SALU_CYCLE_1)
	s_sub_co_i32 s16, s14, s16
	s_sub_co_i32 s17, s16, s48
	s_cmp_ge_u32 s16, s48
	s_cselect_b32 s16, s17, s16
	s_delay_alu instid0(SALU_CYCLE_1) | instskip(SKIP_2) | instid1(SALU_CYCLE_1)
	s_sub_co_i32 s17, s16, s48
	s_cmp_ge_u32 s16, s48
	s_cselect_b32 s28, s17, s16
	s_mov_b64 s[16:17], s[28:29]
.LBB195_436:                            ;   in Loop: Header=BB195_10 Depth=1
	s_delay_alu instid0(SALU_CYCLE_1)
	s_sub_nc_u64 s[14:15], s[14:15], s[16:17]
	s_mov_b32 s17, 0
	s_mov_b32 s16, 0
	s_mov_b32 s28, exec_lo
                                        ; implicit-def: $vgpr25
	v_cmpx_gt_u64_e64 s[14:15], v[0:1]
	s_cbranch_execz .LBB195_446
; %bb.437:                              ;   in Loop: Header=BB195_10 Depth=1
	v_mov_b64_e32 v[6:7], v[0:1]
	v_mov_b32_e32 v8, v16
                                        ; implicit-def: $sgpr41
	s_branch .LBB195_441
.LBB195_438:                            ;   in Loop: Header=BB195_441 Depth=2
	s_or_b32 exec_lo, exec_lo, s42
	s_wait_dscnt 0x0
	s_barrier_signal -1
	s_barrier_wait -1
	ds_load_b64 v[24:25], v3 offset:3072
	s_wait_dscnt 0x0
	s_barrier_signal -1
	s_barrier_wait -1
	v_cmp_neq_f32_e32 vcc_lo, 0, v24
	s_cbranch_vccnz .LBB195_444
; %bb.439:                              ;   in Loop: Header=BB195_441 Depth=2
	v_add_nc_u64_e32 v[6:7], s[48:49], v[6:7]
	v_add_nc_u32_e32 v8, s95, v8
	s_mov_b32 s42, 0
	s_delay_alu instid0(VALU_DEP_2)
	v_cmp_le_u64_e32 vcc_lo, s[14:15], v[6:7]
	s_or_not1_b32 s43, vcc_lo, exec_lo
.LBB195_440:                            ;   in Loop: Header=BB195_441 Depth=2
	s_delay_alu instid0(SALU_CYCLE_1) | instskip(NEXT) | instid1(SALU_CYCLE_1)
	s_and_b32 s4, exec_lo, s43
	s_or_b32 s16, s4, s16
	s_and_not1_b32 s4, s41, exec_lo
	s_and_b32 s8, s42, exec_lo
	s_delay_alu instid0(SALU_CYCLE_1)
	s_or_b32 s41, s4, s8
	s_and_not1_b32 exec_lo, exec_lo, s16
	s_cbranch_execz .LBB195_445
.LBB195_441:                            ;   Parent Loop BB195_10 Depth=1
                                        ; =>  This Inner Loop Header: Depth=2
	s_mov_b32 s42, exec_lo
	s_delay_alu instid0(VALU_DEP_2)
	v_cmpx_gt_u64_e64 s[10:11], v[6:7]
	s_cbranch_execz .LBB195_438
; %bb.442:                              ;   in Loop: Header=BB195_441 Depth=2
	ds_load_b32 v23, v8
	s_wait_dscnt 0x0
	v_cmp_lt_i32_e32 vcc_lo, -1, v23
	v_cndmask_b32_e64 v9, -1, 0x80000000, vcc_lo
	v_cmp_o_f32_e32 vcc_lo, v23, v23
	s_delay_alu instid0(VALU_DEP_2) | instskip(NEXT) | instid1(VALU_DEP_1)
	v_xor_b32_e32 v9, v9, v23
	v_cndmask_b32_e32 v9, -1, v9, vcc_lo
	s_delay_alu instid0(VALU_DEP_1) | instskip(NEXT) | instid1(VALU_DEP_1)
	v_and_b32_e32 v9, v9, v37
	v_cmp_eq_u32_e32 vcc_lo, v9, v34
	s_and_b32 exec_lo, exec_lo, vcc_lo
	s_cbranch_execz .LBB195_438
; %bb.443:                              ;   in Loop: Header=BB195_441 Depth=2
	ds_store_b64 v3, v[22:23] offset:3072
	s_branch .LBB195_438
.LBB195_444:                            ;   in Loop: Header=BB195_441 Depth=2
	s_mov_b32 s43, -1
	s_mov_b32 s42, -1
                                        ; implicit-def: $vgpr6_vgpr7
                                        ; implicit-def: $vgpr8
	s_branch .LBB195_440
.LBB195_445:                            ;   in Loop: Header=BB195_10 Depth=1
	s_or_b32 exec_lo, exec_lo, s16
	s_delay_alu instid0(SALU_CYCLE_1)
	s_and_b32 s16, s41, exec_lo
.LBB195_446:                            ;   in Loop: Header=BB195_10 Depth=1
	s_or_b32 exec_lo, exec_lo, s28
.LBB195_447:                            ;   in Loop: Header=BB195_10 Depth=1
	s_delay_alu instid0(SALU_CYCLE_1)
	s_and_b32 vcc_lo, exec_lo, s17
	s_cbranch_vccz .LBB195_464
; %bb.448:                              ;   in Loop: Header=BB195_10 Depth=1
	s_and_b64 s[10:11], s[66:67], 0xffffffff00000000
	s_delay_alu instid0(SALU_CYCLE_1)
	s_cmp_lg_u64 s[10:11], 0
	s_cbranch_scc0 .LBB195_450
; %bb.449:                              ;   in Loop: Header=BB195_10 Depth=1
	s_cvt_f32_u32 s10, s48
	s_sub_nc_u64 s[14:15], 0, s[48:49]
	s_delay_alu instid0(SALU_CYCLE_2) | instskip(NEXT) | instid1(SALU_CYCLE_3)
	s_fmamk_f32 s10, s98, 0x0, s10
	v_s_rcp_f32 s10, s10
	s_delay_alu instid0(TRANS32_DEP_1) | instskip(NEXT) | instid1(SALU_CYCLE_3)
	s_mul_f32 s10, s10, 0x5f7ffffc
	s_mul_f32 s11, s10, 0x2f800000
	s_delay_alu instid0(SALU_CYCLE_3) | instskip(NEXT) | instid1(SALU_CYCLE_3)
	s_trunc_f32 s11, s11
	s_fmamk_f32 s10, s11, 0xcf800000, s10
	s_cvt_u32_f32 s11, s11
	s_delay_alu instid0(SALU_CYCLE_2) | instskip(NEXT) | instid1(SALU_CYCLE_3)
	s_cvt_u32_f32 s10, s10
	s_mul_u64 s[40:41], s[14:15], s[10:11]
	s_delay_alu instid0(SALU_CYCLE_1)
	s_mul_hi_u32 s43, s10, s41
	s_mul_i32 s42, s10, s41
	s_mul_hi_u32 s28, s10, s40
	s_mul_i32 s44, s11, s40
	s_add_nc_u64 s[42:43], s[28:29], s[42:43]
	s_mul_hi_u32 s17, s11, s40
	s_mul_hi_u32 s45, s11, s41
	s_add_co_u32 s28, s42, s44
	s_add_co_ci_u32 s28, s43, s17
	s_mul_i32 s40, s11, s41
	s_add_co_ci_u32 s41, s45, 0
	s_delay_alu instid0(SALU_CYCLE_1) | instskip(NEXT) | instid1(SALU_CYCLE_1)
	s_add_nc_u64 s[40:41], s[28:29], s[40:41]
	s_add_co_u32 s10, s10, s40
	s_cselect_b32 s17, -1, 0
	s_delay_alu instid0(SALU_CYCLE_1) | instskip(SKIP_1) | instid1(SALU_CYCLE_1)
	s_cmp_lg_u32 s17, 0
	s_add_co_ci_u32 s11, s11, s41
	s_mul_u64 s[14:15], s[14:15], s[10:11]
	s_delay_alu instid0(SALU_CYCLE_1)
	s_mul_hi_u32 s41, s10, s15
	s_mul_i32 s40, s10, s15
	s_mul_hi_u32 s28, s10, s14
	s_mul_i32 s42, s11, s14
	s_add_nc_u64 s[40:41], s[28:29], s[40:41]
	s_mul_hi_u32 s17, s11, s14
	s_mul_hi_u32 s43, s11, s15
	s_mul_i32 s14, s11, s15
	s_add_co_u32 s15, s40, s42
	s_add_co_ci_u32 s28, s41, s17
	s_add_co_ci_u32 s15, s43, 0
	s_delay_alu instid0(SALU_CYCLE_1) | instskip(NEXT) | instid1(SALU_CYCLE_1)
	s_add_nc_u64 s[14:15], s[28:29], s[14:15]
	s_add_co_u32 s10, s10, s14
	s_cselect_b32 s14, -1, 0
	s_mul_hi_u32 s28, s66, s10
	s_cmp_lg_u32 s14, 0
	s_mul_hi_u32 s17, s67, s10
	s_add_co_ci_u32 s14, s11, s15
	s_mul_i32 s15, s67, s10
	s_mul_hi_u32 s11, s66, s14
	s_mul_i32 s10, s66, s14
	s_mul_hi_u32 s40, s67, s14
	s_add_nc_u64 s[10:11], s[28:29], s[10:11]
	s_mul_i32 s14, s67, s14
	s_add_co_u32 s10, s10, s15
	s_add_co_ci_u32 s28, s11, s17
	s_add_co_ci_u32 s15, s40, 0
	s_delay_alu instid0(SALU_CYCLE_1) | instskip(NEXT) | instid1(SALU_CYCLE_1)
	s_add_nc_u64 s[10:11], s[28:29], s[14:15]
	s_and_b64 s[14:15], s[10:11], 0xffffffff00000000
	s_delay_alu instid0(SALU_CYCLE_1) | instskip(NEXT) | instid1(SALU_CYCLE_1)
	s_or_b32 s14, s14, s10
	s_mul_u64 s[10:11], s[48:49], s[14:15]
	s_delay_alu instid0(SALU_CYCLE_1) | instskip(SKIP_1) | instid1(SALU_CYCLE_1)
	s_sub_co_u32 s10, s66, s10
	s_cselect_b32 s14, -1, 0
	s_cmp_lg_u32 s14, 0
	s_sub_co_ci_u32 s11, s67, s11
	s_sub_co_u32 s14, s10, s48
	s_cselect_b32 s15, -1, 0
	s_delay_alu instid0(SALU_CYCLE_1) | instskip(SKIP_3) | instid1(SALU_CYCLE_1)
	s_cmp_lg_u32 s15, 0
	s_sub_co_ci_u32 s15, s11, 0
	s_sub_co_u32 s17, s14, s48
	s_cselect_b32 s28, -1, 0
	s_cmp_lg_u32 s28, 0
	s_sub_co_ci_u32 s28, s15, 0
	s_cmp_ge_u32 s14, s48
	s_cselect_b32 s40, -1, 0
	s_cmp_eq_u32 s15, 0
	s_cselect_b32 s40, s40, -1
	s_delay_alu instid0(SALU_CYCLE_1)
	s_cmp_lg_u32 s40, 0
	s_cselect_b32 s15, s28, s15
	s_cselect_b32 s14, s17, s14
	s_cmp_ge_u32 s10, s48
	s_cselect_b32 s17, -1, 0
	s_cmp_eq_u32 s11, 0
	s_cselect_b32 s17, s17, -1
	s_delay_alu instid0(SALU_CYCLE_1)
	s_cmp_lg_u32 s17, 0
	s_cselect_b32 s11, s15, s11
	s_cselect_b32 s10, s14, s10
	s_mov_b32 s14, 0
	s_branch .LBB195_451
.LBB195_450:                            ;   in Loop: Header=BB195_10 Depth=1
	s_mov_b32 s14, -1
                                        ; implicit-def: $sgpr10_sgpr11
.LBB195_451:                            ;   in Loop: Header=BB195_10 Depth=1
	s_delay_alu instid0(SALU_CYCLE_1)
	s_and_not1_b32 vcc_lo, exec_lo, s14
	s_cbranch_vccnz .LBB195_453
; %bb.452:                              ;   in Loop: Header=BB195_10 Depth=1
	v_cvt_f32_u32_e32 v6, s48
	s_sub_co_i32 s11, 0, s48
	s_delay_alu instid0(VALU_DEP_1) | instskip(SKIP_1) | instid1(TRANS32_DEP_1)
	v_rcp_iflag_f32_e32 v6, v6
	v_nop
	v_mul_f32_e32 v6, 0x4f7ffffe, v6
	s_delay_alu instid0(VALU_DEP_1) | instskip(NEXT) | instid1(VALU_DEP_1)
	v_cvt_u32_f32_e32 v6, v6
	v_readfirstlane_b32 s10, v6
	s_mul_i32 s11, s11, s10
	s_delay_alu instid0(SALU_CYCLE_1) | instskip(NEXT) | instid1(SALU_CYCLE_1)
	s_mul_hi_u32 s11, s10, s11
	s_add_co_i32 s10, s10, s11
	s_delay_alu instid0(SALU_CYCLE_1) | instskip(NEXT) | instid1(SALU_CYCLE_1)
	s_mul_hi_u32 s10, s66, s10
	s_mul_i32 s10, s10, s48
	s_delay_alu instid0(SALU_CYCLE_1) | instskip(NEXT) | instid1(SALU_CYCLE_1)
	s_sub_co_i32 s10, s66, s10
	s_sub_co_i32 s11, s10, s48
	s_cmp_ge_u32 s10, s48
	s_cselect_b32 s10, s11, s10
	s_delay_alu instid0(SALU_CYCLE_1) | instskip(SKIP_2) | instid1(SALU_CYCLE_1)
	s_sub_co_i32 s11, s10, s48
	s_cmp_ge_u32 s10, s48
	s_cselect_b32 s28, s11, s10
	s_mov_b64 s[10:11], s[28:29]
.LBB195_453:                            ;   in Loop: Header=BB195_10 Depth=1
	s_delay_alu instid0(SALU_CYCLE_1)
	s_sub_nc_u64 s[10:11], s[66:67], s[10:11]
	s_mov_b32 s14, exec_lo
                                        ; implicit-def: $vgpr25
	v_nop
	v_cmpx_gt_u64_e64 s[10:11], v[0:1]
	s_cbranch_execz .LBB195_463
; %bb.454:                              ;   in Loop: Header=BB195_10 Depth=1
	v_mov_b64_e32 v[6:7], v[0:1]
	s_mov_b32 s15, 0
                                        ; implicit-def: $sgpr17
	s_branch .LBB195_458
.LBB195_455:                            ;   in Loop: Header=BB195_458 Depth=2
	s_or_b32 exec_lo, exec_lo, s28
	s_wait_dscnt 0x0
	s_barrier_signal -1
	s_barrier_wait -1
	ds_load_b64 v[24:25], v3 offset:3072
	s_wait_dscnt 0x0
	s_barrier_signal -1
	s_barrier_wait -1
	v_cmp_eq_f32_e32 vcc_lo, 0, v24
	s_cbranch_vccz .LBB195_461
; %bb.456:                              ;   in Loop: Header=BB195_458 Depth=2
	v_add_nc_u64_e32 v[6:7], s[48:49], v[6:7]
	s_mov_b32 s28, 0
	s_delay_alu instid0(VALU_DEP_1)
	v_cmp_le_u64_e32 vcc_lo, s[10:11], v[6:7]
	s_or_not1_b32 s40, vcc_lo, exec_lo
.LBB195_457:                            ;   in Loop: Header=BB195_458 Depth=2
	s_delay_alu instid0(SALU_CYCLE_1) | instskip(NEXT) | instid1(SALU_CYCLE_1)
	s_and_b32 s4, exec_lo, s40
	s_or_b32 s15, s4, s15
	s_and_not1_b32 s4, s17, exec_lo
	s_and_b32 s8, s28, exec_lo
	s_delay_alu instid0(SALU_CYCLE_1)
	s_or_b32 s17, s4, s8
	s_and_not1_b32 exec_lo, exec_lo, s15
	s_cbranch_execz .LBB195_462
.LBB195_458:                            ;   Parent Loop BB195_10 Depth=1
                                        ; =>  This Inner Loop Header: Depth=2
	s_mov_b32 s28, exec_lo
	s_delay_alu instid0(VALU_DEP_1)
	v_cmpx_gt_u64_e64 s[36:37], v[6:7]
	s_cbranch_execz .LBB195_455
; %bb.459:                              ;   in Loop: Header=BB195_458 Depth=2
	v_mul_u64_e32 v[8:9], s[30:31], v[6:7]
	s_delay_alu instid0(VALU_DEP_1)
	v_lshl_add_u64 v[8:9], v[8:9], 2, s[34:35]
	global_load_b32 v23, v[8:9], off
	s_wait_loadcnt 0x0
	v_cmp_lt_i32_e32 vcc_lo, -1, v23
	v_cndmask_b32_e64 v8, -1, 0x80000000, vcc_lo
	v_cmp_o_f32_e32 vcc_lo, v23, v23
	s_delay_alu instid0(VALU_DEP_2) | instskip(NEXT) | instid1(VALU_DEP_1)
	v_xor_b32_e32 v8, v8, v23
	v_cndmask_b32_e32 v8, -1, v8, vcc_lo
	s_delay_alu instid0(VALU_DEP_1) | instskip(NEXT) | instid1(VALU_DEP_1)
	v_and_b32_e32 v8, v8, v37
	v_cmp_eq_u32_e32 vcc_lo, v8, v34
	s_and_b32 exec_lo, exec_lo, vcc_lo
	s_cbranch_execz .LBB195_455
; %bb.460:                              ;   in Loop: Header=BB195_458 Depth=2
	ds_store_b64 v3, v[22:23] offset:3072
	s_branch .LBB195_455
.LBB195_461:                            ;   in Loop: Header=BB195_458 Depth=2
	s_mov_b32 s40, -1
	s_mov_b32 s28, -1
                                        ; implicit-def: $vgpr6_vgpr7
	s_branch .LBB195_457
.LBB195_462:                            ;   in Loop: Header=BB195_10 Depth=1
	s_or_b32 exec_lo, exec_lo, s15
	s_delay_alu instid0(SALU_CYCLE_1) | instskip(SKIP_1) | instid1(SALU_CYCLE_1)
	s_and_not1_b32 s4, s16, exec_lo
	s_and_b32 s8, s17, exec_lo
	s_or_b32 s16, s4, s8
.LBB195_463:                            ;   in Loop: Header=BB195_10 Depth=1
	s_or_b32 exec_lo, exec_lo, s14
	s_mov_b32 s81, 0
	s_mov_b32 s40, -1
.LBB195_464:                            ;   in Loop: Header=BB195_10 Depth=1
	s_or_not1_b32 s11, s16, exec_lo
.LBB195_465:                            ;   in Loop: Header=BB195_10 Depth=1
	s_or_b32 exec_lo, exec_lo, s80
	s_mov_b32 s14, 0
	s_and_saveexec_b32 s10, s11
	s_cbranch_execz .LBB195_476
; %bb.466:                              ;   in Loop: Header=BB195_10 Depth=1
	v_mov_b64_e32 v[6:7], 1
	v_mov_b32_e32 v2, 1
	s_xor_b32 s14, s79, -1
	s_delay_alu instid0(SALU_CYCLE_1)
	s_and_saveexec_b32 s11, s14
	s_cbranch_execz .LBB195_475
; %bb.467:                              ;   in Loop: Header=BB195_10 Depth=1
	s_mov_b32 s14, exec_lo
	v_cmpx_ge_u64_e64 s[12:13], v[4:5]
	s_xor_b32 s14, exec_lo, s14
	s_cbranch_execz .LBB195_472
; %bb.468:                              ;   in Loop: Header=BB195_10 Depth=1
	ds_load_b64 v[6:7], v3 offset:5120
	v_and_b32_e32 v34, s25, v34
	v_or_b32_e32 v37, s24, v37
	s_wait_dscnt 0x0
	v_cmp_ne_u64_e32 vcc_lo, 0, v[6:7]
	s_cbranch_vccnz .LBB195_472
; %bb.469:                              ;   in Loop: Header=BB195_10 Depth=1
	s_and_saveexec_b32 s15, s5
; %bb.470:                              ;   in Loop: Header=BB195_10 Depth=1
	v_mov_b64_e32 v[6:7], s[12:13]
	ds_store_b64 v3, v[6:7] offset:5128
; %bb.471:                              ;   in Loop: Header=BB195_10 Depth=1
	s_or_b32 exec_lo, exec_lo, s15
	s_wait_dscnt 0x0
	s_barrier_signal -1
	s_barrier_wait -1
.LBB195_472:                            ;   in Loop: Header=BB195_10 Depth=1
	s_and_not1_saveexec_b32 s14, s14
; %bb.473:                              ;   in Loop: Header=BB195_10 Depth=1
	v_sub_nc_u64_e64 v[4:5], v[4:5], s[12:13]
; %bb.474:                              ;   in Loop: Header=BB195_10 Depth=1
	s_or_b32 exec_lo, exec_lo, s14
	s_delay_alu instid0(VALU_DEP_1)
	v_mov_b64_e32 v[6:7], v[4:5]
	v_mov_b32_e32 v2, 5
.LBB195_475:                            ;   in Loop: Header=BB195_10 Depth=1
	s_or_b32 exec_lo, exec_lo, s11
	s_delay_alu instid0(VALU_DEP_2)
	v_mov_b64_e32 v[4:5], v[6:7]
	s_mov_b32 s14, exec_lo
.LBB195_476:                            ;   in Loop: Header=BB195_10 Depth=1
	s_or_b32 exec_lo, exec_lo, s10
	s_delay_alu instid0(SALU_CYCLE_1)
	s_or_not1_b32 s10, s14, exec_lo
.LBB195_477:                            ;   in Loop: Header=BB195_10 Depth=1
	s_or_b32 exec_lo, exec_lo, s19
	s_delay_alu instid0(SALU_CYCLE_1)
	s_and_not1_b32 s11, s78, exec_lo
	s_and_b32 s12, s40, exec_lo
	s_and_not1_b32 s13, s76, exec_lo
	s_and_b32 s14, s81, exec_lo
	v_mov_b64_e32 v[6:7], v[4:5]
	s_or_b32 s78, s11, s12
	s_or_b32 s76, s13, s14
	s_and_b32 s11, s10, exec_lo
.LBB195_478:                            ;   in Loop: Header=BB195_10 Depth=1
	s_or_b32 exec_lo, exec_lo, s18
	s_delay_alu instid0(SALU_CYCLE_1)
	s_or_not1_b32 s10, s11, exec_lo
.LBB195_479:                            ;   in Loop: Header=BB195_10 Depth=1
	s_or_b32 exec_lo, exec_lo, s21
	s_delay_alu instid0(SALU_CYCLE_1)
	s_and_not1_b32 s11, s75, exec_lo
	s_and_b32 s12, s78, exec_lo
	s_and_not1_b32 s13, s23, exec_lo
	s_and_b32 s14, s76, exec_lo
	v_mov_b64_e32 v[4:5], v[6:7]
	s_or_b32 s75, s11, s12
	s_or_b32 s23, s13, s14
	s_and_b32 s11, s10, exec_lo
.LBB195_480:                            ;   in Loop: Header=BB195_10 Depth=1
	s_or_b32 exec_lo, exec_lo, s20
	s_delay_alu instid0(SALU_CYCLE_1)
	s_or_not1_b32 s10, s11, exec_lo
.LBB195_481:                            ;   in Loop: Header=BB195_10 Depth=1
	s_or_b32 exec_lo, exec_lo, s9
	s_mov_b32 s9, s74
	s_mov_b32 s11, s27
	s_and_saveexec_b32 s12, s10
; %bb.482:                              ;   in Loop: Header=BB195_10 Depth=1
	v_cmp_ne_u32_e32 vcc_lo, 5, v2
	v_cmp_eq_u32_e64 s9, 5, v2
	s_and_not1_b32 s10, s27, exec_lo
	s_and_not1_b32 s13, s74, exec_lo
	s_and_b32 s11, vcc_lo, exec_lo
	s_and_b32 s9, s9, exec_lo
	s_or_b32 s11, s10, s11
	s_or_b32 s9, s13, s9
; %bb.483:                              ;   in Loop: Header=BB195_10 Depth=1
	s_or_b32 exec_lo, exec_lo, s12
	s_delay_alu instid0(SALU_CYCLE_1)
	s_and_not1_b32 s4, s77, exec_lo
	s_and_b32 s8, s75, exec_lo
	s_and_not1_b32 s10, s26, exec_lo
	s_and_b32 s12, s23, exec_lo
	s_or_b32 s77, s4, s8
	s_or_b32 s26, s10, s12
	s_and_not1_b32 s4, s27, exec_lo
	s_and_b32 s8, s11, exec_lo
	s_and_not1_b32 s10, s74, exec_lo
	s_and_b32 s9, s9, exec_lo
	s_or_b32 s27, s4, s8
	s_or_b32 s74, s10, s9
.LBB195_484:                            ;   in Loop: Header=BB195_10 Depth=1
	s_or_b32 exec_lo, exec_lo, s22
	s_mov_b32 s75, 0
	s_mov_b32 s76, 0
	s_and_saveexec_b32 s9, s74
.LBB195_485:                            ;   in Loop: Header=BB195_10 Depth=1
	v_mov_b32_e32 v2, 0
	s_or_b32 s27, s27, exec_lo
.LBB195_486:                            ;   in Loop: Header=BB195_10 Depth=1
	s_or_b32 exec_lo, exec_lo, s9
	v_mov_b64_e32 v[26:27], v[4:5]
	s_and_not1_b32 s4, s61, exec_lo
	s_and_b32 s8, s77, exec_lo
	s_and_not1_b32 s9, vcc_hi, exec_lo
	s_and_b32 s11, s26, exec_lo
	s_or_b32 s61, s4, s8
	s_or_b32 vcc_hi, s9, s11
	s_and_not1_b32 s4, s63, exec_lo
	s_and_b32 s8, s76, exec_lo
	s_and_not1_b32 s9, s62, exec_lo
	s_and_b32 s11, s75, exec_lo
	s_mov_b32 s10, -1
	s_and_not1_b32 s60, s60, exec_lo
	s_or_b32 s63, s4, s8
	s_or_b32 s62, s9, s11
	s_and_saveexec_b32 s4, s27
	s_delay_alu instid0(SALU_CYCLE_1)
	s_xor_b32 s9, exec_lo, s4
	s_cbranch_execz .LBB195_9
; %bb.487:                              ;   in Loop: Header=BB195_10 Depth=1
	s_mov_b32 s11, -1
	s_mov_b32 s12, exec_lo
	v_cmpx_eq_u32_e32 0, v2
	s_cbranch_execz .LBB195_8
; %bb.488:                              ;   in Loop: Header=BB195_10 Depth=1
	s_xor_b32 s100, s100, 1
	s_add_co_i32 s13, s96, -2
	s_cmp_eq_u32 s96, 0
	s_mov_b32 s96, s13
	s_cselect_b32 s10, -1, 0
	s_xor_b32 s11, exec_lo, -1
	s_or_not1_b32 s10, s10, exec_lo
	s_branch .LBB195_8
.LBB195_489:
	s_or_b32 exec_lo, exec_lo, s97
	s_xor_b32 s7, s104, -1
	s_xor_b32 s9, s102, -1
	;; [unrolled: 1-line block ×5, first 2 shown]
	s_mov_b32 s8, 0
	s_and_saveexec_b32 s11, s4
	s_delay_alu instid0(SALU_CYCLE_1)
	s_xor_b32 s16, exec_lo, s11
	s_cbranch_execnz .LBB195_496
; %bb.490:
	s_wait_xcnt 0x0
	s_and_not1_saveexec_b32 s0, s16
	s_cbranch_execnz .LBB195_515
.LBB195_491:
	s_or_b32 exec_lo, exec_lo, s0
	s_and_saveexec_b32 s0, s8
.LBB195_492:
	; divergent unreachable
.LBB195_493:
	s_endpgm
.LBB195_494:
	v_cvt_f32_u32_e32 v1, s2
	s_sub_co_i32 s5, 0, s2
	s_delay_alu instid0(VALU_DEP_1) | instskip(SKIP_1) | instid1(TRANS32_DEP_1)
	v_rcp_iflag_f32_e32 v1, v1
	v_nop
	v_mul_f32_e32 v1, 0x4f7ffffe, v1
	s_delay_alu instid0(VALU_DEP_1) | instskip(NEXT) | instid1(VALU_DEP_1)
	v_cvt_u32_f32_e32 v1, v1
	v_readfirstlane_b32 s4, v1
	s_mul_i32 s5, s5, s4
	s_delay_alu instid0(SALU_CYCLE_1) | instskip(NEXT) | instid1(SALU_CYCLE_1)
	s_mul_hi_u32 s5, s4, s5
	s_add_co_i32 s4, s4, s5
	s_delay_alu instid0(SALU_CYCLE_1) | instskip(NEXT) | instid1(SALU_CYCLE_1)
	s_mul_hi_u32 s4, s50, s4
	s_mul_i32 s5, s4, s2
	s_add_co_i32 s6, s4, 1
	s_sub_co_i32 s5, s50, s5
	s_delay_alu instid0(SALU_CYCLE_1)
	s_sub_co_i32 s7, s5, s2
	s_cmp_ge_u32 s5, s2
	s_cselect_b32 s4, s6, s4
	s_cselect_b32 s5, s7, s5
	s_add_co_i32 s6, s4, 1
	s_cmp_ge_u32 s5, s2
	s_mov_b32 s7, 0
	s_cselect_b32 s6, s6, s4
	s_load_b64 s[56:57], s[0:1], 0x380
	v_cmp_lt_u64_e64 s4, s[50:51], s[54:55]
	s_and_b32 vcc_lo, exec_lo, s4
	s_cbranch_vccnz .LBB195_3
.LBB195_495:
	v_cvt_f32_u32_e32 v1, s54
	s_sub_co_i32 s5, 0, s54
	s_mov_b32 s53, 0
	s_delay_alu instid0(VALU_DEP_1) | instskip(SKIP_1) | instid1(TRANS32_DEP_1)
	v_rcp_iflag_f32_e32 v1, v1
	v_nop
	v_mul_f32_e32 v1, 0x4f7ffffe, v1
	s_delay_alu instid0(VALU_DEP_1) | instskip(NEXT) | instid1(VALU_DEP_1)
	v_cvt_u32_f32_e32 v1, v1
	v_readfirstlane_b32 s4, v1
	s_mul_i32 s5, s5, s4
	s_delay_alu instid0(SALU_CYCLE_1) | instskip(NEXT) | instid1(SALU_CYCLE_1)
	s_mul_hi_u32 s5, s4, s5
	s_add_co_i32 s4, s4, s5
	s_delay_alu instid0(SALU_CYCLE_1) | instskip(NEXT) | instid1(SALU_CYCLE_1)
	s_mul_hi_u32 s4, s50, s4
	s_mul_i32 s5, s4, s54
	s_add_co_i32 s8, s4, 1
	s_sub_co_i32 s5, s50, s5
	s_delay_alu instid0(SALU_CYCLE_1)
	s_sub_co_i32 s9, s5, s54
	s_cmp_ge_u32 s5, s54
	s_cselect_b32 s4, s8, s4
	s_cselect_b32 s5, s9, s5
	s_add_co_i32 s8, s4, 1
	s_cmp_ge_u32 s5, s54
	s_cselect_b32 s52, s8, s4
	s_wait_kmcnt 0x0
	v_cmp_lt_u64_e64 s4, s[50:51], s[56:57]
	s_mov_b64 s[58:59], 0
	s_and_b32 vcc_lo, exec_lo, s4
	s_cbranch_vccz .LBB195_4
	s_branch .LBB195_5
.LBB195_496:
	s_and_saveexec_b32 s4, s10
	s_delay_alu instid0(SALU_CYCLE_1)
	s_xor_b32 s17, exec_lo, s4
	s_cbranch_execz .LBB195_513
; %bb.497:
	s_and_saveexec_b32 s4, s9
	s_delay_alu instid0(SALU_CYCLE_1)
	s_xor_b32 s18, exec_lo, s4
	s_cbranch_execz .LBB195_511
; %bb.498:
	;; [unrolled: 5-line block ×3, first 2 shown]
	s_and_saveexec_b32 s4, s6
	s_delay_alu instid0(SALU_CYCLE_1)
	s_xor_b32 s6, exec_lo, s4
; %bb.500:
	v_cmp_lt_i32_e32 vcc_lo, -1, v34
	v_cndmask_b32_e64 v2, 0x80000000, -1, vcc_lo
	s_delay_alu instid0(VALU_DEP_1)
	v_xor_b32_e32 v25, v2, v34
; %bb.501:
	s_or_b32 exec_lo, exec_lo, s6
	s_and_saveexec_b32 s6, s5
; %bb.502:
	v_mov_b64_e32 v[2:3], 0
	v_mov_b32_e32 v4, 0
	ds_store_b64 v4, v[2:3] offset:5136
; %bb.503:
	s_or_b32 exec_lo, exec_lo, s6
	v_mov_b32_e32 v16, 0
	s_wait_dscnt 0x0
	s_barrier_signal -1
	s_barrier_wait -1
	s_and_saveexec_b32 s5, s3
	s_cbranch_execz .LBB195_505
; %bb.504:
	global_load_b32 v16, v[14:15], off
.LBB195_505:
	s_wait_xcnt 0x0
	s_or_b32 exec_lo, exec_lo, s5
	v_cmp_lt_i32_e32 vcc_lo, -1, v25
	s_add_nc_u64 s[6:7], s[36:37], 31
	s_mov_b64 s[8:9], 0xffffffffffffffe0
	v_readlane_b32 s24, v45, 6
	s_and_b64 s[6:7], s[6:7], s[8:9]
	s_clause 0x1
	s_load_b64 s[8:9], s[0:1], 0x368
	s_load_b64 s[10:11], s[0:1], 0x510
	v_readlane_b32 s25, v45, 7
	v_readlane_b32 s26, v45, 8
	;; [unrolled: 1-line block ×3, first 2 shown]
	s_mul_u64 s[12:13], s[52:53], s[54:55]
	v_cndmask_b32_e64 v2, -1, 0x80000000, vcc_lo
	s_wait_xcnt 0x0
	s_sub_nc_u64 s[0:1], s[50:51], s[12:13]
	v_readlane_b32 s4, v45, 10
	v_readlane_b32 s5, v45, 11
	s_mul_u64 s[0:1], s[0:1], s[26:27]
	s_mul_u64 s[14:15], s[52:53], s[24:25]
	v_readlane_b32 s24, v45, 0
	v_readlane_b32 s25, v45, 1
	v_xor_b32_e32 v2, v2, v25
	v_cmp_o_f32_e32 vcc_lo, v25, v25
	s_lshl_b64 s[14:15], s[14:15], 2
	v_readlane_b32 s26, v45, 2
	v_readlane_b32 s27, v45, 3
	s_wait_kmcnt 0x0
	s_mul_u64 s[12:13], s[58:59], s[56:57]
	s_add_nc_u64 s[14:15], s[4:5], s[14:15]
	v_readlane_b32 s4, v45, 4
	v_readlane_b32 s5, v45, 5
	s_sub_nc_u64 s[12:13], s[50:51], s[12:13]
	s_mul_u64 s[22:23], s[58:59], s[24:25]
	v_cndmask_b32_e32 v13, -1, v2, vcc_lo
	v_cmp_gt_u64_e32 vcc_lo, s[6:7], v[0:1]
	s_mul_u64 s[12:13], s[12:13], s[26:27]
	s_lshl_b64 s[22:23], s[22:23], 3
	s_lshl_b64 s[0:1], s[0:1], 2
	s_add_nc_u64 s[22:23], s[4:5], s[22:23]
	s_lshl_b64 s[24:25], s[12:13], 3
	s_mov_b32 s21, -1
	s_add_nc_u64 s[12:13], s[14:15], s[0:1]
	s_add_nc_u64 s[14:15], s[22:23], s[24:25]
	s_mov_b32 s5, 0
	s_mov_b32 s1, 0
	s_and_saveexec_b32 s20, vcc_lo
	s_cbranch_execnz .LBB195_516
; %bb.506:
	s_or_b32 exec_lo, exec_lo, s20
	s_and_saveexec_b32 s4, s21
	s_cbranch_execnz .LBB195_533
.LBB195_507:
	s_or_b32 exec_lo, exec_lo, s4
	s_and_saveexec_b32 s0, s1
	s_delay_alu instid0(SALU_CYCLE_1)
	s_xor_b32 s0, exec_lo, s0
	s_cbranch_execnz .LBB195_556
.LBB195_508:
	s_or_b32 exec_lo, exec_lo, s0
	s_delay_alu instid0(SALU_CYCLE_1)
	s_and_b32 s8, s5, exec_lo
.LBB195_509:
	s_wait_xcnt 0x0
	s_and_not1_saveexec_b32 s0, s19
	s_cbranch_execnz .LBB195_558
.LBB195_510:
	s_or_b32 exec_lo, exec_lo, s0
	s_delay_alu instid0(SALU_CYCLE_1)
	s_and_b32 s8, s8, exec_lo
.LBB195_511:
	s_wait_xcnt 0x0
	s_and_not1_saveexec_b32 s0, s18
	s_cbranch_execnz .LBB195_557
.LBB195_512:
	s_or_b32 exec_lo, exec_lo, s0
	s_delay_alu instid0(SALU_CYCLE_1)
	s_and_b32 s8, s8, exec_lo
.LBB195_513:
	s_wait_xcnt 0x0
	s_and_not1_saveexec_b32 s0, s17
	s_cbranch_execnz .LBB195_552
.LBB195_514:
	s_or_b32 exec_lo, exec_lo, s0
	s_delay_alu instid0(SALU_CYCLE_1)
	s_and_b32 s8, s8, exec_lo
	s_and_not1_saveexec_b32 s0, s16
	s_cbranch_execz .LBB195_491
.LBB195_515:
	s_or_b32 s8, s8, exec_lo
	s_trap 2
	s_or_b32 exec_lo, exec_lo, s0
	s_and_saveexec_b32 s0, s8
	s_cbranch_execnz .LBB195_492
	s_branch .LBB195_493
.LBB195_516:
	v_mov_b64_e32 v[8:9], v[0:1]
	v_mov_b32_e32 v3, 0
	s_mov_b32 s21, 0
                                        ; implicit-def: $sgpr22
                                        ; implicit-def: $vgpr6_vgpr7
	s_branch .LBB195_518
.LBB195_517:                            ;   in Loop: Header=BB195_518 Depth=1
	s_or_b32 exec_lo, exec_lo, s24
	s_xor_b32 s0, s23, -1
	s_and_b32 s1, exec_lo, s1
	v_mov_b64_e32 v[8:9], v[4:5]
	s_wait_loadcnt 0x0
	v_mov_b32_e32 v16, v17
	s_or_b32 s21, s1, s21
	s_and_not1_b32 s1, s22, exec_lo
	s_and_b32 s0, s0, exec_lo
	s_delay_alu instid0(SALU_CYCLE_1)
	s_or_b32 s22, s1, s0
	s_and_not1_b32 exec_lo, exec_lo, s21
	s_cbranch_execz .LBB195_532
.LBB195_518:                            ; =>This Inner Loop Header: Depth=1
	s_delay_alu instid0(VALU_DEP_2) | instskip(SKIP_2) | instid1(VALU_DEP_2)
	v_add_nc_u64_e32 v[4:5], s[48:49], v[8:9]
	v_mov_b32_e32 v17, 0
	s_mov_b32 s1, exec_lo
	v_cmpx_gt_u64_e64 s[36:37], v[4:5]
	s_cbranch_execz .LBB195_520
; %bb.519:                              ;   in Loop: Header=BB195_518 Depth=1
	v_mul_u64_e32 v[10:11], s[30:31], v[4:5]
	s_delay_alu instid0(VALU_DEP_1)
	v_lshl_add_u64 v[10:11], v[10:11], 2, s[34:35]
	global_load_b32 v17, v[10:11], off
.LBB195_520:                            ;   in Loop: Header=BB195_518 Depth=1
	s_wait_xcnt 0x0
	s_or_b32 exec_lo, exec_lo, s1
	s_mov_b32 s23, 0
	s_mov_b32 s1, exec_lo
	v_cmpx_gt_u64_e64 s[36:37], v[8:9]
	s_cbranch_execz .LBB195_522
; %bb.521:                              ;   in Loop: Header=BB195_518 Depth=1
	s_wait_loadcnt 0x0
	v_cmp_lt_i32_e64 s0, -1, v16
	s_delay_alu instid0(VALU_DEP_1) | instskip(SKIP_1) | instid1(VALU_DEP_2)
	v_cndmask_b32_e64 v2, -1, 0x80000000, s0
	v_cmp_o_f32_e64 s0, v16, v16
	v_xor_b32_e32 v2, v2, v16
	s_delay_alu instid0(VALU_DEP_1) | instskip(NEXT) | instid1(VALU_DEP_1)
	v_cndmask_b32_e64 v2, -1, v2, s0
	v_cmp_gt_u32_e64 s0, v2, v13
	s_delay_alu instid0(VALU_DEP_1) | instskip(SKIP_1) | instid1(VALU_DEP_1)
	v_cndmask_b32_e64 v10, 0, 1, s0
	v_cmp_lt_u32_e64 s0, v2, v13
	v_cndmask_b32_e64 v2, 0, 1, s0
	s_delay_alu instid0(VALU_DEP_1) | instskip(NEXT) | instid1(VALU_DEP_1)
	v_cndmask_b32_e64 v2, v2, v10, s47
	v_and_b32_e32 v2, 1, v2
	s_delay_alu instid0(VALU_DEP_1)
	v_cmp_eq_u32_e64 s0, 1, v2
	s_and_b32 s23, s0, exec_lo
.LBB195_522:                            ;   in Loop: Header=BB195_518 Depth=1
	s_or_b32 exec_lo, exec_lo, s1
	v_cndmask_b32_e64 v2, 0, 1, s23
	s_delay_alu instid0(VALU_DEP_1) | instskip(SKIP_2) | instid1(SALU_CYCLE_1)
	v_cmp_ne_u32_e64 s0, 0, v2
	s_cmp_lg_u32 s0, 0
	s_cselect_b32 s1, -1, 0
	s_and_b32 s1, s2, s1
	s_delay_alu instid0(SALU_CYCLE_1)
	s_and_saveexec_b32 s24, s1
	s_cbranch_execz .LBB195_526
; %bb.523:                              ;   in Loop: Header=BB195_518 Depth=1
	s_mov_b32 s27, exec_lo
	s_bcnt1_i32_b32 s25, s0
	v_mbcnt_lo_u32_b32 v10, s27, 0
	s_mov_b32 s26, exec_lo
                                        ; implicit-def: $vgpr6_vgpr7
	s_delay_alu instid0(VALU_DEP_1)
	v_cmpx_eq_u32_e32 0, v10
	s_cbranch_execz .LBB195_525
; %bb.524:                              ;   in Loop: Header=BB195_518 Depth=1
	s_bcnt1_i32_b32 s1, s27
	s_delay_alu instid0(SALU_CYCLE_1) | instskip(NEXT) | instid1(SALU_CYCLE_1)
	s_mul_i32 s1, s25, s1
	v_mov_b32_e32 v2, s1
	s_wait_dscnt 0x0
	ds_add_rtn_u64 v[6:7], v3, v[2:3] offset:5136
.LBB195_525:                            ;   in Loop: Header=BB195_518 Depth=1
	s_or_b32 exec_lo, exec_lo, s26
	s_wait_dscnt 0x0
	v_readfirstlane_b32 s27, v7
	v_readfirstlane_b32 s26, v6
	s_delay_alu instid0(VALU_DEP_1)
	v_mad_nc_u64_u32 v[6:7], s25, v10, s[26:27]
.LBB195_526:                            ;   in Loop: Header=BB195_518 Depth=1
	s_or_b32 exec_lo, exec_lo, s24
	s_wait_dscnt 0x1
	ds_bpermute_b32 v6, v3, v6
	s_wait_dscnt 0x1
	ds_bpermute_b32 v7, v3, v7
	s_mov_b32 s1, -1
	s_mov_b32 s25, -1
	s_and_saveexec_b32 s24, s23
	s_cbranch_execz .LBB195_530
; %bb.527:                              ;   in Loop: Header=BB195_518 Depth=1
	v_and_b32_e32 v2, s0, v12
	s_mov_b32 s23, 0
	s_mov_b32 s25, exec_lo
	s_delay_alu instid0(VALU_DEP_1) | instskip(SKIP_1) | instid1(VALU_DEP_1)
	v_bcnt_u32_b32 v2, v2, 0
	s_wait_dscnt 0x0
	v_add_nc_u64_e32 v[10:11], v[6:7], v[2:3]
	s_delay_alu instid0(VALU_DEP_1)
	v_cmpx_gt_u64_e64 s[38:39], v[10:11]
	s_cbranch_execz .LBB195_529
; %bb.528:                              ;   in Loop: Header=BB195_518 Depth=1
	v_mul_u64_e32 v[18:19], s[8:9], v[10:11]
	v_mul_u64_e32 v[10:11], s[10:11], v[10:11]
	s_mov_b32 s23, exec_lo
	s_delay_alu instid0(VALU_DEP_2) | instskip(NEXT) | instid1(VALU_DEP_2)
	v_lshl_add_u64 v[18:19], v[18:19], 2, s[12:13]
	v_lshl_add_u64 v[10:11], v[10:11], 3, s[14:15]
	s_wait_loadcnt 0x0
	global_store_b32 v[18:19], v16, off
	global_store_b64 v[10:11], v[8:9], off
.LBB195_529:                            ;   in Loop: Header=BB195_518 Depth=1
	s_wait_xcnt 0x0
	s_or_b32 exec_lo, exec_lo, s25
	s_delay_alu instid0(SALU_CYCLE_1)
	s_or_not1_b32 s25, s23, exec_lo
.LBB195_530:                            ;   in Loop: Header=BB195_518 Depth=1
	s_or_b32 exec_lo, exec_lo, s24
	s_mov_b32 s23, -1
	s_and_saveexec_b32 s24, s25
	s_cbranch_execz .LBB195_517
; %bb.531:                              ;   in Loop: Header=BB195_518 Depth=1
	v_cmp_le_u64_e64 s0, s[6:7], v[4:5]
	s_xor_b32 s23, exec_lo, -1
	s_or_not1_b32 s1, s0, exec_lo
	s_branch .LBB195_517
.LBB195_532:
	s_or_b32 exec_lo, exec_lo, s21
	s_delay_alu instid0(SALU_CYCLE_1)
	s_mov_b32 s1, exec_lo
	s_or_not1_b32 s21, s22, exec_lo
	s_or_b32 exec_lo, exec_lo, s20
	s_and_saveexec_b32 s4, s21
	s_cbranch_execz .LBB195_507
.LBB195_533:
	v_mov_b32_e32 v11, 0
	s_wait_storecnt 0x0
	s_wait_loadcnt_dscnt 0x0
	s_barrier_signal -1
	s_barrier_wait -1
	s_and_saveexec_b32 s0, s3
	s_cbranch_execz .LBB195_535
; %bb.534:
	global_load_b32 v11, v[14:15], off
.LBB195_535:
	s_wait_xcnt 0x0
	s_or_b32 exec_lo, exec_lo, s0
	s_mov_b32 s0, 0
	s_and_saveexec_b32 s3, vcc_lo
	s_cbranch_execz .LBB195_555
; %bb.536:
	v_mov_b32_e32 v3, 0
	s_mov_b32 s5, 0
                                        ; implicit-def: $sgpr20
                                        ; implicit-def: $vgpr6_vgpr7
	s_branch .LBB195_539
.LBB195_537:                            ;   in Loop: Header=BB195_539 Depth=1
	s_or_b32 exec_lo, exec_lo, s21
	s_delay_alu instid0(SALU_CYCLE_1)
	s_or_not1_b32 s23, s23, exec_lo
	s_or_not1_b32 s22, s22, exec_lo
.LBB195_538:                            ;   in Loop: Header=BB195_539 Depth=1
	s_or_b32 exec_lo, exec_lo, s0
	s_xor_b32 s0, s23, -1
	s_and_b32 s21, exec_lo, s22
	v_mov_b64_e32 v[0:1], v[4:5]
	s_or_b32 s5, s21, s5
	v_mov_b32_e32 v11, v10
	s_and_not1_b32 s20, s20, exec_lo
	s_and_b32 s0, s0, exec_lo
	s_delay_alu instid0(SALU_CYCLE_1)
	s_or_b32 s20, s20, s0
	s_and_not1_b32 exec_lo, exec_lo, s5
	s_cbranch_execz .LBB195_553
.LBB195_539:                            ; =>This Inner Loop Header: Depth=1
	v_add_nc_u64_e32 v[4:5], s[48:49], v[0:1]
	v_mov_b32_e32 v10, 0
	s_mov_b32 s0, exec_lo
	s_delay_alu instid0(VALU_DEP_2)
	v_cmpx_gt_u64_e64 s[36:37], v[4:5]
	s_cbranch_execz .LBB195_541
; %bb.540:                              ;   in Loop: Header=BB195_539 Depth=1
	v_mul_u64_e32 v[8:9], s[30:31], v[4:5]
	s_delay_alu instid0(VALU_DEP_1)
	v_lshl_add_u64 v[8:9], v[8:9], 2, s[34:35]
	global_load_b32 v10, v[8:9], off
.LBB195_541:                            ;   in Loop: Header=BB195_539 Depth=1
	s_wait_xcnt 0x0
	s_or_b32 exec_lo, exec_lo, s0
	s_wait_loadcnt 0x0
	v_cmp_lt_i32_e32 vcc_lo, -1, v11
	v_cndmask_b32_e64 v2, -1, 0x80000000, vcc_lo
	v_cmp_o_f32_e32 vcc_lo, v11, v11
	s_delay_alu instid0(VALU_DEP_2) | instskip(NEXT) | instid1(VALU_DEP_1)
	v_xor_b32_e32 v2, v2, v11
	v_cndmask_b32_e32 v2, -1, v2, vcc_lo
	v_cmp_gt_u64_e32 vcc_lo, s[36:37], v[0:1]
	s_delay_alu instid0(VALU_DEP_2) | instskip(SKIP_1) | instid1(SALU_CYCLE_1)
	v_cmp_eq_u32_e64 s0, v2, v13
	s_and_b32 s21, vcc_lo, s0
	v_cndmask_b32_e64 v2, 0, 1, s21
	s_delay_alu instid0(VALU_DEP_1) | instskip(SKIP_2) | instid1(SALU_CYCLE_1)
	v_cmp_ne_u32_e32 vcc_lo, 0, v2
	s_cmp_lg_u32 vcc_lo, 0
	s_cselect_b32 s0, -1, 0
	s_and_b32 s0, s2, s0
	s_delay_alu instid0(SALU_CYCLE_1)
	s_and_saveexec_b32 s22, s0
	s_cbranch_execz .LBB195_545
; %bb.542:                              ;   in Loop: Header=BB195_539 Depth=1
	s_mov_b32 s25, exec_lo
	s_bcnt1_i32_b32 s23, vcc_lo
	v_mbcnt_lo_u32_b32 v8, s25, 0
	s_mov_b32 s24, exec_lo
                                        ; implicit-def: $vgpr6_vgpr7
	s_delay_alu instid0(VALU_DEP_1)
	v_cmpx_eq_u32_e32 0, v8
; %bb.543:                              ;   in Loop: Header=BB195_539 Depth=1
	s_bcnt1_i32_b32 s0, s25
	s_delay_alu instid0(SALU_CYCLE_1) | instskip(NEXT) | instid1(SALU_CYCLE_1)
	s_mul_i32 s0, s23, s0
	v_mov_b32_e32 v2, s0
	ds_add_rtn_u64 v[6:7], v3, v[2:3] offset:5136
; %bb.544:                              ;   in Loop: Header=BB195_539 Depth=1
	s_or_b32 exec_lo, exec_lo, s24
	s_wait_dscnt 0x0
	v_readfirstlane_b32 s25, v7
	v_readfirstlane_b32 s24, v6
	s_delay_alu instid0(VALU_DEP_1)
	v_mad_nc_u64_u32 v[6:7], s23, v8, s[24:25]
.LBB195_545:                            ;   in Loop: Header=BB195_539 Depth=1
	s_or_b32 exec_lo, exec_lo, s22
	ds_bpermute_b32 v6, v3, v6
	ds_bpermute_b32 v7, v3, v7
	s_cmp_eq_u32 vcc_lo, 0
	s_mov_b32 s22, -1
	s_cselect_b32 s23, -1, 0
	s_wait_dscnt 0x0
	v_cmp_gt_u64_e64 s0, s[38:39], v[6:7]
	s_or_b32 s24, s23, s0
	s_mov_b32 s23, -1
	s_and_saveexec_b32 s0, s24
	s_cbranch_execz .LBB195_538
; %bb.546:                              ;   in Loop: Header=BB195_539 Depth=1
	v_and_b32_e32 v2, vcc_lo, v12
	v_sub_nc_u64_e32 v[8:9], s[38:39], v[6:7]
	s_mov_b32 s24, -1
	s_delay_alu instid0(VALU_DEP_2) | instskip(NEXT) | instid1(VALU_DEP_1)
	v_bcnt_u32_b32 v2, v2, 0
	v_bcnt_u32_b32 v2, 0, v2
	s_delay_alu instid0(VALU_DEP_1) | instskip(SKIP_1) | instid1(SALU_CYCLE_1)
	v_cmp_gt_u64_e32 vcc_lo, v[8:9], v[2:3]
	s_and_b32 s25, s21, vcc_lo
	s_and_saveexec_b32 s21, s25
	s_cbranch_execz .LBB195_550
; %bb.547:                              ;   in Loop: Header=BB195_539 Depth=1
	v_add_nc_u64_e32 v[8:9], v[6:7], v[2:3]
	s_mov_b32 s24, 0
	s_mov_b32 s23, exec_lo
	s_delay_alu instid0(VALU_DEP_1)
	v_cmpx_gt_u64_e64 s[38:39], v[8:9]
; %bb.548:                              ;   in Loop: Header=BB195_539 Depth=1
	v_mul_u64_e32 v[14:15], s[8:9], v[8:9]
	v_mul_u64_e32 v[8:9], s[10:11], v[8:9]
	s_mov_b32 s24, exec_lo
	s_delay_alu instid0(VALU_DEP_2) | instskip(NEXT) | instid1(VALU_DEP_2)
	v_lshl_add_u64 v[14:15], v[14:15], 2, s[12:13]
	v_lshl_add_u64 v[8:9], v[8:9], 3, s[14:15]
	global_store_b32 v[14:15], v11, off
	global_store_b64 v[8:9], v[0:1], off
; %bb.549:                              ;   in Loop: Header=BB195_539 Depth=1
	s_wait_xcnt 0x0
	s_or_b32 exec_lo, exec_lo, s23
	s_delay_alu instid0(SALU_CYCLE_1)
	s_xor_b32 s23, exec_lo, -1
	s_or_not1_b32 s24, s24, exec_lo
.LBB195_550:                            ;   in Loop: Header=BB195_539 Depth=1
	s_or_b32 exec_lo, exec_lo, s21
	s_and_saveexec_b32 s21, s24
	s_cbranch_execz .LBB195_537
; %bb.551:                              ;   in Loop: Header=BB195_539 Depth=1
	v_cmp_le_u64_e32 vcc_lo, s[6:7], v[4:5]
	s_or_b32 s23, s23, exec_lo
	s_or_not1_b32 s22, vcc_lo, exec_lo
	s_branch .LBB195_537
.LBB195_552:
	s_or_b32 s8, s8, exec_lo
	s_trap 2
	s_branch .LBB195_514
.LBB195_553:
	s_or_b32 exec_lo, exec_lo, s5
	s_mov_b32 s0, 0
	s_and_saveexec_b32 s2, s20
	s_delay_alu instid0(SALU_CYCLE_1)
	s_xor_b32 s2, exec_lo, s2
	s_cbranch_execnz .LBB195_559
.LBB195_554:
	s_or_b32 exec_lo, exec_lo, s2
	s_delay_alu instid0(SALU_CYCLE_1)
	s_and_b32 s0, s0, exec_lo
.LBB195_555:
	s_or_b32 exec_lo, exec_lo, s3
	s_delay_alu instid0(SALU_CYCLE_1) | instskip(SKIP_3) | instid1(SALU_CYCLE_1)
	s_and_b32 s5, s0, exec_lo
	s_and_not1_b32 s1, s1, exec_lo
	s_or_b32 exec_lo, exec_lo, s4
	s_and_saveexec_b32 s0, s1
	s_xor_b32 s0, exec_lo, s0
	s_cbranch_execz .LBB195_508
.LBB195_556:
	s_or_b32 s5, s5, exec_lo
	s_trap 2
	s_branch .LBB195_508
.LBB195_557:
	s_or_b32 s8, s8, exec_lo
	s_trap 2
	s_branch .LBB195_512
.LBB195_558:
	s_or_b32 s8, s8, exec_lo
	s_trap 2
	s_branch .LBB195_510
.LBB195_559:
	s_mov_b32 s0, exec_lo
	s_trap 2
	s_branch .LBB195_554
	.section	.rodata,"a",@progbits
	.p2align	6, 0x0
	.amdhsa_kernel _ZN2at6native6sbtopk10gatherTopKIfmLi2ELb0EEEvNS_4cuda6detail10TensorInfoIKT_T0_EES8_S8_bS8_S8_NS5_IS6_S8_EES8_NS5_IlS8_EES8_PS6_
		.amdhsa_group_segment_fixed_size 5152
		.amdhsa_private_segment_fixed_size 0
		.amdhsa_kernarg_size 1568
		.amdhsa_user_sgpr_count 2
		.amdhsa_user_sgpr_dispatch_ptr 0
		.amdhsa_user_sgpr_queue_ptr 0
		.amdhsa_user_sgpr_kernarg_segment_ptr 1
		.amdhsa_user_sgpr_dispatch_id 0
		.amdhsa_user_sgpr_kernarg_preload_length 0
		.amdhsa_user_sgpr_kernarg_preload_offset 0
		.amdhsa_user_sgpr_private_segment_size 0
		.amdhsa_wavefront_size32 1
		.amdhsa_uses_dynamic_stack 0
		.amdhsa_enable_private_segment 0
		.amdhsa_system_sgpr_workgroup_id_x 1
		.amdhsa_system_sgpr_workgroup_id_y 1
		.amdhsa_system_sgpr_workgroup_id_z 1
		.amdhsa_system_sgpr_workgroup_info 0
		.amdhsa_system_vgpr_workitem_id 0
		.amdhsa_next_free_vgpr 46
		.amdhsa_next_free_sgpr 105
		.amdhsa_named_barrier_count 0
		.amdhsa_reserve_vcc 1
		.amdhsa_float_round_mode_32 0
		.amdhsa_float_round_mode_16_64 0
		.amdhsa_float_denorm_mode_32 3
		.amdhsa_float_denorm_mode_16_64 3
		.amdhsa_fp16_overflow 0
		.amdhsa_memory_ordered 1
		.amdhsa_forward_progress 1
		.amdhsa_inst_pref_size 201
		.amdhsa_round_robin_scheduling 0
		.amdhsa_exception_fp_ieee_invalid_op 0
		.amdhsa_exception_fp_denorm_src 0
		.amdhsa_exception_fp_ieee_div_zero 0
		.amdhsa_exception_fp_ieee_overflow 0
		.amdhsa_exception_fp_ieee_underflow 0
		.amdhsa_exception_fp_ieee_inexact 0
		.amdhsa_exception_int_div_zero 0
	.end_amdhsa_kernel
	.section	.text._ZN2at6native6sbtopk10gatherTopKIfmLi2ELb0EEEvNS_4cuda6detail10TensorInfoIKT_T0_EES8_S8_bS8_S8_NS5_IS6_S8_EES8_NS5_IlS8_EES8_PS6_,"axG",@progbits,_ZN2at6native6sbtopk10gatherTopKIfmLi2ELb0EEEvNS_4cuda6detail10TensorInfoIKT_T0_EES8_S8_bS8_S8_NS5_IS6_S8_EES8_NS5_IlS8_EES8_PS6_,comdat
.Lfunc_end195:
	.size	_ZN2at6native6sbtopk10gatherTopKIfmLi2ELb0EEEvNS_4cuda6detail10TensorInfoIKT_T0_EES8_S8_bS8_S8_NS5_IS6_S8_EES8_NS5_IlS8_EES8_PS6_, .Lfunc_end195-_ZN2at6native6sbtopk10gatherTopKIfmLi2ELb0EEEvNS_4cuda6detail10TensorInfoIKT_T0_EES8_S8_bS8_S8_NS5_IS6_S8_EES8_NS5_IlS8_EES8_PS6_
                                        ; -- End function
	.set _ZN2at6native6sbtopk10gatherTopKIfmLi2ELb0EEEvNS_4cuda6detail10TensorInfoIKT_T0_EES8_S8_bS8_S8_NS5_IS6_S8_EES8_NS5_IlS8_EES8_PS6_.num_vgpr, 46
	.set _ZN2at6native6sbtopk10gatherTopKIfmLi2ELb0EEEvNS_4cuda6detail10TensorInfoIKT_T0_EES8_S8_bS8_S8_NS5_IS6_S8_EES8_NS5_IlS8_EES8_PS6_.num_agpr, 0
	.set _ZN2at6native6sbtopk10gatherTopKIfmLi2ELb0EEEvNS_4cuda6detail10TensorInfoIKT_T0_EES8_S8_bS8_S8_NS5_IS6_S8_EES8_NS5_IlS8_EES8_PS6_.numbered_sgpr, 105
	.set _ZN2at6native6sbtopk10gatherTopKIfmLi2ELb0EEEvNS_4cuda6detail10TensorInfoIKT_T0_EES8_S8_bS8_S8_NS5_IS6_S8_EES8_NS5_IlS8_EES8_PS6_.num_named_barrier, 0
	.set _ZN2at6native6sbtopk10gatherTopKIfmLi2ELb0EEEvNS_4cuda6detail10TensorInfoIKT_T0_EES8_S8_bS8_S8_NS5_IS6_S8_EES8_NS5_IlS8_EES8_PS6_.private_seg_size, 0
	.set _ZN2at6native6sbtopk10gatherTopKIfmLi2ELb0EEEvNS_4cuda6detail10TensorInfoIKT_T0_EES8_S8_bS8_S8_NS5_IS6_S8_EES8_NS5_IlS8_EES8_PS6_.uses_vcc, 1
	.set _ZN2at6native6sbtopk10gatherTopKIfmLi2ELb0EEEvNS_4cuda6detail10TensorInfoIKT_T0_EES8_S8_bS8_S8_NS5_IS6_S8_EES8_NS5_IlS8_EES8_PS6_.uses_flat_scratch, 0
	.set _ZN2at6native6sbtopk10gatherTopKIfmLi2ELb0EEEvNS_4cuda6detail10TensorInfoIKT_T0_EES8_S8_bS8_S8_NS5_IS6_S8_EES8_NS5_IlS8_EES8_PS6_.has_dyn_sized_stack, 0
	.set _ZN2at6native6sbtopk10gatherTopKIfmLi2ELb0EEEvNS_4cuda6detail10TensorInfoIKT_T0_EES8_S8_bS8_S8_NS5_IS6_S8_EES8_NS5_IlS8_EES8_PS6_.has_recursion, 0
	.set _ZN2at6native6sbtopk10gatherTopKIfmLi2ELb0EEEvNS_4cuda6detail10TensorInfoIKT_T0_EES8_S8_bS8_S8_NS5_IS6_S8_EES8_NS5_IlS8_EES8_PS6_.has_indirect_call, 0
	.section	.AMDGPU.csdata,"",@progbits
; Kernel info:
; codeLenInByte = 25628
; TotalNumSgprs: 107
; NumVgprs: 46
; ScratchSize: 0
; MemoryBound: 0
; FloatMode: 240
; IeeeMode: 1
; LDSByteSize: 5152 bytes/workgroup (compile time only)
; SGPRBlocks: 0
; VGPRBlocks: 2
; NumSGPRsForWavesPerEU: 107
; NumVGPRsForWavesPerEU: 46
; NamedBarCnt: 0
; Occupancy: 16
; WaveLimiterHint : 1
; COMPUTE_PGM_RSRC2:SCRATCH_EN: 0
; COMPUTE_PGM_RSRC2:USER_SGPR: 2
; COMPUTE_PGM_RSRC2:TRAP_HANDLER: 0
; COMPUTE_PGM_RSRC2:TGID_X_EN: 1
; COMPUTE_PGM_RSRC2:TGID_Y_EN: 1
; COMPUTE_PGM_RSRC2:TGID_Z_EN: 1
; COMPUTE_PGM_RSRC2:TIDIG_COMP_CNT: 0
	.section	.text._ZN2at6native6mbtopk23computeBlockDigitCountsIfmjLi3EEEvNS_4cuda6detail10TensorInfoIKT_T0_EEjPjjS8_iijT1_PSB_Ps,"axG",@progbits,_ZN2at6native6mbtopk23computeBlockDigitCountsIfmjLi3EEEvNS_4cuda6detail10TensorInfoIKT_T0_EEjPjjS8_iijT1_PSB_Ps,comdat
	.protected	_ZN2at6native6mbtopk23computeBlockDigitCountsIfmjLi3EEEvNS_4cuda6detail10TensorInfoIKT_T0_EEjPjjS8_iijT1_PSB_Ps ; -- Begin function _ZN2at6native6mbtopk23computeBlockDigitCountsIfmjLi3EEEvNS_4cuda6detail10TensorInfoIKT_T0_EEjPjjS8_iijT1_PSB_Ps
	.globl	_ZN2at6native6mbtopk23computeBlockDigitCountsIfmjLi3EEEvNS_4cuda6detail10TensorInfoIKT_T0_EEjPjjS8_iijT1_PSB_Ps
	.p2align	8
	.type	_ZN2at6native6mbtopk23computeBlockDigitCountsIfmjLi3EEEvNS_4cuda6detail10TensorInfoIKT_T0_EEjPjjS8_iijT1_PSB_Ps,@function
_ZN2at6native6mbtopk23computeBlockDigitCountsIfmjLi3EEEvNS_4cuda6detail10TensorInfoIKT_T0_EEjPjjS8_iijT1_PSB_Ps: ; @_ZN2at6native6mbtopk23computeBlockDigitCountsIfmjLi3EEEvNS_4cuda6detail10TensorInfoIKT_T0_EEjPjjS8_iijT1_PSB_Ps
; %bb.0:
	s_load_b128 s[4:7], s[0:1], 0x1c0
	s_bfe_u32 s2, ttmp6, 0x40010
	s_and_b32 s8, ttmp7, 0xffff
	s_add_co_i32 s9, s2, 1
	s_bfe_u32 s10, ttmp6, 0x40004
	s_mul_i32 s9, s8, s9
	s_load_b64 s[2:3], s[0:1], 0x1e0
	s_add_co_i32 s10, s10, s9
	s_bfe_u32 s11, ttmp6, 0x4000c
	s_bfe_u32 s13, ttmp6, 0x40014
	s_add_co_i32 s11, s11, 1
	s_and_b32 s12, ttmp6, 15
	s_mul_i32 s11, ttmp9, s11
	s_add_co_i32 s13, s13, 1
	s_add_co_i32 s12, s12, s11
	s_getreg_b32 s14, hwreg(HW_REG_IB_STS2, 6, 4)
	s_wait_kmcnt 0x0
	s_cvt_f32_u32 s9, s6
	s_delay_alu instid0(SALU_CYCLE_3) | instskip(SKIP_1) | instid1(SALU_CYCLE_1)
	v_rcp_iflag_f32_e32 v1, s9
	s_lshr_b32 s9, ttmp7, 16
	s_mul_i32 s11, s9, s13
	s_bfe_u32 s13, ttmp6, 0x40008
	s_delay_alu instid0(SALU_CYCLE_1) | instskip(SKIP_1) | instid1(TRANS32_DEP_1)
	s_add_co_i32 s13, s13, s11
	v_nop
	v_readfirstlane_b32 s15, v1
	s_cmp_eq_u32 s14, 0
	s_cselect_b32 s9, s9, s13
	s_load_b32 s13, s[0:1], 0x1b0
	s_mul_f32 s11, s15, 0x4f7ffffe
	s_mul_i32 s3, s3, s9
	s_cselect_b32 s9, ttmp9, s12
	s_cselect_b32 s8, s8, s10
	s_cvt_u32_f32 s11, s11
	s_sub_co_i32 s10, 0, s6
	s_add_co_i32 s3, s3, s8
	s_delay_alu instid0(SALU_CYCLE_1) | instskip(SKIP_3) | instid1(SALU_CYCLE_1)
	s_mul_i32 s24, s3, s2
	s_mul_i32 s10, s10, s11
	s_add_co_i32 s24, s24, s9
	s_mul_hi_u32 s2, s11, s10
	s_add_co_i32 s11, s11, s2
	s_delay_alu instid0(SALU_CYCLE_1) | instskip(NEXT) | instid1(SALU_CYCLE_1)
	s_mul_hi_u32 s2, s24, s11
	s_mul_i32 s3, s2, s6
	s_add_co_i32 s8, s2, 1
	s_sub_co_i32 s3, s24, s3
	s_delay_alu instid0(SALU_CYCLE_1)
	s_sub_co_i32 s9, s3, s6
	s_cmp_ge_u32 s3, s6
	s_cselect_b32 s2, s8, s2
	s_cselect_b32 s3, s9, s3
	s_add_co_i32 s8, s2, 1
	s_cmp_ge_u32 s3, s6
	s_mov_b32 s3, 0
	s_cselect_b32 s2, s8, s2
	s_wait_kmcnt 0x0
	s_cmp_ge_u32 s2, s13
	s_cbranch_scc1 .LBB196_25
; %bb.1:
	s_load_b128 s[12:15], s[0:1], 0x10
	s_mov_b64 s[16:17], 0
	s_mov_b64 s[20:21], 0
	s_wait_kmcnt 0x0
	v_cmp_lt_u64_e64 s8, s[2:3], s[14:15]
	s_and_b32 vcc_lo, exec_lo, s8
	s_cbranch_vccz .LBB196_15
; %bb.2:
	v_cmp_lt_u64_e64 s8, s[20:21], s[12:13]
	s_and_b32 vcc_lo, exec_lo, s8
	s_cbranch_vccz .LBB196_16
.LBB196_3:
	v_cmp_gt_u32_e32 vcc_lo, 0x100, v0
	v_lshlrev_b32_e32 v1, 2, v0
	s_and_saveexec_b32 s8, vcc_lo
.LBB196_4:
	v_mov_b32_e32 v2, 0
	ds_store_b32 v1, v2
.LBB196_5:
	s_or_b32 exec_lo, exec_lo, s8
	s_clause 0x1
	s_load_b32 s25, s[0:1], 0x1a0
	s_load_b128 s[8:11], s[0:1], 0x1d0
	s_mul_i32 s18, s2, s6
	s_mov_b32 s23, 0
	s_sub_co_i32 s27, s24, s18
	s_wait_dscnt 0x0
	s_mul_i32 s18, s5, s27
	s_add_co_i32 s27, s27, 1
	s_lshl_b32 s26, s18, 8
	s_barrier_signal -1
	s_barrier_wait -1
	s_wait_kmcnt 0x0
	s_sub_co_i32 s22, s25, s26
	s_delay_alu instid0(SALU_CYCLE_1) | instskip(NEXT) | instid1(SALU_CYCLE_1)
	s_add_nc_u64 s[18:19], s[22:23], 0xff
	s_lshr_b64 s[18:19], s[18:19], 8
	s_cmp_lt_u32 s27, s6
	s_cselect_b32 s6, s5, s18
	s_delay_alu instid0(SALU_CYCLE_1)
	s_cmp_lt_i32 s6, 1
	s_cbranch_scc1 .LBB196_23
; %bb.6:
	s_clause 0x2
	s_load_b64 s[34:35], s[0:1], 0xe0
	s_load_b128 s[28:31], s[0:1], 0xd0
	s_load_b64 s[36:37], s[0:1], 0x0
	s_load_b32 s5, s[8:9], s2 offset:0x0 scale_offset
	s_load_b64 s[18:19], s[0:1], 0x1b8
	s_wait_xcnt 0x0
	s_mul_u64 s[0:1], s[20:21], s[14:15]
	s_mul_u64 s[8:9], s[16:17], s[12:13]
	s_sub_nc_u64 s[0:1], s[2:3], s[0:1]
	s_sub_nc_u64 s[2:3], s[20:21], s[8:9]
	v_add_nc_u32_e32 v6, s26, v0
	s_wait_kmcnt 0x0
	s_mul_u64 s[0:1], s[0:1], s[34:35]
	s_mul_u64 s[8:9], s[16:17], s[28:29]
	;; [unrolled: 1-line block ×3, first 2 shown]
	s_lshl_b64 s[8:9], s[8:9], 2
	s_lshl_b64 s[2:3], s[2:3], 2
	s_add_nc_u64 s[8:9], s[36:37], s[8:9]
	s_lshl_b64 s[12:13], s[0:1], 2
	s_add_nc_u64 s[2:3], s[8:9], s[2:3]
	s_and_b32 s1, s4, 0xff
	s_cmp_eq_u32 s6, 1
	s_add_nc_u64 s[2:3], s[2:3], s[12:13]
	s_cbranch_scc1 .LBB196_18
; %bb.7:
	v_dual_mov_b32 v3, 0 :: v_dual_mov_b32 v7, 1
	v_mov_b32_e32 v2, v6
	s_and_b32 s4, s6, 0x7ffffffe
	s_mov_b32 s8, 0
	s_branch .LBB196_9
.LBB196_8:                              ;   in Loop: Header=BB196_9 Depth=1
	s_or_b32 exec_lo, exec_lo, s9
	v_add_nc_u32_e32 v2, 0x200, v2
	s_add_co_i32 s8, s8, 2
	s_delay_alu instid0(SALU_CYCLE_1)
	s_cmp_eq_u32 s4, s8
	s_cbranch_scc1 .LBB196_17
.LBB196_9:                              ; =>This Inner Loop Header: Depth=1
	s_mov_b32 s9, exec_lo
	v_cmpx_gt_u32_e64 s25, v2
	s_cbranch_execz .LBB196_12
; %bb.10:                               ;   in Loop: Header=BB196_9 Depth=1
	v_mul_u64_e32 v[4:5], s[18:19], v[2:3]
	s_delay_alu instid0(VALU_DEP_1) | instskip(SKIP_4) | instid1(VALU_DEP_1)
	v_lshl_add_u64 v[4:5], v[4:5], 2, s[2:3]
	global_load_b32 v4, v[4:5], off
	s_wait_loadcnt 0x0
	v_cmp_lt_i32_e64 s0, -1, v4
	s_wait_xcnt 0x0
	v_cndmask_b32_e64 v5, -1, 0x80000000, s0
	v_cmp_o_f32_e64 s0, v4, v4
	s_delay_alu instid0(VALU_DEP_2) | instskip(NEXT) | instid1(VALU_DEP_1)
	v_xor_b32_e32 v5, v5, v4
	v_cndmask_b32_e64 v4, -1, v5, s0
	s_delay_alu instid0(VALU_DEP_1) | instskip(NEXT) | instid1(VALU_DEP_1)
	v_bitop3_b32 v5, v4, s7, s5 bitop3:0x48
	v_cmp_eq_u32_e64 s0, 0, v5
	s_and_b32 exec_lo, exec_lo, s0
; %bb.11:                               ;   in Loop: Header=BB196_9 Depth=1
	v_bfe_u32 v4, v4, s1, 8
	s_delay_alu instid0(VALU_DEP_1)
	v_lshlrev_b32_e32 v4, 2, v4
	ds_add_u32 v4, v7
.LBB196_12:                             ;   in Loop: Header=BB196_9 Depth=1
	s_or_b32 exec_lo, exec_lo, s9
	v_add_nc_u32_e32 v4, 0x100, v2
	s_mov_b32 s9, exec_lo
	s_delay_alu instid0(VALU_DEP_1)
	v_cmpx_gt_u32_e64 s25, v4
	s_cbranch_execz .LBB196_8
; %bb.13:                               ;   in Loop: Header=BB196_9 Depth=1
	v_mov_b32_e32 v5, v3
	s_delay_alu instid0(VALU_DEP_1) | instskip(NEXT) | instid1(VALU_DEP_1)
	v_mul_u64_e32 v[4:5], s[18:19], v[4:5]
	v_lshl_add_u64 v[4:5], v[4:5], 2, s[2:3]
	global_load_b32 v4, v[4:5], off
	s_wait_loadcnt 0x0
	v_cmp_lt_i32_e64 s0, -1, v4
	s_delay_alu instid0(VALU_DEP_1) | instskip(SKIP_1) | instid1(VALU_DEP_2)
	v_cndmask_b32_e64 v5, -1, 0x80000000, s0
	v_cmp_o_f32_e64 s0, v4, v4
	v_xor_b32_e32 v5, v5, v4
	s_delay_alu instid0(VALU_DEP_1) | instskip(NEXT) | instid1(VALU_DEP_1)
	v_cndmask_b32_e64 v4, -1, v5, s0
	v_bitop3_b32 v5, v4, s7, s5 bitop3:0x48
	s_delay_alu instid0(VALU_DEP_1)
	v_cmp_eq_u32_e64 s0, 0, v5
	s_and_b32 exec_lo, exec_lo, s0
	s_cbranch_execz .LBB196_8
; %bb.14:                               ;   in Loop: Header=BB196_9 Depth=1
	v_bfe_u32 v4, v4, s1, 8
	s_delay_alu instid0(VALU_DEP_1)
	v_lshlrev_b32_e32 v4, 2, v4
	ds_add_u32 v4, v7
	s_branch .LBB196_8
.LBB196_15:
	v_cvt_f32_u32_e32 v1, s14
	s_sub_co_i32 s9, 0, s14
	s_mov_b32 s21, 0
	s_delay_alu instid0(VALU_DEP_1) | instskip(SKIP_1) | instid1(TRANS32_DEP_1)
	v_rcp_iflag_f32_e32 v1, v1
	v_nop
	v_mul_f32_e32 v1, 0x4f7ffffe, v1
	s_delay_alu instid0(VALU_DEP_1) | instskip(NEXT) | instid1(VALU_DEP_1)
	v_cvt_u32_f32_e32 v1, v1
	v_readfirstlane_b32 s8, v1
	s_mul_i32 s9, s9, s8
	s_delay_alu instid0(SALU_CYCLE_1) | instskip(NEXT) | instid1(SALU_CYCLE_1)
	s_mul_hi_u32 s9, s8, s9
	s_add_co_i32 s8, s8, s9
	s_delay_alu instid0(SALU_CYCLE_1) | instskip(NEXT) | instid1(SALU_CYCLE_1)
	s_mul_hi_u32 s8, s2, s8
	s_mul_i32 s9, s8, s14
	s_add_co_i32 s10, s8, 1
	s_sub_co_i32 s9, s2, s9
	s_delay_alu instid0(SALU_CYCLE_1)
	s_sub_co_i32 s11, s9, s14
	s_cmp_ge_u32 s9, s14
	s_cselect_b32 s8, s10, s8
	s_cselect_b32 s9, s11, s9
	s_add_co_i32 s10, s8, 1
	s_cmp_ge_u32 s9, s14
	s_cselect_b32 s20, s10, s8
	s_delay_alu instid0(SALU_CYCLE_1)
	v_cmp_lt_u64_e64 s8, s[20:21], s[12:13]
	s_and_b32 vcc_lo, exec_lo, s8
	s_cbranch_vccnz .LBB196_3
.LBB196_16:
	v_cvt_f32_u32_e32 v1, s12
	s_sub_co_i32 s9, 0, s12
	s_mov_b32 s17, 0
	s_delay_alu instid0(VALU_DEP_1) | instskip(SKIP_1) | instid1(TRANS32_DEP_1)
	v_rcp_iflag_f32_e32 v1, v1
	v_nop
	v_mul_f32_e32 v1, 0x4f7ffffe, v1
	s_delay_alu instid0(VALU_DEP_1) | instskip(NEXT) | instid1(VALU_DEP_1)
	v_cvt_u32_f32_e32 v1, v1
	v_readfirstlane_b32 s8, v1
	s_mul_i32 s9, s9, s8
	s_delay_alu instid0(SALU_CYCLE_1) | instskip(NEXT) | instid1(SALU_CYCLE_1)
	s_mul_hi_u32 s9, s8, s9
	s_add_co_i32 s8, s8, s9
	s_delay_alu instid0(SALU_CYCLE_1) | instskip(NEXT) | instid1(SALU_CYCLE_1)
	s_mul_hi_u32 s8, s20, s8
	s_mul_i32 s9, s8, s12
	s_add_co_i32 s10, s8, 1
	s_sub_co_i32 s9, s20, s9
	s_delay_alu instid0(SALU_CYCLE_1)
	s_sub_co_i32 s11, s9, s12
	s_cmp_ge_u32 s9, s12
	s_cselect_b32 s8, s10, s8
	s_cselect_b32 s9, s11, s9
	s_add_co_i32 s10, s8, 1
	s_cmp_ge_u32 s9, s12
	s_cselect_b32 s16, s10, s8
	v_cmp_gt_u32_e32 vcc_lo, 0x100, v0
	v_lshlrev_b32_e32 v1, 2, v0
	s_and_saveexec_b32 s8, vcc_lo
	s_cbranch_execnz .LBB196_4
	s_branch .LBB196_5
.LBB196_17:
	s_lshl_b32 s23, s4, 8
.LBB196_18:
	s_bitcmp0_b32 s6, 0
	s_cbranch_scc1 .LBB196_23
; %bb.19:
	v_add_nc_u32_e32 v2, s23, v6
	s_mov_b32 s4, exec_lo
	s_delay_alu instid0(VALU_DEP_1)
	v_cmpx_gt_u32_e64 s25, v2
	s_cbranch_execz .LBB196_22
; %bb.20:
	v_mov_b32_e32 v3, 0
	s_delay_alu instid0(VALU_DEP_1) | instskip(NEXT) | instid1(VALU_DEP_1)
	v_mul_u64_e32 v[2:3], s[18:19], v[2:3]
	v_lshl_add_u64 v[2:3], v[2:3], 2, s[2:3]
	global_load_b32 v2, v[2:3], off
	s_wait_loadcnt 0x0
	v_cmp_lt_i32_e64 s0, -1, v2
	s_delay_alu instid0(VALU_DEP_1) | instskip(SKIP_1) | instid1(VALU_DEP_2)
	v_cndmask_b32_e64 v3, -1, 0x80000000, s0
	v_cmp_o_f32_e64 s0, v2, v2
	v_xor_b32_e32 v3, v3, v2
	s_delay_alu instid0(VALU_DEP_1) | instskip(NEXT) | instid1(VALU_DEP_1)
	v_cndmask_b32_e64 v2, -1, v3, s0
	v_bitop3_b32 v3, v2, s7, s5 bitop3:0x48
	s_delay_alu instid0(VALU_DEP_1)
	v_cmp_eq_u32_e64 s0, 0, v3
	s_and_b32 exec_lo, exec_lo, s0
; %bb.21:
	v_bfe_u32 v2, v2, s1, 8
	s_delay_alu instid0(VALU_DEP_1)
	v_dual_mov_b32 v3, 1 :: v_dual_lshlrev_b32 v2, 2, v2
	ds_add_u32 v2, v3
.LBB196_22:
	s_or_b32 exec_lo, exec_lo, s4
.LBB196_23:
	s_wait_dscnt 0x0
	s_barrier_signal -1
	s_barrier_wait -1
	s_and_saveexec_b32 s0, vcc_lo
	s_cbranch_execz .LBB196_25
; %bb.24:
	ds_load_b32 v1, v1
	v_lshl_or_b32 v0, s24, 8, v0
	s_wait_dscnt 0x0
	global_store_b16 v0, v1, s[10:11] scale_offset
.LBB196_25:
	s_endpgm
	.section	.rodata,"a",@progbits
	.p2align	6, 0x0
	.amdhsa_kernel _ZN2at6native6mbtopk23computeBlockDigitCountsIfmjLi3EEEvNS_4cuda6detail10TensorInfoIKT_T0_EEjPjjS8_iijT1_PSB_Ps
		.amdhsa_group_segment_fixed_size 1024
		.amdhsa_private_segment_fixed_size 0
		.amdhsa_kernarg_size 736
		.amdhsa_user_sgpr_count 2
		.amdhsa_user_sgpr_dispatch_ptr 0
		.amdhsa_user_sgpr_queue_ptr 0
		.amdhsa_user_sgpr_kernarg_segment_ptr 1
		.amdhsa_user_sgpr_dispatch_id 0
		.amdhsa_user_sgpr_kernarg_preload_length 0
		.amdhsa_user_sgpr_kernarg_preload_offset 0
		.amdhsa_user_sgpr_private_segment_size 0
		.amdhsa_wavefront_size32 1
		.amdhsa_uses_dynamic_stack 0
		.amdhsa_enable_private_segment 0
		.amdhsa_system_sgpr_workgroup_id_x 1
		.amdhsa_system_sgpr_workgroup_id_y 1
		.amdhsa_system_sgpr_workgroup_id_z 1
		.amdhsa_system_sgpr_workgroup_info 0
		.amdhsa_system_vgpr_workitem_id 0
		.amdhsa_next_free_vgpr 8
		.amdhsa_next_free_sgpr 38
		.amdhsa_named_barrier_count 0
		.amdhsa_reserve_vcc 1
		.amdhsa_float_round_mode_32 0
		.amdhsa_float_round_mode_16_64 0
		.amdhsa_float_denorm_mode_32 3
		.amdhsa_float_denorm_mode_16_64 3
		.amdhsa_fp16_overflow 0
		.amdhsa_memory_ordered 1
		.amdhsa_forward_progress 1
		.amdhsa_inst_pref_size 12
		.amdhsa_round_robin_scheduling 0
		.amdhsa_exception_fp_ieee_invalid_op 0
		.amdhsa_exception_fp_denorm_src 0
		.amdhsa_exception_fp_ieee_div_zero 0
		.amdhsa_exception_fp_ieee_overflow 0
		.amdhsa_exception_fp_ieee_underflow 0
		.amdhsa_exception_fp_ieee_inexact 0
		.amdhsa_exception_int_div_zero 0
	.end_amdhsa_kernel
	.section	.text._ZN2at6native6mbtopk23computeBlockDigitCountsIfmjLi3EEEvNS_4cuda6detail10TensorInfoIKT_T0_EEjPjjS8_iijT1_PSB_Ps,"axG",@progbits,_ZN2at6native6mbtopk23computeBlockDigitCountsIfmjLi3EEEvNS_4cuda6detail10TensorInfoIKT_T0_EEjPjjS8_iijT1_PSB_Ps,comdat
.Lfunc_end196:
	.size	_ZN2at6native6mbtopk23computeBlockDigitCountsIfmjLi3EEEvNS_4cuda6detail10TensorInfoIKT_T0_EEjPjjS8_iijT1_PSB_Ps, .Lfunc_end196-_ZN2at6native6mbtopk23computeBlockDigitCountsIfmjLi3EEEvNS_4cuda6detail10TensorInfoIKT_T0_EEjPjjS8_iijT1_PSB_Ps
                                        ; -- End function
	.set _ZN2at6native6mbtopk23computeBlockDigitCountsIfmjLi3EEEvNS_4cuda6detail10TensorInfoIKT_T0_EEjPjjS8_iijT1_PSB_Ps.num_vgpr, 8
	.set _ZN2at6native6mbtopk23computeBlockDigitCountsIfmjLi3EEEvNS_4cuda6detail10TensorInfoIKT_T0_EEjPjjS8_iijT1_PSB_Ps.num_agpr, 0
	.set _ZN2at6native6mbtopk23computeBlockDigitCountsIfmjLi3EEEvNS_4cuda6detail10TensorInfoIKT_T0_EEjPjjS8_iijT1_PSB_Ps.numbered_sgpr, 38
	.set _ZN2at6native6mbtopk23computeBlockDigitCountsIfmjLi3EEEvNS_4cuda6detail10TensorInfoIKT_T0_EEjPjjS8_iijT1_PSB_Ps.num_named_barrier, 0
	.set _ZN2at6native6mbtopk23computeBlockDigitCountsIfmjLi3EEEvNS_4cuda6detail10TensorInfoIKT_T0_EEjPjjS8_iijT1_PSB_Ps.private_seg_size, 0
	.set _ZN2at6native6mbtopk23computeBlockDigitCountsIfmjLi3EEEvNS_4cuda6detail10TensorInfoIKT_T0_EEjPjjS8_iijT1_PSB_Ps.uses_vcc, 1
	.set _ZN2at6native6mbtopk23computeBlockDigitCountsIfmjLi3EEEvNS_4cuda6detail10TensorInfoIKT_T0_EEjPjjS8_iijT1_PSB_Ps.uses_flat_scratch, 0
	.set _ZN2at6native6mbtopk23computeBlockDigitCountsIfmjLi3EEEvNS_4cuda6detail10TensorInfoIKT_T0_EEjPjjS8_iijT1_PSB_Ps.has_dyn_sized_stack, 0
	.set _ZN2at6native6mbtopk23computeBlockDigitCountsIfmjLi3EEEvNS_4cuda6detail10TensorInfoIKT_T0_EEjPjjS8_iijT1_PSB_Ps.has_recursion, 0
	.set _ZN2at6native6mbtopk23computeBlockDigitCountsIfmjLi3EEEvNS_4cuda6detail10TensorInfoIKT_T0_EEjPjjS8_iijT1_PSB_Ps.has_indirect_call, 0
	.section	.AMDGPU.csdata,"",@progbits
; Kernel info:
; codeLenInByte = 1464
; TotalNumSgprs: 40
; NumVgprs: 8
; ScratchSize: 0
; MemoryBound: 0
; FloatMode: 240
; IeeeMode: 1
; LDSByteSize: 1024 bytes/workgroup (compile time only)
; SGPRBlocks: 0
; VGPRBlocks: 0
; NumSGPRsForWavesPerEU: 40
; NumVGPRsForWavesPerEU: 8
; NamedBarCnt: 0
; Occupancy: 16
; WaveLimiterHint : 1
; COMPUTE_PGM_RSRC2:SCRATCH_EN: 0
; COMPUTE_PGM_RSRC2:USER_SGPR: 2
; COMPUTE_PGM_RSRC2:TRAP_HANDLER: 0
; COMPUTE_PGM_RSRC2:TGID_X_EN: 1
; COMPUTE_PGM_RSRC2:TGID_Y_EN: 1
; COMPUTE_PGM_RSRC2:TGID_Z_EN: 1
; COMPUTE_PGM_RSRC2:TIDIG_COMP_CNT: 0
	.section	.text._ZN2at6native6mbtopk10gatherTopKIfmLi3EEEvNS_4cuda6detail10TensorInfoIKT_T0_EES8_S8_bjS8_NS5_IS6_S8_EES8_NS5_IlS8_EES8_jjPS6_PjSD_j,"axG",@progbits,_ZN2at6native6mbtopk10gatherTopKIfmLi3EEEvNS_4cuda6detail10TensorInfoIKT_T0_EES8_S8_bjS8_NS5_IS6_S8_EES8_NS5_IlS8_EES8_jjPS6_PjSD_j,comdat
	.protected	_ZN2at6native6mbtopk10gatherTopKIfmLi3EEEvNS_4cuda6detail10TensorInfoIKT_T0_EES8_S8_bjS8_NS5_IS6_S8_EES8_NS5_IlS8_EES8_jjPS6_PjSD_j ; -- Begin function _ZN2at6native6mbtopk10gatherTopKIfmLi3EEEvNS_4cuda6detail10TensorInfoIKT_T0_EES8_S8_bjS8_NS5_IS6_S8_EES8_NS5_IlS8_EES8_jjPS6_PjSD_j
	.globl	_ZN2at6native6mbtopk10gatherTopKIfmLi3EEEvNS_4cuda6detail10TensorInfoIKT_T0_EES8_S8_bjS8_NS5_IS6_S8_EES8_NS5_IlS8_EES8_jjPS6_PjSD_j
	.p2align	8
	.type	_ZN2at6native6mbtopk10gatherTopKIfmLi3EEEvNS_4cuda6detail10TensorInfoIKT_T0_EES8_S8_bjS8_NS5_IS6_S8_EES8_NS5_IlS8_EES8_jjPS6_PjSD_j,@function
_ZN2at6native6mbtopk10gatherTopKIfmLi3EEEvNS_4cuda6detail10TensorInfoIKT_T0_EES8_S8_bjS8_NS5_IS6_S8_EES8_NS5_IlS8_EES8_jjPS6_PjSD_j: ; @_ZN2at6native6mbtopk10gatherTopKIfmLi3EEEvNS_4cuda6detail10TensorInfoIKT_T0_EES8_S8_bjS8_NS5_IS6_S8_EES8_NS5_IlS8_EES8_jjPS6_PjSD_j
; %bb.0:
	s_bfe_u32 s2, ttmp6, 0x40010
	s_and_b32 s4, ttmp7, 0xffff
	s_add_co_i32 s5, s2, 1
	s_clause 0x1
	s_load_b32 s6, s[0:1], 0x530
	s_load_b64 s[2:3], s[0:1], 0x538
	s_bfe_u32 s8, ttmp6, 0x4000c
	s_mul_i32 s5, s4, s5
	s_bfe_u32 s7, ttmp6, 0x40004
	s_add_co_i32 s8, s8, 1
	s_bfe_u32 s9, ttmp6, 0x40014
	s_add_co_i32 s7, s7, s5
	s_and_b32 s5, ttmp6, 15
	s_mul_i32 s8, ttmp9, s8
	s_lshr_b32 s10, ttmp7, 16
	s_add_co_i32 s9, s9, 1
	s_add_co_i32 s5, s5, s8
	s_mul_i32 s8, s10, s9
	s_bfe_u32 s9, ttmp6, 0x40008
	s_getreg_b32 s11, hwreg(HW_REG_IB_STS2, 6, 4)
	s_add_co_i32 s9, s9, s8
	s_cmp_eq_u32 s11, 0
	s_cselect_b32 s8, s10, s9
	s_cselect_b32 s4, s4, s7
	s_wait_kmcnt 0x0
	s_mul_i32 s3, s3, s8
	s_cselect_b32 s5, ttmp9, s5
	s_add_co_i32 s3, s3, s4
	s_delay_alu instid0(SALU_CYCLE_1) | instskip(NEXT) | instid1(SALU_CYCLE_1)
	s_mul_i32 s2, s3, s2
	s_add_co_i32 s2, s2, s5
	s_delay_alu instid0(SALU_CYCLE_1)
	s_cmp_ge_u32 s2, s6
	s_cbranch_scc1 .LBB197_54
; %bb.1:
	s_load_b64 s[34:35], s[0:1], 0x510
	s_wait_kmcnt 0x0
	s_cvt_f32_u32 s3, s35
	s_sub_co_i32 s4, 0, s35
	s_lshl_b32 s33, s34, 8
	s_delay_alu instid0(SALU_CYCLE_1) | instskip(SKIP_1) | instid1(TRANS32_DEP_1)
	v_rcp_iflag_f32_e32 v1, s3
	v_nop
	v_readfirstlane_b32 s3, v1
	s_mul_f32 s3, s3, 0x4f7ffffe
	s_delay_alu instid0(SALU_CYCLE_3) | instskip(NEXT) | instid1(SALU_CYCLE_3)
	s_cvt_u32_f32 s3, s3
	s_mul_i32 s4, s4, s3
	s_delay_alu instid0(SALU_CYCLE_1) | instskip(NEXT) | instid1(SALU_CYCLE_1)
	s_mul_hi_u32 s4, s3, s4
	s_add_co_i32 s3, s3, s4
	s_clause 0x1
	s_load_b128 s[4:7], s[0:1], 0x1a0
	s_load_b128 s[8:11], s[0:1], 0x10
	s_mul_hi_u32 s3, s2, s3
	s_delay_alu instid0(SALU_CYCLE_1) | instskip(SKIP_2) | instid1(SALU_CYCLE_1)
	s_mul_i32 s12, s3, s35
	s_add_co_i32 s13, s3, 1
	s_sub_co_i32 s12, s2, s12
	s_sub_co_i32 s14, s12, s35
	s_cmp_ge_u32 s12, s35
	s_cselect_b32 s3, s13, s3
	s_cselect_b32 s12, s14, s12
	s_add_co_i32 s13, s3, 1
	s_cmp_ge_u32 s12, s35
	s_cselect_b32 s44, s13, s3
	s_delay_alu instid0(SALU_CYCLE_1) | instskip(NEXT) | instid1(SALU_CYCLE_1)
	s_mul_i32 s50, s44, s35
	s_sub_co_i32 s72, s2, s50
	s_delay_alu instid0(SALU_CYCLE_1) | instskip(NEXT) | instid1(SALU_CYCLE_1)
	s_add_co_i32 s2, s72, 1
	s_cmp_lt_u32 s2, s35
	s_cbranch_scc1 .LBB197_3
; %bb.2:
	s_mul_i32 s2, s72, s33
	s_mov_b32 s3, 0
	s_wait_kmcnt 0x0
	s_sub_nc_u64 s[12:13], s[4:5], s[2:3]
	s_delay_alu instid0(SALU_CYCLE_1) | instskip(NEXT) | instid1(SALU_CYCLE_1)
	s_add_nc_u64 s[12:13], s[12:13], 0xff
	s_ashr_i32 s2, s13, 31
	s_delay_alu instid0(SALU_CYCLE_1) | instskip(NEXT) | instid1(SALU_CYCLE_1)
	s_lshr_b32 s2, s2, 24
	s_add_nc_u64 s[2:3], s[12:13], s[2:3]
	s_delay_alu instid0(SALU_CYCLE_1) | instskip(NEXT) | instid1(SALU_CYCLE_1)
	s_lshr_b64 s[2:3], s[2:3], 8
	s_mov_b32 s34, s2
.LBB197_3:
	s_mov_b32 s45, 0
	s_mov_b64 s[46:47], 0
	s_wait_kmcnt 0x0
	v_cmp_lt_u64_e64 s2, s[44:45], s[10:11]
	s_mov_b64 s[48:49], 0
	s_and_b32 vcc_lo, exec_lo, s2
	s_cbranch_vccnz .LBB197_5
; %bb.4:
	v_cvt_f32_u32_e32 v1, s10
	s_sub_co_i32 s3, 0, s10
	s_mov_b32 s49, s45
	s_delay_alu instid0(VALU_DEP_1) | instskip(SKIP_1) | instid1(TRANS32_DEP_1)
	v_rcp_iflag_f32_e32 v1, v1
	v_nop
	v_mul_f32_e32 v1, 0x4f7ffffe, v1
	s_delay_alu instid0(VALU_DEP_1) | instskip(NEXT) | instid1(VALU_DEP_1)
	v_cvt_u32_f32_e32 v1, v1
	v_readfirstlane_b32 s2, v1
	s_mul_i32 s3, s3, s2
	s_delay_alu instid0(SALU_CYCLE_1) | instskip(NEXT) | instid1(SALU_CYCLE_1)
	s_mul_hi_u32 s3, s2, s3
	s_add_co_i32 s2, s2, s3
	s_delay_alu instid0(SALU_CYCLE_1) | instskip(NEXT) | instid1(SALU_CYCLE_1)
	s_mul_hi_u32 s2, s44, s2
	s_mul_i32 s3, s2, s10
	s_add_co_i32 s12, s2, 1
	s_sub_co_i32 s3, s44, s3
	s_delay_alu instid0(SALU_CYCLE_1)
	s_sub_co_i32 s13, s3, s10
	s_cmp_ge_u32 s3, s10
	s_cselect_b32 s2, s12, s2
	s_cselect_b32 s3, s13, s3
	s_add_co_i32 s12, s2, 1
	s_cmp_ge_u32 s3, s10
	s_cselect_b32 s48, s12, s2
.LBB197_5:
	s_load_b128 s[20:23], s[0:1], 0x1d0
	v_cmp_lt_u64_e64 s2, s[48:49], s[8:9]
	s_and_b32 vcc_lo, exec_lo, s2
	s_cbranch_vccnz .LBB197_7
; %bb.6:
	v_cvt_f32_u32_e32 v1, s8
	s_sub_co_i32 s3, 0, s8
	s_mov_b32 s47, 0
	s_delay_alu instid0(VALU_DEP_1) | instskip(SKIP_1) | instid1(TRANS32_DEP_1)
	v_rcp_iflag_f32_e32 v1, v1
	v_nop
	v_mul_f32_e32 v1, 0x4f7ffffe, v1
	s_delay_alu instid0(VALU_DEP_1) | instskip(NEXT) | instid1(VALU_DEP_1)
	v_cvt_u32_f32_e32 v1, v1
	v_readfirstlane_b32 s2, v1
	s_mul_i32 s3, s3, s2
	s_delay_alu instid0(SALU_CYCLE_1) | instskip(NEXT) | instid1(SALU_CYCLE_1)
	s_mul_hi_u32 s3, s2, s3
	s_add_co_i32 s2, s2, s3
	s_delay_alu instid0(SALU_CYCLE_1) | instskip(NEXT) | instid1(SALU_CYCLE_1)
	s_mul_hi_u32 s2, s48, s2
	s_mul_i32 s3, s2, s8
	s_add_co_i32 s12, s2, 1
	s_sub_co_i32 s3, s48, s3
	s_delay_alu instid0(SALU_CYCLE_1)
	s_sub_co_i32 s13, s3, s8
	s_cmp_ge_u32 s3, s8
	s_cselect_b32 s2, s12, s2
	s_cselect_b32 s3, s13, s3
	s_add_co_i32 s12, s2, 1
	s_cmp_ge_u32 s3, s8
	s_cselect_b32 s46, s12, s2
.LBB197_7:
	s_wait_kmcnt 0x0
	v_cmp_lt_u64_e64 s2, s[44:45], s[22:23]
	s_mov_b64 s[54:55], 0
	s_mov_b64 s[52:53], 0
	s_and_b32 vcc_lo, exec_lo, s2
	s_cbranch_vccnz .LBB197_9
; %bb.8:
	v_cvt_f32_u32_e32 v1, s22
	s_sub_co_i32 s3, 0, s22
	s_mov_b32 s53, 0
	s_delay_alu instid0(VALU_DEP_1) | instskip(SKIP_1) | instid1(TRANS32_DEP_1)
	v_rcp_iflag_f32_e32 v1, v1
	v_nop
	v_mul_f32_e32 v1, 0x4f7ffffe, v1
	s_delay_alu instid0(VALU_DEP_1) | instskip(NEXT) | instid1(VALU_DEP_1)
	v_cvt_u32_f32_e32 v1, v1
	v_readfirstlane_b32 s2, v1
	s_mul_i32 s3, s3, s2
	s_delay_alu instid0(SALU_CYCLE_1) | instskip(NEXT) | instid1(SALU_CYCLE_1)
	s_mul_hi_u32 s3, s2, s3
	s_add_co_i32 s2, s2, s3
	s_delay_alu instid0(SALU_CYCLE_1) | instskip(NEXT) | instid1(SALU_CYCLE_1)
	s_mul_hi_u32 s2, s44, s2
	s_mul_i32 s3, s2, s22
	s_add_co_i32 s12, s2, 1
	s_sub_co_i32 s3, s44, s3
	s_delay_alu instid0(SALU_CYCLE_1)
	s_sub_co_i32 s13, s3, s22
	s_cmp_ge_u32 s3, s22
	s_cselect_b32 s2, s12, s2
	s_cselect_b32 s3, s13, s3
	s_add_co_i32 s12, s2, 1
	s_cmp_ge_u32 s3, s22
	s_cselect_b32 s52, s12, s2
.LBB197_9:
	s_load_b128 s[24:27], s[0:1], 0x378
	v_cmp_lt_u64_e64 s2, s[52:53], s[20:21]
	s_and_b32 vcc_lo, exec_lo, s2
	s_cbranch_vccnz .LBB197_11
; %bb.10:
	v_cvt_f32_u32_e32 v1, s20
	s_sub_co_i32 s3, 0, s20
	s_mov_b32 s55, 0
	s_delay_alu instid0(VALU_DEP_1) | instskip(SKIP_1) | instid1(TRANS32_DEP_1)
	v_rcp_iflag_f32_e32 v1, v1
	v_nop
	v_mul_f32_e32 v1, 0x4f7ffffe, v1
	s_delay_alu instid0(VALU_DEP_1) | instskip(NEXT) | instid1(VALU_DEP_1)
	v_cvt_u32_f32_e32 v1, v1
	v_readfirstlane_b32 s2, v1
	s_mul_i32 s3, s3, s2
	s_delay_alu instid0(SALU_CYCLE_1) | instskip(NEXT) | instid1(SALU_CYCLE_1)
	s_mul_hi_u32 s3, s2, s3
	s_add_co_i32 s2, s2, s3
	s_delay_alu instid0(SALU_CYCLE_1) | instskip(NEXT) | instid1(SALU_CYCLE_1)
	s_mul_hi_u32 s2, s52, s2
	s_mul_i32 s3, s2, s20
	s_add_co_i32 s12, s2, 1
	s_sub_co_i32 s3, s52, s3
	s_delay_alu instid0(SALU_CYCLE_1)
	s_sub_co_i32 s13, s3, s20
	s_cmp_ge_u32 s3, s20
	s_cselect_b32 s2, s12, s2
	s_cselect_b32 s3, s13, s3
	s_add_co_i32 s12, s2, 1
	s_cmp_ge_u32 s3, s20
	s_cselect_b32 s54, s12, s2
.LBB197_11:
	s_wait_kmcnt 0x0
	v_cmp_lt_u64_e64 s2, s[44:45], s[26:27]
	s_mov_b64 s[56:57], 0
	s_mov_b64 s[58:59], 0
	s_and_b32 vcc_lo, exec_lo, s2
	s_cbranch_vccnz .LBB197_13
; %bb.12:
	v_cvt_f32_u32_e32 v1, s26
	s_sub_co_i32 s3, 0, s26
	s_mov_b32 s59, 0
	s_delay_alu instid0(VALU_DEP_1) | instskip(SKIP_1) | instid1(TRANS32_DEP_1)
	v_rcp_iflag_f32_e32 v1, v1
	v_nop
	v_mul_f32_e32 v1, 0x4f7ffffe, v1
	s_delay_alu instid0(VALU_DEP_1) | instskip(NEXT) | instid1(VALU_DEP_1)
	v_cvt_u32_f32_e32 v1, v1
	v_readfirstlane_b32 s2, v1
	s_mul_i32 s3, s3, s2
	s_delay_alu instid0(SALU_CYCLE_1) | instskip(NEXT) | instid1(SALU_CYCLE_1)
	s_mul_hi_u32 s3, s2, s3
	s_add_co_i32 s2, s2, s3
	s_delay_alu instid0(SALU_CYCLE_1) | instskip(NEXT) | instid1(SALU_CYCLE_1)
	s_mul_hi_u32 s2, s44, s2
	s_mul_i32 s3, s2, s26
	s_add_co_i32 s12, s2, 1
	s_sub_co_i32 s3, s44, s3
	s_delay_alu instid0(SALU_CYCLE_1)
	s_sub_co_i32 s13, s3, s26
	s_cmp_ge_u32 s3, s26
	s_cselect_b32 s2, s12, s2
	s_cselect_b32 s3, s13, s3
	s_add_co_i32 s12, s2, 1
	s_cmp_ge_u32 s3, s26
	s_cselect_b32 s58, s12, s2
.LBB197_13:
	s_clause 0x5
	s_load_b64 s[60:61], s[0:1], 0xe0
	s_load_b128 s[36:39], s[0:1], 0xd0
	s_load_b64 s[62:63], s[0:1], 0x2a0
	s_load_b128 s[40:43], s[0:1], 0x290
	s_load_b64 s[64:65], s[0:1], 0x448
	s_load_b128 s[28:31], s[0:1], 0x438
	v_cmp_lt_u64_e64 s2, s[58:59], s[24:25]
	s_and_b32 vcc_lo, exec_lo, s2
	s_cbranch_vccnz .LBB197_15
; %bb.14:
	v_cvt_f32_u32_e32 v1, s24
	s_sub_co_i32 s3, 0, s24
	s_mov_b32 s57, 0
	s_delay_alu instid0(VALU_DEP_1) | instskip(SKIP_1) | instid1(TRANS32_DEP_1)
	v_rcp_iflag_f32_e32 v1, v1
	v_nop
	v_mul_f32_e32 v1, 0x4f7ffffe, v1
	s_delay_alu instid0(VALU_DEP_1) | instskip(NEXT) | instid1(VALU_DEP_1)
	v_cvt_u32_f32_e32 v1, v1
	v_readfirstlane_b32 s2, v1
	s_mul_i32 s3, s3, s2
	s_delay_alu instid0(SALU_CYCLE_1) | instskip(NEXT) | instid1(SALU_CYCLE_1)
	s_mul_hi_u32 s3, s2, s3
	s_add_co_i32 s2, s2, s3
	s_delay_alu instid0(SALU_CYCLE_1) | instskip(NEXT) | instid1(SALU_CYCLE_1)
	s_mul_hi_u32 s2, s58, s2
	s_mul_i32 s3, s2, s24
	s_add_co_i32 s12, s2, 1
	s_sub_co_i32 s3, s58, s3
	s_delay_alu instid0(SALU_CYCLE_1)
	s_sub_co_i32 s13, s3, s24
	s_cmp_ge_u32 s3, s24
	s_cselect_b32 s2, s12, s2
	s_cselect_b32 s3, s13, s3
	s_add_co_i32 s12, s2, 1
	s_cmp_ge_u32 s3, s24
	s_cselect_b32 s56, s12, s2
.LBB197_15:
	s_load_b128 s[12:15], s[0:1], 0x518
	s_lshl_b64 s[2:3], s[44:45], 2
	s_mov_b32 s51, 0
	s_wait_kmcnt 0x0
	s_add_nc_u64 s[2:3], s[12:13], s[2:3]
	s_load_b32 s73, s[2:3], 0x0
	s_wait_xcnt 0x0
	v_cmp_ne_u32_e64 s2, 0, v0
	v_cmp_eq_u32_e64 s3, 0, v0
	s_and_saveexec_b32 s74, s3
	s_cbranch_execz .LBB197_31
; %bb.16:
	s_load_b64 s[66:67], s[0:1], 0x528
	s_cmp_lt_u32 s35, 4
	s_cbranch_scc1 .LBB197_28
; %bb.17:
	s_lshl_b64 s[68:69], s[50:51], 2
	s_mov_b64 s[12:13], 0
	s_mov_b32 s50, 0
.LBB197_18:                             ; =>This Inner Loop Header: Depth=1
	s_add_nc_u64 s[70:71], s[14:15], s[68:69]
	s_cmp_ge_u32 s50, s72
	s_load_b128 s[16:19], s[70:71], 0x0
	s_wait_kmcnt 0x0
	s_add_nc_u64 s[70:71], s[66:67], s[68:69]
	s_cbranch_scc0 .LBB197_25
; %bb.19:                               ;   in Loop: Header=BB197_18 Depth=1
	s_add_co_i32 s75, s50, 1
	s_delay_alu instid0(SALU_CYCLE_1)
	s_cmp_ge_u32 s75, s72
	s_cbranch_scc0 .LBB197_26
.LBB197_20:                             ;   in Loop: Header=BB197_18 Depth=1
	s_add_co_i32 s75, s75, 1
	s_delay_alu instid0(SALU_CYCLE_1)
	s_cmp_ge_u32 s75, s72
	s_cbranch_scc0 .LBB197_27
.LBB197_21:                             ;   in Loop: Header=BB197_18 Depth=1
	s_add_co_i32 s75, s75, 1
	s_delay_alu instid0(SALU_CYCLE_1)
	s_cmp_ge_u32 s75, s72
	s_cbranch_scc1 .LBB197_23
.LBB197_22:                             ;   in Loop: Header=BB197_18 Depth=1
	s_load_b32 s70, s[70:71], 0xc
	s_add_co_i32 s13, s19, s13
	s_wait_kmcnt 0x0
	s_add_co_i32 s12, s70, s12
.LBB197_23:                             ;   in Loop: Header=BB197_18 Depth=1
	s_add_co_i32 s16, s16, s51
	s_add_nc_u64 s[14:15], s[14:15], 16
	s_add_co_i32 s16, s16, s17
	s_add_co_i32 s17, s75, 4
	;; [unrolled: 1-line block ×3, first 2 shown]
	s_add_nc_u64 s[66:67], s[66:67], 16
	s_add_co_i32 s51, s16, s19
	s_add_co_i32 s16, s75, 1
	s_cmp_ge_u32 s17, s35
	s_cbranch_scc1 .LBB197_29
; %bb.24:                               ;   in Loop: Header=BB197_18 Depth=1
	s_mov_b32 s50, s16
	s_branch .LBB197_18
.LBB197_25:                             ;   in Loop: Header=BB197_18 Depth=1
	s_load_b32 s75, s[70:71], 0x0
	s_add_co_i32 s13, s16, s13
	s_wait_kmcnt 0x0
	s_add_co_i32 s12, s75, s12
	s_add_co_i32 s75, s50, 1
	s_delay_alu instid0(SALU_CYCLE_1)
	s_cmp_ge_u32 s75, s72
	s_cbranch_scc1 .LBB197_20
.LBB197_26:                             ;   in Loop: Header=BB197_18 Depth=1
	s_load_b32 s76, s[70:71], 0x4
	s_add_co_i32 s13, s17, s13
	s_wait_kmcnt 0x0
	s_add_co_i32 s12, s76, s12
	s_add_co_i32 s75, s75, 1
	s_delay_alu instid0(SALU_CYCLE_1)
	s_cmp_ge_u32 s75, s72
	s_cbranch_scc1 .LBB197_21
.LBB197_27:                             ;   in Loop: Header=BB197_18 Depth=1
	s_load_b32 s76, s[70:71], 0x8
	s_add_co_i32 s13, s18, s13
	s_wait_kmcnt 0x0
	s_add_co_i32 s12, s76, s12
	s_add_co_i32 s75, s75, 1
	s_delay_alu instid0(SALU_CYCLE_1)
	s_cmp_ge_u32 s75, s72
	s_cbranch_scc0 .LBB197_22
	s_branch .LBB197_23
.LBB197_28:
	s_lshl_b64 s[16:17], s[50:51], 2
	s_mov_b64 s[12:13], 0
	s_add_nc_u64 s[14:15], s[14:15], s[16:17]
	s_wait_kmcnt 0x0
	s_add_nc_u64 s[16:17], s[66:67], s[16:17]
	s_mov_b32 s18, s51
	s_delay_alu instid0(SALU_CYCLE_1)
	s_cmp_ge_u32 s18, s35
	s_cbranch_scc0 .LBB197_52
	s_branch .LBB197_30
.LBB197_29:
	s_add_co_i32 s18, s50, 4
	s_add_nc_u64 s[16:17], s[66:67], s[68:69]
	s_add_nc_u64 s[14:15], s[14:15], s[68:69]
	s_cmp_ge_u32 s18, s35
	s_cbranch_scc0 .LBB197_52
.LBB197_30:
	v_dual_mov_b32 v2, s12 :: v_dual_mov_b32 v3, s51
	v_dual_mov_b32 v4, s13 :: v_dual_mov_b32 v1, 0
	ds_store_b96 v1, v[2:4] offset:1056
.LBB197_31:
	s_or_b32 exec_lo, exec_lo, s74
	s_clause 0x2
	s_load_b128 s[12:15], s[0:1], 0x360
	s_load_b128 s[16:19], s[0:1], 0x1b8
	s_load_b64 s[50:51], s[0:1], 0x0
	s_cmp_eq_u32 s34, 0
	s_wait_dscnt 0x0
	s_barrier_signal -1
	s_barrier_wait -1
	s_cbranch_scc1 .LBB197_54
; %bb.32:
	s_mul_u64 s[8:9], s[46:47], s[8:9]
	s_mul_u64 s[10:11], s[48:49], s[10:11]
	s_sub_nc_u64 s[8:9], s[48:49], s[8:9]
	s_mul_u64 s[36:37], s[46:47], s[36:37]
	s_mul_u64 s[24:25], s[56:57], s[24:25]
	v_dual_mov_b32 v7, 0 :: v_dual_lshrrev_b32 v1, 3, v0
	s_mul_u64 s[20:21], s[54:55], s[20:21]
	s_mul_u64 s[8:9], s[8:9], s[38:39]
	s_sub_nc_u64 s[10:11], s[44:45], s[10:11]
	s_sub_nc_u64 s[24:25], s[58:59], s[24:25]
	s_lshl_b64 s[36:37], s[36:37], 2
	s_sub_nc_u64 s[20:21], s[52:53], s[20:21]
	s_mul_u64 s[40:41], s[54:55], s[40:41]
	s_mul_u64 s[22:23], s[52:53], s[22:23]
	;; [unrolled: 1-line block ×4, first 2 shown]
	s_wait_kmcnt 0x0
	s_add_nc_u64 s[30:31], s[50:51], s[36:37]
	s_lshl_b64 s[8:9], s[8:9], 2
	s_mul_u64 s[26:27], s[58:59], s[26:27]
	s_mul_u64 s[20:21], s[20:21], s[42:43]
	s_sub_nc_u64 s[22:23], s[44:45], s[22:23]
	s_add_nc_u64 s[8:9], s[30:31], s[8:9]
	s_lshl_b64 s[10:11], s[10:11], 2
	s_lshl_b64 s[30:31], s[40:41], 2
	ds_load_b96 v[2:4], v7 offset:1056
	s_sub_nc_u64 s[26:27], s[44:45], s[26:27]
	s_mul_u64 s[22:23], s[22:23], s[62:63]
	s_add_nc_u64 s[8:9], s[8:9], s[10:11]
	s_add_nc_u64 s[10:11], s[18:19], s[30:31]
	s_lshl_b64 s[18:19], s[20:21], 2
	s_mul_u64 s[28:29], s[56:57], s[28:29]
	s_mul_u64 s[26:27], s[26:27], s[64:65]
	s_add_nc_u64 s[10:11], s[10:11], s[18:19]
	s_lshl_b64 s[18:19], s[22:23], 2
	s_lshl_b64 s[20:21], s[28:29], 3
	s_add_nc_u64 s[10:11], s[10:11], s[18:19]
	s_lshl_b64 s[18:19], s[24:25], 3
	s_lshl_b64 s[22:23], s[26:27], 3
	s_add_nc_u64 s[14:15], s[14:15], s[20:21]
	s_cmp_gt_i32 s73, -1
	s_load_b32 s21, s[0:1], 0x1b0
	s_add_nc_u64 s[18:19], s[14:15], s[18:19]
	s_cselect_b32 s14, 0x80000000, -1
	v_dual_add_nc_u32 v9, -1, v0 :: v_dual_bitop2_b32 v1, 28, v1 bitop3:0x40
	s_xor_b32 s20, s14, s73
	s_load_b64 s[14:15], s[0:1], 0x508
	s_wait_dscnt 0x0
	s_delay_alu instid0(VALU_DEP_1)
	v_dual_add_nc_u32 v2, v2, v3 :: v_dual_lshrrev_b32 v6, 3, v9
	v_lshl_add_u32 v5, v0, 2, v1
	v_and_b32_e32 v1, 0xfc, v0
	v_lshlrev_b32_e32 v10, 5, v0
	v_mbcnt_lo_u32_b32 v8, -1, 0
	v_and_b32_e32 v3, 0x1ffffffc, v6
	v_mad_u32 v6, s72, s33, v0
	s_cmp_o_f32 s73, s73
	s_wait_xcnt 0x0
	v_cmp_gt_u32_e64 s0, 32, v0
	v_dual_add_nc_u32 v10, v1, v10 :: v_dual_bitop2_b32 v11, 15, v8 bitop3:0x40
	v_lshl_add_u32 v9, v9, 2, v3
	v_bfe_i32 v12, v8, 4, 1
	v_add_nc_u32_e32 v13, -1, v8
	s_cselect_b32 s20, s20, -1
	s_wait_kmcnt 0x0
	s_bitcmp1_b32 s21, 0
	s_add_nc_u64 s[18:19], s[18:19], s[22:23]
	s_cselect_b32 s1, -1, 0
                                        ; implicit-def: $vgpr14
	s_branch .LBB197_35
.LBB197_33:                             ;   in Loop: Header=BB197_35 Depth=1
	s_wait_xcnt 0x0
	s_or_b32 exec_lo, exec_lo, s21
	v_add_nc_u32_e32 v2, v3, v2
.LBB197_34:                             ;   in Loop: Header=BB197_35 Depth=1
	v_add_nc_u32_e32 v4, v15, v4
	v_add_nc_u32_e32 v6, 0x100, v6
	s_add_co_i32 s34, s34, -1
	s_delay_alu instid0(SALU_CYCLE_1)
	s_cmp_lg_u32 s34, 0
	s_cbranch_scc0 .LBB197_54
.LBB197_35:                             ; =>This Inner Loop Header: Depth=1
	v_dual_mov_b32 v1, v7 :: v_dual_mov_b32 v0, v7
	s_mov_b32 s21, exec_lo
	v_cmpx_gt_u64_e64 s[4:5], v[6:7]
	s_cbranch_execz .LBB197_37
; %bb.36:                               ;   in Loop: Header=BB197_35 Depth=1
	v_mul_u64_e32 v[0:1], s[16:17], v[6:7]
	s_delay_alu instid0(VALU_DEP_1)
	v_lshl_add_u64 v[0:1], v[0:1], 2, s[8:9]
	global_load_b32 v14, v[0:1], off
	s_wait_loadcnt 0x0
	v_cmp_lt_i32_e32 vcc_lo, -1, v14
	s_wait_xcnt 0x0
	v_cndmask_b32_e64 v0, -1, 0x80000000, vcc_lo
	v_cmp_o_f32_e32 vcc_lo, v14, v14
	s_delay_alu instid0(VALU_DEP_2) | instskip(NEXT) | instid1(VALU_DEP_1)
	v_xor_b32_e32 v0, v0, v14
	v_cndmask_b32_e32 v0, -1, v0, vcc_lo
	s_delay_alu instid0(VALU_DEP_1) | instskip(SKIP_3) | instid1(VALU_DEP_1)
	v_cmp_lt_u32_e32 vcc_lo, s20, v0
	v_cndmask_b32_e64 v1, 0, 1, vcc_lo
	v_cmp_gt_u32_e32 vcc_lo, s20, v0
	v_cndmask_b32_e64 v3, 0, 1, vcc_lo
	v_cndmask_b32_e64 v1, v3, v1, s1
	s_delay_alu instid0(VALU_DEP_1)
	v_and_b32_e32 v1, 1, v1
	v_cmp_eq_u32_e32 vcc_lo, s20, v0
	v_cndmask_b32_e64 v0, 0, 1, vcc_lo
.LBB197_37:                             ;   in Loop: Header=BB197_35 Depth=1
	s_or_b32 exec_lo, exec_lo, s21
	ds_store_b32 v5, v1
	s_wait_dscnt 0x0
	s_barrier_signal -1
	s_barrier_wait -1
	s_and_saveexec_b32 s21, s0
	s_cbranch_execz .LBB197_39
; %bb.38:                               ;   in Loop: Header=BB197_35 Depth=1
	ds_load_2addr_b32 v[16:17], v10 offset1:1
	ds_load_2addr_b32 v[18:19], v10 offset0:2 offset1:3
	ds_load_2addr_b32 v[20:21], v10 offset0:4 offset1:5
	;; [unrolled: 1-line block ×3, first 2 shown]
	v_cmp_ne_u32_e32 vcc_lo, 0, v11
	; wave barrier
	s_wait_dscnt 0x3
	v_add_nc_u32_e32 v3, v17, v16
	s_wait_dscnt 0x2
	s_delay_alu instid0(VALU_DEP_1) | instskip(SKIP_1) | instid1(VALU_DEP_1)
	v_add3_u32 v3, v3, v18, v19
	s_wait_dscnt 0x1
	v_add3_u32 v3, v3, v20, v21
	s_wait_dscnt 0x0
	s_delay_alu instid0(VALU_DEP_1) | instskip(NEXT) | instid1(VALU_DEP_1)
	v_add3_u32 v3, v3, v22, v23
	v_mov_b32_dpp v15, v3 row_shr:1 row_mask:0xf bank_mask:0xf
	s_delay_alu instid0(VALU_DEP_1) | instskip(SKIP_1) | instid1(VALU_DEP_2)
	v_cndmask_b32_e32 v15, 0, v15, vcc_lo
	v_cmp_lt_u32_e32 vcc_lo, 1, v11
	v_add_nc_u32_e32 v3, v15, v3
	s_delay_alu instid0(VALU_DEP_1) | instskip(NEXT) | instid1(VALU_DEP_1)
	v_mov_b32_dpp v15, v3 row_shr:2 row_mask:0xf bank_mask:0xf
	v_cndmask_b32_e32 v15, 0, v15, vcc_lo
	v_cmp_lt_u32_e32 vcc_lo, 3, v11
	s_delay_alu instid0(VALU_DEP_2) | instskip(NEXT) | instid1(VALU_DEP_1)
	v_add_nc_u32_e32 v3, v3, v15
	v_mov_b32_dpp v15, v3 row_shr:4 row_mask:0xf bank_mask:0xf
	s_delay_alu instid0(VALU_DEP_1) | instskip(SKIP_1) | instid1(VALU_DEP_2)
	v_cndmask_b32_e32 v15, 0, v15, vcc_lo
	v_cmp_lt_u32_e32 vcc_lo, 7, v11
	v_add_nc_u32_e32 v3, v3, v15
	s_delay_alu instid0(VALU_DEP_1) | instskip(NEXT) | instid1(VALU_DEP_1)
	v_mov_b32_dpp v15, v3 row_shr:8 row_mask:0xf bank_mask:0xf
	v_cndmask_b32_e32 v15, 0, v15, vcc_lo
	v_cmp_gt_i32_e32 vcc_lo, 0, v13
	s_delay_alu instid0(VALU_DEP_2) | instskip(SKIP_3) | instid1(VALU_DEP_1)
	v_dual_add_nc_u32 v3, v3, v15 :: v_dual_cndmask_b32 v17, v13, v8, vcc_lo
	ds_swizzle_b32 v15, v3 offset:swizzle(BROADCAST,32,15)
	s_wait_dscnt 0x0
	v_dual_lshlrev_b32 v17, 2, v17 :: v_dual_bitop2_b32 v15, v12, v15 bitop3:0x40
	v_add_nc_u32_e32 v3, v3, v15
	ds_bpermute_b32 v3, v17, v3
	s_wait_dscnt 0x0
	v_add_nc_u32_e32 v3, v3, v16
	s_delay_alu instid0(VALU_DEP_1)
	v_cndmask_b32_e64 v3, v3, v1, s3
	ds_store_b32 v10, v3
	; wave barrier
	ds_load_2addr_b32 v[16:17], v10 offset0:1 offset1:2
	ds_load_2addr_b32 v[18:19], v10 offset0:3 offset1:4
	;; [unrolled: 1-line block ×3, first 2 shown]
	ds_load_b32 v15, v10 offset:28
	s_wait_dscnt 0x3
	v_add_nc_u32_e32 v3, v16, v3
	s_delay_alu instid0(VALU_DEP_1) | instskip(SKIP_1) | instid1(VALU_DEP_1)
	v_add_nc_u32_e32 v16, v17, v3
	s_wait_dscnt 0x2
	v_add_nc_u32_e32 v17, v18, v16
	s_delay_alu instid0(VALU_DEP_1) | instskip(SKIP_1) | instid1(VALU_DEP_1)
	v_add_nc_u32_e32 v18, v19, v17
	;; [unrolled: 4-line block ×3, first 2 shown]
	s_wait_dscnt 0x0
	v_add_nc_u32_e32 v15, v15, v20
	ds_store_2addr_b32 v10, v3, v16 offset0:1 offset1:2
	ds_store_2addr_b32 v10, v17, v18 offset0:3 offset1:4
	;; [unrolled: 1-line block ×3, first 2 shown]
	ds_store_b32 v10, v15 offset:28
.LBB197_39:                             ;   in Loop: Header=BB197_35 Depth=1
	s_or_b32 exec_lo, exec_lo, s21
	v_mov_b32_e32 v3, 0
	s_wait_dscnt 0x0
	s_barrier_signal -1
	s_barrier_wait -1
	s_and_saveexec_b32 s21, s2
; %bb.40:                               ;   in Loop: Header=BB197_35 Depth=1
	ds_load_b32 v3, v9
; %bb.41:                               ;   in Loop: Header=BB197_35 Depth=1
	s_or_b32 exec_lo, exec_lo, s21
	ds_load_b32 v15, v7 offset:1048
	s_mov_b32 s21, exec_lo
	s_wait_dscnt 0x0
	s_barrier_signal -1
	s_barrier_wait -1
	v_cmpx_ne_u32_e32 0, v1
	s_cbranch_execz .LBB197_43
; %bb.42:                               ;   in Loop: Header=BB197_35 Depth=1
	v_add_nc_u32_e32 v16, v3, v4
	v_mov_b32_e32 v17, v7
	s_delay_alu instid0(VALU_DEP_1) | instskip(SKIP_1) | instid1(VALU_DEP_2)
	v_mul_u64_e32 v[18:19], s[12:13], v[16:17]
	v_mul_u64_e32 v[16:17], s[14:15], v[16:17]
	v_lshl_add_u64 v[18:19], v[18:19], 2, s[10:11]
	s_delay_alu instid0(VALU_DEP_2)
	v_lshl_add_u64 v[16:17], v[16:17], 3, s[18:19]
	global_store_b32 v[18:19], v14, off
	global_store_b64 v[16:17], v[6:7], off
.LBB197_43:                             ;   in Loop: Header=BB197_35 Depth=1
	s_wait_xcnt 0x0
	s_or_b32 exec_lo, exec_lo, s21
	v_mov_b32_e32 v3, v7
	s_delay_alu instid0(VALU_DEP_1)
	v_cmp_le_u64_e32 vcc_lo, s[6:7], v[2:3]
	s_cbranch_vccnz .LBB197_34
; %bb.44:                               ;   in Loop: Header=BB197_35 Depth=1
	ds_store_b32 v5, v0
	s_wait_storecnt_dscnt 0x0
	s_barrier_signal -1
	s_barrier_wait -1
	s_and_saveexec_b32 s21, s0
	s_cbranch_execz .LBB197_46
; %bb.45:                               ;   in Loop: Header=BB197_35 Depth=1
	ds_load_2addr_b32 v[16:17], v10 offset1:1
	ds_load_2addr_b32 v[18:19], v10 offset0:2 offset1:3
	ds_load_2addr_b32 v[20:21], v10 offset0:4 offset1:5
	;; [unrolled: 1-line block ×3, first 2 shown]
	v_cmp_ne_u32_e32 vcc_lo, 0, v11
	; wave barrier
	s_wait_dscnt 0x3
	v_add_nc_u32_e32 v1, v17, v16
	s_wait_dscnt 0x2
	s_delay_alu instid0(VALU_DEP_1) | instskip(SKIP_1) | instid1(VALU_DEP_1)
	v_add3_u32 v1, v1, v18, v19
	s_wait_dscnt 0x1
	v_add3_u32 v1, v1, v20, v21
	s_wait_dscnt 0x0
	s_delay_alu instid0(VALU_DEP_1) | instskip(NEXT) | instid1(VALU_DEP_1)
	v_add3_u32 v1, v1, v22, v23
	v_mov_b32_dpp v3, v1 row_shr:1 row_mask:0xf bank_mask:0xf
	s_delay_alu instid0(VALU_DEP_1) | instskip(SKIP_1) | instid1(VALU_DEP_2)
	v_cndmask_b32_e32 v3, 0, v3, vcc_lo
	v_cmp_lt_u32_e32 vcc_lo, 1, v11
	v_add_nc_u32_e32 v1, v3, v1
	s_delay_alu instid0(VALU_DEP_1) | instskip(NEXT) | instid1(VALU_DEP_1)
	v_mov_b32_dpp v3, v1 row_shr:2 row_mask:0xf bank_mask:0xf
	v_cndmask_b32_e32 v3, 0, v3, vcc_lo
	v_cmp_lt_u32_e32 vcc_lo, 3, v11
	s_delay_alu instid0(VALU_DEP_2) | instskip(NEXT) | instid1(VALU_DEP_1)
	v_add_nc_u32_e32 v1, v1, v3
	v_mov_b32_dpp v3, v1 row_shr:4 row_mask:0xf bank_mask:0xf
	s_delay_alu instid0(VALU_DEP_1) | instskip(SKIP_1) | instid1(VALU_DEP_2)
	v_cndmask_b32_e32 v3, 0, v3, vcc_lo
	v_cmp_lt_u32_e32 vcc_lo, 7, v11
	v_add_nc_u32_e32 v1, v1, v3
	s_delay_alu instid0(VALU_DEP_1) | instskip(NEXT) | instid1(VALU_DEP_1)
	v_mov_b32_dpp v3, v1 row_shr:8 row_mask:0xf bank_mask:0xf
	v_cndmask_b32_e32 v3, 0, v3, vcc_lo
	v_cmp_gt_i32_e32 vcc_lo, 0, v13
	s_delay_alu instid0(VALU_DEP_2) | instskip(SKIP_4) | instid1(VALU_DEP_1)
	v_add_nc_u32_e32 v1, v1, v3
	v_cndmask_b32_e32 v17, v13, v8, vcc_lo
	ds_swizzle_b32 v3, v1 offset:swizzle(BROADCAST,32,15)
	s_wait_dscnt 0x0
	v_dual_lshlrev_b32 v17, 2, v17 :: v_dual_bitop2_b32 v3, v12, v3 bitop3:0x40
	v_add_nc_u32_e32 v1, v1, v3
	ds_bpermute_b32 v1, v17, v1
	s_wait_dscnt 0x0
	v_add_nc_u32_e32 v1, v1, v16
	s_delay_alu instid0(VALU_DEP_1)
	v_cndmask_b32_e64 v1, v1, v0, s3
	ds_store_b32 v10, v1
	; wave barrier
	ds_load_2addr_b32 v[16:17], v10 offset0:1 offset1:2
	ds_load_2addr_b32 v[18:19], v10 offset0:3 offset1:4
	;; [unrolled: 1-line block ×3, first 2 shown]
	ds_load_b32 v3, v10 offset:28
	s_wait_dscnt 0x3
	v_add_nc_u32_e32 v1, v16, v1
	s_delay_alu instid0(VALU_DEP_1) | instskip(SKIP_1) | instid1(VALU_DEP_1)
	v_add_nc_u32_e32 v16, v17, v1
	s_wait_dscnt 0x2
	v_add_nc_u32_e32 v17, v18, v16
	s_delay_alu instid0(VALU_DEP_1) | instskip(SKIP_1) | instid1(VALU_DEP_1)
	v_add_nc_u32_e32 v18, v19, v17
	s_wait_dscnt 0x1
	v_add_nc_u32_e32 v19, v20, v18
	s_delay_alu instid0(VALU_DEP_1) | instskip(SKIP_1) | instid1(VALU_DEP_1)
	v_add_nc_u32_e32 v20, v21, v19
	s_wait_dscnt 0x0
	v_add_nc_u32_e32 v3, v3, v20
	ds_store_2addr_b32 v10, v1, v16 offset0:1 offset1:2
	ds_store_2addr_b32 v10, v17, v18 offset0:3 offset1:4
	;; [unrolled: 1-line block ×3, first 2 shown]
	ds_store_b32 v10, v3 offset:28
.LBB197_46:                             ;   in Loop: Header=BB197_35 Depth=1
	s_or_b32 exec_lo, exec_lo, s21
	v_mov_b32_e32 v1, 0
	s_wait_dscnt 0x0
	s_barrier_signal -1
	s_barrier_wait -1
	s_and_saveexec_b32 s21, s2
; %bb.47:                               ;   in Loop: Header=BB197_35 Depth=1
	ds_load_b32 v1, v9
; %bb.48:                               ;   in Loop: Header=BB197_35 Depth=1
	s_or_b32 exec_lo, exec_lo, s21
	ds_load_b32 v3, v7 offset:1048
	s_mov_b32 s21, exec_lo
	s_wait_dscnt 0x0
	s_barrier_signal -1
	s_barrier_wait -1
	v_cmpx_ne_u32_e32 0, v0
	s_cbranch_execz .LBB197_33
; %bb.49:                               ;   in Loop: Header=BB197_35 Depth=1
	v_dual_mov_b32 v1, v7 :: v_dual_add_nc_u32 v0, v1, v2
	s_delay_alu instid0(VALU_DEP_1)
	v_cmp_gt_u64_e32 vcc_lo, s[6:7], v[0:1]
	s_and_b32 exec_lo, exec_lo, vcc_lo
	s_cbranch_execz .LBB197_33
; %bb.50:                               ;   in Loop: Header=BB197_35 Depth=1
	v_mul_u64_e32 v[16:17], s[12:13], v[0:1]
	v_mul_u64_e32 v[0:1], s[14:15], v[0:1]
	s_delay_alu instid0(VALU_DEP_2) | instskip(NEXT) | instid1(VALU_DEP_2)
	v_lshl_add_u64 v[16:17], v[16:17], 2, s[10:11]
	v_lshl_add_u64 v[0:1], v[0:1], 3, s[18:19]
	global_store_b32 v[16:17], v14, off
	global_store_b64 v[0:1], v[6:7], off
	s_branch .LBB197_33
.LBB197_51:                             ;   in Loop: Header=BB197_52 Depth=1
	s_add_co_i32 s18, s18, 1
	s_wait_kmcnt 0x0
	s_add_co_i32 s51, s19, s51
	s_add_nc_u64 s[14:15], s[14:15], 4
	s_cmp_lt_u32 s18, s35
	s_add_nc_u64 s[16:17], s[16:17], 4
	s_cbranch_scc0 .LBB197_30
.LBB197_52:                             ; =>This Inner Loop Header: Depth=1
	s_load_b32 s19, s[14:15], 0x0
	s_cmp_ge_u32 s18, s72
	s_cbranch_scc1 .LBB197_51
; %bb.53:                               ;   in Loop: Header=BB197_52 Depth=1
	s_load_b32 s50, s[16:17], 0x0
	s_wait_kmcnt 0x0
	s_add_co_i32 s13, s19, s13
	s_add_co_i32 s12, s50, s12
	s_branch .LBB197_51
.LBB197_54:
	s_endpgm
	.section	.rodata,"a",@progbits
	.p2align	6, 0x0
	.amdhsa_kernel _ZN2at6native6mbtopk10gatherTopKIfmLi3EEEvNS_4cuda6detail10TensorInfoIKT_T0_EES8_S8_bjS8_NS5_IS6_S8_EES8_NS5_IlS8_EES8_jjPS6_PjSD_j
		.amdhsa_group_segment_fixed_size 1068
		.amdhsa_private_segment_fixed_size 0
		.amdhsa_kernarg_size 1592
		.amdhsa_user_sgpr_count 2
		.amdhsa_user_sgpr_dispatch_ptr 0
		.amdhsa_user_sgpr_queue_ptr 0
		.amdhsa_user_sgpr_kernarg_segment_ptr 1
		.amdhsa_user_sgpr_dispatch_id 0
		.amdhsa_user_sgpr_kernarg_preload_length 0
		.amdhsa_user_sgpr_kernarg_preload_offset 0
		.amdhsa_user_sgpr_private_segment_size 0
		.amdhsa_wavefront_size32 1
		.amdhsa_uses_dynamic_stack 0
		.amdhsa_enable_private_segment 0
		.amdhsa_system_sgpr_workgroup_id_x 1
		.amdhsa_system_sgpr_workgroup_id_y 1
		.amdhsa_system_sgpr_workgroup_id_z 1
		.amdhsa_system_sgpr_workgroup_info 0
		.amdhsa_system_vgpr_workitem_id 0
		.amdhsa_next_free_vgpr 24
		.amdhsa_next_free_sgpr 77
		.amdhsa_named_barrier_count 0
		.amdhsa_reserve_vcc 1
		.amdhsa_float_round_mode_32 0
		.amdhsa_float_round_mode_16_64 0
		.amdhsa_float_denorm_mode_32 3
		.amdhsa_float_denorm_mode_16_64 3
		.amdhsa_fp16_overflow 0
		.amdhsa_memory_ordered 1
		.amdhsa_forward_progress 1
		.amdhsa_inst_pref_size 28
		.amdhsa_round_robin_scheduling 0
		.amdhsa_exception_fp_ieee_invalid_op 0
		.amdhsa_exception_fp_denorm_src 0
		.amdhsa_exception_fp_ieee_div_zero 0
		.amdhsa_exception_fp_ieee_overflow 0
		.amdhsa_exception_fp_ieee_underflow 0
		.amdhsa_exception_fp_ieee_inexact 0
		.amdhsa_exception_int_div_zero 0
	.end_amdhsa_kernel
	.section	.text._ZN2at6native6mbtopk10gatherTopKIfmLi3EEEvNS_4cuda6detail10TensorInfoIKT_T0_EES8_S8_bjS8_NS5_IS6_S8_EES8_NS5_IlS8_EES8_jjPS6_PjSD_j,"axG",@progbits,_ZN2at6native6mbtopk10gatherTopKIfmLi3EEEvNS_4cuda6detail10TensorInfoIKT_T0_EES8_S8_bjS8_NS5_IS6_S8_EES8_NS5_IlS8_EES8_jjPS6_PjSD_j,comdat
.Lfunc_end197:
	.size	_ZN2at6native6mbtopk10gatherTopKIfmLi3EEEvNS_4cuda6detail10TensorInfoIKT_T0_EES8_S8_bjS8_NS5_IS6_S8_EES8_NS5_IlS8_EES8_jjPS6_PjSD_j, .Lfunc_end197-_ZN2at6native6mbtopk10gatherTopKIfmLi3EEEvNS_4cuda6detail10TensorInfoIKT_T0_EES8_S8_bjS8_NS5_IS6_S8_EES8_NS5_IlS8_EES8_jjPS6_PjSD_j
                                        ; -- End function
	.set _ZN2at6native6mbtopk10gatherTopKIfmLi3EEEvNS_4cuda6detail10TensorInfoIKT_T0_EES8_S8_bjS8_NS5_IS6_S8_EES8_NS5_IlS8_EES8_jjPS6_PjSD_j.num_vgpr, 24
	.set _ZN2at6native6mbtopk10gatherTopKIfmLi3EEEvNS_4cuda6detail10TensorInfoIKT_T0_EES8_S8_bjS8_NS5_IS6_S8_EES8_NS5_IlS8_EES8_jjPS6_PjSD_j.num_agpr, 0
	.set _ZN2at6native6mbtopk10gatherTopKIfmLi3EEEvNS_4cuda6detail10TensorInfoIKT_T0_EES8_S8_bjS8_NS5_IS6_S8_EES8_NS5_IlS8_EES8_jjPS6_PjSD_j.numbered_sgpr, 77
	.set _ZN2at6native6mbtopk10gatherTopKIfmLi3EEEvNS_4cuda6detail10TensorInfoIKT_T0_EES8_S8_bjS8_NS5_IS6_S8_EES8_NS5_IlS8_EES8_jjPS6_PjSD_j.num_named_barrier, 0
	.set _ZN2at6native6mbtopk10gatherTopKIfmLi3EEEvNS_4cuda6detail10TensorInfoIKT_T0_EES8_S8_bjS8_NS5_IS6_S8_EES8_NS5_IlS8_EES8_jjPS6_PjSD_j.private_seg_size, 0
	.set _ZN2at6native6mbtopk10gatherTopKIfmLi3EEEvNS_4cuda6detail10TensorInfoIKT_T0_EES8_S8_bjS8_NS5_IS6_S8_EES8_NS5_IlS8_EES8_jjPS6_PjSD_j.uses_vcc, 1
	.set _ZN2at6native6mbtopk10gatherTopKIfmLi3EEEvNS_4cuda6detail10TensorInfoIKT_T0_EES8_S8_bjS8_NS5_IS6_S8_EES8_NS5_IlS8_EES8_jjPS6_PjSD_j.uses_flat_scratch, 0
	.set _ZN2at6native6mbtopk10gatherTopKIfmLi3EEEvNS_4cuda6detail10TensorInfoIKT_T0_EES8_S8_bjS8_NS5_IS6_S8_EES8_NS5_IlS8_EES8_jjPS6_PjSD_j.has_dyn_sized_stack, 0
	.set _ZN2at6native6mbtopk10gatherTopKIfmLi3EEEvNS_4cuda6detail10TensorInfoIKT_T0_EES8_S8_bjS8_NS5_IS6_S8_EES8_NS5_IlS8_EES8_jjPS6_PjSD_j.has_recursion, 0
	.set _ZN2at6native6mbtopk10gatherTopKIfmLi3EEEvNS_4cuda6detail10TensorInfoIKT_T0_EES8_S8_bjS8_NS5_IS6_S8_EES8_NS5_IlS8_EES8_jjPS6_PjSD_j.has_indirect_call, 0
	.section	.AMDGPU.csdata,"",@progbits
; Kernel info:
; codeLenInByte = 3492
; TotalNumSgprs: 79
; NumVgprs: 24
; ScratchSize: 0
; MemoryBound: 0
; FloatMode: 240
; IeeeMode: 1
; LDSByteSize: 1068 bytes/workgroup (compile time only)
; SGPRBlocks: 0
; VGPRBlocks: 1
; NumSGPRsForWavesPerEU: 79
; NumVGPRsForWavesPerEU: 24
; NamedBarCnt: 0
; Occupancy: 16
; WaveLimiterHint : 1
; COMPUTE_PGM_RSRC2:SCRATCH_EN: 0
; COMPUTE_PGM_RSRC2:USER_SGPR: 2
; COMPUTE_PGM_RSRC2:TRAP_HANDLER: 0
; COMPUTE_PGM_RSRC2:TGID_X_EN: 1
; COMPUTE_PGM_RSRC2:TGID_Y_EN: 1
; COMPUTE_PGM_RSRC2:TGID_Z_EN: 1
; COMPUTE_PGM_RSRC2:TIDIG_COMP_CNT: 0
	.section	.text._ZN2at6native6sbtopk10gatherTopKIfmLi3ELb0EEEvNS_4cuda6detail10TensorInfoIKT_T0_EES8_S8_bS8_S8_NS5_IS6_S8_EES8_NS5_IlS8_EES8_PS6_,"axG",@progbits,_ZN2at6native6sbtopk10gatherTopKIfmLi3ELb0EEEvNS_4cuda6detail10TensorInfoIKT_T0_EES8_S8_bS8_S8_NS5_IS6_S8_EES8_NS5_IlS8_EES8_PS6_,comdat
	.protected	_ZN2at6native6sbtopk10gatherTopKIfmLi3ELb0EEEvNS_4cuda6detail10TensorInfoIKT_T0_EES8_S8_bS8_S8_NS5_IS6_S8_EES8_NS5_IlS8_EES8_PS6_ ; -- Begin function _ZN2at6native6sbtopk10gatherTopKIfmLi3ELb0EEEvNS_4cuda6detail10TensorInfoIKT_T0_EES8_S8_bS8_S8_NS5_IS6_S8_EES8_NS5_IlS8_EES8_PS6_
	.globl	_ZN2at6native6sbtopk10gatherTopKIfmLi3ELb0EEEvNS_4cuda6detail10TensorInfoIKT_T0_EES8_S8_bS8_S8_NS5_IS6_S8_EES8_NS5_IlS8_EES8_PS6_
	.p2align	8
	.type	_ZN2at6native6sbtopk10gatherTopKIfmLi3ELb0EEEvNS_4cuda6detail10TensorInfoIKT_T0_EES8_S8_bS8_S8_NS5_IS6_S8_EES8_NS5_IlS8_EES8_PS6_,@function
_ZN2at6native6sbtopk10gatherTopKIfmLi3ELb0EEEvNS_4cuda6detail10TensorInfoIKT_T0_EES8_S8_bS8_S8_NS5_IS6_S8_EES8_NS5_IlS8_EES8_PS6_: ; @_ZN2at6native6sbtopk10gatherTopKIfmLi3ELb0EEEvNS_4cuda6detail10TensorInfoIKT_T0_EES8_S8_bS8_S8_NS5_IS6_S8_EES8_NS5_IlS8_EES8_PS6_
; %bb.0:
	s_clause 0x1
	s_load_b128 s[28:31], s[0:1], 0x1b8
	s_load_b64 s[16:17], s[0:1], 0x520
	s_bfe_u32 s2, ttmp6, 0x40010
	s_and_b32 s3, ttmp7, 0xffff
	s_add_co_i32 s2, s2, 1
	s_bfe_u32 s5, ttmp6, 0x4000c
	s_mul_i32 s2, s3, s2
	s_bfe_u32 s4, ttmp6, 0x40004
	s_add_co_i32 s5, s5, 1
	s_bfe_u32 s6, ttmp6, 0x40014
	s_add_co_i32 s4, s4, s2
	s_and_b32 s2, ttmp6, 15
	s_mul_i32 s5, ttmp9, s5
	s_lshr_b32 s7, ttmp7, 16
	s_add_co_i32 s6, s6, 1
	s_add_co_i32 s2, s2, s5
	s_mul_i32 s5, s7, s6
	s_bfe_u32 s6, ttmp6, 0x40008
	s_getreg_b32 s8, hwreg(HW_REG_IB_STS2, 6, 4)
	s_add_co_i32 s6, s6, s5
	s_cmp_eq_u32 s8, 0
	s_mov_b32 s59, 0
	s_cselect_b32 s5, s7, s6
	s_cselect_b32 s3, s3, s4
	s_wait_kmcnt 0x0
	s_mul_i32 s5, s17, s5
	s_cselect_b32 s4, ttmp9, s2
	s_add_co_i32 s2, s5, s3
	s_delay_alu instid0(SALU_CYCLE_1) | instskip(NEXT) | instid1(SALU_CYCLE_1)
	s_mul_i32 s2, s2, s16
	s_add_co_i32 s58, s2, s4
	s_delay_alu instid0(SALU_CYCLE_1)
	v_cmp_le_u64_e64 s2, s[28:29], s[58:59]
	s_and_b32 vcc_lo, exec_lo, s2
	s_cbranch_vccnz .LBB198_501
; %bb.1:
	s_load_b128 s[8:11], s[0:1], 0x10
	s_mov_b64 s[6:7], 0
	s_wait_kmcnt 0x0
	v_cmp_lt_u64_e64 s2, s[58:59], s[10:11]
	s_and_b32 vcc_lo, exec_lo, s2
	s_mov_b64 s[2:3], 0
	s_cbranch_vccnz .LBB198_3
; %bb.2:
	v_cvt_f32_u32_e32 v1, s10
	s_sub_co_i32 s3, 0, s10
	s_delay_alu instid0(VALU_DEP_1) | instskip(SKIP_1) | instid1(TRANS32_DEP_1)
	v_rcp_iflag_f32_e32 v1, v1
	v_nop
	v_mul_f32_e32 v1, 0x4f7ffffe, v1
	s_delay_alu instid0(VALU_DEP_1) | instskip(NEXT) | instid1(VALU_DEP_1)
	v_cvt_u32_f32_e32 v1, v1
	v_readfirstlane_b32 s2, v1
	s_mul_i32 s3, s3, s2
	s_delay_alu instid0(SALU_CYCLE_1) | instskip(NEXT) | instid1(SALU_CYCLE_1)
	s_mul_hi_u32 s3, s2, s3
	s_add_co_i32 s2, s2, s3
	s_delay_alu instid0(SALU_CYCLE_1) | instskip(NEXT) | instid1(SALU_CYCLE_1)
	s_mul_hi_u32 s2, s58, s2
	s_mul_i32 s3, s2, s10
	s_add_co_i32 s5, s2, 1
	s_sub_co_i32 s3, s58, s3
	s_delay_alu instid0(SALU_CYCLE_1)
	s_sub_co_i32 s12, s3, s10
	s_cmp_ge_u32 s3, s10
	s_cselect_b32 s2, s5, s2
	s_cselect_b32 s3, s12, s3
	s_add_co_i32 s5, s2, 1
	s_cmp_ge_u32 s3, s10
	s_mov_b32 s3, 0
	s_cselect_b32 s2, s5, s2
.LBB198_3:
	s_load_b128 s[20:23], s[0:1], 0x1d8
	v_cmp_lt_u64_e64 s5, s[2:3], s[8:9]
	s_and_b32 vcc_lo, exec_lo, s5
	s_cbranch_vccnz .LBB198_5
; %bb.4:
	v_cvt_f32_u32_e32 v1, s8
	s_sub_co_i32 s6, 0, s8
	s_delay_alu instid0(VALU_DEP_1) | instskip(SKIP_1) | instid1(TRANS32_DEP_1)
	v_rcp_iflag_f32_e32 v1, v1
	v_nop
	v_mul_f32_e32 v1, 0x4f7ffffe, v1
	s_delay_alu instid0(VALU_DEP_1) | instskip(NEXT) | instid1(VALU_DEP_1)
	v_cvt_u32_f32_e32 v1, v1
	v_readfirstlane_b32 s5, v1
	s_mul_i32 s6, s6, s5
	s_delay_alu instid0(SALU_CYCLE_1) | instskip(NEXT) | instid1(SALU_CYCLE_1)
	s_mul_hi_u32 s6, s5, s6
	s_add_co_i32 s5, s5, s6
	s_delay_alu instid0(SALU_CYCLE_1) | instskip(NEXT) | instid1(SALU_CYCLE_1)
	s_mul_hi_u32 s5, s2, s5
	s_mul_i32 s6, s5, s8
	s_add_co_i32 s7, s5, 1
	s_sub_co_i32 s6, s2, s6
	s_delay_alu instid0(SALU_CYCLE_1)
	s_sub_co_i32 s12, s6, s8
	s_cmp_ge_u32 s6, s8
	s_cselect_b32 s5, s7, s5
	s_cselect_b32 s6, s12, s6
	s_add_co_i32 s12, s5, 1
	s_cmp_ge_u32 s6, s8
	s_mov_b32 s7, 0
	s_cselect_b32 s6, s12, s5
.LBB198_5:
	s_wait_kmcnt 0x0
	v_cmp_lt_u64_e64 s5, s[58:59], s[22:23]
	s_mov_b64 s[64:65], 0
	s_mov_b64 s[60:61], 0
	s_and_b32 vcc_lo, exec_lo, s5
	s_cbranch_vccnz .LBB198_7
; %bb.6:
	v_cvt_f32_u32_e32 v1, s22
	s_sub_co_i32 s12, 0, s22
	s_mov_b32 s61, 0
	s_delay_alu instid0(VALU_DEP_1) | instskip(SKIP_1) | instid1(TRANS32_DEP_1)
	v_rcp_iflag_f32_e32 v1, v1
	v_nop
	v_mul_f32_e32 v1, 0x4f7ffffe, v1
	s_delay_alu instid0(VALU_DEP_1) | instskip(NEXT) | instid1(VALU_DEP_1)
	v_cvt_u32_f32_e32 v1, v1
	v_readfirstlane_b32 s5, v1
	s_mul_i32 s12, s12, s5
	s_delay_alu instid0(SALU_CYCLE_1) | instskip(NEXT) | instid1(SALU_CYCLE_1)
	s_mul_hi_u32 s12, s5, s12
	s_add_co_i32 s5, s5, s12
	s_delay_alu instid0(SALU_CYCLE_1) | instskip(NEXT) | instid1(SALU_CYCLE_1)
	s_mul_hi_u32 s5, s58, s5
	s_mul_i32 s12, s5, s22
	s_add_co_i32 s13, s5, 1
	s_sub_co_i32 s12, s58, s12
	s_delay_alu instid0(SALU_CYCLE_1)
	s_sub_co_i32 s14, s12, s22
	s_cmp_ge_u32 s12, s22
	s_cselect_b32 s5, s13, s5
	s_cselect_b32 s12, s14, s12
	s_add_co_i32 s13, s5, 1
	s_cmp_ge_u32 s12, s22
	s_cselect_b32 s60, s13, s5
.LBB198_7:
	s_load_b128 s[44:47], s[0:1], 0x380
	v_cmp_lt_u64_e64 s5, s[60:61], s[20:21]
	s_and_b32 vcc_lo, exec_lo, s5
	s_cbranch_vccnz .LBB198_9
; %bb.8:
	v_cvt_f32_u32_e32 v1, s20
	s_sub_co_i32 s12, 0, s20
	s_mov_b32 s65, 0
	s_delay_alu instid0(VALU_DEP_1) | instskip(SKIP_1) | instid1(TRANS32_DEP_1)
	v_rcp_iflag_f32_e32 v1, v1
	v_nop
	v_mul_f32_e32 v1, 0x4f7ffffe, v1
	s_delay_alu instid0(VALU_DEP_1) | instskip(NEXT) | instid1(VALU_DEP_1)
	v_cvt_u32_f32_e32 v1, v1
	v_readfirstlane_b32 s5, v1
	s_mul_i32 s12, s12, s5
	s_delay_alu instid0(SALU_CYCLE_1) | instskip(NEXT) | instid1(SALU_CYCLE_1)
	s_mul_hi_u32 s12, s5, s12
	s_add_co_i32 s5, s5, s12
	s_delay_alu instid0(SALU_CYCLE_1) | instskip(NEXT) | instid1(SALU_CYCLE_1)
	s_mul_hi_u32 s5, s60, s5
	s_mul_i32 s12, s5, s20
	s_add_co_i32 s13, s5, 1
	s_sub_co_i32 s12, s60, s12
	s_delay_alu instid0(SALU_CYCLE_1)
	s_sub_co_i32 s14, s12, s20
	s_cmp_ge_u32 s12, s20
	s_cselect_b32 s5, s13, s5
	s_cselect_b32 s12, s14, s12
	s_add_co_i32 s13, s5, 1
	s_cmp_ge_u32 s12, s20
	s_cselect_b32 s64, s13, s5
.LBB198_9:
	s_clause 0x1
	s_load_b64 s[18:19], s[0:1], 0xe0
	s_load_b128 s[12:15], s[0:1], 0xd0
	s_wait_kmcnt 0x0
	v_cmp_lt_u64_e64 s5, s[58:59], s[46:47]
	s_mov_b64 s[22:23], 0
	s_mov_b64 s[20:21], 0
	s_and_b32 vcc_lo, exec_lo, s5
	s_cbranch_vccnz .LBB198_11
; %bb.10:
	v_cvt_f32_u32_e32 v1, s46
	s_sub_co_i32 s17, 0, s46
	s_delay_alu instid0(VALU_DEP_1) | instskip(SKIP_1) | instid1(TRANS32_DEP_1)
	v_rcp_iflag_f32_e32 v1, v1
	v_nop
	v_mul_f32_e32 v1, 0x4f7ffffe, v1
	s_delay_alu instid0(VALU_DEP_1) | instskip(NEXT) | instid1(VALU_DEP_1)
	v_cvt_u32_f32_e32 v1, v1
	v_readfirstlane_b32 s5, v1
	s_mul_i32 s17, s17, s5
	s_delay_alu instid0(SALU_CYCLE_1) | instskip(NEXT) | instid1(SALU_CYCLE_1)
	s_mul_hi_u32 s17, s5, s17
	s_add_co_i32 s5, s5, s17
	s_delay_alu instid0(SALU_CYCLE_1) | instskip(NEXT) | instid1(SALU_CYCLE_1)
	s_mul_hi_u32 s5, s58, s5
	s_mul_i32 s17, s5, s46
	s_add_co_i32 s20, s5, 1
	s_sub_co_i32 s17, s58, s17
	s_delay_alu instid0(SALU_CYCLE_1)
	s_sub_co_i32 s21, s17, s46
	s_cmp_ge_u32 s17, s46
	s_cselect_b32 s5, s20, s5
	s_cselect_b32 s17, s21, s17
	s_add_co_i32 s20, s5, 1
	s_cmp_ge_u32 s17, s46
	s_mov_b32 s21, 0
	s_cselect_b32 s20, s20, s5
.LBB198_11:
	s_load_b128 s[24:27], s[0:1], 0x440
                                        ; implicit-def: $vgpr45 : SGPR spill to VGPR lane
	s_wait_kmcnt 0x0
	v_writelane_b32 v45, s24, 0
	v_writelane_b32 v45, s25, 1
	;; [unrolled: 1-line block ×4, first 2 shown]
	s_load_b64 s[24:25], s[0:1], 0x2a8
	s_wait_kmcnt 0x0
	v_writelane_b32 v45, s24, 4
	v_writelane_b32 v45, s25, 5
	;; [unrolled: 1-line block ×3, first 2 shown]
	v_cmp_lt_u64_e64 s5, s[20:21], s[44:45]
	v_writelane_b32 v45, s21, 7
	s_and_b32 vcc_lo, exec_lo, s5
	s_cbranch_vccnz .LBB198_13
; %bb.12:
	v_cvt_f32_u32_e32 v1, s44
	s_sub_co_i32 s17, 0, s44
	v_readlane_b32 s20, v45, 6
	v_readlane_b32 s21, v45, 7
	s_mov_b32 s23, 0
	v_rcp_iflag_f32_e32 v1, v1
	v_nop
	s_delay_alu instid0(TRANS32_DEP_1) | instskip(NEXT) | instid1(VALU_DEP_1)
	v_mul_f32_e32 v1, 0x4f7ffffe, v1
	v_cvt_u32_f32_e32 v1, v1
	s_delay_alu instid0(VALU_DEP_1) | instskip(SKIP_1) | instid1(SALU_CYCLE_1)
	v_readfirstlane_b32 s5, v1
	s_mul_i32 s17, s17, s5
	s_mul_hi_u32 s17, s5, s17
	s_delay_alu instid0(SALU_CYCLE_1) | instskip(NEXT) | instid1(SALU_CYCLE_1)
	s_add_co_i32 s5, s5, s17
	s_mul_hi_u32 s5, s20, s5
	s_delay_alu instid0(SALU_CYCLE_1) | instskip(NEXT) | instid1(SALU_CYCLE_1)
	s_mul_i32 s17, s5, s44
	s_sub_co_i32 s17, s20, s17
	s_add_co_i32 s20, s5, 1
	s_sub_co_i32 s21, s17, s44
	s_cmp_ge_u32 s17, s44
	s_cselect_b32 s5, s20, s5
	s_cselect_b32 s17, s21, s17
	s_add_co_i32 s20, s5, 1
	s_cmp_ge_u32 s17, s44
	s_cselect_b32 s22, s20, s5
.LBB198_13:
	s_delay_alu instid0(SALU_CYCLE_1)
	v_writelane_b32 v45, s22, 8
	v_cmp_eq_u32_e64 s5, 0, v0
	s_add_nc_u64 s[20:21], s[0:1], 0x520
	s_mov_b32 s29, 0
	v_writelane_b32 v45, s23, 9
	s_clause 0x1
	s_load_b64 s[22:23], s[0:1], 0x0
	s_load_b128 s[36:39], s[0:1], 0x1a0
	s_and_saveexec_b32 s17, s5
	s_cbranch_execz .LBB198_15
; %bb.14:
	s_wait_kmcnt 0x0
	v_dual_mov_b32 v2, 0 :: v_dual_mov_b32 v4, s36
	s_delay_alu instid0(VALU_DEP_1)
	v_dual_mov_b32 v5, s37 :: v_dual_mov_b32 v3, v2
	ds_store_b32 v2, v2 offset:5144
	ds_store_b128 v2, v[2:5] offset:5120
.LBB198_15:
	s_or_b32 exec_lo, exec_lo, s17
	s_mul_u64 s[8:9], s[6:7], s[8:9]
	s_mul_u64 s[12:13], s[6:7], s[12:13]
	s_load_b64 s[6:7], s[0:1], 0x370
	v_dual_mov_b32 v3, 0 :: v_dual_add_nc_u32 v2, 2, v0
	v_lshlrev_b32_e32 v16, 2, v0
	s_wait_dscnt 0x0
	s_barrier_signal -1
	s_delay_alu instid0(VALU_DEP_2)
	v_mov_b32_e32 v1, v3
	s_wait_kmcnt 0x0
	v_max_u64 v[6:7], s[36:37], v[2:3]
	s_barrier_wait -1
	s_load_b32 s24, s[20:21], 0xc
	v_mul_u64_e32 v[4:5], s[30:31], v[0:1]
	s_mul_u64 s[10:11], s[2:3], s[10:11]
	s_sub_nc_u64 s[2:3], s[2:3], s[8:9]
	s_sub_nc_u64 s[8:9], s[58:59], s[10:11]
	s_lshl_b64 s[10:11], s[12:13], 2
	s_mul_u64 s[12:13], s[2:3], s[14:15]
	v_mbcnt_lo_u32_b32 v13, -1, 0
	s_mul_u64 s[8:9], s[8:9], s[18:19]
	s_add_nc_u64 s[10:11], s[22:23], s[10:11]
	v_writelane_b32 v45, s6, 10
	s_lshl_b64 s[12:13], s[12:13], 2
	v_dual_mov_b32 v9, -1 :: v_dual_mov_b32 v17, v3
	s_load_b32 s17, s[0:1], 0x1b0
	v_writelane_b32 v45, s7, 11
	s_load_b64 s[6:7], s[0:1], 0x1c8
	v_not_b32_e32 v8, v0
	s_lshl_b64 s[8:9], s[8:9], 2
	s_add_nc_u64 s[10:11], s[10:11], s[12:13]
	v_cmp_gt_u32_e32 vcc_lo, 32, v0
	s_add_nc_u64 s[34:35], s[10:11], s[8:9]
	v_lshlrev_b64_e64 v[10:11], v13, -1
	v_cmp_lt_u64_e64 s33, 0x300, s[36:37]
	v_cmp_gt_u64_e64 s3, s[36:37], v[0:1]
	s_movk_i32 s8, 0x3e0
	v_mov_b64_e32 v[26:27], s[38:39]
	s_mov_b32 s57, s29
	v_cmp_eq_u32_e64 s2, 0, v13
	v_not_b32_e32 v12, v10
	v_and_or_b32 v33, v0, s8, 0xc00
	v_dual_lshlrev_b32 v35, 4, v0 :: v_dual_mov_b32 v25, 0
	v_lshl_add_u64 v[14:15], v[4:5], 2, s[34:35]
	s_wait_kmcnt 0x0
	s_bitcmp1_b32 s17, 0
	v_add_nc_u64_e32 v[4:5], v[6:7], v[8:9]
	v_writelane_b32 v45, s6, 12
	s_cselect_b32 s66, -1, 0
	s_and_b32 s56, s24, 0xffff
	s_xor_b32 s99, s66, -1
	v_add_nc_u32_e32 v32, 0xc00, v16
	v_writelane_b32 v45, s7, 13
	v_cmp_gt_i32_e64 s7, 4, v13
	v_dual_mov_b32 v22, 1.0 :: v_dual_bitop2_b32 v18, -2, v4 bitop3:0x40
	v_mov_b32_e32 v19, v5
	v_cmp_gt_u32_e64 s6, 2, v0
	s_and_b32 s98, vcc_lo, s7
	s_bfe_u32 s7, s24, 0xb0005
	s_cmp_gt_u32 s56, 31
	v_add_nc_u64_e32 v[20:21], v[18:19], v[0:1]
	s_cselect_b32 s100, -1, 0
	s_cmp_lt_u32 s4, s16
	v_cmp_lt_u64_e64 s4, 1, v[4:5]
	s_cselect_b32 s28, 12, 18
	s_bfe_u32 s101, s56, 0x30005
	v_lshl_or_b32 v36, v13, 3, 0xc00
	v_dual_mov_b32 v34, 0 :: v_dual_mov_b32 v37, 0
	s_add_nc_u64 s[74:75], s[56:57], -1
	v_writelane_b32 v45, s4, 14
	s_add_co_i32 s4, s7, -1
	s_add_nc_u64 s[76:77], s[74:75], s[36:37]
	s_and_b32 s4, s4, 0xffff
	s_mov_b32 s78, s30
	s_cmp_gt_u32 s4, 6
	v_cmp_ne_u64_e64 s4, v[4:5], v[18:19]
	s_cselect_b32 s102, -1, 0
	s_and_b32 s103, s7, 0x7f8
	s_cmp_lg_u32 s101, 0
	s_mov_b32 s79, s31
	s_cselect_b32 s104, -1, 0
	s_lshl_b32 vcc_hi, s56, 2
	s_mov_b32 s69, 30
	s_and_b64 s[80:81], s[36:37], 0xffffffff00000000
	s_mov_b32 s68, 0x4f800000
	s_add_nc_u64 s[82:83], s[20:21], s[28:29]
	s_mov_b32 s70, 0
	s_mov_b32 s72, 0
	v_writelane_b32 v45, s4, 15
                                        ; implicit-def: $sgpr71
                                        ; implicit-def: $sgpr49
                                        ; implicit-def: $sgpr48
                                        ; implicit-def: $sgpr50
                                        ; implicit-def: $sgpr73
                                        ; implicit-def: $sgpr54
                                        ; implicit-def: $sgpr55
                                        ; implicit-def: $sgpr51
                                        ; implicit-def: $sgpr53
                                        ; implicit-def: $sgpr52
	s_branch .LBB198_18
.LBB198_16:                             ;   in Loop: Header=BB198_18 Depth=1
	s_or_b32 exec_lo, exec_lo, s9
	v_mov_b64_e32 v[26:27], v[4:5]
	s_and_not1_b32 s9, s52, exec_lo
	s_and_b32 s8, s8, exec_lo
	s_and_not1_b32 s53, s53, exec_lo
	s_or_b32 s52, s9, s8
	s_and_not1_b32 s51, s51, exec_lo
	s_and_not1_b32 s55, s55, exec_lo
	;; [unrolled: 1-line block ×3, first 2 shown]
	s_or_not1_b32 s7, s7, exec_lo
.LBB198_17:                             ;   in Loop: Header=BB198_18 Depth=1
	s_or_b32 exec_lo, exec_lo, s4
	s_delay_alu instid0(SALU_CYCLE_1) | instskip(NEXT) | instid1(SALU_CYCLE_1)
	s_and_b32 s4, exec_lo, s7
	s_or_b32 s70, s4, s70
	s_and_not1_b32 s4, s73, exec_lo
	s_and_b32 s7, s52, exec_lo
	s_and_not1_b32 s8, s50, exec_lo
	s_or_b32 s73, s4, s7
	s_and_b32 s4, s53, exec_lo
	s_and_not1_b32 s7, s48, exec_lo
	s_and_b32 s9, s51, exec_lo
	s_or_b32 s50, s8, s4
	s_or_b32 s48, s7, s9
	s_and_not1_b32 s4, s49, exec_lo
	s_and_b32 s7, s55, exec_lo
	s_and_not1_b32 s8, s71, exec_lo
	s_and_b32 s9, s54, exec_lo
	s_or_b32 s49, s4, s7
	s_or_b32 s71, s8, s9
	s_and_not1_b32 exec_lo, exec_lo, s70
	s_cbranch_execz .LBB198_497
.LBB198_18:                             ; =>This Loop Header: Depth=1
                                        ;     Child Loop BB198_24 Depth 2
                                        ;     Child Loop BB198_38 Depth 2
                                        ;     Child Loop BB198_42 Depth 2
                                        ;     Child Loop BB198_77 Depth 2
                                        ;     Child Loop BB198_81 Depth 2
                                        ;     Child Loop BB198_66 Depth 2
                                        ;     Child Loop BB198_71 Depth 2
                                        ;     Child Loop BB198_59 Depth 2
                                        ;     Child Loop BB198_87 Depth 2
                                        ;     Child Loop BB198_102 Depth 2
                                        ;     Child Loop BB198_120 Depth 2
                                        ;     Child Loop BB198_150 Depth 2
                                        ;     Child Loop BB198_167 Depth 2
                                        ;     Child Loop BB198_197 Depth 2
                                        ;     Child Loop BB198_214 Depth 2
                                        ;     Child Loop BB198_248 Depth 2
                                        ;     Child Loop BB198_265 Depth 2
                                        ;     Child Loop BB198_305 Depth 2
                                        ;     Child Loop BB198_321 Depth 2
                                        ;     Child Loop BB198_351 Depth 2
                                        ;     Child Loop BB198_368 Depth 2
                                        ;     Child Loop BB198_398 Depth 2
                                        ;     Child Loop BB198_415 Depth 2
                                        ;     Child Loop BB198_449 Depth 2
                                        ;     Child Loop BB198_466 Depth 2
	ds_load_b128 v[4:7], v3 offset:5120
	s_wait_dscnt 0x0
	v_readfirstlane_b32 s85, v5
	v_readfirstlane_b32 s84, v4
	s_cmp_lg_u64 s[84:85], 0
	s_cbranch_scc1 .LBB198_51
; %bb.19:                               ;   in Loop: Header=BB198_18 Depth=1
	s_and_b32 vcc_lo, exec_lo, s33
	s_cbranch_vccz .LBB198_32
; %bb.20:                               ;   in Loop: Header=BB198_18 Depth=1
	v_cmp_gt_u64_e32 vcc_lo, 0x301, v[6:7]
	s_mov_b32 s4, 0
	s_mov_b32 s7, 0
	s_cbranch_vccz .LBB198_33
; %bb.21:                               ;   in Loop: Header=BB198_18 Depth=1
	s_and_saveexec_b32 s7, s3
	s_cbranch_execz .LBB198_106
; %bb.22:                               ;   in Loop: Header=BB198_18 Depth=1
	global_load_u16 v2, v3, s[82:83]
	global_load_b32 v6, v[14:15], off
	v_mov_b64_e32 v[4:5], v[0:1]
	s_mov_b32 s8, 0
	s_wait_loadcnt 0x1
	v_and_b32_e32 v2, 0xffff, v2
	s_branch .LBB198_24
.LBB198_23:                             ;   in Loop: Header=BB198_24 Depth=2
	s_or_b32 exec_lo, exec_lo, s10
	v_mov_b32_e32 v6, v7
	s_and_not1_b32 exec_lo, exec_lo, s8
	s_cbranch_execz .LBB198_106
.LBB198_24:                             ;   Parent Loop BB198_18 Depth=1
                                        ; =>  This Inner Loop Header: Depth=2
	s_delay_alu instid0(VALU_DEP_1) | instskip(SKIP_3) | instid1(VALU_DEP_2)
	v_add_nc_u64_e32 v[4:5], v[4:5], v[2:3]
	s_wait_dscnt 0x0
	v_dual_mov_b32 v8, 0 :: v_dual_mov_b32 v7, 0
	s_mov_b32 s10, exec_lo
	v_cmp_le_u64_e32 vcc_lo, s[36:37], v[4:5]
	s_wait_xcnt 0x0
	v_cmpx_gt_u64_e64 s[36:37], v[4:5]
	s_cbranch_execz .LBB198_26
; %bb.25:                               ;   in Loop: Header=BB198_24 Depth=2
	v_mul_u64_e32 v[10:11], s[30:31], v[4:5]
	s_delay_alu instid0(VALU_DEP_1)
	v_lshl_add_u64 v[10:11], v[10:11], 2, s[34:35]
	global_load_b32 v7, v[10:11], off
.LBB198_26:                             ;   in Loop: Header=BB198_24 Depth=2
	s_wait_xcnt 0x0
	s_or_b32 exec_lo, exec_lo, s10
	s_wait_loadcnt 0x0
	v_cmp_lt_i32_e64 s9, -1, v6
	s_delay_alu instid0(VALU_DEP_1) | instskip(SKIP_1) | instid1(VALU_DEP_2)
	v_cndmask_b32_e64 v9, -1, 0x80000000, s9
	v_cmp_o_f32_e64 s9, v6, v6
	v_xor_b32_e32 v9, v9, v6
	s_delay_alu instid0(VALU_DEP_1) | instskip(NEXT) | instid1(VALU_DEP_1)
	v_cndmask_b32_e64 v9, -1, v9, s9
	v_and_b32_e32 v9, v9, v37
	s_delay_alu instid0(VALU_DEP_1) | instskip(SKIP_2) | instid1(SALU_CYCLE_1)
	v_cmp_eq_u32_e64 s9, v9, v34
	s_cmp_lg_u32 s9, 0
	s_cselect_b32 s10, -1, 0
	s_and_b32 s10, s2, s10
	s_delay_alu instid0(SALU_CYCLE_1)
	s_and_saveexec_b32 s11, s10
	s_cbranch_execz .LBB198_30
; %bb.27:                               ;   in Loop: Header=BB198_24 Depth=2
	s_mov_b32 s14, exec_lo
	s_bcnt1_i32_b32 s12, s9
	v_mbcnt_lo_u32_b32 v8, s14, 0
	s_mov_b32 s13, exec_lo
                                        ; implicit-def: $vgpr9
	s_delay_alu instid0(VALU_DEP_1)
	v_cmpx_eq_u32_e32 0, v8
; %bb.28:                               ;   in Loop: Header=BB198_24 Depth=2
	s_bcnt1_i32_b32 s10, s14
	s_delay_alu instid0(SALU_CYCLE_1) | instskip(NEXT) | instid1(SALU_CYCLE_1)
	s_mul_i32 s10, s12, s10
	v_mov_b32_e32 v9, s10
	ds_add_rtn_u32 v9, v3, v9 offset:5144
; %bb.29:                               ;   in Loop: Header=BB198_24 Depth=2
	s_or_b32 exec_lo, exec_lo, s13
	s_wait_dscnt 0x0
	v_readfirstlane_b32 s10, v9
	s_delay_alu instid0(VALU_DEP_1)
	v_mad_u32_u24 v8, s12, v8, s10
.LBB198_30:                             ;   in Loop: Header=BB198_24 Depth=2
	s_or_b32 exec_lo, exec_lo, s11
	ds_bpermute_b32 v8, v3, v8
	s_and_b32 s10, exec_lo, vcc_lo
	s_delay_alu instid0(SALU_CYCLE_1)
	s_or_b32 s8, s10, s8
	s_and_saveexec_b32 s10, s9
	s_cbranch_execz .LBB198_23
; %bb.31:                               ;   in Loop: Header=BB198_24 Depth=2
	v_and_b32_e32 v9, s9, v12
	s_delay_alu instid0(VALU_DEP_1) | instskip(NEXT) | instid1(VALU_DEP_1)
	v_bcnt_u32_b32 v9, v9, 0
	v_lshlrev_b32_e32 v9, 2, v9
	s_wait_dscnt 0x0
	s_delay_alu instid0(VALU_DEP_1)
	v_lshl_add_u32 v8, v8, 2, v9
	ds_store_b32 v8, v6
	s_branch .LBB198_23
.LBB198_32:                             ;   in Loop: Header=BB198_18 Depth=1
	s_mov_b32 s4, -1
	s_mov_b32 s7, 0
.LBB198_33:                             ;   in Loop: Header=BB198_18 Depth=1
	s_and_b32 vcc_lo, exec_lo, s4
	s_cbranch_vccz .LBB198_49
.LBB198_34:                             ;   in Loop: Header=BB198_18 Depth=1
	s_and_saveexec_b32 s4, s3
	s_cbranch_execz .LBB198_46
; %bb.35:                               ;   in Loop: Header=BB198_18 Depth=1
	global_load_u16 v4, v3, s[82:83]
	global_load_b32 v10, v[14:15], off
	s_mov_b32 s7, exec_lo
	v_mov_b32_e32 v8, v0
	s_wait_loadcnt 0x1
	v_and_b32_e32 v2, 0xffff, v4
	v_readfirstlane_b32 s8, v4
	s_delay_alu instid0(VALU_DEP_2) | instskip(SKIP_1) | instid1(VALU_DEP_1)
	v_add_nc_u32_e32 v2, v2, v0
	s_wait_xcnt 0x0
	v_cmpx_gt_u64_e64 s[36:37], v[2:3]
	s_cbranch_execz .LBB198_45
; %bb.36:                               ;   in Loop: Header=BB198_18 Depth=1
	s_and_b32 s28, s8, 0xffff
	v_mov_b64_e32 v[6:7], v[0:1]
	v_mov_b64_e32 v[4:5], v[2:3]
	v_readlane_b32 s9, v45, 14
	s_cmp_eq_u32 s28, 1
                                        ; implicit-def: $vgpr11
                                        ; implicit-def: $vgpr8_vgpr9
	s_cselect_b32 s8, -1, 0
	s_delay_alu instid0(SALU_CYCLE_1)
	s_and_b32 s10, s9, s8
	s_mov_b32 s9, -1
	s_and_saveexec_b32 s8, s10
	s_cbranch_execz .LBB198_40
; %bb.37:                               ;   in Loop: Header=BB198_18 Depth=1
	v_add_nc_u64_e32 v[4:5], 1, v[2:3]
	v_mov_b64_e32 v[8:9], v[18:19]
	v_mov_b32_e32 v23, v16
	s_mov_b32 s9, 0
	s_delay_alu instid0(VALU_DEP_3)
	v_mov_b64_e32 v[6:7], v[4:5]
	v_mov_b64_e32 v[4:5], v[2:3]
.LBB198_38:                             ;   Parent Loop BB198_18 Depth=1
                                        ; =>  This Inner Loop Header: Depth=2
	s_delay_alu instid0(VALU_DEP_1) | instskip(NEXT) | instid1(VALU_DEP_3)
	v_mul_u64_e32 v[28:29], s[78:79], v[4:5]
	v_mul_u64_e32 v[30:31], s[30:31], v[6:7]
	v_add_nc_u64_e32 v[8:9], -2, v[8:9]
	v_add_nc_u64_e32 v[6:7], 2, v[6:7]
	v_add_nc_u64_e32 v[4:5], 2, v[4:5]
	s_delay_alu instid0(VALU_DEP_3)
	v_cmp_eq_u64_e32 vcc_lo, 0, v[8:9]
	s_or_b32 s9, vcc_lo, s9
	v_lshl_add_u64 v[28:29], v[28:29], 2, s[34:35]
	v_lshl_add_u64 v[30:31], v[30:31], 2, s[34:35]
	s_clause 0x1
	global_load_b32 v24, v[28:29], off
	global_load_b32 v11, v[30:31], off
	s_wait_loadcnt 0x1
	ds_store_2addr_b32 v23, v10, v24 offset1:1
	s_wait_loadcnt 0x0
	v_dual_mov_b32 v10, v11 :: v_dual_add_nc_u32 v23, 8, v23
	s_wait_xcnt 0x0
	s_and_not1_b32 exec_lo, exec_lo, s9
	s_cbranch_execnz .LBB198_38
; %bb.39:                               ;   in Loop: Header=BB198_18 Depth=1
	s_or_b32 exec_lo, exec_lo, s9
	v_add_nc_u64_e32 v[4:5], v[2:3], v[18:19]
	v_mov_b64_e32 v[6:7], v[20:21]
	v_readlane_b32 s9, v45, 15
	v_mov_b32_e32 v10, v11
	s_or_not1_b32 s9, s9, exec_lo
	v_add_nc_u64_e32 v[8:9], -1, v[4:5]
.LBB198_40:                             ;   in Loop: Header=BB198_18 Depth=1
	s_or_b32 exec_lo, exec_lo, s8
	s_and_saveexec_b32 s8, s9
	s_cbranch_execz .LBB198_44
; %bb.41:                               ;   in Loop: Header=BB198_18 Depth=1
	s_sub_nc_u64 s[10:11], 0, s[28:29]
	s_mov_b32 s9, 0
.LBB198_42:                             ;   Parent Loop BB198_18 Depth=1
                                        ; =>  This Inner Loop Header: Depth=2
	v_mov_b64_e32 v[8:9], v[4:5]
	s_delay_alu instid0(VALU_DEP_1) | instskip(NEXT) | instid1(VALU_DEP_1)
	v_mul_u64_e32 v[4:5], s[30:31], v[8:9]
	v_lshl_add_u64 v[4:5], v[4:5], 2, s[34:35]
	global_load_b32 v11, v[4:5], off
	s_wait_xcnt 0x0
	v_add_nc_u64_e32 v[4:5], s[28:29], v[8:9]
	v_lshlrev_b32_e32 v2, 2, v6
	v_mov_b64_e32 v[6:7], v[8:9]
	s_wait_loadcnt 0x1
	ds_store_b32 v2, v10
	v_cmp_le_u64_e32 vcc_lo, s[36:37], v[4:5]
	s_or_b32 s9, vcc_lo, s9
	s_wait_loadcnt 0x0
	v_mov_b32_e32 v10, v11
	s_and_not1_b32 exec_lo, exec_lo, s9
	s_cbranch_execnz .LBB198_42
; %bb.43:                               ;   in Loop: Header=BB198_18 Depth=1
	s_or_b32 exec_lo, exec_lo, s9
	v_add_nc_u64_e32 v[8:9], s[10:11], v[4:5]
.LBB198_44:                             ;   in Loop: Header=BB198_18 Depth=1
	s_or_b32 exec_lo, exec_lo, s8
	s_wait_loadcnt 0x0
	v_mov_b32_e32 v10, v11
.LBB198_45:                             ;   in Loop: Header=BB198_18 Depth=1
	s_or_b32 exec_lo, exec_lo, s7
	s_delay_alu instid0(VALU_DEP_2)
	v_lshlrev_b32_e32 v2, 2, v8
	s_wait_loadcnt 0x0
	ds_store_b32 v2, v10
.LBB198_46:                             ;   in Loop: Header=BB198_18 Depth=1
	s_or_b32 exec_lo, exec_lo, s4
	s_wait_dscnt 0x0
	s_barrier_signal -1
	s_barrier_wait -1
	s_and_saveexec_b32 s4, s5
; %bb.47:                               ;   in Loop: Header=BB198_18 Depth=1
	v_mov_b64_e32 v[4:5], s[36:37]
	ds_store_b64 v3, v[4:5] offset:5120
; %bb.48:                               ;   in Loop: Header=BB198_18 Depth=1
	s_or_b32 exec_lo, exec_lo, s4
	s_mov_b32 s7, -1
	s_wait_dscnt 0x0
	s_barrier_signal -1
	s_barrier_wait -1
.LBB198_49:                             ;   in Loop: Header=BB198_18 Depth=1
	s_and_b32 vcc_lo, exec_lo, s7
	s_mov_b64 s[84:85], 0
	s_cbranch_vccz .LBB198_51
; %bb.50:                               ;   in Loop: Header=BB198_18 Depth=1
	ds_load_b64 v[4:5], v3 offset:5120
	s_wait_dscnt 0x0
	v_readfirstlane_b32 s84, v4
	v_readfirstlane_b32 s85, v5
.LBB198_51:                             ;   in Loop: Header=BB198_18 Depth=1
	s_delay_alu instid0(VALU_DEP_2)
	s_cmp_lt_i32 s84, 1
	s_mov_b32 s4, -1
                                        ; implicit-def: $vgpr4_vgpr5
                                        ; implicit-def: $vgpr8_vgpr9
	s_cbranch_scc1 .LBB198_61
; %bb.52:                               ;   in Loop: Header=BB198_18 Depth=1
	s_and_b32 vcc_lo, exec_lo, s4
	s_cbranch_vccnz .LBB198_75
.LBB198_53:                             ;   in Loop: Header=BB198_18 Depth=1
	s_lshl_b32 s4, s72, 7
	s_and_saveexec_b32 s7, s2
	s_cbranch_execz .LBB198_55
.LBB198_54:                             ;   in Loop: Header=BB198_18 Depth=1
	v_lshl_add_u32 v2, s4, 3, v33
	ds_store_b128 v2, v[4:7]
	ds_store_b128 v2, v[8:11] offset:16
.LBB198_55:                             ;   in Loop: Header=BB198_18 Depth=1
	s_or_b32 exec_lo, exec_lo, s7
	s_wait_dscnt 0x0
	s_barrier_signal -1
	s_barrier_wait -1
	s_and_saveexec_b32 s7, s98
	s_cbranch_execz .LBB198_89
; %bb.56:                               ;   in Loop: Header=BB198_18 Depth=1
	v_mov_b64_e32 v[4:5], 0
	s_and_not1_b32 vcc_lo, exec_lo, s100
	s_cbranch_vccnz .LBB198_88
; %bb.57:                               ;   in Loop: Header=BB198_18 Depth=1
	v_mov_b64_e32 v[4:5], 0
	s_and_not1_b32 vcc_lo, exec_lo, s102
	s_cbranch_vccnz .LBB198_85
; %bb.58:                               ;   in Loop: Header=BB198_18 Depth=1
	v_lshl_add_u32 v2, s72, 10, v36
	s_mov_b32 s8, 0
.LBB198_59:                             ;   Parent Loop BB198_18 Depth=1
                                        ; =>  This Inner Loop Header: Depth=2
	ds_load_2addr_b64 v[6:9], v2 offset1:4
	ds_load_2addr_b64 v[28:31], v2 offset0:8 offset1:12
	s_add_co_i32 s8, s8, 8
	s_delay_alu instid0(SALU_CYCLE_1) | instskip(SKIP_2) | instid1(VALU_DEP_1)
	s_cmp_eq_u32 s103, s8
	s_wait_dscnt 0x1
	v_add_nc_u64_e32 v[4:5], v[6:7], v[4:5]
	v_add_nc_u64_e32 v[8:9], v[8:9], v[4:5]
	ds_load_2addr_b64 v[4:7], v2 offset0:16 offset1:20
	s_wait_dscnt 0x1
	v_add_nc_u64_e32 v[8:9], v[28:29], v[8:9]
	s_delay_alu instid0(VALU_DEP_1) | instskip(SKIP_4) | instid1(VALU_DEP_1)
	v_add_nc_u64_e32 v[28:29], v[30:31], v[8:9]
	ds_load_2addr_b64 v[8:11], v2 offset0:24 offset1:28
	v_add_nc_u32_e32 v2, 0x100, v2
	s_wait_dscnt 0x1
	v_add_nc_u64_e32 v[4:5], v[4:5], v[28:29]
	v_add_nc_u64_e32 v[4:5], v[6:7], v[4:5]
	s_wait_dscnt 0x0
	s_delay_alu instid0(VALU_DEP_1) | instskip(NEXT) | instid1(VALU_DEP_1)
	v_add_nc_u64_e32 v[4:5], v[8:9], v[4:5]
	v_add_nc_u64_e32 v[4:5], v[10:11], v[4:5]
	s_cbranch_scc0 .LBB198_59
; %bb.60:                               ;   in Loop: Header=BB198_18 Depth=1
	s_mov_b32 s8, s103
	s_and_not1_b32 vcc_lo, exec_lo, s104
	s_cbranch_vccz .LBB198_86
	s_branch .LBB198_88
.LBB198_61:                             ;   in Loop: Header=BB198_18 Depth=1
	global_load_u16 v2, v3, s[82:83]
	s_mov_b32 s21, s29
	s_wait_loadcnt 0x0
	v_readfirstlane_b32 s4, v2
	s_and_b32 s4, 0xffff, s4
	s_delay_alu instid0(SALU_CYCLE_1)
	s_lshl_b32 s20, s4, 2
	s_cmp_lg_u64 s[80:81], 0
	s_cbranch_scc0 .LBB198_84
; %bb.62:                               ;   in Loop: Header=BB198_18 Depth=1
	s_cvt_f32_u32 s4, s20
	s_sub_nc_u64 s[10:11], 0, s[20:21]
	s_delay_alu instid0(SALU_CYCLE_2) | instskip(NEXT) | instid1(SALU_CYCLE_3)
	s_fmamk_f32 s4, s68, 0x0, s4
	v_s_rcp_f32 s4, s4
	s_delay_alu instid0(TRANS32_DEP_1) | instskip(NEXT) | instid1(SALU_CYCLE_3)
	s_mul_f32 s4, s4, 0x5f7ffffc
	s_mul_f32 s7, s4, 0x2f800000
	s_delay_alu instid0(SALU_CYCLE_3) | instskip(NEXT) | instid1(SALU_CYCLE_3)
	s_trunc_f32 s7, s7
	s_fmamk_f32 s4, s7, 0xcf800000, s4
	s_cvt_u32_f32 s9, s7
	s_delay_alu instid0(SALU_CYCLE_2) | instskip(NEXT) | instid1(SALU_CYCLE_3)
	s_cvt_u32_f32 s8, s4
	s_mul_u64 s[12:13], s[10:11], s[8:9]
	s_delay_alu instid0(SALU_CYCLE_1)
	s_mul_hi_u32 s15, s8, s13
	s_mul_i32 s14, s8, s13
	s_mul_hi_u32 s28, s8, s12
	s_mul_i32 s7, s9, s12
	s_add_nc_u64 s[14:15], s[28:29], s[14:15]
	s_mul_hi_u32 s4, s9, s12
	s_mul_hi_u32 s16, s9, s13
	s_add_co_u32 s7, s14, s7
	s_add_co_ci_u32 s28, s15, s4
	s_mul_i32 s12, s9, s13
	s_add_co_ci_u32 s13, s16, 0
	s_delay_alu instid0(SALU_CYCLE_1) | instskip(NEXT) | instid1(SALU_CYCLE_1)
	s_add_nc_u64 s[12:13], s[28:29], s[12:13]
	s_add_co_u32 s8, s8, s12
	s_cselect_b32 s4, -1, 0
	s_delay_alu instid0(SALU_CYCLE_1) | instskip(SKIP_1) | instid1(SALU_CYCLE_1)
	s_cmp_lg_u32 s4, 0
	s_add_co_ci_u32 s9, s9, s13
	s_mul_u64 s[10:11], s[10:11], s[8:9]
	s_delay_alu instid0(SALU_CYCLE_1)
	s_mul_hi_u32 s13, s8, s11
	s_mul_i32 s12, s8, s11
	s_mul_hi_u32 s28, s8, s10
	s_mul_i32 s7, s9, s10
	s_add_nc_u64 s[12:13], s[28:29], s[12:13]
	s_mul_hi_u32 s4, s9, s10
	s_mul_hi_u32 s14, s9, s11
	s_add_co_u32 s7, s12, s7
	s_add_co_ci_u32 s28, s13, s4
	s_mul_i32 s10, s9, s11
	s_add_co_ci_u32 s11, s14, 0
	s_delay_alu instid0(SALU_CYCLE_1) | instskip(NEXT) | instid1(SALU_CYCLE_1)
	s_add_nc_u64 s[10:11], s[28:29], s[10:11]
	s_add_co_u32 s4, s8, s10
	s_cselect_b32 s7, -1, 0
	s_mul_hi_u32 s28, s36, s4
	s_cmp_lg_u32 s7, 0
	s_mul_hi_u32 s7, s37, s4
	s_add_co_ci_u32 s10, s9, s11
	s_mul_i32 s4, s37, s4
	s_mul_hi_u32 s9, s36, s10
	s_mul_i32 s8, s36, s10
	s_mul_hi_u32 s11, s37, s10
	s_add_nc_u64 s[8:9], s[28:29], s[8:9]
	s_mul_i32 s10, s37, s10
	s_add_co_u32 s4, s8, s4
	s_add_co_ci_u32 s28, s9, s7
	s_add_co_ci_u32 s11, s11, 0
	s_delay_alu instid0(SALU_CYCLE_1) | instskip(NEXT) | instid1(SALU_CYCLE_1)
	s_add_nc_u64 s[8:9], s[28:29], s[10:11]
	s_and_b64 s[10:11], s[8:9], 0xffffffff00000000
	s_delay_alu instid0(SALU_CYCLE_1) | instskip(NEXT) | instid1(SALU_CYCLE_1)
	s_or_b32 s10, s10, s8
	s_mul_u64 s[8:9], s[20:21], s[10:11]
	s_delay_alu instid0(SALU_CYCLE_1) | instskip(SKIP_1) | instid1(SALU_CYCLE_1)
	s_sub_co_u32 s4, s36, s8
	s_cselect_b32 s7, -1, 0
	s_cmp_lg_u32 s7, 0
	s_sub_co_ci_u32 s7, s37, s9
	s_sub_co_u32 s8, s4, s20
	s_cselect_b32 s9, -1, 0
	s_delay_alu instid0(SALU_CYCLE_1) | instskip(SKIP_3) | instid1(SALU_CYCLE_1)
	s_cmp_lg_u32 s9, 0
	s_sub_co_ci_u32 s9, s7, 0
	s_sub_co_u32 s10, s8, s20
	s_cselect_b32 s11, -1, 0
	s_cmp_lg_u32 s11, 0
	s_sub_co_ci_u32 s11, s9, 0
	s_cmp_ge_u32 s8, s20
	s_cselect_b32 s12, -1, 0
	s_cmp_eq_u32 s9, 0
	s_cselect_b32 s12, s12, -1
	s_delay_alu instid0(SALU_CYCLE_1)
	s_cmp_lg_u32 s12, 0
	s_cselect_b32 s9, s11, s9
	s_cselect_b32 s8, s10, s8
	s_cmp_ge_u32 s4, s20
	s_cselect_b32 s10, -1, 0
	s_cmp_eq_u32 s7, 0
	s_cselect_b32 s10, s10, -1
	s_delay_alu instid0(SALU_CYCLE_1)
	s_cmp_lg_u32 s10, 0
	s_cselect_b32 s11, s9, s7
	s_cselect_b32 s10, s8, s4
	s_cbranch_execnz .LBB198_64
.LBB198_63:                             ;   in Loop: Header=BB198_18 Depth=1
	v_cvt_f32_u32_e32 v4, s20
	s_sub_co_i32 s7, 0, s20
	s_delay_alu instid0(VALU_DEP_1) | instskip(SKIP_1) | instid1(TRANS32_DEP_1)
	v_rcp_iflag_f32_e32 v4, v4
	v_nop
	v_mul_f32_e32 v4, 0x4f7ffffe, v4
	s_delay_alu instid0(VALU_DEP_1) | instskip(NEXT) | instid1(VALU_DEP_1)
	v_cvt_u32_f32_e32 v4, v4
	v_readfirstlane_b32 s4, v4
	s_mul_i32 s7, s7, s4
	s_delay_alu instid0(SALU_CYCLE_1) | instskip(NEXT) | instid1(SALU_CYCLE_1)
	s_mul_hi_u32 s7, s4, s7
	s_add_co_i32 s4, s4, s7
	s_delay_alu instid0(SALU_CYCLE_1) | instskip(NEXT) | instid1(SALU_CYCLE_1)
	s_mul_hi_u32 s4, s36, s4
	s_mul_i32 s4, s4, s20
	s_delay_alu instid0(SALU_CYCLE_1) | instskip(NEXT) | instid1(SALU_CYCLE_1)
	s_sub_co_i32 s4, s36, s4
	s_sub_co_i32 s7, s4, s20
	s_cmp_ge_u32 s4, s20
	s_cselect_b32 s4, s7, s4
	s_delay_alu instid0(SALU_CYCLE_1) | instskip(SKIP_2) | instid1(SALU_CYCLE_1)
	s_sub_co_i32 s7, s4, s20
	s_cmp_ge_u32 s4, s20
	s_cselect_b32 s28, s7, s4
	s_mov_b64 s[10:11], s[28:29]
.LBB198_64:                             ;   in Loop: Header=BB198_18 Depth=1
	v_mov_b64_e32 v[4:5], 0
	v_mov_b64_e32 v[6:7], 0
	;; [unrolled: 1-line block ×4, first 2 shown]
	s_sub_nc_u64 s[22:23], s[36:37], s[10:11]
	s_mov_b32 s4, exec_lo
	v_cmpx_gt_u64_e64 s[22:23], v[16:17]
	s_cbranch_execz .LBB198_68
; %bb.65:                               ;   in Loop: Header=BB198_18 Depth=1
	v_mov_b64_e32 v[28:29], v[16:17]
	s_mov_b64 s[24:25], 0
	s_mov_b32 s8, 0
	s_mov_b64 s[26:27], 0
	s_mov_b64 s[86:87], 0
	;; [unrolled: 1-line block ×3, first 2 shown]
.LBB198_66:                             ;   Parent Loop BB198_18 Depth=1
                                        ; =>  This Inner Loop Header: Depth=2
	s_delay_alu instid0(VALU_DEP_1) | instskip(SKIP_2) | instid1(VALU_DEP_1)
	v_mul_u64_e32 v[4:5], s[30:31], v[28:29]
	s_lshl_b64 s[10:11], s[30:31], 2
	v_add_nc_u64_e32 v[28:29], s[20:21], v[28:29]
	v_cmp_le_u64_e32 vcc_lo, s[22:23], v[28:29]
	s_delay_alu instid0(VALU_DEP_3)
	v_lshl_add_u64 v[4:5], v[4:5], 2, s[34:35]
	global_load_b32 v6, v[4:5], off
	s_wait_xcnt 0x0
	v_add_nc_u64_e32 v[4:5], s[10:11], v[4:5]
	global_load_b32 v7, v[4:5], off
	s_wait_xcnt 0x0
	v_add_nc_u64_e32 v[4:5], s[10:11], v[4:5]
	global_load_b32 v8, v[4:5], off
	s_wait_xcnt 0x0
	v_add_nc_u64_e32 v[4:5], s[10:11], v[4:5]
	global_load_b32 v4, v[4:5], off
	s_wait_loadcnt 0x3
	v_cmp_lt_i32_e64 s9, -1, v6
	s_wait_xcnt 0x0
	s_delay_alu instid0(VALU_DEP_1) | instskip(SKIP_3) | instid1(VALU_DEP_3)
	v_cndmask_b32_e64 v5, -1, 0x80000000, s9
	v_cmp_o_f32_e64 s9, v6, v6
	s_wait_loadcnt 0x2
	v_cmp_lt_i32_e64 s10, -1, v7
	v_xor_b32_e32 v5, v5, v6
	s_delay_alu instid0(VALU_DEP_2) | instskip(NEXT) | instid1(VALU_DEP_2)
	v_cndmask_b32_e64 v6, -1, 0x80000000, s10
	v_cndmask_b32_e64 v5, -1, v5, s9
	s_wait_loadcnt 0x1
	v_cmp_lt_i32_e64 s10, -1, v8
	v_cmp_o_f32_e64 s9, v7, v7
	v_xor_b32_e32 v6, v6, v7
	s_delay_alu instid0(VALU_DEP_3) | instskip(NEXT) | instid1(VALU_DEP_2)
	v_cndmask_b32_e64 v7, -1, 0x80000000, s10
	v_cndmask_b32_e64 v6, -1, v6, s9
	v_cmp_o_f32_e64 s9, v8, v8
	s_wait_loadcnt 0x0
	v_cmp_lt_i32_e64 s15, -1, v4
	v_xor_b32_e32 v7, v7, v8
	v_and_b32_e32 v9, v5, v37
	v_bfe_u32 v5, v5, s69, 2
	v_and_b32_e32 v8, v6, v37
	v_bfe_u32 v6, v6, s69, 2
	v_cndmask_b32_e64 v7, -1, v7, s9
	v_cmp_eq_u32_e64 s10, v9, v34
	v_cmp_eq_u32_e64 s11, 0, v5
	;; [unrolled: 1-line block ×5, first 2 shown]
	v_cndmask_b32_e64 v5, -1, 0x80000000, s15
	s_and_b32 s7, s10, s11
	v_cmp_eq_u32_e64 s11, 0, v6
	v_cndmask_b32_e64 v9, 0, 1, s7
	s_and_b32 s7, s10, s12
	v_cmp_eq_u32_e64 s12, 1, v6
	v_cndmask_b32_e64 v10, 0, 1, s7
	;; [unrolled: 3-line block ×4, first 2 shown]
	v_xor_b32_e32 v5, v5, v4
	v_cmp_o_f32_e64 s9, v4, v4
	v_cmp_eq_u32_e64 s14, 3, v6
	s_and_b32 s7, s10, s11
	v_and_b32_e32 v4, v7, v37
	v_bfe_u32 v6, v7, s69, 2
	v_cndmask_b32_e64 v7, 0, 1, s7
	s_and_b32 s7, s10, s12
	v_cmp_ne_u32_e64 s15, 0, v9
	v_cndmask_b32_e64 v8, 0, 1, s7
	s_and_b32 s7, s10, s13
	v_cndmask_b32_e64 v5, -1, v5, s9
	v_cndmask_b32_e64 v9, 0, 1, s7
	s_and_b32 s7, s10, s14
	v_cmp_eq_u32_e64 s9, v4, v34
	v_cmp_eq_u32_e64 s10, 0, v6
	;; [unrolled: 1-line block ×5, first 2 shown]
	v_cmp_ne_u32_e64 s16, 0, v10
	s_and_b32 s10, s9, s10
	v_and_b32_e32 v4, v5, v37
	v_bfe_u32 v5, v5, s69, 2
	v_cndmask_b32_e64 v6, 0, 1, s10
	s_and_b32 s10, s9, s11
	v_cmp_ne_u32_e64 s14, 0, v7
	v_cndmask_b32_e64 v7, 0, 1, s10
	s_and_b32 s10, s9, s12
	s_and_b32 s9, s9, s13
	v_cndmask_b32_e64 v10, 0, 1, s7
	s_bcnt1_i32_b32 s7, s15
	s_bcnt1_i32_b32 s19, s16
	v_cmp_ne_u32_e64 s15, 0, v8
	v_cmp_ne_u32_e64 s16, 0, v9
	v_cndmask_b32_e64 v8, 0, 1, s10
	v_cndmask_b32_e64 v9, 0, 1, s9
	v_cmp_eq_u32_e64 s9, v4, v34
	v_cmp_eq_u32_e64 s10, 0, v5
	;; [unrolled: 1-line block ×3, first 2 shown]
	v_cmp_ne_u32_e64 s17, 0, v11
	v_cmp_eq_u32_e64 s12, 2, v5
	v_cmp_eq_u32_e64 s13, 3, v5
	s_bcnt1_i32_b32 s14, s14
	s_and_b32 s10, s9, s10
	s_bcnt1_i32_b32 s15, s15
	s_add_co_i32 s7, s14, s7
	v_cmp_ne_u32_e64 s14, 0, v6
	v_cndmask_b32_e64 v4, 0, 1, s10
	s_and_b32 s10, s9, s11
	s_bcnt1_i32_b32 s28, s17
	s_bcnt1_i32_b32 s16, s16
	s_add_co_i32 s19, s15, s19
	v_cmp_ne_u32_e64 s15, 0, v7
	v_cndmask_b32_e64 v5, 0, 1, s10
	s_and_b32 s10, s9, s12
	s_and_b32 s9, s9, s13
	v_cmp_ne_u32_e64 s18, 0, v23
	v_cmp_ne_u32_e64 s17, 0, v10
	s_add_co_i32 s28, s16, s28
	v_cmp_ne_u32_e64 s16, 0, v8
	v_cndmask_b32_e64 v7, 0, 1, s9
	s_bcnt1_i32_b32 s9, s14
	v_cndmask_b32_e64 v6, 0, 1, s10
	s_bcnt1_i32_b32 s10, s15
	s_add_co_i32 s7, s7, s9
	v_cmp_ne_u32_e64 s9, 0, v4
	s_bcnt1_i32_b32 s18, s18
	s_bcnt1_i32_b32 s17, s17
	;; [unrolled: 1-line block ×3, first 2 shown]
	s_add_co_i32 s14, s19, s10
	v_cmp_ne_u32_e64 s10, 0, v5
	s_add_co_i32 s18, s17, s18
	v_cmp_ne_u32_e64 s17, 0, v9
	;; [unrolled: 2-line block ×3, first 2 shown]
	s_bcnt1_i32_b32 s9, s9
	v_cmp_ne_u32_e64 s12, 0, v7
	s_bcnt1_i32_b32 s10, s10
	s_add_co_i32 s28, s7, s9
	s_bcnt1_i32_b32 s13, s17
	s_bcnt1_i32_b32 s11, s11
	s_add_nc_u64 s[88:89], s[88:89], s[28:29]
	s_add_co_i32 s28, s14, s10
	s_add_co_i32 s13, s18, s13
	s_bcnt1_i32_b32 s12, s12
	s_add_nc_u64 s[86:87], s[86:87], s[28:29]
	s_add_co_i32 s28, s15, s11
	v_mov_b64_e32 v[4:5], s[88:89]
	s_add_nc_u64 s[26:27], s[26:27], s[28:29]
	s_add_co_i32 s28, s13, s12
	v_mov_b64_e32 v[6:7], s[86:87]
	s_add_nc_u64 s[24:25], s[24:25], s[28:29]
	v_mov_b64_e32 v[8:9], s[26:27]
	v_mov_b64_e32 v[10:11], s[24:25]
	s_or_b32 s8, vcc_lo, s8
	s_delay_alu instid0(SALU_CYCLE_1)
	s_and_not1_b32 exec_lo, exec_lo, s8
	s_cbranch_execnz .LBB198_66
; %bb.67:                               ;   in Loop: Header=BB198_18 Depth=1
	s_or_b32 exec_lo, exec_lo, s8
.LBB198_68:                             ;   in Loop: Header=BB198_18 Depth=1
	s_delay_alu instid0(SALU_CYCLE_1) | instskip(SKIP_3) | instid1(VALU_DEP_2)
	s_or_b32 exec_lo, exec_lo, s4
	v_add_nc_u64_e32 v[28:29], s[22:23], v[0:1]
	v_and_b32_e32 v2, 0xffff, v2
	s_mov_b32 s4, exec_lo
	v_cmpx_gt_u64_e64 s[36:37], v[28:29]
	s_cbranch_execz .LBB198_74
; %bb.69:                               ;   in Loop: Header=BB198_18 Depth=1
	v_mul_u64_e32 v[30:31], s[30:31], v[28:29]
	s_mov_b32 s7, 0
	s_delay_alu instid0(VALU_DEP_1)
	v_lshl_add_u64 v[30:31], v[30:31], 2, s[34:35]
	global_load_b32 v24, v[30:31], off
	s_branch .LBB198_71
.LBB198_70:                             ;   in Loop: Header=BB198_71 Depth=2
	s_wait_xcnt 0x0
	s_or_b32 exec_lo, exec_lo, s8
	s_wait_loadcnt 0x0
	v_cmp_lt_i32_e64 s9, -1, v24
	s_and_b32 s8, exec_lo, vcc_lo
	s_delay_alu instid0(SALU_CYCLE_1) | instskip(SKIP_2) | instid1(VALU_DEP_2)
	s_or_b32 s7, s8, s7
	v_cndmask_b32_e64 v30, -1, 0x80000000, s9
	v_cmp_o_f32_e64 s9, v24, v24
	v_xor_b32_e32 v30, v30, v24
	s_delay_alu instid0(VALU_DEP_1) | instskip(NEXT) | instid1(VALU_DEP_1)
	v_cndmask_b32_e64 v24, -1, v30, s9
	v_and_b32_e32 v30, v24, v37
	v_bfe_u32 v24, v24, s69, 2
	s_delay_alu instid0(VALU_DEP_2) | instskip(NEXT) | instid1(VALU_DEP_2)
	v_cmp_eq_u32_e64 s9, v30, v34
	v_cmp_eq_u32_e64 s10, 0, v24
	v_cmp_eq_u32_e32 vcc_lo, 1, v24
	s_and_b32 s8, s9, s10
	v_cmp_eq_u32_e64 s10, 2, v24
	v_cndmask_b32_e64 v30, 0, 1, s8
	s_and_b32 s8, s9, vcc_lo
	v_cmp_eq_u32_e32 vcc_lo, 3, v24
	v_cndmask_b32_e64 v31, 0, 1, s8
	s_and_b32 s8, s9, s10
	v_cmp_ne_u32_e64 s11, 0, v30
	v_cndmask_b32_e64 v24, 0, 1, s8
	s_and_b32 s8, s9, vcc_lo
	v_cmp_ne_u32_e64 s10, 0, v31
	v_cndmask_b32_e64 v30, 0, 1, s8
	s_bcnt1_i32_b32 s28, s11
	v_cmp_ne_u32_e32 vcc_lo, 0, v24
	v_add_nc_u64_e32 v[4:5], s[28:29], v[4:5]
	s_bcnt1_i32_b32 s28, s10
	v_cmp_ne_u32_e64 s9, 0, v30
	v_add_nc_u64_e32 v[6:7], s[28:29], v[6:7]
	s_bcnt1_i32_b32 s28, vcc_lo
	v_mov_b32_e32 v24, v23
	v_add_nc_u64_e32 v[8:9], s[28:29], v[8:9]
	s_bcnt1_i32_b32 s28, s9
	s_delay_alu instid0(SALU_CYCLE_1)
	v_add_nc_u64_e32 v[10:11], s[28:29], v[10:11]
	s_and_not1_b32 exec_lo, exec_lo, s7
	s_cbranch_execz .LBB198_73
.LBB198_71:                             ;   Parent Loop BB198_18 Depth=1
                                        ; =>  This Inner Loop Header: Depth=2
	v_add_nc_u64_e32 v[28:29], v[28:29], v[2:3]
	v_mov_b32_e32 v23, 0
	s_mov_b32 s8, exec_lo
	s_delay_alu instid0(VALU_DEP_2)
	v_cmp_le_u64_e32 vcc_lo, s[36:37], v[28:29]
	s_wait_xcnt 0x0
	v_cmpx_gt_u64_e64 s[36:37], v[28:29]
	s_cbranch_execz .LBB198_70
; %bb.72:                               ;   in Loop: Header=BB198_71 Depth=2
	v_mul_u64_e32 v[30:31], s[30:31], v[28:29]
	s_delay_alu instid0(VALU_DEP_1)
	v_lshl_add_u64 v[30:31], v[30:31], 2, s[34:35]
	global_load_b32 v23, v[30:31], off
	s_branch .LBB198_70
.LBB198_73:                             ;   in Loop: Header=BB198_18 Depth=1
	s_or_b32 exec_lo, exec_lo, s7
.LBB198_74:                             ;   in Loop: Header=BB198_18 Depth=1
	s_delay_alu instid0(SALU_CYCLE_1)
	s_or_b32 exec_lo, exec_lo, s4
	s_branch .LBB198_53
.LBB198_75:                             ;   in Loop: Header=BB198_18 Depth=1
	global_load_u16 v2, v3, s[82:83]
	s_mov_b32 s89, s29
	v_mov_b64_e32 v[6:7], 0
	v_mov_b64_e32 v[8:9], 0
	;; [unrolled: 1-line block ×3, first 2 shown]
	s_wait_loadcnt 0x0
	v_readfirstlane_b32 s4, v2
	v_and_b32_e32 v2, 0xffff, v2
	s_and_b32 s4, 0xffff, s4
	s_delay_alu instid0(SALU_CYCLE_1) | instskip(NEXT) | instid1(SALU_CYCLE_1)
	s_lshl_b32 s86, s4, 2
	s_cvt_f32_u32 s7, s86
	s_sub_co_i32 s8, 0, s86
	s_delay_alu instid0(SALU_CYCLE_2) | instskip(SKIP_1) | instid1(TRANS32_DEP_1)
	v_rcp_iflag_f32_e32 v4, s7
	v_nop
	v_readfirstlane_b32 s7, v4
	s_mul_f32 s7, s7, 0x4f7ffffe
	s_delay_alu instid0(SALU_CYCLE_3) | instskip(NEXT) | instid1(SALU_CYCLE_3)
	s_cvt_u32_f32 s7, s7
	s_mul_i32 s8, s8, s7
	s_delay_alu instid0(SALU_CYCLE_1) | instskip(NEXT) | instid1(SALU_CYCLE_1)
	s_mul_hi_u32 s8, s7, s8
	s_add_co_i32 s7, s7, s8
	s_delay_alu instid0(SALU_CYCLE_1) | instskip(NEXT) | instid1(SALU_CYCLE_1)
	s_mul_hi_u32 s7, s84, s7
	s_mul_i32 s8, s7, s86
	s_add_co_i32 s9, s7, 1
	s_sub_co_i32 s8, s84, s8
	s_delay_alu instid0(SALU_CYCLE_1)
	s_sub_co_i32 s10, s8, s86
	s_cmp_ge_u32 s8, s86
	s_cselect_b32 s7, s9, s7
	s_cselect_b32 s8, s10, s8
	s_add_co_i32 s9, s7, 1
	s_cmp_ge_u32 s8, s86
	s_mov_b32 s8, exec_lo
	s_cselect_b32 s88, s9, s7
	s_delay_alu instid0(SALU_CYCLE_1) | instskip(NEXT) | instid1(VALU_DEP_1)
	v_mul_u64_e32 v[4:5], s[88:89], v[2:3]
	v_lshlrev_b64_e32 v[28:29], 2, v[4:5]
	v_mov_b64_e32 v[4:5], 0
	s_delay_alu instid0(VALU_DEP_2)
	v_cmpx_gt_u64_e64 v[28:29], v[16:17]
	s_cbranch_execz .LBB198_79
; %bb.76:                               ;   in Loop: Header=BB198_18 Depth=1
	v_mov_b64_e32 v[30:31], v[16:17]
	v_mov_b32_e32 v23, v35
	s_mov_b32 s87, s29
	s_mov_b32 s89, s69
	s_lshl_b32 s7, s4, 4
	s_mov_b64 s[90:91], 0
	s_mov_b32 s62, 0
	s_mov_b64 s[92:93], 0
	s_mov_b64 s[94:95], 0
	;; [unrolled: 1-line block ×3, first 2 shown]
.LBB198_77:                             ;   Parent Loop BB198_18 Depth=1
                                        ; =>  This Inner Loop Header: Depth=2
	ds_load_b128 v[4:7], v23
	v_add_nc_u64_e32 v[30:31], s[86:87], v[30:31]
	s_delay_alu instid0(VALU_DEP_1)
	v_cmp_ge_u64_e32 vcc_lo, v[30:31], v[28:29]
	s_wait_dscnt 0x0
	v_cmp_lt_i32_e64 s9, -1, v4
	v_cmp_o_f32_e64 s10, v6, v6
	v_cmp_o_f32_e64 s11, v7, v7
	;; [unrolled: 1-line block ×3, first 2 shown]
	s_delay_alu instid0(VALU_DEP_4) | instskip(SKIP_1) | instid1(VALU_DEP_1)
	v_cndmask_b32_e64 v8, -1, 0x80000000, s9
	v_cmp_lt_i32_e64 s9, -1, v5
	v_cndmask_b32_e64 v9, -1, 0x80000000, s9
	v_cmp_lt_i32_e64 s9, -1, v6
	s_delay_alu instid0(VALU_DEP_2) | instskip(NEXT) | instid1(VALU_DEP_2)
	v_dual_add_nc_u32 v23, s7, v23 :: v_dual_bitop2_b32 v9, v9, v5 bitop3:0x14
	v_cndmask_b32_e64 v10, -1, 0x80000000, s9
	v_cmp_lt_i32_e64 s9, -1, v7
	s_delay_alu instid0(VALU_DEP_1) | instskip(SKIP_3) | instid1(VALU_DEP_4)
	v_cndmask_b32_e64 v11, -1, 0x80000000, s9
	v_cmp_o_f32_e64 s9, v5, v5
	v_xor_b32_e32 v5, v8, v4
	v_xor_b32_e32 v8, v10, v6
	;; [unrolled: 1-line block ×3, first 2 shown]
	s_delay_alu instid0(VALU_DEP_1) | instskip(NEXT) | instid1(VALU_DEP_3)
	v_dual_cndmask_b32 v6, -1, v6, s11 :: v_dual_cndmask_b32 v4, -1, v5, s12
	v_dual_cndmask_b32 v5, -1, v9, s9 :: v_dual_cndmask_b32 v7, -1, v8, s10
	s_delay_alu instid0(VALU_DEP_2) | instskip(NEXT) | instid1(VALU_DEP_3)
	v_and_b32_e32 v11, v6, v37
	v_and_b32_e32 v8, v4, v37
	s_delay_alu instid0(VALU_DEP_3) | instskip(SKIP_1) | instid1(VALU_DEP_3)
	v_dual_lshrrev_b32 v4, s69, v4 :: v_dual_bitop2_b32 v9, v5, v37 bitop3:0x40
	v_dual_lshrrev_b32 v5, s89, v5 :: v_dual_lshrrev_b32 v6, s89, v6
	v_cmp_eq_u32_e64 s9, v8, v34
	v_dual_lshrrev_b32 v7, s69, v7 :: v_dual_bitop2_b32 v10, v7, v37 bitop3:0x40
	s_delay_alu instid0(VALU_DEP_4) | instskip(NEXT) | instid1(VALU_DEP_4)
	v_and_b32_e32 v4, 3, v4
	v_and_b32_e32 v5, 3, v5
	v_cmp_eq_u32_e64 s10, v9, v34
	v_and_b32_e32 v6, 3, v6
	v_and_b32_e32 v7, 3, v7
	v_cmp_eq_u32_e64 s13, 0, v4
	v_cmp_eq_u32_e64 s14, 0, v5
	v_cmp_eq_u32_e64 s15, 1, v4
	v_cmp_eq_u32_e64 s16, 1, v5
	v_cmp_eq_u32_e64 s17, 2, v4
	s_and_b32 s13, s9, s13
	v_cmp_eq_u32_e64 s20, 3, v4
	v_cndmask_b32_e64 v4, 0, 1, s13
	s_and_b32 s13, s10, s14
	v_cmp_eq_u32_e64 s18, 2, v5
	v_cmp_eq_u32_e64 s19, 3, v5
	v_cndmask_b32_e64 v5, 0, 1, s13
	s_and_b32 s13, s9, s15
	v_cmp_eq_u32_e64 s22, 0, v6
	v_cmp_eq_u32_e64 s24, 1, v6
	;; [unrolled: 1-line block ×4, first 2 shown]
	v_cndmask_b32_e64 v6, 0, 1, s13
	s_and_b32 s13, s10, s16
	v_cmp_eq_u32_e64 s11, v10, v34
	v_cmp_eq_u32_e64 s21, 0, v7
	;; [unrolled: 1-line block ×5, first 2 shown]
	v_cndmask_b32_e64 v7, 0, 1, s13
	s_and_b32 s13, s9, s17
	v_cmp_eq_u32_e64 s12, v11, v34
	v_cndmask_b32_e64 v8, 0, 1, s13
	s_and_b32 s13, s10, s18
	s_and_b32 s9, s9, s20
	v_cndmask_b32_e64 v9, 0, 1, s13
	s_and_b32 s13, s11, s21
	v_cndmask_b32_e64 v41, 0, 1, s9
	v_cndmask_b32_e64 v10, 0, 1, s13
	s_and_b32 s13, s12, s22
	s_and_b32 s9, s10, s19
	v_cndmask_b32_e64 v11, 0, 1, s13
	s_and_b32 s13, s11, s23
	v_cndmask_b32_e64 v42, 0, 1, s9
	;; [unrolled: 2-line block ×6, first 2 shown]
	v_cmp_ne_u32_e64 s9, 0, v4
	v_cmp_ne_u32_e64 s10, 0, v5
	v_cndmask_b32_e64 v39, 0, 1, s13
	s_and_b32 s13, s12, s26
	v_cmp_ne_u32_e64 s11, 0, v6
	v_cmp_ne_u32_e64 s12, 0, v7
	v_cmp_ne_u32_e64 s15, 0, v10
	v_cndmask_b32_e64 v40, 0, 1, s13
	v_cmp_ne_u32_e64 s13, 0, v8
	v_cmp_ne_u32_e64 s14, 0, v9
	;; [unrolled: 1-line block ×4, first 2 shown]
	s_bcnt1_i32_b32 s9, s9
	s_bcnt1_i32_b32 s10, s10
	v_cmp_ne_u32_e64 s18, 0, v38
	v_cmp_ne_u32_e64 s19, 0, v39
	;; [unrolled: 1-line block ×4, first 2 shown]
	s_bcnt1_i32_b32 s11, s11
	s_bcnt1_i32_b32 s12, s12
	s_bcnt1_i32_b32 s15, s15
	s_add_co_i32 s9, s10, s9
	v_cmp_ne_u32_e64 s20, 0, v40
	v_cmp_ne_u32_e64 s23, 0, v43
	s_bcnt1_i32_b32 s13, s13
	s_bcnt1_i32_b32 s14, s14
	;; [unrolled: 1-line block ×4, first 2 shown]
	s_add_co_i32 s10, s12, s11
	s_add_co_i32 s9, s9, s15
	v_cmp_ne_u32_e64 s24, 0, v44
	s_bcnt1_i32_b32 s18, s18
	s_bcnt1_i32_b32 s19, s19
	;; [unrolled: 1-line block ×4, first 2 shown]
	s_add_co_i32 s11, s14, s13
	s_add_co_i32 s10, s10, s17
	;; [unrolled: 1-line block ×3, first 2 shown]
	s_bcnt1_i32_b32 s20, s20
	s_bcnt1_i32_b32 s23, s23
	s_add_co_i32 s12, s22, s21
	s_add_co_i32 s11, s11, s19
	s_add_nc_u64 s[96:97], s[96:97], s[28:29]
	s_add_co_i32 s28, s10, s18
	s_bcnt1_i32_b32 s24, s24
	s_add_co_i32 s12, s12, s23
	s_add_nc_u64 s[94:95], s[94:95], s[28:29]
	s_add_co_i32 s28, s11, s20
	v_mov_b64_e32 v[4:5], s[96:97]
	s_add_nc_u64 s[92:93], s[92:93], s[28:29]
	s_add_co_i32 s28, s12, s24
	v_mov_b64_e32 v[6:7], s[94:95]
	s_add_nc_u64 s[90:91], s[90:91], s[28:29]
	v_mov_b64_e32 v[8:9], s[92:93]
	v_mov_b64_e32 v[10:11], s[90:91]
	s_or_b32 s62, vcc_lo, s62
	s_delay_alu instid0(SALU_CYCLE_1)
	s_and_not1_b32 exec_lo, exec_lo, s62
	s_cbranch_execnz .LBB198_77
; %bb.78:                               ;   in Loop: Header=BB198_18 Depth=1
	s_or_b32 exec_lo, exec_lo, s62
.LBB198_79:                             ;   in Loop: Header=BB198_18 Depth=1
	s_delay_alu instid0(SALU_CYCLE_1) | instskip(SKIP_3) | instid1(VALU_DEP_1)
	s_or_b32 exec_lo, exec_lo, s8
	v_add_nc_u64_e32 v[28:29], v[28:29], v[0:1]
	s_and_b64 s[14:15], s[84:85], 0x7fffffff
	s_mov_b32 s7, exec_lo
	v_cmpx_gt_u64_e64 s[14:15], v[28:29]
	s_cbranch_execz .LBB198_83
; %bb.80:                               ;   in Loop: Header=BB198_18 Depth=1
	s_mul_i32 s4, s88, s4
	s_delay_alu instid0(SALU_CYCLE_1)
	v_lshl_add_u32 v23, s4, 4, v16
	s_mov_b32 s4, 0
.LBB198_81:                             ;   Parent Loop BB198_18 Depth=1
                                        ; =>  This Inner Loop Header: Depth=2
	ds_load_b32 v24, v23
	v_add_nc_u64_e32 v[28:29], v[28:29], v[2:3]
	v_add_nc_u32_e32 v23, s86, v23
	s_delay_alu instid0(VALU_DEP_2) | instskip(SKIP_2) | instid1(VALU_DEP_1)
	v_cmp_le_u64_e32 vcc_lo, s[14:15], v[28:29]
	s_wait_dscnt 0x0
	v_cmp_lt_i32_e64 s9, -1, v24
	v_cndmask_b32_e64 v30, -1, 0x80000000, s9
	v_cmp_o_f32_e64 s9, v24, v24
	s_delay_alu instid0(VALU_DEP_2) | instskip(NEXT) | instid1(VALU_DEP_1)
	v_xor_b32_e32 v30, v30, v24
	v_cndmask_b32_e64 v24, -1, v30, s9
	s_delay_alu instid0(VALU_DEP_1) | instskip(SKIP_1) | instid1(VALU_DEP_2)
	v_and_b32_e32 v30, v24, v37
	v_bfe_u32 v24, v24, s69, 2
	v_cmp_eq_u32_e64 s9, v30, v34
	s_delay_alu instid0(VALU_DEP_2) | instskip(SKIP_4) | instid1(SALU_CYCLE_1)
	v_cmp_eq_u32_e64 s10, 0, v24
	v_cmp_eq_u32_e64 s11, 1, v24
	;; [unrolled: 1-line block ×4, first 2 shown]
	s_and_b32 s8, s9, s10
	v_cndmask_b32_e64 v24, 0, 1, s8
	s_and_b32 s8, s9, s11
	s_delay_alu instid0(SALU_CYCLE_1) | instskip(SKIP_1) | instid1(SALU_CYCLE_1)
	v_cndmask_b32_e64 v30, 0, 1, s8
	s_and_b32 s8, s9, s12
	v_cndmask_b32_e64 v31, 0, 1, s8
	s_and_b32 s8, s9, s13
	v_cmp_ne_u32_e64 s9, 0, v24
	v_cndmask_b32_e64 v38, 0, 1, s8
	v_cmp_ne_u32_e64 s10, 0, v30
	v_cmp_ne_u32_e64 s11, 0, v31
	s_bcnt1_i32_b32 s28, s9
	v_cmp_ne_u32_e64 s12, 0, v38
	v_add_nc_u64_e32 v[4:5], s[28:29], v[4:5]
	s_bcnt1_i32_b32 s28, s10
	s_delay_alu instid0(SALU_CYCLE_1) | instskip(SKIP_1) | instid1(SALU_CYCLE_1)
	v_add_nc_u64_e32 v[6:7], s[28:29], v[6:7]
	s_bcnt1_i32_b32 s28, s11
	v_add_nc_u64_e32 v[8:9], s[28:29], v[8:9]
	s_bcnt1_i32_b32 s28, s12
	s_or_b32 s4, vcc_lo, s4
	v_add_nc_u64_e32 v[10:11], s[28:29], v[10:11]
	s_and_not1_b32 exec_lo, exec_lo, s4
	s_cbranch_execnz .LBB198_81
; %bb.82:                               ;   in Loop: Header=BB198_18 Depth=1
	s_or_b32 exec_lo, exec_lo, s4
.LBB198_83:                             ;   in Loop: Header=BB198_18 Depth=1
	s_delay_alu instid0(SALU_CYCLE_1)
	s_or_b32 exec_lo, exec_lo, s7
	s_lshl_b32 s4, s72, 7
	s_and_saveexec_b32 s7, s2
	s_cbranch_execnz .LBB198_54
	s_branch .LBB198_55
.LBB198_84:                             ;   in Loop: Header=BB198_18 Depth=1
                                        ; implicit-def: $sgpr10_sgpr11
	s_branch .LBB198_63
.LBB198_85:                             ;   in Loop: Header=BB198_18 Depth=1
	s_mov_b32 s8, 0
	s_and_not1_b32 vcc_lo, exec_lo, s104
	s_cbranch_vccnz .LBB198_88
.LBB198_86:                             ;   in Loop: Header=BB198_18 Depth=1
	s_lshl_b32 s9, s72, 10
	s_lshl_b32 s8, s8, 5
	s_delay_alu instid0(SALU_CYCLE_1)
	v_add3_u32 v2, s9, s8, v36
	s_mov_b32 s8, s101
.LBB198_87:                             ;   Parent Loop BB198_18 Depth=1
                                        ; =>  This Inner Loop Header: Depth=2
	ds_load_b64 v[6:7], v2
	v_add_nc_u32_e32 v2, 32, v2
	s_add_co_i32 s8, s8, -1
	s_delay_alu instid0(SALU_CYCLE_1)
	s_cmp_lg_u32 s8, 0
	s_wait_dscnt 0x0
	v_add_nc_u64_e32 v[4:5], v[6:7], v[4:5]
	s_cbranch_scc1 .LBB198_87
.LBB198_88:                             ;   in Loop: Header=BB198_18 Depth=1
	v_add_lshl_u32 v2, s4, v13, 3
	ds_store_b64 v2, v[4:5] offset:3072
.LBB198_89:                             ;   in Loop: Header=BB198_18 Depth=1
	s_or_b32 exec_lo, exec_lo, s7
	s_lshl_b32 s4, s4, 3
	s_wait_dscnt 0x0
	v_mov_b32_e32 v2, s4
	s_barrier_signal -1
	s_barrier_wait -1
	v_cmp_eq_u64_e64 s9, 1, v[26:27]
	ds_load_b128 v[4:7], v2 offset:3072
	ds_load_b128 v[8:11], v2 offset:3088
	s_lshl_b32 s24, 3, s69
	s_mov_b32 s87, -1
	s_not_b32 s25, s24
	s_mov_b32 s26, 0
	s_and_not1_b32 vcc_lo, exec_lo, s99
	s_mov_b32 s84, 0
	s_mov_b32 s27, 0
                                        ; implicit-def: $sgpr85
                                        ; implicit-def: $sgpr86
                                        ; implicit-def: $vgpr2
	s_wait_dscnt 0x1
	v_readfirstlane_b32 s13, v5
	v_readfirstlane_b32 s12, v4
	;; [unrolled: 1-line block ×4, first 2 shown]
	s_wait_dscnt 0x0
	v_readfirstlane_b32 s17, v9
	v_readfirstlane_b32 s16, v8
	;; [unrolled: 1-line block ×4, first 2 shown]
                                        ; implicit-def: $vgpr4_vgpr5
                                        ; implicit-def: $vgpr10
                                        ; implicit-def: $vgpr11
                                        ; implicit-def: $vgpr7
	s_cbranch_vccnz .LBB198_292
; %bb.90:                               ;   in Loop: Header=BB198_18 Depth=1
	s_cmp_eq_u64 s[12:13], 1
	v_dual_mov_b32 v10, v34 :: v_dual_mov_b32 v11, v37
	v_mov_b32_e32 v7, v25
	s_cselect_b32 s4, -1, 0
                                        ; implicit-def: $sgpr86
                                        ; implicit-def: $sgpr85
	s_delay_alu instid0(SALU_CYCLE_1)
	s_and_b32 s89, s4, s9
	s_mov_b32 s4, -1
	s_and_saveexec_b32 s27, s89
	s_cbranch_execz .LBB198_127
; %bb.91:                               ;   in Loop: Header=BB198_18 Depth=1
	ds_load_b64 v[4:5], v3 offset:5120
	s_wait_dscnt 0x0
	s_barrier_signal -1
	s_barrier_wait -1
	v_readfirstlane_b32 s10, v4
	v_readfirstlane_b32 s11, v5
	s_and_saveexec_b32 s4, s6
; %bb.92:                               ;   in Loop: Header=BB198_18 Depth=1
	ds_store_b32 v32, v3
; %bb.93:                               ;   in Loop: Header=BB198_18 Depth=1
	s_or_b32 exec_lo, exec_lo, s4
	v_and_b32_e32 v10, s25, v34
	v_or_b32_e32 v11, s24, v37
	s_mov_b32 s85, -1
	s_mov_b32 s86, 0
	s_cmp_eq_u64 s[10:11], 0
	s_mov_b32 s4, 0
	s_mov_b32 s7, -1
	s_wait_dscnt 0x0
	s_barrier_signal -1
	s_barrier_wait -1
                                        ; implicit-def: $vgpr7
	s_cbranch_scc1 .LBB198_111
; %bb.94:                               ;   in Loop: Header=BB198_18 Depth=1
	s_add_nc_u64 s[20:21], s[10:11], s[74:75]
	s_delay_alu instid0(SALU_CYCLE_1) | instskip(NEXT) | instid1(SALU_CYCLE_1)
	s_and_b64 s[22:23], s[20:21], 0xffffffff00000000
	s_cmp_lg_u64 s[22:23], 0
	s_cbranch_scc0 .LBB198_154
; %bb.95:                               ;   in Loop: Header=BB198_18 Depth=1
	s_cvt_f32_u32 s4, s56
	s_sub_nc_u64 s[40:41], 0, s[56:57]
	s_delay_alu instid0(SALU_CYCLE_2) | instskip(NEXT) | instid1(SALU_CYCLE_3)
	s_fmamk_f32 s4, s68, 0x0, s4
	v_s_rcp_f32 s4, s4
	s_delay_alu instid0(TRANS32_DEP_1) | instskip(NEXT) | instid1(SALU_CYCLE_3)
	s_mul_f32 s4, s4, 0x5f7ffffc
	s_mul_f32 s7, s4, 0x2f800000
	s_delay_alu instid0(SALU_CYCLE_3) | instskip(NEXT) | instid1(SALU_CYCLE_3)
	s_trunc_f32 s7, s7
	s_fmamk_f32 s4, s7, 0xcf800000, s4
	s_cvt_u32_f32 s23, s7
	s_delay_alu instid0(SALU_CYCLE_2) | instskip(NEXT) | instid1(SALU_CYCLE_3)
	s_cvt_u32_f32 s22, s4
	s_mul_u64 s[42:43], s[40:41], s[22:23]
	s_delay_alu instid0(SALU_CYCLE_1)
	s_mul_hi_u32 s63, s22, s43
	s_mul_i32 s62, s22, s43
	s_mul_hi_u32 s28, s22, s42
	s_mul_i32 s7, s23, s42
	s_add_nc_u64 s[62:63], s[28:29], s[62:63]
	s_mul_hi_u32 s4, s23, s42
	s_mul_hi_u32 s8, s23, s43
	s_add_co_u32 s7, s62, s7
	s_add_co_ci_u32 s28, s63, s4
	s_mul_i32 s42, s23, s43
	s_add_co_ci_u32 s43, s8, 0
	s_delay_alu instid0(SALU_CYCLE_1) | instskip(NEXT) | instid1(SALU_CYCLE_1)
	s_add_nc_u64 s[42:43], s[28:29], s[42:43]
	s_add_co_u32 s22, s22, s42
	s_cselect_b32 s4, -1, 0
	s_delay_alu instid0(SALU_CYCLE_1) | instskip(SKIP_1) | instid1(SALU_CYCLE_1)
	s_cmp_lg_u32 s4, 0
	s_add_co_ci_u32 s23, s23, s43
	s_mul_u64 s[40:41], s[40:41], s[22:23]
	s_delay_alu instid0(SALU_CYCLE_1)
	s_mul_hi_u32 s43, s22, s41
	s_mul_i32 s42, s22, s41
	s_mul_hi_u32 s28, s22, s40
	s_mul_i32 s7, s23, s40
	s_add_nc_u64 s[42:43], s[28:29], s[42:43]
	s_mul_hi_u32 s4, s23, s40
	s_mul_hi_u32 s8, s23, s41
	s_add_co_u32 s7, s42, s7
	s_add_co_ci_u32 s28, s43, s4
	s_mul_i32 s40, s23, s41
	s_add_co_ci_u32 s41, s8, 0
	s_delay_alu instid0(SALU_CYCLE_1) | instskip(NEXT) | instid1(SALU_CYCLE_1)
	s_add_nc_u64 s[40:41], s[28:29], s[40:41]
	s_add_co_u32 s4, s22, s40
	s_cselect_b32 s7, -1, 0
	s_mul_hi_u32 s28, s20, s4
	s_cmp_lg_u32 s7, 0
	s_mul_hi_u32 s7, s21, s4
	s_add_co_ci_u32 s8, s23, s41
	s_mul_i32 s4, s21, s4
	s_mul_hi_u32 s23, s20, s8
	s_mul_i32 s22, s20, s8
	s_mul_hi_u32 s41, s21, s8
	s_add_nc_u64 s[22:23], s[28:29], s[22:23]
	s_mul_i32 s40, s21, s8
	s_add_co_u32 s4, s22, s4
	s_add_co_ci_u32 s28, s23, s7
	s_add_co_ci_u32 s41, s41, 0
	s_delay_alu instid0(SALU_CYCLE_1) | instskip(NEXT) | instid1(SALU_CYCLE_1)
	s_add_nc_u64 s[22:23], s[28:29], s[40:41]
	s_and_b64 s[40:41], s[22:23], 0xffffffff00000000
	s_delay_alu instid0(SALU_CYCLE_1) | instskip(NEXT) | instid1(SALU_CYCLE_1)
	s_or_b32 s40, s40, s22
	s_mul_u64 s[22:23], s[56:57], s[40:41]
	s_delay_alu instid0(SALU_CYCLE_1) | instskip(SKIP_1) | instid1(SALU_CYCLE_1)
	s_sub_co_u32 s4, s20, s22
	s_cselect_b32 s7, -1, 0
	s_cmp_lg_u32 s7, 0
	s_sub_co_ci_u32 s7, s21, s23
	s_sub_co_u32 s8, s4, s56
	s_cselect_b32 s22, -1, 0
	s_delay_alu instid0(SALU_CYCLE_1) | instskip(SKIP_3) | instid1(SALU_CYCLE_1)
	s_cmp_lg_u32 s22, 0
	s_sub_co_ci_u32 s22, s7, 0
	s_sub_co_u32 s23, s8, s56
	s_cselect_b32 s28, -1, 0
	s_cmp_lg_u32 s28, 0
	s_sub_co_ci_u32 s28, s22, 0
	s_cmp_ge_u32 s8, s56
	s_cselect_b32 s40, -1, 0
	s_cmp_eq_u32 s22, 0
	s_cselect_b32 s40, s40, -1
	s_delay_alu instid0(SALU_CYCLE_1)
	s_cmp_lg_u32 s40, 0
	s_cselect_b32 s22, s28, s22
	s_cselect_b32 s8, s23, s8
	s_cmp_ge_u32 s4, s56
	s_cselect_b32 s23, -1, 0
	s_cmp_eq_u32 s7, 0
	s_cselect_b32 s23, s23, -1
	s_delay_alu instid0(SALU_CYCLE_1)
	s_cmp_lg_u32 s23, 0
	s_cselect_b32 s23, s22, s7
	s_cselect_b32 s22, s8, s4
	s_cbranch_execnz .LBB198_97
.LBB198_96:                             ;   in Loop: Header=BB198_18 Depth=1
	v_cvt_f32_u32_e32 v2, s56
	s_sub_co_i32 s7, 0, s56
	s_delay_alu instid0(VALU_DEP_1) | instskip(SKIP_1) | instid1(TRANS32_DEP_1)
	v_rcp_iflag_f32_e32 v2, v2
	v_nop
	v_mul_f32_e32 v2, 0x4f7ffffe, v2
	s_delay_alu instid0(VALU_DEP_1) | instskip(NEXT) | instid1(VALU_DEP_1)
	v_cvt_u32_f32_e32 v2, v2
	v_readfirstlane_b32 s4, v2
	s_mul_i32 s7, s7, s4
	s_delay_alu instid0(SALU_CYCLE_1) | instskip(NEXT) | instid1(SALU_CYCLE_1)
	s_mul_hi_u32 s7, s4, s7
	s_add_co_i32 s4, s4, s7
	s_delay_alu instid0(SALU_CYCLE_1) | instskip(NEXT) | instid1(SALU_CYCLE_1)
	s_mul_hi_u32 s4, s20, s4
	s_mul_i32 s4, s4, s56
	s_delay_alu instid0(SALU_CYCLE_1) | instskip(NEXT) | instid1(SALU_CYCLE_1)
	s_sub_co_i32 s4, s20, s4
	s_sub_co_i32 s7, s4, s56
	s_cmp_ge_u32 s4, s56
	s_cselect_b32 s4, s7, s4
	s_delay_alu instid0(SALU_CYCLE_1) | instskip(SKIP_2) | instid1(SALU_CYCLE_1)
	s_sub_co_i32 s7, s4, s56
	s_cmp_ge_u32 s4, s56
	s_cselect_b32 s28, s7, s4
	s_mov_b64 s[22:23], s[28:29]
.LBB198_97:                             ;   in Loop: Header=BB198_18 Depth=1
	s_delay_alu instid0(SALU_CYCLE_1)
	s_sub_nc_u64 s[20:21], s[20:21], s[22:23]
	s_mov_b32 s7, 0
	s_mov_b32 s4, 0
	s_mov_b32 s8, exec_lo
                                        ; implicit-def: $vgpr7
	v_cmpx_gt_u64_e64 s[20:21], v[0:1]
	s_cbranch_execz .LBB198_110
; %bb.98:                               ;   in Loop: Header=BB198_18 Depth=1
	v_mov_b64_e32 v[4:5], v[0:1]
	v_mov_b32_e32 v2, v16
                                        ; implicit-def: $sgpr22
	s_branch .LBB198_102
.LBB198_99:                             ;   in Loop: Header=BB198_102 Depth=2
	s_or_b32 exec_lo, exec_lo, s23
	s_wait_dscnt 0x0
	s_barrier_signal -1
	s_barrier_wait -1
	ds_load_b64 v[6:7], v3 offset:3072
	s_wait_dscnt 0x0
	s_barrier_signal -1
	s_barrier_wait -1
	v_cmp_neq_f32_e32 vcc_lo, 0, v6
	s_cbranch_vccnz .LBB198_105
; %bb.100:                              ;   in Loop: Header=BB198_102 Depth=2
	v_add_nc_u64_e32 v[4:5], s[56:57], v[4:5]
	v_add_nc_u32_e32 v2, vcc_hi, v2
	s_mov_b32 s23, 0
	s_delay_alu instid0(VALU_DEP_2)
	v_cmp_le_u64_e32 vcc_lo, s[20:21], v[4:5]
	s_or_not1_b32 s28, vcc_lo, exec_lo
.LBB198_101:                            ;   in Loop: Header=BB198_102 Depth=2
	s_delay_alu instid0(SALU_CYCLE_1) | instskip(NEXT) | instid1(SALU_CYCLE_1)
	s_and_b32 s28, exec_lo, s28
	s_or_b32 s4, s28, s4
	s_and_not1_b32 s22, s22, exec_lo
	s_and_b32 s23, s23, exec_lo
	s_delay_alu instid0(SALU_CYCLE_1)
	s_or_b32 s22, s22, s23
	s_and_not1_b32 exec_lo, exec_lo, s4
	s_cbranch_execz .LBB198_109
.LBB198_102:                            ;   Parent Loop BB198_18 Depth=1
                                        ; =>  This Inner Loop Header: Depth=2
	s_mov_b32 s23, exec_lo
	s_delay_alu instid0(VALU_DEP_2)
	v_cmpx_gt_u64_e64 s[10:11], v[4:5]
	s_cbranch_execz .LBB198_99
; %bb.103:                              ;   in Loop: Header=BB198_102 Depth=2
	ds_load_b32 v23, v2
	s_wait_dscnt 0x0
	v_cmp_lt_i32_e32 vcc_lo, -1, v23
	v_cndmask_b32_e64 v6, -1, 0x80000000, vcc_lo
	v_cmp_o_f32_e32 vcc_lo, v23, v23
	s_delay_alu instid0(VALU_DEP_2) | instskip(NEXT) | instid1(VALU_DEP_1)
	v_xor_b32_e32 v6, v6, v23
	v_cndmask_b32_e32 v6, -1, v6, vcc_lo
	s_delay_alu instid0(VALU_DEP_1) | instskip(NEXT) | instid1(VALU_DEP_1)
	v_and_b32_e32 v6, v6, v11
	v_cmp_eq_u32_e32 vcc_lo, v6, v10
	s_and_b32 exec_lo, exec_lo, vcc_lo
	s_cbranch_execz .LBB198_99
; %bb.104:                              ;   in Loop: Header=BB198_102 Depth=2
	ds_store_b64 v3, v[22:23] offset:3072
	s_branch .LBB198_99
.LBB198_105:                            ;   in Loop: Header=BB198_102 Depth=2
	s_mov_b32 s28, -1
	s_mov_b32 s23, -1
                                        ; implicit-def: $vgpr4_vgpr5
                                        ; implicit-def: $vgpr2
	s_branch .LBB198_101
.LBB198_106:                            ;   in Loop: Header=BB198_18 Depth=1
	s_or_b32 exec_lo, exec_lo, s7
	s_wait_dscnt 0x0
	s_barrier_signal -1
	s_barrier_wait -1
	s_and_saveexec_b32 s7, s5
	s_cbranch_execz .LBB198_108
; %bb.107:                              ;   in Loop: Header=BB198_18 Depth=1
	ds_load_b32 v4, v3 offset:5144
	s_wait_dscnt 0x0
	v_ashrrev_i32_e32 v5, 31, v4
	ds_store_b64 v3, v[4:5] offset:5120
.LBB198_108:                            ;   in Loop: Header=BB198_18 Depth=1
	s_or_b32 exec_lo, exec_lo, s7
	s_wait_dscnt 0x0
	s_barrier_signal -1
	s_mov_b32 s7, -1
	s_barrier_wait -1
	s_and_b32 vcc_lo, exec_lo, s4
	s_cbranch_vccnz .LBB198_34
	s_branch .LBB198_49
.LBB198_109:                            ;   in Loop: Header=BB198_18 Depth=1
	s_or_b32 exec_lo, exec_lo, s4
	s_delay_alu instid0(SALU_CYCLE_1)
	s_and_b32 s4, s22, exec_lo
.LBB198_110:                            ;   in Loop: Header=BB198_18 Depth=1
	s_or_b32 exec_lo, exec_lo, s8
.LBB198_111:                            ;   in Loop: Header=BB198_18 Depth=1
	s_delay_alu instid0(SALU_CYCLE_1)
	s_and_b32 vcc_lo, exec_lo, s7
	s_cbranch_vccz .LBB198_126
; %bb.112:                              ;   in Loop: Header=BB198_18 Depth=1
	s_and_b64 s[10:11], s[76:77], 0xffffffff00000000
	s_delay_alu instid0(SALU_CYCLE_1)
	s_cmp_lg_u64 s[10:11], 0
	s_cbranch_scc0 .LBB198_155
; %bb.113:                              ;   in Loop: Header=BB198_18 Depth=1
	s_cvt_f32_u32 s7, s56
	s_sub_nc_u64 s[20:21], 0, s[56:57]
	s_delay_alu instid0(SALU_CYCLE_2) | instskip(NEXT) | instid1(SALU_CYCLE_3)
	s_fmamk_f32 s7, s68, 0x0, s7
	v_s_rcp_f32 s7, s7
	s_delay_alu instid0(TRANS32_DEP_1) | instskip(NEXT) | instid1(SALU_CYCLE_3)
	s_mul_f32 s7, s7, 0x5f7ffffc
	s_mul_f32 s8, s7, 0x2f800000
	s_delay_alu instid0(SALU_CYCLE_3) | instskip(NEXT) | instid1(SALU_CYCLE_3)
	s_trunc_f32 s8, s8
	s_fmamk_f32 s7, s8, 0xcf800000, s7
	s_cvt_u32_f32 s11, s8
	s_delay_alu instid0(SALU_CYCLE_2) | instskip(NEXT) | instid1(SALU_CYCLE_3)
	s_cvt_u32_f32 s10, s7
	s_mul_u64 s[22:23], s[20:21], s[10:11]
	s_delay_alu instid0(SALU_CYCLE_1)
	s_mul_hi_u32 s41, s10, s23
	s_mul_i32 s40, s10, s23
	s_mul_hi_u32 s28, s10, s22
	s_mul_i32 s8, s11, s22
	s_add_nc_u64 s[40:41], s[28:29], s[40:41]
	s_mul_hi_u32 s7, s11, s22
	s_mul_hi_u32 s42, s11, s23
	s_add_co_u32 s8, s40, s8
	s_add_co_ci_u32 s28, s41, s7
	s_mul_i32 s22, s11, s23
	s_add_co_ci_u32 s23, s42, 0
	s_delay_alu instid0(SALU_CYCLE_1) | instskip(NEXT) | instid1(SALU_CYCLE_1)
	s_add_nc_u64 s[22:23], s[28:29], s[22:23]
	s_add_co_u32 s10, s10, s22
	s_cselect_b32 s7, -1, 0
	s_delay_alu instid0(SALU_CYCLE_1) | instskip(SKIP_1) | instid1(SALU_CYCLE_1)
	s_cmp_lg_u32 s7, 0
	s_add_co_ci_u32 s11, s11, s23
	s_mul_u64 s[20:21], s[20:21], s[10:11]
	s_delay_alu instid0(SALU_CYCLE_1)
	s_mul_hi_u32 s23, s10, s21
	s_mul_i32 s22, s10, s21
	s_mul_hi_u32 s28, s10, s20
	s_mul_i32 s8, s11, s20
	s_add_nc_u64 s[22:23], s[28:29], s[22:23]
	s_mul_hi_u32 s7, s11, s20
	s_mul_hi_u32 s40, s11, s21
	s_add_co_u32 s8, s22, s8
	s_add_co_ci_u32 s28, s23, s7
	s_mul_i32 s20, s11, s21
	s_add_co_ci_u32 s21, s40, 0
	s_delay_alu instid0(SALU_CYCLE_1) | instskip(NEXT) | instid1(SALU_CYCLE_1)
	s_add_nc_u64 s[20:21], s[28:29], s[20:21]
	s_add_co_u32 s7, s10, s20
	s_cselect_b32 s8, -1, 0
	s_mul_hi_u32 s28, s76, s7
	s_cmp_lg_u32 s8, 0
	s_mul_hi_u32 s8, s77, s7
	s_add_co_ci_u32 s20, s11, s21
	s_mul_i32 s7, s77, s7
	s_mul_hi_u32 s11, s76, s20
	s_mul_i32 s10, s76, s20
	s_mul_hi_u32 s21, s77, s20
	s_add_nc_u64 s[10:11], s[28:29], s[10:11]
	s_mul_i32 s20, s77, s20
	s_add_co_u32 s7, s10, s7
	s_add_co_ci_u32 s28, s11, s8
	s_add_co_ci_u32 s21, s21, 0
	s_delay_alu instid0(SALU_CYCLE_1) | instskip(NEXT) | instid1(SALU_CYCLE_1)
	s_add_nc_u64 s[10:11], s[28:29], s[20:21]
	s_and_b64 s[20:21], s[10:11], 0xffffffff00000000
	s_delay_alu instid0(SALU_CYCLE_1) | instskip(NEXT) | instid1(SALU_CYCLE_1)
	s_or_b32 s20, s20, s10
	s_mul_u64 s[10:11], s[56:57], s[20:21]
	s_delay_alu instid0(SALU_CYCLE_1) | instskip(SKIP_1) | instid1(SALU_CYCLE_1)
	s_sub_co_u32 s7, s76, s10
	s_cselect_b32 s8, -1, 0
	s_cmp_lg_u32 s8, 0
	s_sub_co_ci_u32 s8, s77, s11
	s_sub_co_u32 s10, s7, s56
	s_cselect_b32 s11, -1, 0
	s_delay_alu instid0(SALU_CYCLE_1) | instskip(SKIP_3) | instid1(SALU_CYCLE_1)
	s_cmp_lg_u32 s11, 0
	s_sub_co_ci_u32 s11, s8, 0
	s_sub_co_u32 s20, s10, s56
	s_cselect_b32 s21, -1, 0
	s_cmp_lg_u32 s21, 0
	s_sub_co_ci_u32 s21, s11, 0
	s_cmp_ge_u32 s10, s56
	s_cselect_b32 s22, -1, 0
	s_cmp_eq_u32 s11, 0
	s_cselect_b32 s22, s22, -1
	s_delay_alu instid0(SALU_CYCLE_1)
	s_cmp_lg_u32 s22, 0
	s_cselect_b32 s11, s21, s11
	s_cselect_b32 s10, s20, s10
	s_cmp_ge_u32 s7, s56
	s_cselect_b32 s20, -1, 0
	s_cmp_eq_u32 s8, 0
	s_cselect_b32 s20, s20, -1
	s_delay_alu instid0(SALU_CYCLE_1)
	s_cmp_lg_u32 s20, 0
	s_cselect_b32 s11, s11, s8
	s_cselect_b32 s10, s10, s7
	s_cbranch_execnz .LBB198_115
.LBB198_114:                            ;   in Loop: Header=BB198_18 Depth=1
	v_cvt_f32_u32_e32 v2, s56
	s_sub_co_i32 s8, 0, s56
	s_delay_alu instid0(VALU_DEP_1) | instskip(SKIP_1) | instid1(TRANS32_DEP_1)
	v_rcp_iflag_f32_e32 v2, v2
	v_nop
	v_mul_f32_e32 v2, 0x4f7ffffe, v2
	s_delay_alu instid0(VALU_DEP_1) | instskip(NEXT) | instid1(VALU_DEP_1)
	v_cvt_u32_f32_e32 v2, v2
	v_readfirstlane_b32 s7, v2
	s_mul_i32 s8, s8, s7
	s_delay_alu instid0(SALU_CYCLE_1) | instskip(NEXT) | instid1(SALU_CYCLE_1)
	s_mul_hi_u32 s8, s7, s8
	s_add_co_i32 s7, s7, s8
	s_delay_alu instid0(SALU_CYCLE_1) | instskip(NEXT) | instid1(SALU_CYCLE_1)
	s_mul_hi_u32 s7, s76, s7
	s_mul_i32 s7, s7, s56
	s_delay_alu instid0(SALU_CYCLE_1) | instskip(NEXT) | instid1(SALU_CYCLE_1)
	s_sub_co_i32 s7, s76, s7
	s_sub_co_i32 s8, s7, s56
	s_cmp_ge_u32 s7, s56
	s_cselect_b32 s7, s8, s7
	s_delay_alu instid0(SALU_CYCLE_1) | instskip(SKIP_2) | instid1(SALU_CYCLE_1)
	s_sub_co_i32 s8, s7, s56
	s_cmp_ge_u32 s7, s56
	s_cselect_b32 s28, s8, s7
	s_mov_b64 s[10:11], s[28:29]
.LBB198_115:                            ;   in Loop: Header=BB198_18 Depth=1
	s_delay_alu instid0(SALU_CYCLE_1)
	s_sub_nc_u64 s[10:11], s[76:77], s[10:11]
	s_mov_b32 s7, exec_lo
                                        ; implicit-def: $vgpr7
	v_cmpx_gt_u64_e64 s[10:11], v[0:1]
	s_cbranch_execz .LBB198_125
; %bb.116:                              ;   in Loop: Header=BB198_18 Depth=1
	v_mov_b64_e32 v[4:5], v[0:1]
	s_mov_b32 s8, 0
                                        ; implicit-def: $sgpr20
	s_branch .LBB198_120
.LBB198_117:                            ;   in Loop: Header=BB198_120 Depth=2
	s_or_b32 exec_lo, exec_lo, s21
	s_wait_dscnt 0x0
	s_barrier_signal -1
	s_barrier_wait -1
	ds_load_b64 v[6:7], v3 offset:3072
	s_wait_dscnt 0x0
	s_barrier_signal -1
	s_barrier_wait -1
	v_cmp_neq_f32_e32 vcc_lo, 0, v6
	s_cbranch_vccnz .LBB198_123
; %bb.118:                              ;   in Loop: Header=BB198_120 Depth=2
	v_add_nc_u64_e32 v[4:5], s[56:57], v[4:5]
	s_mov_b32 s21, 0
	s_delay_alu instid0(VALU_DEP_1)
	v_cmp_le_u64_e32 vcc_lo, s[10:11], v[4:5]
	s_or_not1_b32 s22, vcc_lo, exec_lo
.LBB198_119:                            ;   in Loop: Header=BB198_120 Depth=2
	s_delay_alu instid0(SALU_CYCLE_1) | instskip(NEXT) | instid1(SALU_CYCLE_1)
	s_and_b32 s22, exec_lo, s22
	s_or_b32 s8, s22, s8
	s_and_not1_b32 s20, s20, exec_lo
	s_and_b32 s21, s21, exec_lo
	s_delay_alu instid0(SALU_CYCLE_1)
	s_or_b32 s20, s20, s21
	s_and_not1_b32 exec_lo, exec_lo, s8
	s_cbranch_execz .LBB198_124
.LBB198_120:                            ;   Parent Loop BB198_18 Depth=1
                                        ; =>  This Inner Loop Header: Depth=2
	s_mov_b32 s21, exec_lo
	s_delay_alu instid0(VALU_DEP_1)
	v_cmpx_gt_u64_e64 s[36:37], v[4:5]
	s_cbranch_execz .LBB198_117
; %bb.121:                              ;   in Loop: Header=BB198_120 Depth=2
	v_mul_u64_e32 v[6:7], s[30:31], v[4:5]
	s_delay_alu instid0(VALU_DEP_1)
	v_lshl_add_u64 v[6:7], v[6:7], 2, s[34:35]
	global_load_b32 v23, v[6:7], off
	s_wait_loadcnt 0x0
	v_cmp_lt_i32_e32 vcc_lo, -1, v23
	v_cndmask_b32_e64 v2, -1, 0x80000000, vcc_lo
	v_cmp_o_f32_e32 vcc_lo, v23, v23
	s_delay_alu instid0(VALU_DEP_2) | instskip(NEXT) | instid1(VALU_DEP_1)
	v_xor_b32_e32 v2, v2, v23
	v_cndmask_b32_e32 v2, -1, v2, vcc_lo
	s_delay_alu instid0(VALU_DEP_1) | instskip(NEXT) | instid1(VALU_DEP_1)
	v_and_b32_e32 v2, v2, v11
	v_cmp_eq_u32_e32 vcc_lo, v2, v10
	s_and_b32 exec_lo, exec_lo, vcc_lo
	s_cbranch_execz .LBB198_117
; %bb.122:                              ;   in Loop: Header=BB198_120 Depth=2
	ds_store_b64 v3, v[22:23] offset:3072
	s_branch .LBB198_117
.LBB198_123:                            ;   in Loop: Header=BB198_120 Depth=2
	s_mov_b32 s22, -1
	s_mov_b32 s21, -1
                                        ; implicit-def: $vgpr4_vgpr5
	s_branch .LBB198_119
.LBB198_124:                            ;   in Loop: Header=BB198_18 Depth=1
	s_or_b32 exec_lo, exec_lo, s8
	s_delay_alu instid0(SALU_CYCLE_1) | instskip(SKIP_1) | instid1(SALU_CYCLE_1)
	s_and_not1_b32 s4, s4, exec_lo
	s_and_b32 s8, s20, exec_lo
	s_or_b32 s4, s4, s8
.LBB198_125:                            ;   in Loop: Header=BB198_18 Depth=1
	s_or_b32 exec_lo, exec_lo, s7
	s_mov_b32 s85, 0
	s_mov_b32 s86, -1
.LBB198_126:                            ;   in Loop: Header=BB198_18 Depth=1
	s_or_not1_b32 s4, s4, exec_lo
.LBB198_127:                            ;   in Loop: Header=BB198_18 Depth=1
	s_or_b32 exec_lo, exec_lo, s27
	s_mov_b32 s87, 0
	s_mov_b32 s84, 0
	s_mov_b32 s27, 0
                                        ; implicit-def: $vgpr4_vgpr5
                                        ; implicit-def: $vgpr2
	s_and_saveexec_b32 s88, s4
	s_cbranch_execz .LBB198_291
; %bb.128:                              ;   in Loop: Header=BB198_18 Depth=1
	v_mov_b64_e32 v[4:5], 1
	v_mov_b32_e32 v2, 1
	s_xor_b32 s8, s89, -1
	s_mov_b32 s7, 0
	s_and_saveexec_b32 s4, s8
	s_cbranch_execz .LBB198_137
; %bb.129:                              ;   in Loop: Header=BB198_18 Depth=1
	s_mov_b32 s7, exec_lo
	v_cmpx_ge_u64_e64 s[12:13], v[26:27]
	s_xor_b32 s7, exec_lo, s7
	s_cbranch_execz .LBB198_134
; %bb.130:                              ;   in Loop: Header=BB198_18 Depth=1
	ds_load_b64 v[4:5], v3 offset:5120
	v_and_b32_e32 v10, s25, v10
	v_or_b32_e32 v11, s24, v11
	s_wait_dscnt 0x0
	v_cmp_ne_u64_e32 vcc_lo, 0, v[4:5]
	s_cbranch_vccnz .LBB198_134
; %bb.131:                              ;   in Loop: Header=BB198_18 Depth=1
	s_and_saveexec_b32 s8, s5
; %bb.132:                              ;   in Loop: Header=BB198_18 Depth=1
	v_mov_b64_e32 v[4:5], s[12:13]
	ds_store_b64 v3, v[4:5] offset:5128
; %bb.133:                              ;   in Loop: Header=BB198_18 Depth=1
	s_or_b32 exec_lo, exec_lo, s8
	s_wait_dscnt 0x0
	s_barrier_signal -1
	s_barrier_wait -1
.LBB198_134:                            ;   in Loop: Header=BB198_18 Depth=1
	s_or_saveexec_b32 s7, s7
	v_mov_b64_e32 v[4:5], v[26:27]
	v_mov_b32_e32 v2, 8
	s_mov_b32 s8, 0
	s_xor_b32 exec_lo, exec_lo, s7
; %bb.135:                              ;   in Loop: Header=BB198_18 Depth=1
	v_sub_nc_u64_e64 v[4:5], v[26:27], s[12:13]
	v_mov_b32_e32 v2, 0
	s_mov_b32 s8, exec_lo
; %bb.136:                              ;   in Loop: Header=BB198_18 Depth=1
	s_or_b32 exec_lo, exec_lo, s7
	s_delay_alu instid0(SALU_CYCLE_1)
	s_and_b32 s7, s8, exec_lo
.LBB198_137:                            ;   in Loop: Header=BB198_18 Depth=1
	s_or_b32 exec_lo, exec_lo, s4
	s_mov_b32 s4, -1
                                        ; implicit-def: $sgpr84
                                        ; implicit-def: $sgpr89
	s_and_saveexec_b32 s8, s7
	s_delay_alu instid0(SALU_CYCLE_1)
	s_xor_b32 s27, exec_lo, s8
	s_cbranch_execz .LBB198_288
; %bb.138:                              ;   in Loop: Header=BB198_18 Depth=1
	v_cmp_eq_u64_e32 vcc_lo, 1, v[4:5]
	s_cmp_eq_u64 s[14:15], 1
                                        ; implicit-def: $sgpr89
                                        ; implicit-def: $sgpr84
	s_cselect_b32 s4, -1, 0
	s_delay_alu instid0(SALU_CYCLE_1)
	s_and_b32 s91, s4, vcc_lo
	s_mov_b32 s4, -1
	s_and_saveexec_b32 s90, s91
	s_cbranch_execz .LBB198_174
; %bb.139:                              ;   in Loop: Header=BB198_18 Depth=1
	ds_load_b64 v[6:7], v3 offset:5120
	s_wait_dscnt 0x0
	s_barrier_signal -1
	s_barrier_wait -1
	v_readfirstlane_b32 s10, v6
	v_readfirstlane_b32 s11, v7
	s_and_saveexec_b32 s4, s6
; %bb.140:                              ;   in Loop: Header=BB198_18 Depth=1
	ds_store_b32 v32, v3
; %bb.141:                              ;   in Loop: Header=BB198_18 Depth=1
	s_or_b32 exec_lo, exec_lo, s4
	s_lshl_b32 s4, 1, s69
	v_or_b32_e32 v11, s24, v11
	v_and_or_b32 v10, v10, s25, s4
	s_mov_b32 s84, -1
	s_mov_b32 s89, 0
	s_cmp_eq_u64 s[10:11], 0
	s_mov_b32 s4, 0
	s_mov_b32 s7, -1
	s_wait_dscnt 0x0
	s_barrier_signal -1
	s_barrier_wait -1
                                        ; implicit-def: $vgpr7
	s_cbranch_scc1 .LBB198_158
; %bb.142:                              ;   in Loop: Header=BB198_18 Depth=1
	s_add_nc_u64 s[20:21], s[10:11], s[74:75]
	s_delay_alu instid0(SALU_CYCLE_1) | instskip(NEXT) | instid1(SALU_CYCLE_1)
	s_and_b64 s[22:23], s[20:21], 0xffffffff00000000
	s_cmp_lg_u64 s[22:23], 0
	s_cbranch_scc0 .LBB198_201
; %bb.143:                              ;   in Loop: Header=BB198_18 Depth=1
	s_cvt_f32_u32 s4, s56
	s_sub_nc_u64 s[62:63], 0, s[56:57]
	s_delay_alu instid0(SALU_CYCLE_2) | instskip(NEXT) | instid1(SALU_CYCLE_3)
	s_fmamk_f32 s4, s68, 0x0, s4
	v_s_rcp_f32 s4, s4
	s_delay_alu instid0(TRANS32_DEP_1) | instskip(NEXT) | instid1(SALU_CYCLE_3)
	s_mul_f32 s4, s4, 0x5f7ffffc
	s_mul_f32 s7, s4, 0x2f800000
	s_delay_alu instid0(SALU_CYCLE_3) | instskip(NEXT) | instid1(SALU_CYCLE_3)
	s_trunc_f32 s7, s7
	s_fmamk_f32 s4, s7, 0xcf800000, s4
	s_cvt_u32_f32 s23, s7
	s_delay_alu instid0(SALU_CYCLE_2) | instskip(NEXT) | instid1(SALU_CYCLE_3)
	s_cvt_u32_f32 s22, s4
	s_mul_u64 s[92:93], s[62:63], s[22:23]
	s_delay_alu instid0(SALU_CYCLE_1)
	s_mul_hi_u32 s95, s22, s93
	s_mul_i32 s94, s22, s93
	s_mul_hi_u32 s28, s22, s92
	s_mul_i32 s7, s23, s92
	s_add_nc_u64 s[94:95], s[28:29], s[94:95]
	s_mul_hi_u32 s4, s23, s92
	s_mul_hi_u32 s8, s23, s93
	s_add_co_u32 s7, s94, s7
	s_add_co_ci_u32 s28, s95, s4
	s_mul_i32 s92, s23, s93
	s_add_co_ci_u32 s93, s8, 0
	s_delay_alu instid0(SALU_CYCLE_1) | instskip(NEXT) | instid1(SALU_CYCLE_1)
	s_add_nc_u64 s[92:93], s[28:29], s[92:93]
	s_add_co_u32 s22, s22, s92
	s_cselect_b32 s4, -1, 0
	s_delay_alu instid0(SALU_CYCLE_1) | instskip(SKIP_1) | instid1(SALU_CYCLE_1)
	s_cmp_lg_u32 s4, 0
	s_add_co_ci_u32 s23, s23, s93
	s_mul_u64 s[62:63], s[62:63], s[22:23]
	s_delay_alu instid0(SALU_CYCLE_1)
	s_mul_hi_u32 s93, s22, s63
	s_mul_i32 s92, s22, s63
	s_mul_hi_u32 s28, s22, s62
	s_mul_i32 s7, s23, s62
	s_add_nc_u64 s[92:93], s[28:29], s[92:93]
	s_mul_hi_u32 s4, s23, s62
	s_mul_hi_u32 s8, s23, s63
	s_add_co_u32 s7, s92, s7
	s_add_co_ci_u32 s28, s93, s4
	s_mul_i32 s62, s23, s63
	s_add_co_ci_u32 s63, s8, 0
	s_delay_alu instid0(SALU_CYCLE_1) | instskip(NEXT) | instid1(SALU_CYCLE_1)
	s_add_nc_u64 s[62:63], s[28:29], s[62:63]
	s_add_co_u32 s4, s22, s62
	s_cselect_b32 s7, -1, 0
	s_mul_hi_u32 s28, s20, s4
	s_cmp_lg_u32 s7, 0
	s_mul_hi_u32 s7, s21, s4
	s_add_co_ci_u32 s8, s23, s63
	s_mul_i32 s4, s21, s4
	s_mul_hi_u32 s23, s20, s8
	s_mul_i32 s22, s20, s8
	s_mul_hi_u32 s40, s21, s8
	s_add_nc_u64 s[22:23], s[28:29], s[22:23]
	s_mul_i32 s62, s21, s8
	s_add_co_u32 s4, s22, s4
	s_add_co_ci_u32 s28, s23, s7
	s_add_co_ci_u32 s63, s40, 0
	s_delay_alu instid0(SALU_CYCLE_1) | instskip(NEXT) | instid1(SALU_CYCLE_1)
	s_add_nc_u64 s[22:23], s[28:29], s[62:63]
	s_and_b64 s[62:63], s[22:23], 0xffffffff00000000
	s_delay_alu instid0(SALU_CYCLE_1) | instskip(NEXT) | instid1(SALU_CYCLE_1)
	s_or_b32 s62, s62, s22
	s_mul_u64 s[22:23], s[56:57], s[62:63]
	s_delay_alu instid0(SALU_CYCLE_1) | instskip(SKIP_1) | instid1(SALU_CYCLE_1)
	s_sub_co_u32 s4, s20, s22
	s_cselect_b32 s7, -1, 0
	s_cmp_lg_u32 s7, 0
	s_sub_co_ci_u32 s7, s21, s23
	s_sub_co_u32 s8, s4, s56
	s_cselect_b32 s22, -1, 0
	s_delay_alu instid0(SALU_CYCLE_1) | instskip(SKIP_3) | instid1(SALU_CYCLE_1)
	s_cmp_lg_u32 s22, 0
	s_sub_co_ci_u32 s22, s7, 0
	s_sub_co_u32 s23, s8, s56
	s_cselect_b32 s28, -1, 0
	s_cmp_lg_u32 s28, 0
	s_sub_co_ci_u32 s28, s22, 0
	s_cmp_ge_u32 s8, s56
	s_cselect_b32 s40, -1, 0
	s_cmp_eq_u32 s22, 0
	s_cselect_b32 s40, s40, -1
	s_delay_alu instid0(SALU_CYCLE_1)
	s_cmp_lg_u32 s40, 0
	s_cselect_b32 s22, s28, s22
	s_cselect_b32 s8, s23, s8
	s_cmp_ge_u32 s4, s56
	s_cselect_b32 s23, -1, 0
	s_cmp_eq_u32 s7, 0
	s_cselect_b32 s23, s23, -1
	s_delay_alu instid0(SALU_CYCLE_1)
	s_cmp_lg_u32 s23, 0
	s_cselect_b32 s23, s22, s7
	s_cselect_b32 s22, s8, s4
	s_cbranch_execnz .LBB198_145
.LBB198_144:                            ;   in Loop: Header=BB198_18 Depth=1
	v_cvt_f32_u32_e32 v6, s56
	s_sub_co_i32 s7, 0, s56
	s_delay_alu instid0(VALU_DEP_1) | instskip(SKIP_1) | instid1(TRANS32_DEP_1)
	v_rcp_iflag_f32_e32 v6, v6
	v_nop
	v_mul_f32_e32 v6, 0x4f7ffffe, v6
	s_delay_alu instid0(VALU_DEP_1) | instskip(NEXT) | instid1(VALU_DEP_1)
	v_cvt_u32_f32_e32 v6, v6
	v_readfirstlane_b32 s4, v6
	s_mul_i32 s7, s7, s4
	s_delay_alu instid0(SALU_CYCLE_1) | instskip(NEXT) | instid1(SALU_CYCLE_1)
	s_mul_hi_u32 s7, s4, s7
	s_add_co_i32 s4, s4, s7
	s_delay_alu instid0(SALU_CYCLE_1) | instskip(NEXT) | instid1(SALU_CYCLE_1)
	s_mul_hi_u32 s4, s20, s4
	s_mul_i32 s4, s4, s56
	s_delay_alu instid0(SALU_CYCLE_1) | instskip(NEXT) | instid1(SALU_CYCLE_1)
	s_sub_co_i32 s4, s20, s4
	s_sub_co_i32 s7, s4, s56
	s_cmp_ge_u32 s4, s56
	s_cselect_b32 s4, s7, s4
	s_delay_alu instid0(SALU_CYCLE_1) | instskip(SKIP_2) | instid1(SALU_CYCLE_1)
	s_sub_co_i32 s7, s4, s56
	s_cmp_ge_u32 s4, s56
	s_cselect_b32 s28, s7, s4
	s_mov_b64 s[22:23], s[28:29]
.LBB198_145:                            ;   in Loop: Header=BB198_18 Depth=1
	s_delay_alu instid0(SALU_CYCLE_1)
	s_sub_nc_u64 s[20:21], s[20:21], s[22:23]
	s_mov_b32 s7, 0
	s_mov_b32 s4, 0
	s_mov_b32 s8, exec_lo
                                        ; implicit-def: $vgpr7
	v_cmpx_gt_u64_e64 s[20:21], v[0:1]
	s_cbranch_execz .LBB198_157
; %bb.146:                              ;   in Loop: Header=BB198_18 Depth=1
	v_mov_b64_e32 v[8:9], v[0:1]
	v_mov_b32_e32 v24, v16
                                        ; implicit-def: $sgpr22
	s_branch .LBB198_150
.LBB198_147:                            ;   in Loop: Header=BB198_150 Depth=2
	s_or_b32 exec_lo, exec_lo, s23
	s_wait_dscnt 0x0
	s_barrier_signal -1
	s_barrier_wait -1
	ds_load_b64 v[6:7], v3 offset:3072
	s_wait_dscnt 0x0
	s_barrier_signal -1
	s_barrier_wait -1
	v_cmp_neq_f32_e32 vcc_lo, 0, v6
	s_cbranch_vccnz .LBB198_153
; %bb.148:                              ;   in Loop: Header=BB198_150 Depth=2
	v_add_nc_u64_e32 v[8:9], s[56:57], v[8:9]
	v_add_nc_u32_e32 v24, vcc_hi, v24
	s_mov_b32 s23, 0
	s_delay_alu instid0(VALU_DEP_2)
	v_cmp_le_u64_e32 vcc_lo, s[20:21], v[8:9]
	s_or_not1_b32 s28, vcc_lo, exec_lo
.LBB198_149:                            ;   in Loop: Header=BB198_150 Depth=2
	s_delay_alu instid0(SALU_CYCLE_1) | instskip(NEXT) | instid1(SALU_CYCLE_1)
	s_and_b32 s28, exec_lo, s28
	s_or_b32 s4, s28, s4
	s_and_not1_b32 s22, s22, exec_lo
	s_and_b32 s23, s23, exec_lo
	s_delay_alu instid0(SALU_CYCLE_1)
	s_or_b32 s22, s22, s23
	s_and_not1_b32 exec_lo, exec_lo, s4
	s_cbranch_execz .LBB198_156
.LBB198_150:                            ;   Parent Loop BB198_18 Depth=1
                                        ; =>  This Inner Loop Header: Depth=2
	s_mov_b32 s23, exec_lo
	s_delay_alu instid0(VALU_DEP_2)
	v_cmpx_gt_u64_e64 s[10:11], v[8:9]
	s_cbranch_execz .LBB198_147
; %bb.151:                              ;   in Loop: Header=BB198_150 Depth=2
	ds_load_b32 v23, v24
	s_wait_dscnt 0x0
	v_cmp_lt_i32_e32 vcc_lo, -1, v23
	v_cndmask_b32_e64 v6, -1, 0x80000000, vcc_lo
	v_cmp_o_f32_e32 vcc_lo, v23, v23
	s_delay_alu instid0(VALU_DEP_2) | instskip(NEXT) | instid1(VALU_DEP_1)
	v_xor_b32_e32 v6, v6, v23
	v_cndmask_b32_e32 v6, -1, v6, vcc_lo
	s_delay_alu instid0(VALU_DEP_1) | instskip(NEXT) | instid1(VALU_DEP_1)
	v_and_b32_e32 v6, v6, v11
	v_cmp_eq_u32_e32 vcc_lo, v6, v10
	s_and_b32 exec_lo, exec_lo, vcc_lo
	s_cbranch_execz .LBB198_147
; %bb.152:                              ;   in Loop: Header=BB198_150 Depth=2
	ds_store_b64 v3, v[22:23] offset:3072
	s_branch .LBB198_147
.LBB198_153:                            ;   in Loop: Header=BB198_150 Depth=2
	s_mov_b32 s28, -1
	s_mov_b32 s23, -1
                                        ; implicit-def: $vgpr8_vgpr9
                                        ; implicit-def: $vgpr24
	s_branch .LBB198_149
.LBB198_154:                            ;   in Loop: Header=BB198_18 Depth=1
                                        ; implicit-def: $sgpr22_sgpr23
	s_branch .LBB198_96
.LBB198_155:                            ;   in Loop: Header=BB198_18 Depth=1
                                        ; implicit-def: $sgpr10_sgpr11
	s_branch .LBB198_114
.LBB198_156:                            ;   in Loop: Header=BB198_18 Depth=1
	s_or_b32 exec_lo, exec_lo, s4
	s_delay_alu instid0(SALU_CYCLE_1)
	s_and_b32 s4, s22, exec_lo
.LBB198_157:                            ;   in Loop: Header=BB198_18 Depth=1
	s_or_b32 exec_lo, exec_lo, s8
.LBB198_158:                            ;   in Loop: Header=BB198_18 Depth=1
	s_delay_alu instid0(SALU_CYCLE_1)
	s_and_b32 vcc_lo, exec_lo, s7
	s_cbranch_vccz .LBB198_173
; %bb.159:                              ;   in Loop: Header=BB198_18 Depth=1
	s_and_b64 s[10:11], s[76:77], 0xffffffff00000000
	s_delay_alu instid0(SALU_CYCLE_1)
	s_cmp_lg_u64 s[10:11], 0
	s_cbranch_scc0 .LBB198_202
; %bb.160:                              ;   in Loop: Header=BB198_18 Depth=1
	s_cvt_f32_u32 s7, s56
	s_sub_nc_u64 s[20:21], 0, s[56:57]
	s_delay_alu instid0(SALU_CYCLE_2) | instskip(NEXT) | instid1(SALU_CYCLE_3)
	s_fmamk_f32 s7, s68, 0x0, s7
	v_s_rcp_f32 s7, s7
	s_delay_alu instid0(TRANS32_DEP_1) | instskip(NEXT) | instid1(SALU_CYCLE_3)
	s_mul_f32 s7, s7, 0x5f7ffffc
	s_mul_f32 s8, s7, 0x2f800000
	s_delay_alu instid0(SALU_CYCLE_3) | instskip(NEXT) | instid1(SALU_CYCLE_3)
	s_trunc_f32 s8, s8
	s_fmamk_f32 s7, s8, 0xcf800000, s7
	s_cvt_u32_f32 s11, s8
	s_delay_alu instid0(SALU_CYCLE_2) | instskip(NEXT) | instid1(SALU_CYCLE_3)
	s_cvt_u32_f32 s10, s7
	s_mul_u64 s[22:23], s[20:21], s[10:11]
	s_delay_alu instid0(SALU_CYCLE_1)
	s_mul_hi_u32 s63, s10, s23
	s_mul_i32 s62, s10, s23
	s_mul_hi_u32 s28, s10, s22
	s_mul_i32 s8, s11, s22
	s_add_nc_u64 s[62:63], s[28:29], s[62:63]
	s_mul_hi_u32 s7, s11, s22
	s_mul_hi_u32 s40, s11, s23
	s_add_co_u32 s8, s62, s8
	s_add_co_ci_u32 s28, s63, s7
	s_mul_i32 s22, s11, s23
	s_add_co_ci_u32 s23, s40, 0
	s_delay_alu instid0(SALU_CYCLE_1) | instskip(NEXT) | instid1(SALU_CYCLE_1)
	s_add_nc_u64 s[22:23], s[28:29], s[22:23]
	s_add_co_u32 s10, s10, s22
	s_cselect_b32 s7, -1, 0
	s_delay_alu instid0(SALU_CYCLE_1) | instskip(SKIP_1) | instid1(SALU_CYCLE_1)
	s_cmp_lg_u32 s7, 0
	s_add_co_ci_u32 s11, s11, s23
	s_mul_u64 s[20:21], s[20:21], s[10:11]
	s_delay_alu instid0(SALU_CYCLE_1)
	s_mul_hi_u32 s23, s10, s21
	s_mul_i32 s22, s10, s21
	s_mul_hi_u32 s28, s10, s20
	s_mul_i32 s8, s11, s20
	s_add_nc_u64 s[22:23], s[28:29], s[22:23]
	s_mul_hi_u32 s7, s11, s20
	s_mul_hi_u32 s40, s11, s21
	s_add_co_u32 s8, s22, s8
	s_add_co_ci_u32 s28, s23, s7
	s_mul_i32 s20, s11, s21
	s_add_co_ci_u32 s21, s40, 0
	s_delay_alu instid0(SALU_CYCLE_1) | instskip(NEXT) | instid1(SALU_CYCLE_1)
	s_add_nc_u64 s[20:21], s[28:29], s[20:21]
	s_add_co_u32 s7, s10, s20
	s_cselect_b32 s8, -1, 0
	s_mul_hi_u32 s28, s76, s7
	s_cmp_lg_u32 s8, 0
	s_mul_hi_u32 s8, s77, s7
	s_add_co_ci_u32 s20, s11, s21
	s_mul_i32 s7, s77, s7
	s_mul_hi_u32 s11, s76, s20
	s_mul_i32 s10, s76, s20
	s_mul_hi_u32 s21, s77, s20
	s_add_nc_u64 s[10:11], s[28:29], s[10:11]
	s_mul_i32 s20, s77, s20
	s_add_co_u32 s7, s10, s7
	s_add_co_ci_u32 s28, s11, s8
	s_add_co_ci_u32 s21, s21, 0
	s_delay_alu instid0(SALU_CYCLE_1) | instskip(NEXT) | instid1(SALU_CYCLE_1)
	s_add_nc_u64 s[10:11], s[28:29], s[20:21]
	s_and_b64 s[20:21], s[10:11], 0xffffffff00000000
	s_delay_alu instid0(SALU_CYCLE_1) | instskip(NEXT) | instid1(SALU_CYCLE_1)
	s_or_b32 s20, s20, s10
	s_mul_u64 s[10:11], s[56:57], s[20:21]
	s_delay_alu instid0(SALU_CYCLE_1) | instskip(SKIP_1) | instid1(SALU_CYCLE_1)
	s_sub_co_u32 s7, s76, s10
	s_cselect_b32 s8, -1, 0
	s_cmp_lg_u32 s8, 0
	s_sub_co_ci_u32 s8, s77, s11
	s_sub_co_u32 s10, s7, s56
	s_cselect_b32 s11, -1, 0
	s_delay_alu instid0(SALU_CYCLE_1) | instskip(SKIP_3) | instid1(SALU_CYCLE_1)
	s_cmp_lg_u32 s11, 0
	s_sub_co_ci_u32 s11, s8, 0
	s_sub_co_u32 s20, s10, s56
	s_cselect_b32 s21, -1, 0
	s_cmp_lg_u32 s21, 0
	s_sub_co_ci_u32 s21, s11, 0
	s_cmp_ge_u32 s10, s56
	s_cselect_b32 s22, -1, 0
	s_cmp_eq_u32 s11, 0
	s_cselect_b32 s22, s22, -1
	s_delay_alu instid0(SALU_CYCLE_1)
	s_cmp_lg_u32 s22, 0
	s_cselect_b32 s11, s21, s11
	s_cselect_b32 s10, s20, s10
	s_cmp_ge_u32 s7, s56
	s_cselect_b32 s20, -1, 0
	s_cmp_eq_u32 s8, 0
	s_cselect_b32 s20, s20, -1
	s_delay_alu instid0(SALU_CYCLE_1)
	s_cmp_lg_u32 s20, 0
	s_cselect_b32 s11, s11, s8
	s_cselect_b32 s10, s10, s7
	s_cbranch_execnz .LBB198_162
.LBB198_161:                            ;   in Loop: Header=BB198_18 Depth=1
	v_cvt_f32_u32_e32 v6, s56
	s_sub_co_i32 s8, 0, s56
	s_delay_alu instid0(VALU_DEP_1) | instskip(SKIP_1) | instid1(TRANS32_DEP_1)
	v_rcp_iflag_f32_e32 v6, v6
	v_nop
	v_mul_f32_e32 v6, 0x4f7ffffe, v6
	s_delay_alu instid0(VALU_DEP_1) | instskip(NEXT) | instid1(VALU_DEP_1)
	v_cvt_u32_f32_e32 v6, v6
	v_readfirstlane_b32 s7, v6
	s_mul_i32 s8, s8, s7
	s_delay_alu instid0(SALU_CYCLE_1) | instskip(NEXT) | instid1(SALU_CYCLE_1)
	s_mul_hi_u32 s8, s7, s8
	s_add_co_i32 s7, s7, s8
	s_delay_alu instid0(SALU_CYCLE_1) | instskip(NEXT) | instid1(SALU_CYCLE_1)
	s_mul_hi_u32 s7, s76, s7
	s_mul_i32 s7, s7, s56
	s_delay_alu instid0(SALU_CYCLE_1) | instskip(NEXT) | instid1(SALU_CYCLE_1)
	s_sub_co_i32 s7, s76, s7
	s_sub_co_i32 s8, s7, s56
	s_cmp_ge_u32 s7, s56
	s_cselect_b32 s7, s8, s7
	s_delay_alu instid0(SALU_CYCLE_1) | instskip(SKIP_2) | instid1(SALU_CYCLE_1)
	s_sub_co_i32 s8, s7, s56
	s_cmp_ge_u32 s7, s56
	s_cselect_b32 s28, s8, s7
	s_mov_b64 s[10:11], s[28:29]
.LBB198_162:                            ;   in Loop: Header=BB198_18 Depth=1
	s_delay_alu instid0(SALU_CYCLE_1)
	s_sub_nc_u64 s[10:11], s[76:77], s[10:11]
	s_mov_b32 s7, exec_lo
                                        ; implicit-def: $vgpr7
	v_cmpx_gt_u64_e64 s[10:11], v[0:1]
	s_cbranch_execz .LBB198_172
; %bb.163:                              ;   in Loop: Header=BB198_18 Depth=1
	v_mov_b64_e32 v[8:9], v[0:1]
	s_mov_b32 s8, 0
                                        ; implicit-def: $sgpr20
	s_branch .LBB198_167
.LBB198_164:                            ;   in Loop: Header=BB198_167 Depth=2
	s_or_b32 exec_lo, exec_lo, s21
	s_wait_dscnt 0x0
	s_barrier_signal -1
	s_barrier_wait -1
	ds_load_b64 v[6:7], v3 offset:3072
	s_wait_dscnt 0x0
	s_barrier_signal -1
	s_barrier_wait -1
	v_cmp_eq_f32_e32 vcc_lo, 0, v6
	s_cbranch_vccz .LBB198_170
; %bb.165:                              ;   in Loop: Header=BB198_167 Depth=2
	v_add_nc_u64_e32 v[8:9], s[56:57], v[8:9]
	s_mov_b32 s21, 0
	s_delay_alu instid0(VALU_DEP_1)
	v_cmp_le_u64_e32 vcc_lo, s[10:11], v[8:9]
	s_or_not1_b32 s22, vcc_lo, exec_lo
.LBB198_166:                            ;   in Loop: Header=BB198_167 Depth=2
	s_delay_alu instid0(SALU_CYCLE_1) | instskip(NEXT) | instid1(SALU_CYCLE_1)
	s_and_b32 s22, exec_lo, s22
	s_or_b32 s8, s22, s8
	s_and_not1_b32 s20, s20, exec_lo
	s_and_b32 s21, s21, exec_lo
	s_delay_alu instid0(SALU_CYCLE_1)
	s_or_b32 s20, s20, s21
	s_and_not1_b32 exec_lo, exec_lo, s8
	s_cbranch_execz .LBB198_171
.LBB198_167:                            ;   Parent Loop BB198_18 Depth=1
                                        ; =>  This Inner Loop Header: Depth=2
	s_mov_b32 s21, exec_lo
	s_delay_alu instid0(VALU_DEP_1)
	v_cmpx_gt_u64_e64 s[36:37], v[8:9]
	s_cbranch_execz .LBB198_164
; %bb.168:                              ;   in Loop: Header=BB198_167 Depth=2
	v_mul_u64_e32 v[6:7], s[30:31], v[8:9]
	s_delay_alu instid0(VALU_DEP_1)
	v_lshl_add_u64 v[6:7], v[6:7], 2, s[34:35]
	global_load_b32 v23, v[6:7], off
	s_wait_loadcnt 0x0
	v_cmp_lt_i32_e32 vcc_lo, -1, v23
	v_cndmask_b32_e64 v6, -1, 0x80000000, vcc_lo
	v_cmp_o_f32_e32 vcc_lo, v23, v23
	s_delay_alu instid0(VALU_DEP_2) | instskip(NEXT) | instid1(VALU_DEP_1)
	v_xor_b32_e32 v6, v6, v23
	v_cndmask_b32_e32 v6, -1, v6, vcc_lo
	s_delay_alu instid0(VALU_DEP_1) | instskip(NEXT) | instid1(VALU_DEP_1)
	v_and_b32_e32 v6, v6, v11
	v_cmp_eq_u32_e32 vcc_lo, v6, v10
	s_and_b32 exec_lo, exec_lo, vcc_lo
	s_cbranch_execz .LBB198_164
; %bb.169:                              ;   in Loop: Header=BB198_167 Depth=2
	ds_store_b64 v3, v[22:23] offset:3072
	s_branch .LBB198_164
.LBB198_170:                            ;   in Loop: Header=BB198_167 Depth=2
	s_mov_b32 s22, -1
	s_mov_b32 s21, -1
                                        ; implicit-def: $vgpr8_vgpr9
	s_branch .LBB198_166
.LBB198_171:                            ;   in Loop: Header=BB198_18 Depth=1
	s_or_b32 exec_lo, exec_lo, s8
	s_delay_alu instid0(SALU_CYCLE_1) | instskip(SKIP_1) | instid1(SALU_CYCLE_1)
	s_and_not1_b32 s4, s4, exec_lo
	s_and_b32 s8, s20, exec_lo
	s_or_b32 s4, s4, s8
.LBB198_172:                            ;   in Loop: Header=BB198_18 Depth=1
	s_or_b32 exec_lo, exec_lo, s7
	s_mov_b32 s84, 0
	s_mov_b32 s89, -1
.LBB198_173:                            ;   in Loop: Header=BB198_18 Depth=1
	s_or_not1_b32 s4, s4, exec_lo
.LBB198_174:                            ;   in Loop: Header=BB198_18 Depth=1
	s_or_b32 exec_lo, exec_lo, s90
	s_mov_b32 s7, 0
	s_and_saveexec_b32 s90, s4
	s_cbranch_execz .LBB198_287
; %bb.175:                              ;   in Loop: Header=BB198_18 Depth=1
	v_mov_b64_e32 v[8:9], 1
	v_mov_b32_e32 v2, 1
	s_xor_b32 s8, s91, -1
	s_delay_alu instid0(SALU_CYCLE_1)
	s_and_saveexec_b32 s4, s8
	s_cbranch_execz .LBB198_184
; %bb.176:                              ;   in Loop: Header=BB198_18 Depth=1
	s_mov_b32 s7, exec_lo
	v_cmpx_ge_u64_e64 s[14:15], v[4:5]
	s_xor_b32 s7, exec_lo, s7
	s_cbranch_execz .LBB198_181
; %bb.177:                              ;   in Loop: Header=BB198_18 Depth=1
	ds_load_b64 v[8:9], v3 offset:5120
	s_lshl_b32 s8, 1, s69
	v_or_b32_e32 v11, s24, v11
	v_and_or_b32 v10, v10, s25, s8
	s_wait_dscnt 0x0
	v_cmp_ne_u64_e32 vcc_lo, 0, v[8:9]
	s_cbranch_vccnz .LBB198_181
; %bb.178:                              ;   in Loop: Header=BB198_18 Depth=1
	s_and_saveexec_b32 s8, s5
; %bb.179:                              ;   in Loop: Header=BB198_18 Depth=1
	v_mov_b64_e32 v[8:9], s[14:15]
	ds_store_b64 v3, v[8:9] offset:5128
; %bb.180:                              ;   in Loop: Header=BB198_18 Depth=1
	s_or_b32 exec_lo, exec_lo, s8
	s_wait_dscnt 0x0
	s_barrier_signal -1
	s_barrier_wait -1
.LBB198_181:                            ;   in Loop: Header=BB198_18 Depth=1
	s_or_saveexec_b32 s7, s7
	v_mov_b32_e32 v2, 8
	s_mov_b32 s8, 0
	s_xor_b32 exec_lo, exec_lo, s7
; %bb.182:                              ;   in Loop: Header=BB198_18 Depth=1
	v_sub_nc_u64_e64 v[4:5], v[4:5], s[14:15]
	v_mov_b32_e32 v2, 0
	s_mov_b32 s8, exec_lo
; %bb.183:                              ;   in Loop: Header=BB198_18 Depth=1
	s_or_b32 exec_lo, exec_lo, s7
	s_delay_alu instid0(VALU_DEP_2)
	v_mov_b64_e32 v[8:9], v[4:5]
	s_and_b32 s7, s8, exec_lo
.LBB198_184:                            ;   in Loop: Header=BB198_18 Depth=1
	s_or_b32 exec_lo, exec_lo, s4
	s_mov_b32 s4, -1
                                        ; implicit-def: $sgpr92
                                        ; implicit-def: $sgpr93
	s_and_saveexec_b32 s91, s7
	s_cbranch_execz .LBB198_286
; %bb.185:                              ;   in Loop: Header=BB198_18 Depth=1
	s_delay_alu instid0(VALU_DEP_1) | instskip(SKIP_2) | instid1(SALU_CYCLE_1)
	v_cmp_eq_u64_e32 vcc_lo, 1, v[8:9]
	s_cmp_eq_u64 s[16:17], 1
                                        ; implicit-def: $sgpr93
                                        ; implicit-def: $sgpr92
	s_cselect_b32 s4, -1, 0
	s_and_b32 s95, s4, vcc_lo
	s_mov_b32 s4, -1
	s_and_saveexec_b32 s94, s95
	s_cbranch_execz .LBB198_221
; %bb.186:                              ;   in Loop: Header=BB198_18 Depth=1
	ds_load_b64 v[4:5], v3 offset:5120
	s_wait_dscnt 0x0
	s_barrier_signal -1
	s_barrier_wait -1
	v_readfirstlane_b32 s10, v4
	v_readfirstlane_b32 s11, v5
	s_and_saveexec_b32 s4, s6
; %bb.187:                              ;   in Loop: Header=BB198_18 Depth=1
	ds_store_b32 v32, v3
; %bb.188:                              ;   in Loop: Header=BB198_18 Depth=1
	s_or_b32 exec_lo, exec_lo, s4
	s_lshl_b32 s4, 2, s69
	v_or_b32_e32 v11, s24, v11
	v_and_or_b32 v10, v10, s25, s4
	s_mov_b32 s92, -1
	s_mov_b32 s93, 0
	s_cmp_eq_u64 s[10:11], 0
	s_mov_b32 s4, 0
	s_mov_b32 s7, -1
	s_wait_dscnt 0x0
	s_barrier_signal -1
	s_barrier_wait -1
                                        ; implicit-def: $vgpr7
	s_cbranch_scc1 .LBB198_205
; %bb.189:                              ;   in Loop: Header=BB198_18 Depth=1
	s_add_nc_u64 s[20:21], s[10:11], s[74:75]
	s_mov_b64 s[42:43], s[64:65]
	s_and_b64 s[22:23], s[20:21], 0xffffffff00000000
	s_delay_alu instid0(SALU_CYCLE_1)
	s_cmp_lg_u64 s[22:23], 0
	s_cbranch_scc0 .LBB198_238
; %bb.190:                              ;   in Loop: Header=BB198_18 Depth=1
	s_cvt_f32_u32 s4, s56
	s_sub_nc_u64 s[62:63], 0, s[56:57]
	s_delay_alu instid0(SALU_CYCLE_2) | instskip(NEXT) | instid1(SALU_CYCLE_3)
	s_fmamk_f32 s4, s68, 0x0, s4
	v_s_rcp_f32 s4, s4
	s_delay_alu instid0(TRANS32_DEP_1) | instskip(NEXT) | instid1(SALU_CYCLE_3)
	s_mul_f32 s4, s4, 0x5f7ffffc
	s_mul_f32 s7, s4, 0x2f800000
	s_delay_alu instid0(SALU_CYCLE_3) | instskip(NEXT) | instid1(SALU_CYCLE_3)
	s_trunc_f32 s7, s7
	s_fmamk_f32 s4, s7, 0xcf800000, s4
	s_cvt_u32_f32 s23, s7
	s_delay_alu instid0(SALU_CYCLE_2) | instskip(NEXT) | instid1(SALU_CYCLE_3)
	s_cvt_u32_f32 s22, s4
	s_mul_u64 s[96:97], s[62:63], s[22:23]
	s_delay_alu instid0(SALU_CYCLE_1)
	s_mul_hi_u32 s65, s22, s97
	s_mul_i32 s64, s22, s97
	s_mul_hi_u32 s28, s22, s96
	s_mul_i32 s7, s23, s96
	s_add_nc_u64 s[64:65], s[28:29], s[64:65]
	s_mul_hi_u32 s4, s23, s96
	s_mul_hi_u32 s8, s23, s97
	s_add_co_u32 s7, s64, s7
	s_add_co_ci_u32 s28, s65, s4
	s_mul_i32 s96, s23, s97
	s_add_co_ci_u32 s97, s8, 0
	s_delay_alu instid0(SALU_CYCLE_1) | instskip(NEXT) | instid1(SALU_CYCLE_1)
	s_add_nc_u64 s[64:65], s[28:29], s[96:97]
	s_add_co_u32 s22, s22, s64
	s_cselect_b32 s4, -1, 0
	s_delay_alu instid0(SALU_CYCLE_1) | instskip(SKIP_1) | instid1(SALU_CYCLE_1)
	s_cmp_lg_u32 s4, 0
	s_add_co_ci_u32 s23, s23, s65
	s_mul_u64 s[62:63], s[62:63], s[22:23]
	s_delay_alu instid0(SALU_CYCLE_1)
	s_mul_hi_u32 s65, s22, s63
	s_mul_i32 s64, s22, s63
	s_mul_hi_u32 s28, s22, s62
	s_mul_i32 s7, s23, s62
	s_add_nc_u64 s[64:65], s[28:29], s[64:65]
	s_mul_hi_u32 s4, s23, s62
	s_mul_hi_u32 s8, s23, s63
	s_add_co_u32 s7, s64, s7
	s_add_co_ci_u32 s28, s65, s4
	s_mul_i32 s62, s23, s63
	s_add_co_ci_u32 s63, s8, 0
	s_delay_alu instid0(SALU_CYCLE_1) | instskip(NEXT) | instid1(SALU_CYCLE_1)
	s_add_nc_u64 s[62:63], s[28:29], s[62:63]
	s_add_co_u32 s4, s22, s62
	s_cselect_b32 s7, -1, 0
	s_mul_hi_u32 s28, s20, s4
	s_cmp_lg_u32 s7, 0
	s_mul_hi_u32 s7, s21, s4
	s_add_co_ci_u32 s8, s23, s63
	s_mul_i32 s4, s21, s4
	s_mul_hi_u32 s23, s20, s8
	s_mul_i32 s22, s20, s8
	s_mul_hi_u32 s40, s21, s8
	s_add_nc_u64 s[22:23], s[28:29], s[22:23]
	s_mul_i32 s62, s21, s8
	s_add_co_u32 s4, s22, s4
	s_add_co_ci_u32 s28, s23, s7
	s_add_co_ci_u32 s63, s40, 0
	s_delay_alu instid0(SALU_CYCLE_1) | instskip(NEXT) | instid1(SALU_CYCLE_1)
	s_add_nc_u64 s[22:23], s[28:29], s[62:63]
	s_and_b64 s[62:63], s[22:23], 0xffffffff00000000
	s_delay_alu instid0(SALU_CYCLE_1) | instskip(NEXT) | instid1(SALU_CYCLE_1)
	s_or_b32 s62, s62, s22
	s_mul_u64 s[22:23], s[56:57], s[62:63]
	s_delay_alu instid0(SALU_CYCLE_1) | instskip(SKIP_1) | instid1(SALU_CYCLE_1)
	s_sub_co_u32 s4, s20, s22
	s_cselect_b32 s7, -1, 0
	s_cmp_lg_u32 s7, 0
	s_sub_co_ci_u32 s7, s21, s23
	s_sub_co_u32 s8, s4, s56
	s_cselect_b32 s22, -1, 0
	s_delay_alu instid0(SALU_CYCLE_1) | instskip(SKIP_3) | instid1(SALU_CYCLE_1)
	s_cmp_lg_u32 s22, 0
	s_sub_co_ci_u32 s22, s7, 0
	s_sub_co_u32 s23, s8, s56
	s_cselect_b32 s28, -1, 0
	s_cmp_lg_u32 s28, 0
	s_sub_co_ci_u32 s28, s22, 0
	s_cmp_ge_u32 s8, s56
	s_cselect_b32 s40, -1, 0
	s_cmp_eq_u32 s22, 0
	s_cselect_b32 s40, s40, -1
	s_delay_alu instid0(SALU_CYCLE_1)
	s_cmp_lg_u32 s40, 0
	s_cselect_b32 s22, s28, s22
	s_cselect_b32 s8, s23, s8
	s_cmp_ge_u32 s4, s56
	s_cselect_b32 s23, -1, 0
	s_cmp_eq_u32 s7, 0
	s_cselect_b32 s23, s23, -1
	s_delay_alu instid0(SALU_CYCLE_1)
	s_cmp_lg_u32 s23, 0
	s_cselect_b32 s23, s22, s7
	s_cselect_b32 s22, s8, s4
	s_cbranch_execnz .LBB198_192
.LBB198_191:                            ;   in Loop: Header=BB198_18 Depth=1
	v_cvt_f32_u32_e32 v4, s56
	s_sub_co_i32 s7, 0, s56
	s_delay_alu instid0(VALU_DEP_1) | instskip(SKIP_1) | instid1(TRANS32_DEP_1)
	v_rcp_iflag_f32_e32 v4, v4
	v_nop
	v_mul_f32_e32 v4, 0x4f7ffffe, v4
	s_delay_alu instid0(VALU_DEP_1) | instskip(NEXT) | instid1(VALU_DEP_1)
	v_cvt_u32_f32_e32 v4, v4
	v_readfirstlane_b32 s4, v4
	s_mul_i32 s7, s7, s4
	s_delay_alu instid0(SALU_CYCLE_1) | instskip(NEXT) | instid1(SALU_CYCLE_1)
	s_mul_hi_u32 s7, s4, s7
	s_add_co_i32 s4, s4, s7
	s_delay_alu instid0(SALU_CYCLE_1) | instskip(NEXT) | instid1(SALU_CYCLE_1)
	s_mul_hi_u32 s4, s20, s4
	s_mul_i32 s4, s4, s56
	s_delay_alu instid0(SALU_CYCLE_1) | instskip(NEXT) | instid1(SALU_CYCLE_1)
	s_sub_co_i32 s4, s20, s4
	s_sub_co_i32 s7, s4, s56
	s_cmp_ge_u32 s4, s56
	s_cselect_b32 s4, s7, s4
	s_delay_alu instid0(SALU_CYCLE_1) | instskip(SKIP_2) | instid1(SALU_CYCLE_1)
	s_sub_co_i32 s7, s4, s56
	s_cmp_ge_u32 s4, s56
	s_cselect_b32 s28, s7, s4
	s_mov_b64 s[22:23], s[28:29]
.LBB198_192:                            ;   in Loop: Header=BB198_18 Depth=1
	s_delay_alu instid0(SALU_CYCLE_1)
	s_sub_nc_u64 s[20:21], s[20:21], s[22:23]
	s_mov_b32 s7, 0
	s_mov_b32 s4, 0
	s_mov_b32 s8, exec_lo
                                        ; implicit-def: $vgpr7
	v_cmpx_gt_u64_e64 s[20:21], v[0:1]
	s_mov_b64 s[64:65], s[42:43]
	s_cbranch_execz .LBB198_204
; %bb.193:                              ;   in Loop: Header=BB198_18 Depth=1
	v_mov_b64_e32 v[4:5], v[0:1]
	v_mov_b32_e32 v24, v16
                                        ; implicit-def: $sgpr22
	s_branch .LBB198_197
.LBB198_194:                            ;   in Loop: Header=BB198_197 Depth=2
	s_or_b32 exec_lo, exec_lo, s23
	s_wait_dscnt 0x0
	s_barrier_signal -1
	s_barrier_wait -1
	ds_load_b64 v[6:7], v3 offset:3072
	s_wait_dscnt 0x0
	s_barrier_signal -1
	s_barrier_wait -1
	v_cmp_neq_f32_e32 vcc_lo, 0, v6
	s_cbranch_vccnz .LBB198_200
; %bb.195:                              ;   in Loop: Header=BB198_197 Depth=2
	v_add_nc_u64_e32 v[4:5], s[56:57], v[4:5]
	v_add_nc_u32_e32 v24, vcc_hi, v24
	s_mov_b32 s23, 0
	s_delay_alu instid0(VALU_DEP_2)
	v_cmp_le_u64_e32 vcc_lo, s[20:21], v[4:5]
	s_or_not1_b32 s28, vcc_lo, exec_lo
.LBB198_196:                            ;   in Loop: Header=BB198_197 Depth=2
	s_delay_alu instid0(SALU_CYCLE_1) | instskip(NEXT) | instid1(SALU_CYCLE_1)
	s_and_b32 s28, exec_lo, s28
	s_or_b32 s4, s28, s4
	s_and_not1_b32 s22, s22, exec_lo
	s_and_b32 s23, s23, exec_lo
	s_delay_alu instid0(SALU_CYCLE_1)
	s_or_b32 s22, s22, s23
	s_and_not1_b32 exec_lo, exec_lo, s4
	s_cbranch_execz .LBB198_203
.LBB198_197:                            ;   Parent Loop BB198_18 Depth=1
                                        ; =>  This Inner Loop Header: Depth=2
	s_mov_b32 s23, exec_lo
	s_delay_alu instid0(VALU_DEP_2)
	v_cmpx_gt_u64_e64 s[10:11], v[4:5]
	s_cbranch_execz .LBB198_194
; %bb.198:                              ;   in Loop: Header=BB198_197 Depth=2
	ds_load_b32 v23, v24
	s_wait_dscnt 0x0
	v_cmp_lt_i32_e32 vcc_lo, -1, v23
	v_cndmask_b32_e64 v6, -1, 0x80000000, vcc_lo
	v_cmp_o_f32_e32 vcc_lo, v23, v23
	s_delay_alu instid0(VALU_DEP_2) | instskip(NEXT) | instid1(VALU_DEP_1)
	v_xor_b32_e32 v6, v6, v23
	v_cndmask_b32_e32 v6, -1, v6, vcc_lo
	s_delay_alu instid0(VALU_DEP_1) | instskip(NEXT) | instid1(VALU_DEP_1)
	v_and_b32_e32 v6, v6, v11
	v_cmp_eq_u32_e32 vcc_lo, v6, v10
	s_and_b32 exec_lo, exec_lo, vcc_lo
	s_cbranch_execz .LBB198_194
; %bb.199:                              ;   in Loop: Header=BB198_197 Depth=2
	ds_store_b64 v3, v[22:23] offset:3072
	s_branch .LBB198_194
.LBB198_200:                            ;   in Loop: Header=BB198_197 Depth=2
	s_mov_b32 s28, -1
	s_mov_b32 s23, -1
                                        ; implicit-def: $vgpr4_vgpr5
                                        ; implicit-def: $vgpr24
	s_branch .LBB198_196
.LBB198_201:                            ;   in Loop: Header=BB198_18 Depth=1
                                        ; implicit-def: $sgpr22_sgpr23
	s_branch .LBB198_144
.LBB198_202:                            ;   in Loop: Header=BB198_18 Depth=1
                                        ; implicit-def: $sgpr10_sgpr11
	s_branch .LBB198_161
.LBB198_203:                            ;   in Loop: Header=BB198_18 Depth=1
	s_or_b32 exec_lo, exec_lo, s4
	s_delay_alu instid0(SALU_CYCLE_1)
	s_and_b32 s4, s22, exec_lo
.LBB198_204:                            ;   in Loop: Header=BB198_18 Depth=1
	s_or_b32 exec_lo, exec_lo, s8
.LBB198_205:                            ;   in Loop: Header=BB198_18 Depth=1
	s_delay_alu instid0(SALU_CYCLE_1)
	s_and_b32 vcc_lo, exec_lo, s7
	s_cbranch_vccz .LBB198_220
; %bb.206:                              ;   in Loop: Header=BB198_18 Depth=1
	s_and_b64 s[10:11], s[76:77], 0xffffffff00000000
	s_delay_alu instid0(SALU_CYCLE_1)
	s_cmp_lg_u64 s[10:11], 0
	s_cbranch_scc0 .LBB198_239
; %bb.207:                              ;   in Loop: Header=BB198_18 Depth=1
	s_cvt_f32_u32 s7, s56
	s_sub_nc_u64 s[20:21], 0, s[56:57]
	s_delay_alu instid0(SALU_CYCLE_2) | instskip(NEXT) | instid1(SALU_CYCLE_3)
	s_fmamk_f32 s7, s68, 0x0, s7
	v_s_rcp_f32 s7, s7
	s_delay_alu instid0(TRANS32_DEP_1) | instskip(NEXT) | instid1(SALU_CYCLE_3)
	s_mul_f32 s7, s7, 0x5f7ffffc
	s_mul_f32 s8, s7, 0x2f800000
	s_delay_alu instid0(SALU_CYCLE_3) | instskip(NEXT) | instid1(SALU_CYCLE_3)
	s_trunc_f32 s8, s8
	s_fmamk_f32 s7, s8, 0xcf800000, s7
	s_cvt_u32_f32 s11, s8
	s_delay_alu instid0(SALU_CYCLE_2) | instskip(NEXT) | instid1(SALU_CYCLE_3)
	s_cvt_u32_f32 s10, s7
	s_mul_u64 s[22:23], s[20:21], s[10:11]
	s_delay_alu instid0(SALU_CYCLE_1)
	s_mul_hi_u32 s63, s10, s23
	s_mul_i32 s62, s10, s23
	s_mul_hi_u32 s28, s10, s22
	s_mul_i32 s8, s11, s22
	s_add_nc_u64 s[62:63], s[28:29], s[62:63]
	s_mul_hi_u32 s7, s11, s22
	s_mul_hi_u32 s40, s11, s23
	s_add_co_u32 s8, s62, s8
	s_add_co_ci_u32 s28, s63, s7
	s_mul_i32 s22, s11, s23
	s_add_co_ci_u32 s23, s40, 0
	s_delay_alu instid0(SALU_CYCLE_1) | instskip(NEXT) | instid1(SALU_CYCLE_1)
	s_add_nc_u64 s[22:23], s[28:29], s[22:23]
	s_add_co_u32 s10, s10, s22
	s_cselect_b32 s7, -1, 0
	s_delay_alu instid0(SALU_CYCLE_1) | instskip(SKIP_1) | instid1(SALU_CYCLE_1)
	s_cmp_lg_u32 s7, 0
	s_add_co_ci_u32 s11, s11, s23
	s_mul_u64 s[20:21], s[20:21], s[10:11]
	s_delay_alu instid0(SALU_CYCLE_1)
	s_mul_hi_u32 s23, s10, s21
	s_mul_i32 s22, s10, s21
	s_mul_hi_u32 s28, s10, s20
	s_mul_i32 s8, s11, s20
	s_add_nc_u64 s[22:23], s[28:29], s[22:23]
	s_mul_hi_u32 s7, s11, s20
	s_mul_hi_u32 s40, s11, s21
	s_add_co_u32 s8, s22, s8
	s_add_co_ci_u32 s28, s23, s7
	s_mul_i32 s20, s11, s21
	s_add_co_ci_u32 s21, s40, 0
	s_delay_alu instid0(SALU_CYCLE_1) | instskip(NEXT) | instid1(SALU_CYCLE_1)
	s_add_nc_u64 s[20:21], s[28:29], s[20:21]
	s_add_co_u32 s7, s10, s20
	s_cselect_b32 s8, -1, 0
	s_mul_hi_u32 s28, s76, s7
	s_cmp_lg_u32 s8, 0
	s_mul_hi_u32 s8, s77, s7
	s_add_co_ci_u32 s20, s11, s21
	s_mul_i32 s7, s77, s7
	s_mul_hi_u32 s11, s76, s20
	s_mul_i32 s10, s76, s20
	s_mul_hi_u32 s21, s77, s20
	s_add_nc_u64 s[10:11], s[28:29], s[10:11]
	s_mul_i32 s20, s77, s20
	s_add_co_u32 s7, s10, s7
	s_add_co_ci_u32 s28, s11, s8
	s_add_co_ci_u32 s21, s21, 0
	s_delay_alu instid0(SALU_CYCLE_1) | instskip(NEXT) | instid1(SALU_CYCLE_1)
	s_add_nc_u64 s[10:11], s[28:29], s[20:21]
	s_and_b64 s[20:21], s[10:11], 0xffffffff00000000
	s_delay_alu instid0(SALU_CYCLE_1) | instskip(NEXT) | instid1(SALU_CYCLE_1)
	s_or_b32 s20, s20, s10
	s_mul_u64 s[10:11], s[56:57], s[20:21]
	s_delay_alu instid0(SALU_CYCLE_1) | instskip(SKIP_1) | instid1(SALU_CYCLE_1)
	s_sub_co_u32 s7, s76, s10
	s_cselect_b32 s8, -1, 0
	s_cmp_lg_u32 s8, 0
	s_sub_co_ci_u32 s8, s77, s11
	s_sub_co_u32 s10, s7, s56
	s_cselect_b32 s11, -1, 0
	s_delay_alu instid0(SALU_CYCLE_1) | instskip(SKIP_3) | instid1(SALU_CYCLE_1)
	s_cmp_lg_u32 s11, 0
	s_sub_co_ci_u32 s11, s8, 0
	s_sub_co_u32 s20, s10, s56
	s_cselect_b32 s21, -1, 0
	s_cmp_lg_u32 s21, 0
	s_sub_co_ci_u32 s21, s11, 0
	s_cmp_ge_u32 s10, s56
	s_cselect_b32 s22, -1, 0
	s_cmp_eq_u32 s11, 0
	s_cselect_b32 s22, s22, -1
	s_delay_alu instid0(SALU_CYCLE_1)
	s_cmp_lg_u32 s22, 0
	s_cselect_b32 s11, s21, s11
	s_cselect_b32 s10, s20, s10
	s_cmp_ge_u32 s7, s56
	s_cselect_b32 s20, -1, 0
	s_cmp_eq_u32 s8, 0
	s_cselect_b32 s20, s20, -1
	s_delay_alu instid0(SALU_CYCLE_1)
	s_cmp_lg_u32 s20, 0
	s_cselect_b32 s11, s11, s8
	s_cselect_b32 s10, s10, s7
	s_cbranch_execnz .LBB198_209
.LBB198_208:                            ;   in Loop: Header=BB198_18 Depth=1
	v_cvt_f32_u32_e32 v4, s56
	s_sub_co_i32 s8, 0, s56
	s_delay_alu instid0(VALU_DEP_1) | instskip(SKIP_1) | instid1(TRANS32_DEP_1)
	v_rcp_iflag_f32_e32 v4, v4
	v_nop
	v_mul_f32_e32 v4, 0x4f7ffffe, v4
	s_delay_alu instid0(VALU_DEP_1) | instskip(NEXT) | instid1(VALU_DEP_1)
	v_cvt_u32_f32_e32 v4, v4
	v_readfirstlane_b32 s7, v4
	s_mul_i32 s8, s8, s7
	s_delay_alu instid0(SALU_CYCLE_1) | instskip(NEXT) | instid1(SALU_CYCLE_1)
	s_mul_hi_u32 s8, s7, s8
	s_add_co_i32 s7, s7, s8
	s_delay_alu instid0(SALU_CYCLE_1) | instskip(NEXT) | instid1(SALU_CYCLE_1)
	s_mul_hi_u32 s7, s76, s7
	s_mul_i32 s7, s7, s56
	s_delay_alu instid0(SALU_CYCLE_1) | instskip(NEXT) | instid1(SALU_CYCLE_1)
	s_sub_co_i32 s7, s76, s7
	s_sub_co_i32 s8, s7, s56
	s_cmp_ge_u32 s7, s56
	s_cselect_b32 s7, s8, s7
	s_delay_alu instid0(SALU_CYCLE_1) | instskip(SKIP_2) | instid1(SALU_CYCLE_1)
	s_sub_co_i32 s8, s7, s56
	s_cmp_ge_u32 s7, s56
	s_cselect_b32 s28, s8, s7
	s_mov_b64 s[10:11], s[28:29]
.LBB198_209:                            ;   in Loop: Header=BB198_18 Depth=1
	s_delay_alu instid0(SALU_CYCLE_1)
	s_sub_nc_u64 s[10:11], s[76:77], s[10:11]
	s_mov_b32 s7, exec_lo
                                        ; implicit-def: $vgpr7
	v_cmpx_gt_u64_e64 s[10:11], v[0:1]
	s_cbranch_execz .LBB198_219
; %bb.210:                              ;   in Loop: Header=BB198_18 Depth=1
	v_mov_b64_e32 v[4:5], v[0:1]
	s_mov_b32 s8, 0
                                        ; implicit-def: $sgpr20
	s_branch .LBB198_214
.LBB198_211:                            ;   in Loop: Header=BB198_214 Depth=2
	s_or_b32 exec_lo, exec_lo, s21
	s_wait_dscnt 0x0
	s_barrier_signal -1
	s_barrier_wait -1
	ds_load_b64 v[6:7], v3 offset:3072
	s_wait_dscnt 0x0
	s_barrier_signal -1
	s_barrier_wait -1
	v_cmp_eq_f32_e32 vcc_lo, 0, v6
	s_cbranch_vccz .LBB198_217
; %bb.212:                              ;   in Loop: Header=BB198_214 Depth=2
	v_add_nc_u64_e32 v[4:5], s[56:57], v[4:5]
	s_mov_b32 s21, 0
	s_delay_alu instid0(VALU_DEP_1)
	v_cmp_le_u64_e32 vcc_lo, s[10:11], v[4:5]
	s_or_not1_b32 s22, vcc_lo, exec_lo
.LBB198_213:                            ;   in Loop: Header=BB198_214 Depth=2
	s_delay_alu instid0(SALU_CYCLE_1) | instskip(NEXT) | instid1(SALU_CYCLE_1)
	s_and_b32 s22, exec_lo, s22
	s_or_b32 s8, s22, s8
	s_and_not1_b32 s20, s20, exec_lo
	s_and_b32 s21, s21, exec_lo
	s_delay_alu instid0(SALU_CYCLE_1)
	s_or_b32 s20, s20, s21
	s_and_not1_b32 exec_lo, exec_lo, s8
	s_cbranch_execz .LBB198_218
.LBB198_214:                            ;   Parent Loop BB198_18 Depth=1
                                        ; =>  This Inner Loop Header: Depth=2
	s_mov_b32 s21, exec_lo
	s_delay_alu instid0(VALU_DEP_1)
	v_cmpx_gt_u64_e64 s[36:37], v[4:5]
	s_cbranch_execz .LBB198_211
; %bb.215:                              ;   in Loop: Header=BB198_214 Depth=2
	v_mul_u64_e32 v[6:7], s[30:31], v[4:5]
	s_delay_alu instid0(VALU_DEP_1)
	v_lshl_add_u64 v[6:7], v[6:7], 2, s[34:35]
	global_load_b32 v23, v[6:7], off
	s_wait_loadcnt 0x0
	v_cmp_lt_i32_e32 vcc_lo, -1, v23
	v_cndmask_b32_e64 v6, -1, 0x80000000, vcc_lo
	v_cmp_o_f32_e32 vcc_lo, v23, v23
	s_delay_alu instid0(VALU_DEP_2) | instskip(NEXT) | instid1(VALU_DEP_1)
	v_xor_b32_e32 v6, v6, v23
	v_cndmask_b32_e32 v6, -1, v6, vcc_lo
	s_delay_alu instid0(VALU_DEP_1) | instskip(NEXT) | instid1(VALU_DEP_1)
	v_and_b32_e32 v6, v6, v11
	v_cmp_eq_u32_e32 vcc_lo, v6, v10
	s_and_b32 exec_lo, exec_lo, vcc_lo
	s_cbranch_execz .LBB198_211
; %bb.216:                              ;   in Loop: Header=BB198_214 Depth=2
	ds_store_b64 v3, v[22:23] offset:3072
	s_branch .LBB198_211
.LBB198_217:                            ;   in Loop: Header=BB198_214 Depth=2
	s_mov_b32 s22, -1
	s_mov_b32 s21, -1
                                        ; implicit-def: $vgpr4_vgpr5
	s_branch .LBB198_213
.LBB198_218:                            ;   in Loop: Header=BB198_18 Depth=1
	s_or_b32 exec_lo, exec_lo, s8
	s_delay_alu instid0(SALU_CYCLE_1) | instskip(SKIP_1) | instid1(SALU_CYCLE_1)
	s_and_not1_b32 s4, s4, exec_lo
	s_and_b32 s8, s20, exec_lo
	s_or_b32 s4, s4, s8
.LBB198_219:                            ;   in Loop: Header=BB198_18 Depth=1
	s_or_b32 exec_lo, exec_lo, s7
	s_mov_b32 s92, 0
	s_mov_b32 s93, -1
.LBB198_220:                            ;   in Loop: Header=BB198_18 Depth=1
	s_or_not1_b32 s4, s4, exec_lo
.LBB198_221:                            ;   in Loop: Header=BB198_18 Depth=1
	s_or_b32 exec_lo, exec_lo, s94
	s_mov_b32 s7, 0
	s_and_saveexec_b32 s94, s4
	s_cbranch_execz .LBB198_285
; %bb.222:                              ;   in Loop: Header=BB198_18 Depth=1
	v_mov_b64_e32 v[4:5], 1
	v_mov_b32_e32 v2, 1
	s_xor_b32 s7, s95, -1
	s_mov_b32 s10, 0
	s_and_saveexec_b32 s4, s7
	s_cbranch_execz .LBB198_231
; %bb.223:                              ;   in Loop: Header=BB198_18 Depth=1
	s_mov_b32 s7, exec_lo
	v_cmpx_ge_u64_e64 s[16:17], v[8:9]
	s_xor_b32 s7, exec_lo, s7
	s_cbranch_execz .LBB198_228
; %bb.224:                              ;   in Loop: Header=BB198_18 Depth=1
	ds_load_b64 v[4:5], v3 offset:5120
	s_lshl_b32 s8, 2, s69
	v_or_b32_e32 v11, s24, v11
	v_and_or_b32 v10, v10, s25, s8
	s_wait_dscnt 0x0
	v_cmp_ne_u64_e32 vcc_lo, 0, v[4:5]
	s_cbranch_vccnz .LBB198_228
; %bb.225:                              ;   in Loop: Header=BB198_18 Depth=1
	s_and_saveexec_b32 s8, s5
; %bb.226:                              ;   in Loop: Header=BB198_18 Depth=1
	v_mov_b64_e32 v[4:5], s[16:17]
	ds_store_b64 v3, v[4:5] offset:5128
; %bb.227:                              ;   in Loop: Header=BB198_18 Depth=1
	s_or_b32 exec_lo, exec_lo, s8
	s_wait_dscnt 0x0
	s_barrier_signal -1
	s_barrier_wait -1
.LBB198_228:                            ;   in Loop: Header=BB198_18 Depth=1
	s_or_saveexec_b32 s7, s7
	v_mov_b32_e32 v2, 8
	s_mov_b32 s8, 0
	s_xor_b32 exec_lo, exec_lo, s7
; %bb.229:                              ;   in Loop: Header=BB198_18 Depth=1
	v_sub_nc_u64_e64 v[8:9], v[8:9], s[16:17]
	v_mov_b32_e32 v2, 0
	s_mov_b32 s8, exec_lo
; %bb.230:                              ;   in Loop: Header=BB198_18 Depth=1
	s_or_b32 exec_lo, exec_lo, s7
	s_delay_alu instid0(VALU_DEP_2)
	v_mov_b64_e32 v[4:5], v[8:9]
	s_and_b32 s10, s8, exec_lo
.LBB198_231:                            ;   in Loop: Header=BB198_18 Depth=1
	s_or_b32 exec_lo, exec_lo, s4
	s_mov_b32 s7, -1
                                        ; implicit-def: $sgpr4
                                        ; implicit-def: $sgpr8
	s_and_saveexec_b32 s95, s10
	s_cbranch_execz .LBB198_284
; %bb.232:                              ;   in Loop: Header=BB198_18 Depth=1
	s_delay_alu instid0(VALU_DEP_1) | instskip(SKIP_3) | instid1(SALU_CYCLE_1)
	v_cmp_eq_u64_e32 vcc_lo, 1, v[4:5]
	s_cmp_eq_u64 s[18:19], 1
	s_mov_b32 s10, -1
	s_cselect_b32 s4, -1, 0
                                        ; implicit-def: $sgpr8
	s_and_b32 s96, s4, vcc_lo
                                        ; implicit-def: $sgpr4
	s_delay_alu instid0(SALU_CYCLE_1)
	s_and_saveexec_b32 s97, s96
	s_cbranch_execz .LBB198_272
; %bb.233:                              ;   in Loop: Header=BB198_18 Depth=1
	ds_load_b64 v[6:7], v3 offset:5120
	s_wait_dscnt 0x0
	s_barrier_signal -1
	s_barrier_wait -1
	v_readfirstlane_b32 s10, v6
	v_readfirstlane_b32 s11, v7
	s_and_saveexec_b32 s4, s6
; %bb.234:                              ;   in Loop: Header=BB198_18 Depth=1
	ds_store_b32 v32, v3
; %bb.235:                              ;   in Loop: Header=BB198_18 Depth=1
	s_or_b32 exec_lo, exec_lo, s4
	v_or_b32_e32 v10, s24, v10
	v_or_b32_e32 v11, s24, v11
	s_mov_b32 s8, -1
	s_mov_b32 s4, 0
	s_cmp_eq_u64 s[10:11], 0
	s_mov_b32 s7, 0
	s_mov_b32 s22, -1
	s_wait_dscnt 0x0
	s_barrier_signal -1
	s_barrier_wait -1
                                        ; implicit-def: $vgpr7
	s_cbranch_scc1 .LBB198_254
; %bb.236:                              ;   in Loop: Header=BB198_18 Depth=1
	s_add_nc_u64 s[20:21], s[10:11], s[74:75]
	v_writelane_b32 v45, s66, 16
	s_and_b64 s[22:23], s[20:21], 0xffffffff00000000
	s_mov_b64 s[66:67], s[60:61]
	s_mov_b64 s[60:61], s[64:65]
	s_cmp_lg_u64 s[22:23], 0
	s_cbranch_scc0 .LBB198_240
; %bb.237:                              ;   in Loop: Header=BB198_18 Depth=1
	s_cvt_f32_u32 s7, s56
	s_sub_nc_u64 s[62:63], 0, s[56:57]
	s_delay_alu instid0(SALU_CYCLE_2) | instskip(NEXT) | instid1(SALU_CYCLE_3)
	s_fmamk_f32 s7, s68, 0x0, s7
	v_s_rcp_f32 s7, s7
	s_delay_alu instid0(TRANS32_DEP_1) | instskip(NEXT) | instid1(SALU_CYCLE_3)
	s_mul_f32 s7, s7, 0x5f7ffffc
	s_mul_f32 s22, s7, 0x2f800000
	s_delay_alu instid0(SALU_CYCLE_3) | instskip(NEXT) | instid1(SALU_CYCLE_3)
	s_trunc_f32 s22, s22
	s_fmamk_f32 s7, s22, 0xcf800000, s7
	s_cvt_u32_f32 s23, s22
	s_delay_alu instid0(SALU_CYCLE_2) | instskip(NEXT) | instid1(SALU_CYCLE_3)
	s_cvt_u32_f32 s22, s7
	s_mul_u64 s[64:65], s[62:63], s[22:23]
	s_delay_alu instid0(SALU_CYCLE_1)
	s_mul_hi_u32 s41, s22, s65
	s_mul_i32 s40, s22, s65
	s_mul_hi_u32 s28, s22, s64
	s_mul_i32 s43, s23, s64
	s_add_nc_u64 s[40:41], s[28:29], s[40:41]
	s_mul_hi_u32 s7, s23, s64
	s_mul_hi_u32 s64, s23, s65
	s_add_co_u32 s28, s40, s43
	s_add_co_ci_u32 s28, s41, s7
	s_mul_i32 s42, s23, s65
	s_add_co_ci_u32 s43, s64, 0
	s_delay_alu instid0(SALU_CYCLE_1) | instskip(NEXT) | instid1(SALU_CYCLE_1)
	s_add_nc_u64 s[40:41], s[28:29], s[42:43]
	s_add_co_u32 s22, s22, s40
	s_cselect_b32 s7, -1, 0
	s_delay_alu instid0(SALU_CYCLE_1) | instskip(SKIP_1) | instid1(SALU_CYCLE_1)
	s_cmp_lg_u32 s7, 0
	s_add_co_ci_u32 s23, s23, s41
	s_mul_u64 s[40:41], s[62:63], s[22:23]
	s_delay_alu instid0(SALU_CYCLE_1)
	s_mul_hi_u32 s43, s22, s41
	s_mul_i32 s42, s22, s41
	s_mul_hi_u32 s28, s22, s40
	s_mul_i32 s62, s23, s40
	s_add_nc_u64 s[42:43], s[28:29], s[42:43]
	s_mul_hi_u32 s7, s23, s40
	s_mul_hi_u32 s63, s23, s41
	s_add_co_u32 s28, s42, s62
	s_add_co_ci_u32 s28, s43, s7
	s_mul_i32 s40, s23, s41
	s_add_co_ci_u32 s41, s63, 0
	s_delay_alu instid0(SALU_CYCLE_1) | instskip(NEXT) | instid1(SALU_CYCLE_1)
	s_add_nc_u64 s[40:41], s[28:29], s[40:41]
	s_add_co_u32 s7, s22, s40
	s_cselect_b32 s22, -1, 0
	s_mul_hi_u32 s28, s20, s7
	s_cmp_lg_u32 s22, 0
	s_mul_hi_u32 s42, s21, s7
	s_add_co_ci_u32 s40, s23, s41
	s_mul_i32 s7, s21, s7
	s_mul_hi_u32 s23, s20, s40
	s_mul_i32 s22, s20, s40
	s_mul_hi_u32 s41, s21, s40
	s_add_nc_u64 s[22:23], s[28:29], s[22:23]
	s_mul_i32 s40, s21, s40
	s_add_co_u32 s7, s22, s7
	s_add_co_ci_u32 s28, s23, s42
	s_add_co_ci_u32 s41, s41, 0
	s_delay_alu instid0(SALU_CYCLE_1) | instskip(NEXT) | instid1(SALU_CYCLE_1)
	s_add_nc_u64 s[22:23], s[28:29], s[40:41]
	s_and_b64 s[40:41], s[22:23], 0xffffffff00000000
	s_delay_alu instid0(SALU_CYCLE_1) | instskip(NEXT) | instid1(SALU_CYCLE_1)
	s_or_b32 s40, s40, s22
	s_mul_u64 s[22:23], s[56:57], s[40:41]
	s_delay_alu instid0(SALU_CYCLE_1) | instskip(SKIP_1) | instid1(SALU_CYCLE_1)
	s_sub_co_u32 s7, s20, s22
	s_cselect_b32 s22, -1, 0
	s_cmp_lg_u32 s22, 0
	s_sub_co_ci_u32 s22, s21, s23
	s_sub_co_u32 s23, s7, s56
	s_cselect_b32 s28, -1, 0
	s_delay_alu instid0(SALU_CYCLE_1) | instskip(SKIP_3) | instid1(SALU_CYCLE_1)
	s_cmp_lg_u32 s28, 0
	s_sub_co_ci_u32 s28, s22, 0
	s_sub_co_u32 s40, s23, s56
	s_cselect_b32 s41, -1, 0
	s_cmp_lg_u32 s41, 0
	s_sub_co_ci_u32 s41, s28, 0
	s_cmp_ge_u32 s23, s56
	s_cselect_b32 s42, -1, 0
	s_cmp_eq_u32 s28, 0
	s_cselect_b32 s42, s42, -1
	s_delay_alu instid0(SALU_CYCLE_1)
	s_cmp_lg_u32 s42, 0
	s_cselect_b32 s28, s41, s28
	s_cselect_b32 s40, s40, s23
	s_cmp_ge_u32 s7, s56
	s_cselect_b32 s23, -1, 0
	s_cmp_eq_u32 s22, 0
	s_cselect_b32 s23, s23, -1
	s_delay_alu instid0(SALU_CYCLE_1)
	s_cmp_lg_u32 s23, 0
	s_cselect_b32 s23, s28, s22
	s_cselect_b32 s22, s40, s7
	s_mov_b32 s7, 0
	s_branch .LBB198_241
.LBB198_238:                            ;   in Loop: Header=BB198_18 Depth=1
                                        ; implicit-def: $sgpr22_sgpr23
	s_branch .LBB198_191
.LBB198_239:                            ;   in Loop: Header=BB198_18 Depth=1
                                        ; implicit-def: $sgpr10_sgpr11
	s_branch .LBB198_208
.LBB198_240:                            ;   in Loop: Header=BB198_18 Depth=1
	s_mov_b32 s7, -1
                                        ; implicit-def: $sgpr22_sgpr23
.LBB198_241:                            ;   in Loop: Header=BB198_18 Depth=1
	s_delay_alu instid0(SALU_CYCLE_1)
	s_and_not1_b32 vcc_lo, exec_lo, s7
	s_cbranch_vccnz .LBB198_243
; %bb.242:                              ;   in Loop: Header=BB198_18 Depth=1
	v_cvt_f32_u32_e32 v6, s56
	s_sub_co_i32 s22, 0, s56
	s_delay_alu instid0(VALU_DEP_1) | instskip(SKIP_1) | instid1(TRANS32_DEP_1)
	v_rcp_iflag_f32_e32 v6, v6
	v_nop
	v_mul_f32_e32 v6, 0x4f7ffffe, v6
	s_delay_alu instid0(VALU_DEP_1) | instskip(NEXT) | instid1(VALU_DEP_1)
	v_cvt_u32_f32_e32 v6, v6
	v_readfirstlane_b32 s7, v6
	s_mul_i32 s22, s22, s7
	s_delay_alu instid0(SALU_CYCLE_1) | instskip(NEXT) | instid1(SALU_CYCLE_1)
	s_mul_hi_u32 s22, s7, s22
	s_add_co_i32 s7, s7, s22
	s_delay_alu instid0(SALU_CYCLE_1) | instskip(NEXT) | instid1(SALU_CYCLE_1)
	s_mul_hi_u32 s7, s20, s7
	s_mul_i32 s7, s7, s56
	s_delay_alu instid0(SALU_CYCLE_1) | instskip(NEXT) | instid1(SALU_CYCLE_1)
	s_sub_co_i32 s7, s20, s7
	s_sub_co_i32 s22, s7, s56
	s_cmp_ge_u32 s7, s56
	s_cselect_b32 s7, s22, s7
	s_delay_alu instid0(SALU_CYCLE_1) | instskip(SKIP_2) | instid1(SALU_CYCLE_1)
	s_sub_co_i32 s22, s7, s56
	s_cmp_ge_u32 s7, s56
	s_cselect_b32 s28, s22, s7
	s_mov_b64 s[22:23], s[28:29]
.LBB198_243:                            ;   in Loop: Header=BB198_18 Depth=1
	s_delay_alu instid0(SALU_CYCLE_1)
	s_sub_nc_u64 s[20:21], s[20:21], s[22:23]
	s_mov_b32 s22, 0
	s_mov_b32 s7, 0
	s_mov_b32 s23, exec_lo
                                        ; implicit-def: $vgpr7
	v_cmpx_gt_u64_e64 s[20:21], v[0:1]
	s_mov_b64 s[64:65], s[60:61]
	s_mov_b64 s[60:61], s[66:67]
	v_readlane_b32 s66, v45, 16
	s_cbranch_execz .LBB198_253
; %bb.244:                              ;   in Loop: Header=BB198_18 Depth=1
	v_mov_b64_e32 v[8:9], v[0:1]
	v_mov_b32_e32 v24, v16
                                        ; implicit-def: $sgpr28
	s_branch .LBB198_248
.LBB198_245:                            ;   in Loop: Header=BB198_248 Depth=2
	s_or_b32 exec_lo, exec_lo, s62
	s_wait_dscnt 0x0
	s_barrier_signal -1
	s_barrier_wait -1
	ds_load_b64 v[6:7], v3 offset:3072
	s_wait_dscnt 0x0
	s_barrier_signal -1
	s_barrier_wait -1
	v_cmp_neq_f32_e32 vcc_lo, 0, v6
	s_cbranch_vccnz .LBB198_251
; %bb.246:                              ;   in Loop: Header=BB198_248 Depth=2
	v_add_nc_u64_e32 v[8:9], s[56:57], v[8:9]
	v_add_nc_u32_e32 v24, vcc_hi, v24
	s_mov_b32 s62, 0
	s_delay_alu instid0(VALU_DEP_2)
	v_cmp_le_u64_e32 vcc_lo, s[20:21], v[8:9]
	s_or_not1_b32 s63, vcc_lo, exec_lo
.LBB198_247:                            ;   in Loop: Header=BB198_248 Depth=2
	s_delay_alu instid0(SALU_CYCLE_1) | instskip(NEXT) | instid1(SALU_CYCLE_1)
	s_and_b32 s40, exec_lo, s63
	s_or_b32 s7, s40, s7
	s_and_not1_b32 s28, s28, exec_lo
	s_and_b32 s40, s62, exec_lo
	s_delay_alu instid0(SALU_CYCLE_1)
	s_or_b32 s28, s28, s40
	s_and_not1_b32 exec_lo, exec_lo, s7
	s_cbranch_execz .LBB198_252
.LBB198_248:                            ;   Parent Loop BB198_18 Depth=1
                                        ; =>  This Inner Loop Header: Depth=2
	s_mov_b32 s62, exec_lo
	s_delay_alu instid0(VALU_DEP_2)
	v_cmpx_gt_u64_e64 s[10:11], v[8:9]
	s_cbranch_execz .LBB198_245
; %bb.249:                              ;   in Loop: Header=BB198_248 Depth=2
	ds_load_b32 v23, v24
	s_wait_dscnt 0x0
	v_cmp_lt_i32_e32 vcc_lo, -1, v23
	v_cndmask_b32_e64 v6, -1, 0x80000000, vcc_lo
	v_cmp_o_f32_e32 vcc_lo, v23, v23
	s_delay_alu instid0(VALU_DEP_2) | instskip(NEXT) | instid1(VALU_DEP_1)
	v_xor_b32_e32 v6, v6, v23
	v_cndmask_b32_e32 v6, -1, v6, vcc_lo
	s_delay_alu instid0(VALU_DEP_1) | instskip(NEXT) | instid1(VALU_DEP_1)
	v_and_b32_e32 v6, v6, v11
	v_cmp_eq_u32_e32 vcc_lo, v6, v10
	s_and_b32 exec_lo, exec_lo, vcc_lo
	s_cbranch_execz .LBB198_245
; %bb.250:                              ;   in Loop: Header=BB198_248 Depth=2
	ds_store_b64 v3, v[22:23] offset:3072
	s_branch .LBB198_245
.LBB198_251:                            ;   in Loop: Header=BB198_248 Depth=2
	s_mov_b32 s63, -1
	s_mov_b32 s62, -1
                                        ; implicit-def: $vgpr8_vgpr9
                                        ; implicit-def: $vgpr24
	s_branch .LBB198_247
.LBB198_252:                            ;   in Loop: Header=BB198_18 Depth=1
	s_or_b32 exec_lo, exec_lo, s7
	s_delay_alu instid0(SALU_CYCLE_1)
	s_and_b32 s7, s28, exec_lo
.LBB198_253:                            ;   in Loop: Header=BB198_18 Depth=1
	s_or_b32 exec_lo, exec_lo, s23
.LBB198_254:                            ;   in Loop: Header=BB198_18 Depth=1
	s_delay_alu instid0(SALU_CYCLE_1)
	s_and_b32 vcc_lo, exec_lo, s22
	s_cbranch_vccz .LBB198_271
; %bb.255:                              ;   in Loop: Header=BB198_18 Depth=1
	s_and_b64 s[10:11], s[76:77], 0xffffffff00000000
	s_delay_alu instid0(SALU_CYCLE_1)
	s_cmp_lg_u64 s[10:11], 0
	s_cbranch_scc0 .LBB198_257
; %bb.256:                              ;   in Loop: Header=BB198_18 Depth=1
	s_cvt_f32_u32 s4, s56
	s_sub_nc_u64 s[20:21], 0, s[56:57]
	s_delay_alu instid0(SALU_CYCLE_2) | instskip(NEXT) | instid1(SALU_CYCLE_3)
	s_fmamk_f32 s4, s68, 0x0, s4
	v_s_rcp_f32 s4, s4
	s_delay_alu instid0(TRANS32_DEP_1) | instskip(NEXT) | instid1(SALU_CYCLE_3)
	s_mul_f32 s4, s4, 0x5f7ffffc
	s_mul_f32 s8, s4, 0x2f800000
	s_delay_alu instid0(SALU_CYCLE_3) | instskip(NEXT) | instid1(SALU_CYCLE_3)
	s_trunc_f32 s8, s8
	s_fmamk_f32 s4, s8, 0xcf800000, s4
	s_cvt_u32_f32 s11, s8
	s_delay_alu instid0(SALU_CYCLE_2) | instskip(NEXT) | instid1(SALU_CYCLE_3)
	s_cvt_u32_f32 s10, s4
	s_mul_u64 s[22:23], s[20:21], s[10:11]
	s_delay_alu instid0(SALU_CYCLE_1)
	s_mul_hi_u32 s41, s10, s23
	s_mul_i32 s40, s10, s23
	s_mul_hi_u32 s28, s10, s22
	s_mul_i32 s8, s11, s22
	s_add_nc_u64 s[40:41], s[28:29], s[40:41]
	s_mul_hi_u32 s4, s11, s22
	s_mul_hi_u32 s42, s11, s23
	s_add_co_u32 s8, s40, s8
	s_add_co_ci_u32 s28, s41, s4
	s_mul_i32 s22, s11, s23
	s_add_co_ci_u32 s23, s42, 0
	s_delay_alu instid0(SALU_CYCLE_1) | instskip(NEXT) | instid1(SALU_CYCLE_1)
	s_add_nc_u64 s[22:23], s[28:29], s[22:23]
	s_add_co_u32 s10, s10, s22
	s_cselect_b32 s4, -1, 0
	s_delay_alu instid0(SALU_CYCLE_1) | instskip(SKIP_1) | instid1(SALU_CYCLE_1)
	s_cmp_lg_u32 s4, 0
	s_add_co_ci_u32 s11, s11, s23
	s_mul_u64 s[20:21], s[20:21], s[10:11]
	s_delay_alu instid0(SALU_CYCLE_1)
	s_mul_hi_u32 s23, s10, s21
	s_mul_i32 s22, s10, s21
	s_mul_hi_u32 s28, s10, s20
	s_mul_i32 s8, s11, s20
	s_add_nc_u64 s[22:23], s[28:29], s[22:23]
	s_mul_hi_u32 s4, s11, s20
	s_mul_hi_u32 s40, s11, s21
	s_add_co_u32 s8, s22, s8
	s_add_co_ci_u32 s28, s23, s4
	s_mul_i32 s20, s11, s21
	s_add_co_ci_u32 s21, s40, 0
	s_delay_alu instid0(SALU_CYCLE_1) | instskip(NEXT) | instid1(SALU_CYCLE_1)
	s_add_nc_u64 s[20:21], s[28:29], s[20:21]
	s_add_co_u32 s4, s10, s20
	s_cselect_b32 s8, -1, 0
	s_mul_hi_u32 s28, s76, s4
	s_cmp_lg_u32 s8, 0
	s_mul_hi_u32 s8, s77, s4
	s_add_co_ci_u32 s20, s11, s21
	s_mul_i32 s4, s77, s4
	s_mul_hi_u32 s11, s76, s20
	s_mul_i32 s10, s76, s20
	s_mul_hi_u32 s21, s77, s20
	s_add_nc_u64 s[10:11], s[28:29], s[10:11]
	s_mul_i32 s20, s77, s20
	s_add_co_u32 s4, s10, s4
	s_add_co_ci_u32 s28, s11, s8
	s_add_co_ci_u32 s21, s21, 0
	s_delay_alu instid0(SALU_CYCLE_1) | instskip(NEXT) | instid1(SALU_CYCLE_1)
	s_add_nc_u64 s[10:11], s[28:29], s[20:21]
	s_and_b64 s[20:21], s[10:11], 0xffffffff00000000
	s_delay_alu instid0(SALU_CYCLE_1) | instskip(NEXT) | instid1(SALU_CYCLE_1)
	s_or_b32 s20, s20, s10
	s_mul_u64 s[10:11], s[56:57], s[20:21]
	s_delay_alu instid0(SALU_CYCLE_1) | instskip(SKIP_1) | instid1(SALU_CYCLE_1)
	s_sub_co_u32 s4, s76, s10
	s_cselect_b32 s8, -1, 0
	s_cmp_lg_u32 s8, 0
	s_sub_co_ci_u32 s8, s77, s11
	s_sub_co_u32 s10, s4, s56
	s_cselect_b32 s11, -1, 0
	s_delay_alu instid0(SALU_CYCLE_1) | instskip(SKIP_3) | instid1(SALU_CYCLE_1)
	s_cmp_lg_u32 s11, 0
	s_sub_co_ci_u32 s11, s8, 0
	s_sub_co_u32 s20, s10, s56
	s_cselect_b32 s21, -1, 0
	s_cmp_lg_u32 s21, 0
	s_sub_co_ci_u32 s21, s11, 0
	s_cmp_ge_u32 s10, s56
	s_cselect_b32 s22, -1, 0
	s_cmp_eq_u32 s11, 0
	s_cselect_b32 s22, s22, -1
	s_delay_alu instid0(SALU_CYCLE_1)
	s_cmp_lg_u32 s22, 0
	s_cselect_b32 s11, s21, s11
	s_cselect_b32 s10, s20, s10
	s_cmp_ge_u32 s4, s56
	s_cselect_b32 s20, -1, 0
	s_cmp_eq_u32 s8, 0
	s_cselect_b32 s20, s20, -1
	s_delay_alu instid0(SALU_CYCLE_1)
	s_cmp_lg_u32 s20, 0
	s_cselect_b32 s11, s11, s8
	s_cselect_b32 s10, s10, s4
	s_mov_b32 s4, 0
	s_branch .LBB198_258
.LBB198_257:                            ;   in Loop: Header=BB198_18 Depth=1
	s_mov_b32 s4, -1
                                        ; implicit-def: $sgpr10_sgpr11
.LBB198_258:                            ;   in Loop: Header=BB198_18 Depth=1
	s_delay_alu instid0(SALU_CYCLE_1)
	s_and_not1_b32 vcc_lo, exec_lo, s4
	s_cbranch_vccnz .LBB198_260
; %bb.259:                              ;   in Loop: Header=BB198_18 Depth=1
	v_cvt_f32_u32_e32 v6, s56
	s_sub_co_i32 s8, 0, s56
	s_delay_alu instid0(VALU_DEP_1) | instskip(SKIP_1) | instid1(TRANS32_DEP_1)
	v_rcp_iflag_f32_e32 v6, v6
	v_nop
	v_mul_f32_e32 v6, 0x4f7ffffe, v6
	s_delay_alu instid0(VALU_DEP_1) | instskip(NEXT) | instid1(VALU_DEP_1)
	v_cvt_u32_f32_e32 v6, v6
	v_readfirstlane_b32 s4, v6
	s_mul_i32 s8, s8, s4
	s_delay_alu instid0(SALU_CYCLE_1) | instskip(NEXT) | instid1(SALU_CYCLE_1)
	s_mul_hi_u32 s8, s4, s8
	s_add_co_i32 s4, s4, s8
	s_delay_alu instid0(SALU_CYCLE_1) | instskip(NEXT) | instid1(SALU_CYCLE_1)
	s_mul_hi_u32 s4, s76, s4
	s_mul_i32 s4, s4, s56
	s_delay_alu instid0(SALU_CYCLE_1) | instskip(NEXT) | instid1(SALU_CYCLE_1)
	s_sub_co_i32 s4, s76, s4
	s_sub_co_i32 s8, s4, s56
	s_cmp_ge_u32 s4, s56
	s_cselect_b32 s4, s8, s4
	s_delay_alu instid0(SALU_CYCLE_1) | instskip(SKIP_2) | instid1(SALU_CYCLE_1)
	s_sub_co_i32 s8, s4, s56
	s_cmp_ge_u32 s4, s56
	s_cselect_b32 s28, s8, s4
	s_mov_b64 s[10:11], s[28:29]
.LBB198_260:                            ;   in Loop: Header=BB198_18 Depth=1
	s_delay_alu instid0(SALU_CYCLE_1)
	s_sub_nc_u64 s[10:11], s[76:77], s[10:11]
	s_mov_b32 s4, exec_lo
                                        ; implicit-def: $vgpr7
	v_cmpx_gt_u64_e64 s[10:11], v[0:1]
	s_cbranch_execz .LBB198_270
; %bb.261:                              ;   in Loop: Header=BB198_18 Depth=1
	v_mov_b64_e32 v[8:9], v[0:1]
	s_mov_b32 s8, 0
                                        ; implicit-def: $sgpr20
	s_branch .LBB198_265
.LBB198_262:                            ;   in Loop: Header=BB198_265 Depth=2
	s_or_b32 exec_lo, exec_lo, s21
	s_wait_dscnt 0x0
	s_barrier_signal -1
	s_barrier_wait -1
	ds_load_b64 v[6:7], v3 offset:3072
	s_wait_dscnt 0x0
	s_barrier_signal -1
	s_barrier_wait -1
	v_cmp_eq_f32_e32 vcc_lo, 0, v6
	s_cbranch_vccz .LBB198_268
; %bb.263:                              ;   in Loop: Header=BB198_265 Depth=2
	v_add_nc_u64_e32 v[8:9], s[56:57], v[8:9]
	s_mov_b32 s21, 0
	s_delay_alu instid0(VALU_DEP_1)
	v_cmp_le_u64_e32 vcc_lo, s[10:11], v[8:9]
	s_or_not1_b32 s22, vcc_lo, exec_lo
.LBB198_264:                            ;   in Loop: Header=BB198_265 Depth=2
	s_delay_alu instid0(SALU_CYCLE_1) | instskip(NEXT) | instid1(SALU_CYCLE_1)
	s_and_b32 s22, exec_lo, s22
	s_or_b32 s8, s22, s8
	s_and_not1_b32 s20, s20, exec_lo
	s_and_b32 s21, s21, exec_lo
	s_delay_alu instid0(SALU_CYCLE_1)
	s_or_b32 s20, s20, s21
	s_and_not1_b32 exec_lo, exec_lo, s8
	s_cbranch_execz .LBB198_269
.LBB198_265:                            ;   Parent Loop BB198_18 Depth=1
                                        ; =>  This Inner Loop Header: Depth=2
	s_mov_b32 s21, exec_lo
	s_delay_alu instid0(VALU_DEP_1)
	v_cmpx_gt_u64_e64 s[36:37], v[8:9]
	s_cbranch_execz .LBB198_262
; %bb.266:                              ;   in Loop: Header=BB198_265 Depth=2
	v_mul_u64_e32 v[6:7], s[30:31], v[8:9]
	s_delay_alu instid0(VALU_DEP_1)
	v_lshl_add_u64 v[6:7], v[6:7], 2, s[34:35]
	global_load_b32 v23, v[6:7], off
	s_wait_loadcnt 0x0
	v_cmp_lt_i32_e32 vcc_lo, -1, v23
	v_cndmask_b32_e64 v6, -1, 0x80000000, vcc_lo
	v_cmp_o_f32_e32 vcc_lo, v23, v23
	s_delay_alu instid0(VALU_DEP_2) | instskip(NEXT) | instid1(VALU_DEP_1)
	v_xor_b32_e32 v6, v6, v23
	v_cndmask_b32_e32 v6, -1, v6, vcc_lo
	s_delay_alu instid0(VALU_DEP_1) | instskip(NEXT) | instid1(VALU_DEP_1)
	v_and_b32_e32 v6, v6, v11
	v_cmp_eq_u32_e32 vcc_lo, v6, v10
	s_and_b32 exec_lo, exec_lo, vcc_lo
	s_cbranch_execz .LBB198_262
; %bb.267:                              ;   in Loop: Header=BB198_265 Depth=2
	ds_store_b64 v3, v[22:23] offset:3072
	s_branch .LBB198_262
.LBB198_268:                            ;   in Loop: Header=BB198_265 Depth=2
	s_mov_b32 s22, -1
	s_mov_b32 s21, -1
                                        ; implicit-def: $vgpr8_vgpr9
	s_branch .LBB198_264
.LBB198_269:                            ;   in Loop: Header=BB198_18 Depth=1
	s_or_b32 exec_lo, exec_lo, s8
	s_delay_alu instid0(SALU_CYCLE_1) | instskip(SKIP_1) | instid1(SALU_CYCLE_1)
	s_and_not1_b32 s7, s7, exec_lo
	s_and_b32 s8, s20, exec_lo
	s_or_b32 s7, s7, s8
.LBB198_270:                            ;   in Loop: Header=BB198_18 Depth=1
	s_or_b32 exec_lo, exec_lo, s4
	s_mov_b32 s8, 0
	s_mov_b32 s4, -1
.LBB198_271:                            ;   in Loop: Header=BB198_18 Depth=1
	s_or_not1_b32 s10, s7, exec_lo
.LBB198_272:                            ;   in Loop: Header=BB198_18 Depth=1
	s_or_b32 exec_lo, exec_lo, s97
	s_mov_b32 s11, 0
	s_and_saveexec_b32 s7, s10
	s_cbranch_execz .LBB198_283
; %bb.273:                              ;   in Loop: Header=BB198_18 Depth=1
	v_mov_b64_e32 v[8:9], 1
	v_mov_b32_e32 v2, 1
	s_xor_b32 s11, s96, -1
	s_delay_alu instid0(SALU_CYCLE_1)
	s_and_saveexec_b32 s10, s11
	s_cbranch_execz .LBB198_282
; %bb.274:                              ;   in Loop: Header=BB198_18 Depth=1
	s_mov_b32 s11, exec_lo
	v_cmpx_ge_u64_e64 s[18:19], v[4:5]
	s_xor_b32 s11, exec_lo, s11
	s_cbranch_execz .LBB198_279
; %bb.275:                              ;   in Loop: Header=BB198_18 Depth=1
	ds_load_b64 v[8:9], v3 offset:5120
	v_or_b32_e32 v10, s24, v10
	v_or_b32_e32 v11, s24, v11
	s_wait_dscnt 0x0
	v_cmp_ne_u64_e32 vcc_lo, 0, v[8:9]
	s_cbranch_vccnz .LBB198_279
; %bb.276:                              ;   in Loop: Header=BB198_18 Depth=1
	s_and_saveexec_b32 s20, s5
; %bb.277:                              ;   in Loop: Header=BB198_18 Depth=1
	v_mov_b64_e32 v[8:9], s[18:19]
	ds_store_b64 v3, v[8:9] offset:5128
; %bb.278:                              ;   in Loop: Header=BB198_18 Depth=1
	s_or_b32 exec_lo, exec_lo, s20
	s_wait_dscnt 0x0
	s_barrier_signal -1
	s_barrier_wait -1
.LBB198_279:                            ;   in Loop: Header=BB198_18 Depth=1
	s_and_not1_saveexec_b32 s11, s11
; %bb.280:                              ;   in Loop: Header=BB198_18 Depth=1
	v_sub_nc_u64_e64 v[4:5], v[4:5], s[18:19]
; %bb.281:                              ;   in Loop: Header=BB198_18 Depth=1
	s_or_b32 exec_lo, exec_lo, s11
	s_delay_alu instid0(VALU_DEP_1)
	v_mov_b64_e32 v[8:9], v[4:5]
	v_mov_b32_e32 v2, 8
.LBB198_282:                            ;   in Loop: Header=BB198_18 Depth=1
	s_or_b32 exec_lo, exec_lo, s10
	s_delay_alu instid0(VALU_DEP_2)
	v_mov_b64_e32 v[4:5], v[8:9]
	s_mov_b32 s11, exec_lo
.LBB198_283:                            ;   in Loop: Header=BB198_18 Depth=1
	s_or_b32 exec_lo, exec_lo, s7
	s_delay_alu instid0(SALU_CYCLE_1)
	s_or_not1_b32 s7, s11, exec_lo
.LBB198_284:                            ;   in Loop: Header=BB198_18 Depth=1
	s_or_b32 exec_lo, exec_lo, s95
	s_delay_alu instid0(VALU_DEP_1)
	v_mov_b64_e32 v[8:9], v[4:5]
	s_and_not1_b32 s10, s93, exec_lo
	s_and_b32 s4, s4, exec_lo
	s_and_not1_b32 s11, s92, exec_lo
	s_and_b32 s8, s8, exec_lo
	s_or_b32 s93, s10, s4
	s_or_b32 s92, s11, s8
	s_and_b32 s7, s7, exec_lo
.LBB198_285:                            ;   in Loop: Header=BB198_18 Depth=1
	s_or_b32 exec_lo, exec_lo, s94
	s_delay_alu instid0(SALU_CYCLE_1)
	s_or_not1_b32 s4, s7, exec_lo
.LBB198_286:                            ;   in Loop: Header=BB198_18 Depth=1
	s_or_b32 exec_lo, exec_lo, s91
	v_mov_b64_e32 v[4:5], v[8:9]
	s_and_not1_b32 s7, s89, exec_lo
	s_and_b32 s8, s93, exec_lo
	s_and_not1_b32 s10, s84, exec_lo
	s_and_b32 s11, s92, exec_lo
	s_or_b32 s89, s7, s8
	s_or_b32 s84, s10, s11
	s_and_b32 s7, s4, exec_lo
.LBB198_287:                            ;   in Loop: Header=BB198_18 Depth=1
	s_or_b32 exec_lo, exec_lo, s90
	s_delay_alu instid0(SALU_CYCLE_1)
	s_or_not1_b32 s4, s7, exec_lo
.LBB198_288:                            ;   in Loop: Header=BB198_18 Depth=1
	s_or_b32 exec_lo, exec_lo, s27
	s_mov_b32 s7, 0
	s_mov_b32 s8, 0
	s_and_saveexec_b32 s10, s4
	s_delay_alu instid0(SALU_CYCLE_1)
	s_xor_b32 s4, exec_lo, s10
; %bb.289:                              ;   in Loop: Header=BB198_18 Depth=1
	v_cmp_ne_u32_e32 vcc_lo, 8, v2
	v_cmp_eq_u32_e64 s10, 8, v2
	s_and_b32 s8, vcc_lo, exec_lo
	s_and_b32 s7, s10, exec_lo
; %bb.290:                              ;   in Loop: Header=BB198_18 Depth=1
	s_or_b32 exec_lo, exec_lo, s4
	s_delay_alu instid0(SALU_CYCLE_1)
	s_and_not1_b32 s4, s86, exec_lo
	s_and_b32 s10, s89, exec_lo
	s_and_not1_b32 s11, s85, exec_lo
	s_and_b32 s20, s84, exec_lo
	s_or_b32 s86, s4, s10
	s_or_b32 s85, s11, s20
	s_and_b32 s27, s8, exec_lo
	s_and_b32 s84, s7, exec_lo
.LBB198_291:                            ;   in Loop: Header=BB198_18 Depth=1
	s_or_b32 exec_lo, exec_lo, s88
.LBB198_292:                            ;   in Loop: Header=BB198_18 Depth=1
	s_delay_alu instid0(SALU_CYCLE_1)
	s_and_b32 vcc_lo, exec_lo, s87
	s_cbranch_vccz .LBB198_309
; %bb.293:                              ;   in Loop: Header=BB198_18 Depth=1
	s_cmp_eq_u64 s[18:19], 1
                                        ; implicit-def: $sgpr87
                                        ; implicit-def: $sgpr26
	s_cselect_b32 s4, -1, 0
	s_delay_alu instid0(SALU_CYCLE_1)
	s_and_b32 s9, s4, s9
	s_mov_b32 s4, -1
	s_and_saveexec_b32 s85, s9
	s_cbranch_execz .LBB198_328
; %bb.294:                              ;   in Loop: Header=BB198_18 Depth=1
	ds_load_b64 v[4:5], v3 offset:5120
	s_wait_dscnt 0x0
	s_barrier_signal -1
	s_barrier_wait -1
	v_readfirstlane_b32 s10, v4
	v_readfirstlane_b32 s11, v5
	s_and_saveexec_b32 s4, s6
; %bb.295:                              ;   in Loop: Header=BB198_18 Depth=1
	ds_store_b32 v32, v3
; %bb.296:                              ;   in Loop: Header=BB198_18 Depth=1
	s_or_b32 exec_lo, exec_lo, s4
	v_or_b32_e32 v34, s24, v34
	v_or_b32_e32 v37, s24, v37
	s_mov_b32 s26, -1
	s_mov_b32 s87, 0
	s_cmp_eq_u64 s[10:11], 0
	s_mov_b32 s4, 0
	s_mov_b32 s7, -1
	s_wait_dscnt 0x0
	s_barrier_signal -1
	s_barrier_wait -1
                                        ; implicit-def: $vgpr25
	s_cbranch_scc1 .LBB198_312
; %bb.297:                              ;   in Loop: Header=BB198_18 Depth=1
	s_add_nc_u64 s[20:21], s[10:11], s[74:75]
	s_delay_alu instid0(SALU_CYCLE_1) | instskip(NEXT) | instid1(SALU_CYCLE_1)
	s_and_b64 s[22:23], s[20:21], 0xffffffff00000000
	s_cmp_lg_u64 s[22:23], 0
	s_cbranch_scc0 .LBB198_355
; %bb.298:                              ;   in Loop: Header=BB198_18 Depth=1
	s_cvt_f32_u32 s4, s56
	s_sub_nc_u64 s[62:63], 0, s[56:57]
	s_delay_alu instid0(SALU_CYCLE_2) | instskip(NEXT) | instid1(SALU_CYCLE_3)
	s_fmamk_f32 s4, s68, 0x0, s4
	v_s_rcp_f32 s4, s4
	s_delay_alu instid0(TRANS32_DEP_1) | instskip(NEXT) | instid1(SALU_CYCLE_3)
	s_mul_f32 s4, s4, 0x5f7ffffc
	s_mul_f32 s7, s4, 0x2f800000
	s_delay_alu instid0(SALU_CYCLE_3) | instskip(NEXT) | instid1(SALU_CYCLE_3)
	s_trunc_f32 s7, s7
	s_fmamk_f32 s4, s7, 0xcf800000, s4
	s_cvt_u32_f32 s23, s7
	s_delay_alu instid0(SALU_CYCLE_2) | instskip(NEXT) | instid1(SALU_CYCLE_3)
	s_cvt_u32_f32 s22, s4
	s_mul_u64 s[88:89], s[62:63], s[22:23]
	s_delay_alu instid0(SALU_CYCLE_1)
	s_mul_hi_u32 s91, s22, s89
	s_mul_i32 s90, s22, s89
	s_mul_hi_u32 s28, s22, s88
	s_mul_i32 s7, s23, s88
	s_add_nc_u64 s[90:91], s[28:29], s[90:91]
	s_mul_hi_u32 s4, s23, s88
	s_mul_hi_u32 s8, s23, s89
	s_add_co_u32 s7, s90, s7
	s_add_co_ci_u32 s28, s91, s4
	s_mul_i32 s88, s23, s89
	s_add_co_ci_u32 s89, s8, 0
	s_delay_alu instid0(SALU_CYCLE_1) | instskip(NEXT) | instid1(SALU_CYCLE_1)
	s_add_nc_u64 s[88:89], s[28:29], s[88:89]
	s_add_co_u32 s22, s22, s88
	s_cselect_b32 s4, -1, 0
	s_delay_alu instid0(SALU_CYCLE_1) | instskip(SKIP_1) | instid1(SALU_CYCLE_1)
	s_cmp_lg_u32 s4, 0
	s_add_co_ci_u32 s23, s23, s89
	s_mul_u64 s[62:63], s[62:63], s[22:23]
	s_delay_alu instid0(SALU_CYCLE_1)
	s_mul_hi_u32 s89, s22, s63
	s_mul_i32 s88, s22, s63
	s_mul_hi_u32 s28, s22, s62
	s_mul_i32 s7, s23, s62
	s_add_nc_u64 s[88:89], s[28:29], s[88:89]
	s_mul_hi_u32 s4, s23, s62
	s_mul_hi_u32 s8, s23, s63
	s_add_co_u32 s7, s88, s7
	s_add_co_ci_u32 s28, s89, s4
	s_mul_i32 s62, s23, s63
	s_add_co_ci_u32 s63, s8, 0
	s_delay_alu instid0(SALU_CYCLE_1) | instskip(NEXT) | instid1(SALU_CYCLE_1)
	s_add_nc_u64 s[62:63], s[28:29], s[62:63]
	s_add_co_u32 s4, s22, s62
	s_cselect_b32 s7, -1, 0
	s_mul_hi_u32 s28, s20, s4
	s_cmp_lg_u32 s7, 0
	s_mul_hi_u32 s7, s21, s4
	s_add_co_ci_u32 s8, s23, s63
	s_mul_i32 s4, s21, s4
	s_mul_hi_u32 s23, s20, s8
	s_mul_i32 s22, s20, s8
	s_mul_hi_u32 s40, s21, s8
	s_add_nc_u64 s[22:23], s[28:29], s[22:23]
	s_mul_i32 s62, s21, s8
	s_add_co_u32 s4, s22, s4
	s_add_co_ci_u32 s28, s23, s7
	s_add_co_ci_u32 s63, s40, 0
	s_delay_alu instid0(SALU_CYCLE_1) | instskip(NEXT) | instid1(SALU_CYCLE_1)
	s_add_nc_u64 s[22:23], s[28:29], s[62:63]
	s_and_b64 s[62:63], s[22:23], 0xffffffff00000000
	s_delay_alu instid0(SALU_CYCLE_1) | instskip(NEXT) | instid1(SALU_CYCLE_1)
	s_or_b32 s62, s62, s22
	s_mul_u64 s[22:23], s[56:57], s[62:63]
	s_delay_alu instid0(SALU_CYCLE_1) | instskip(SKIP_1) | instid1(SALU_CYCLE_1)
	s_sub_co_u32 s4, s20, s22
	s_cselect_b32 s7, -1, 0
	s_cmp_lg_u32 s7, 0
	s_sub_co_ci_u32 s7, s21, s23
	s_sub_co_u32 s8, s4, s56
	s_cselect_b32 s22, -1, 0
	s_delay_alu instid0(SALU_CYCLE_1) | instskip(SKIP_3) | instid1(SALU_CYCLE_1)
	s_cmp_lg_u32 s22, 0
	s_sub_co_ci_u32 s22, s7, 0
	s_sub_co_u32 s23, s8, s56
	s_cselect_b32 s28, -1, 0
	s_cmp_lg_u32 s28, 0
	s_sub_co_ci_u32 s28, s22, 0
	s_cmp_ge_u32 s8, s56
	s_cselect_b32 s40, -1, 0
	s_cmp_eq_u32 s22, 0
	s_cselect_b32 s40, s40, -1
	s_delay_alu instid0(SALU_CYCLE_1)
	s_cmp_lg_u32 s40, 0
	s_cselect_b32 s22, s28, s22
	s_cselect_b32 s8, s23, s8
	s_cmp_ge_u32 s4, s56
	s_cselect_b32 s23, -1, 0
	s_cmp_eq_u32 s7, 0
	s_cselect_b32 s23, s23, -1
	s_delay_alu instid0(SALU_CYCLE_1)
	s_cmp_lg_u32 s23, 0
	s_cselect_b32 s23, s22, s7
	s_cselect_b32 s22, s8, s4
	s_cbranch_execnz .LBB198_300
.LBB198_299:                            ;   in Loop: Header=BB198_18 Depth=1
	v_cvt_f32_u32_e32 v2, s56
	s_sub_co_i32 s7, 0, s56
	s_delay_alu instid0(VALU_DEP_1) | instskip(SKIP_1) | instid1(TRANS32_DEP_1)
	v_rcp_iflag_f32_e32 v2, v2
	v_nop
	v_mul_f32_e32 v2, 0x4f7ffffe, v2
	s_delay_alu instid0(VALU_DEP_1) | instskip(NEXT) | instid1(VALU_DEP_1)
	v_cvt_u32_f32_e32 v2, v2
	v_readfirstlane_b32 s4, v2
	s_mul_i32 s7, s7, s4
	s_delay_alu instid0(SALU_CYCLE_1) | instskip(NEXT) | instid1(SALU_CYCLE_1)
	s_mul_hi_u32 s7, s4, s7
	s_add_co_i32 s4, s4, s7
	s_delay_alu instid0(SALU_CYCLE_1) | instskip(NEXT) | instid1(SALU_CYCLE_1)
	s_mul_hi_u32 s4, s20, s4
	s_mul_i32 s4, s4, s56
	s_delay_alu instid0(SALU_CYCLE_1) | instskip(NEXT) | instid1(SALU_CYCLE_1)
	s_sub_co_i32 s4, s20, s4
	s_sub_co_i32 s7, s4, s56
	s_cmp_ge_u32 s4, s56
	s_cselect_b32 s4, s7, s4
	s_delay_alu instid0(SALU_CYCLE_1) | instskip(SKIP_2) | instid1(SALU_CYCLE_1)
	s_sub_co_i32 s7, s4, s56
	s_cmp_ge_u32 s4, s56
	s_cselect_b32 s28, s7, s4
	s_mov_b64 s[22:23], s[28:29]
.LBB198_300:                            ;   in Loop: Header=BB198_18 Depth=1
	s_delay_alu instid0(SALU_CYCLE_1)
	s_sub_nc_u64 s[20:21], s[20:21], s[22:23]
	s_mov_b32 s7, 0
	s_mov_b32 s4, 0
	s_mov_b32 s8, exec_lo
                                        ; implicit-def: $vgpr25
	v_cmpx_gt_u64_e64 s[20:21], v[0:1]
	s_cbranch_execz .LBB198_311
; %bb.301:                              ;   in Loop: Header=BB198_18 Depth=1
	v_mov_b64_e32 v[4:5], v[0:1]
	v_mov_b32_e32 v2, v16
                                        ; implicit-def: $sgpr22
	s_branch .LBB198_305
.LBB198_302:                            ;   in Loop: Header=BB198_305 Depth=2
	s_or_b32 exec_lo, exec_lo, s23
	s_wait_dscnt 0x0
	s_barrier_signal -1
	s_barrier_wait -1
	ds_load_b64 v[24:25], v3 offset:3072
	s_wait_dscnt 0x0
	s_barrier_signal -1
	s_barrier_wait -1
	v_cmp_neq_f32_e32 vcc_lo, 0, v24
	s_cbranch_vccnz .LBB198_308
; %bb.303:                              ;   in Loop: Header=BB198_305 Depth=2
	v_add_nc_u64_e32 v[4:5], s[56:57], v[4:5]
	v_add_nc_u32_e32 v2, vcc_hi, v2
	s_mov_b32 s23, 0
	s_delay_alu instid0(VALU_DEP_2)
	v_cmp_le_u64_e32 vcc_lo, s[20:21], v[4:5]
	s_or_not1_b32 s28, vcc_lo, exec_lo
.LBB198_304:                            ;   in Loop: Header=BB198_305 Depth=2
	s_delay_alu instid0(SALU_CYCLE_1) | instskip(NEXT) | instid1(SALU_CYCLE_1)
	s_and_b32 s28, exec_lo, s28
	s_or_b32 s4, s28, s4
	s_and_not1_b32 s22, s22, exec_lo
	s_and_b32 s23, s23, exec_lo
	s_delay_alu instid0(SALU_CYCLE_1)
	s_or_b32 s22, s22, s23
	s_and_not1_b32 exec_lo, exec_lo, s4
	s_cbranch_execz .LBB198_310
.LBB198_305:                            ;   Parent Loop BB198_18 Depth=1
                                        ; =>  This Inner Loop Header: Depth=2
	s_mov_b32 s23, exec_lo
	s_delay_alu instid0(VALU_DEP_2)
	v_cmpx_gt_u64_e64 s[10:11], v[4:5]
	s_cbranch_execz .LBB198_302
; %bb.306:                              ;   in Loop: Header=BB198_305 Depth=2
	ds_load_b32 v23, v2
	s_wait_dscnt 0x0
	v_cmp_lt_i32_e32 vcc_lo, -1, v23
	v_cndmask_b32_e64 v6, -1, 0x80000000, vcc_lo
	v_cmp_o_f32_e32 vcc_lo, v23, v23
	s_delay_alu instid0(VALU_DEP_2) | instskip(NEXT) | instid1(VALU_DEP_1)
	v_xor_b32_e32 v6, v6, v23
	v_cndmask_b32_e32 v6, -1, v6, vcc_lo
	s_delay_alu instid0(VALU_DEP_1) | instskip(NEXT) | instid1(VALU_DEP_1)
	v_and_b32_e32 v6, v6, v37
	v_cmp_eq_u32_e32 vcc_lo, v6, v34
	s_and_b32 exec_lo, exec_lo, vcc_lo
	s_cbranch_execz .LBB198_302
; %bb.307:                              ;   in Loop: Header=BB198_305 Depth=2
	ds_store_b64 v3, v[22:23] offset:3072
	s_branch .LBB198_302
.LBB198_308:                            ;   in Loop: Header=BB198_305 Depth=2
	s_mov_b32 s28, -1
	s_mov_b32 s23, -1
                                        ; implicit-def: $vgpr4_vgpr5
                                        ; implicit-def: $vgpr2
	s_branch .LBB198_304
.LBB198_309:                            ;   in Loop: Header=BB198_18 Depth=1
	v_dual_mov_b32 v34, v10 :: v_dual_mov_b32 v37, v11
	v_mov_b32_e32 v25, v7
	s_mov_b32 s87, 0
	s_and_saveexec_b32 s4, s84
	s_cbranch_execnz .LBB198_493
	s_branch .LBB198_494
.LBB198_310:                            ;   in Loop: Header=BB198_18 Depth=1
	s_or_b32 exec_lo, exec_lo, s4
	s_delay_alu instid0(SALU_CYCLE_1)
	s_and_b32 s4, s22, exec_lo
.LBB198_311:                            ;   in Loop: Header=BB198_18 Depth=1
	s_or_b32 exec_lo, exec_lo, s8
.LBB198_312:                            ;   in Loop: Header=BB198_18 Depth=1
	s_delay_alu instid0(SALU_CYCLE_1)
	s_and_b32 vcc_lo, exec_lo, s7
	s_cbranch_vccz .LBB198_327
; %bb.313:                              ;   in Loop: Header=BB198_18 Depth=1
	s_and_b64 s[10:11], s[76:77], 0xffffffff00000000
	s_delay_alu instid0(SALU_CYCLE_1)
	s_cmp_lg_u64 s[10:11], 0
	s_cbranch_scc0 .LBB198_356
; %bb.314:                              ;   in Loop: Header=BB198_18 Depth=1
	s_cvt_f32_u32 s7, s56
	s_sub_nc_u64 s[20:21], 0, s[56:57]
	s_delay_alu instid0(SALU_CYCLE_2) | instskip(NEXT) | instid1(SALU_CYCLE_3)
	s_fmamk_f32 s7, s68, 0x0, s7
	v_s_rcp_f32 s7, s7
	s_delay_alu instid0(TRANS32_DEP_1) | instskip(NEXT) | instid1(SALU_CYCLE_3)
	s_mul_f32 s7, s7, 0x5f7ffffc
	s_mul_f32 s8, s7, 0x2f800000
	s_delay_alu instid0(SALU_CYCLE_3) | instskip(NEXT) | instid1(SALU_CYCLE_3)
	s_trunc_f32 s8, s8
	s_fmamk_f32 s7, s8, 0xcf800000, s7
	s_cvt_u32_f32 s11, s8
	s_delay_alu instid0(SALU_CYCLE_2) | instskip(NEXT) | instid1(SALU_CYCLE_3)
	s_cvt_u32_f32 s10, s7
	s_mul_u64 s[22:23], s[20:21], s[10:11]
	s_delay_alu instid0(SALU_CYCLE_1)
	s_mul_hi_u32 s63, s10, s23
	s_mul_i32 s62, s10, s23
	s_mul_hi_u32 s28, s10, s22
	s_mul_i32 s8, s11, s22
	s_add_nc_u64 s[62:63], s[28:29], s[62:63]
	s_mul_hi_u32 s7, s11, s22
	s_mul_hi_u32 s26, s11, s23
	s_add_co_u32 s8, s62, s8
	s_add_co_ci_u32 s28, s63, s7
	s_mul_i32 s22, s11, s23
	s_add_co_ci_u32 s23, s26, 0
	s_delay_alu instid0(SALU_CYCLE_1) | instskip(NEXT) | instid1(SALU_CYCLE_1)
	s_add_nc_u64 s[22:23], s[28:29], s[22:23]
	s_add_co_u32 s10, s10, s22
	s_cselect_b32 s7, -1, 0
	s_delay_alu instid0(SALU_CYCLE_1) | instskip(SKIP_1) | instid1(SALU_CYCLE_1)
	s_cmp_lg_u32 s7, 0
	s_add_co_ci_u32 s11, s11, s23
	s_mul_u64 s[20:21], s[20:21], s[10:11]
	s_delay_alu instid0(SALU_CYCLE_1)
	s_mul_hi_u32 s23, s10, s21
	s_mul_i32 s22, s10, s21
	s_mul_hi_u32 s28, s10, s20
	s_mul_i32 s8, s11, s20
	s_add_nc_u64 s[22:23], s[28:29], s[22:23]
	s_mul_hi_u32 s7, s11, s20
	s_mul_hi_u32 s26, s11, s21
	s_add_co_u32 s8, s22, s8
	s_add_co_ci_u32 s28, s23, s7
	s_mul_i32 s20, s11, s21
	s_add_co_ci_u32 s21, s26, 0
	s_delay_alu instid0(SALU_CYCLE_1) | instskip(NEXT) | instid1(SALU_CYCLE_1)
	s_add_nc_u64 s[20:21], s[28:29], s[20:21]
	s_add_co_u32 s7, s10, s20
	s_cselect_b32 s8, -1, 0
	s_mul_hi_u32 s28, s76, s7
	s_cmp_lg_u32 s8, 0
	s_mul_hi_u32 s8, s77, s7
	s_add_co_ci_u32 s20, s11, s21
	s_mul_i32 s7, s77, s7
	s_mul_hi_u32 s11, s76, s20
	s_mul_i32 s10, s76, s20
	s_mul_hi_u32 s21, s77, s20
	s_add_nc_u64 s[10:11], s[28:29], s[10:11]
	s_mul_i32 s20, s77, s20
	s_add_co_u32 s7, s10, s7
	s_add_co_ci_u32 s28, s11, s8
	s_add_co_ci_u32 s21, s21, 0
	s_delay_alu instid0(SALU_CYCLE_1) | instskip(NEXT) | instid1(SALU_CYCLE_1)
	s_add_nc_u64 s[10:11], s[28:29], s[20:21]
	s_and_b64 s[20:21], s[10:11], 0xffffffff00000000
	s_delay_alu instid0(SALU_CYCLE_1) | instskip(NEXT) | instid1(SALU_CYCLE_1)
	s_or_b32 s20, s20, s10
	s_mul_u64 s[10:11], s[56:57], s[20:21]
	s_delay_alu instid0(SALU_CYCLE_1) | instskip(SKIP_1) | instid1(SALU_CYCLE_1)
	s_sub_co_u32 s7, s76, s10
	s_cselect_b32 s8, -1, 0
	s_cmp_lg_u32 s8, 0
	s_sub_co_ci_u32 s8, s77, s11
	s_sub_co_u32 s10, s7, s56
	s_cselect_b32 s11, -1, 0
	s_delay_alu instid0(SALU_CYCLE_1) | instskip(SKIP_3) | instid1(SALU_CYCLE_1)
	s_cmp_lg_u32 s11, 0
	s_sub_co_ci_u32 s11, s8, 0
	s_sub_co_u32 s20, s10, s56
	s_cselect_b32 s21, -1, 0
	s_cmp_lg_u32 s21, 0
	s_sub_co_ci_u32 s21, s11, 0
	s_cmp_ge_u32 s10, s56
	s_cselect_b32 s22, -1, 0
	s_cmp_eq_u32 s11, 0
	s_cselect_b32 s22, s22, -1
	s_delay_alu instid0(SALU_CYCLE_1)
	s_cmp_lg_u32 s22, 0
	s_cselect_b32 s11, s21, s11
	s_cselect_b32 s10, s20, s10
	s_cmp_ge_u32 s7, s56
	s_cselect_b32 s20, -1, 0
	s_cmp_eq_u32 s8, 0
	s_cselect_b32 s20, s20, -1
	s_delay_alu instid0(SALU_CYCLE_1)
	s_cmp_lg_u32 s20, 0
	s_cselect_b32 s11, s11, s8
	s_cselect_b32 s10, s10, s7
	s_cbranch_execnz .LBB198_316
.LBB198_315:                            ;   in Loop: Header=BB198_18 Depth=1
	v_cvt_f32_u32_e32 v2, s56
	s_sub_co_i32 s8, 0, s56
	s_delay_alu instid0(VALU_DEP_1) | instskip(SKIP_1) | instid1(TRANS32_DEP_1)
	v_rcp_iflag_f32_e32 v2, v2
	v_nop
	v_mul_f32_e32 v2, 0x4f7ffffe, v2
	s_delay_alu instid0(VALU_DEP_1) | instskip(NEXT) | instid1(VALU_DEP_1)
	v_cvt_u32_f32_e32 v2, v2
	v_readfirstlane_b32 s7, v2
	s_mul_i32 s8, s8, s7
	s_delay_alu instid0(SALU_CYCLE_1) | instskip(NEXT) | instid1(SALU_CYCLE_1)
	s_mul_hi_u32 s8, s7, s8
	s_add_co_i32 s7, s7, s8
	s_delay_alu instid0(SALU_CYCLE_1) | instskip(NEXT) | instid1(SALU_CYCLE_1)
	s_mul_hi_u32 s7, s76, s7
	s_mul_i32 s7, s7, s56
	s_delay_alu instid0(SALU_CYCLE_1) | instskip(NEXT) | instid1(SALU_CYCLE_1)
	s_sub_co_i32 s7, s76, s7
	s_sub_co_i32 s8, s7, s56
	s_cmp_ge_u32 s7, s56
	s_cselect_b32 s7, s8, s7
	s_delay_alu instid0(SALU_CYCLE_1) | instskip(SKIP_2) | instid1(SALU_CYCLE_1)
	s_sub_co_i32 s8, s7, s56
	s_cmp_ge_u32 s7, s56
	s_cselect_b32 s28, s8, s7
	s_mov_b64 s[10:11], s[28:29]
.LBB198_316:                            ;   in Loop: Header=BB198_18 Depth=1
	s_delay_alu instid0(SALU_CYCLE_1)
	s_sub_nc_u64 s[10:11], s[76:77], s[10:11]
	s_mov_b32 s7, exec_lo
                                        ; implicit-def: $vgpr25
	v_cmpx_gt_u64_e64 s[10:11], v[0:1]
	s_cbranch_execz .LBB198_326
; %bb.317:                              ;   in Loop: Header=BB198_18 Depth=1
	v_mov_b64_e32 v[4:5], v[0:1]
	s_mov_b32 s8, 0
                                        ; implicit-def: $sgpr20
	s_branch .LBB198_321
.LBB198_318:                            ;   in Loop: Header=BB198_321 Depth=2
	s_or_b32 exec_lo, exec_lo, s21
	s_wait_dscnt 0x0
	s_barrier_signal -1
	s_barrier_wait -1
	ds_load_b64 v[24:25], v3 offset:3072
	s_wait_dscnt 0x0
	s_barrier_signal -1
	s_barrier_wait -1
	v_cmp_neq_f32_e32 vcc_lo, 0, v24
	s_cbranch_vccnz .LBB198_324
; %bb.319:                              ;   in Loop: Header=BB198_321 Depth=2
	v_add_nc_u64_e32 v[4:5], s[56:57], v[4:5]
	s_mov_b32 s21, 0
	s_delay_alu instid0(VALU_DEP_1)
	v_cmp_le_u64_e32 vcc_lo, s[10:11], v[4:5]
	s_or_not1_b32 s22, vcc_lo, exec_lo
.LBB198_320:                            ;   in Loop: Header=BB198_321 Depth=2
	s_delay_alu instid0(SALU_CYCLE_1) | instskip(NEXT) | instid1(SALU_CYCLE_1)
	s_and_b32 s22, exec_lo, s22
	s_or_b32 s8, s22, s8
	s_and_not1_b32 s20, s20, exec_lo
	s_and_b32 s21, s21, exec_lo
	s_delay_alu instid0(SALU_CYCLE_1)
	s_or_b32 s20, s20, s21
	s_and_not1_b32 exec_lo, exec_lo, s8
	s_cbranch_execz .LBB198_325
.LBB198_321:                            ;   Parent Loop BB198_18 Depth=1
                                        ; =>  This Inner Loop Header: Depth=2
	s_mov_b32 s21, exec_lo
	s_delay_alu instid0(VALU_DEP_1)
	v_cmpx_gt_u64_e64 s[36:37], v[4:5]
	s_cbranch_execz .LBB198_318
; %bb.322:                              ;   in Loop: Header=BB198_321 Depth=2
	v_mul_u64_e32 v[6:7], s[30:31], v[4:5]
	s_delay_alu instid0(VALU_DEP_1)
	v_lshl_add_u64 v[6:7], v[6:7], 2, s[34:35]
	global_load_b32 v23, v[6:7], off
	s_wait_loadcnt 0x0
	v_cmp_lt_i32_e32 vcc_lo, -1, v23
	v_cndmask_b32_e64 v2, -1, 0x80000000, vcc_lo
	v_cmp_o_f32_e32 vcc_lo, v23, v23
	s_delay_alu instid0(VALU_DEP_2) | instskip(NEXT) | instid1(VALU_DEP_1)
	v_xor_b32_e32 v2, v2, v23
	v_cndmask_b32_e32 v2, -1, v2, vcc_lo
	s_delay_alu instid0(VALU_DEP_1) | instskip(NEXT) | instid1(VALU_DEP_1)
	v_and_b32_e32 v2, v2, v37
	v_cmp_eq_u32_e32 vcc_lo, v2, v34
	s_and_b32 exec_lo, exec_lo, vcc_lo
	s_cbranch_execz .LBB198_318
; %bb.323:                              ;   in Loop: Header=BB198_321 Depth=2
	ds_store_b64 v3, v[22:23] offset:3072
	s_branch .LBB198_318
.LBB198_324:                            ;   in Loop: Header=BB198_321 Depth=2
	s_mov_b32 s22, -1
	s_mov_b32 s21, -1
                                        ; implicit-def: $vgpr4_vgpr5
	s_branch .LBB198_320
.LBB198_325:                            ;   in Loop: Header=BB198_18 Depth=1
	s_or_b32 exec_lo, exec_lo, s8
	s_delay_alu instid0(SALU_CYCLE_1) | instskip(SKIP_1) | instid1(SALU_CYCLE_1)
	s_and_not1_b32 s4, s4, exec_lo
	s_and_b32 s8, s20, exec_lo
	s_or_b32 s4, s4, s8
.LBB198_326:                            ;   in Loop: Header=BB198_18 Depth=1
	s_or_b32 exec_lo, exec_lo, s7
	s_mov_b32 s26, 0
	s_mov_b32 s87, -1
.LBB198_327:                            ;   in Loop: Header=BB198_18 Depth=1
	s_or_not1_b32 s4, s4, exec_lo
.LBB198_328:                            ;   in Loop: Header=BB198_18 Depth=1
	s_or_b32 exec_lo, exec_lo, s85
                                        ; implicit-def: $vgpr4_vgpr5
                                        ; implicit-def: $vgpr2
	s_and_saveexec_b32 s22, s4
	s_cbranch_execz .LBB198_492
; %bb.329:                              ;   in Loop: Header=BB198_18 Depth=1
	v_mov_b64_e32 v[4:5], 1
	v_mov_b32_e32 v2, 1
	s_xor_b32 s8, s9, -1
	s_mov_b32 s7, 0
	s_and_saveexec_b32 s4, s8
	s_cbranch_execz .LBB198_338
; %bb.330:                              ;   in Loop: Header=BB198_18 Depth=1
	s_mov_b32 s7, exec_lo
	v_cmpx_ge_u64_e64 s[18:19], v[26:27]
	s_xor_b32 s7, exec_lo, s7
	s_cbranch_execz .LBB198_335
; %bb.331:                              ;   in Loop: Header=BB198_18 Depth=1
	ds_load_b64 v[4:5], v3 offset:5120
	v_or_b32_e32 v34, s24, v34
	v_or_b32_e32 v37, s24, v37
	s_wait_dscnt 0x0
	v_cmp_ne_u64_e32 vcc_lo, 0, v[4:5]
	s_cbranch_vccnz .LBB198_335
; %bb.332:                              ;   in Loop: Header=BB198_18 Depth=1
	s_and_saveexec_b32 s8, s5
; %bb.333:                              ;   in Loop: Header=BB198_18 Depth=1
	v_mov_b64_e32 v[4:5], s[18:19]
	ds_store_b64 v3, v[4:5] offset:5128
; %bb.334:                              ;   in Loop: Header=BB198_18 Depth=1
	s_or_b32 exec_lo, exec_lo, s8
	s_wait_dscnt 0x0
	s_barrier_signal -1
	s_barrier_wait -1
.LBB198_335:                            ;   in Loop: Header=BB198_18 Depth=1
	s_or_saveexec_b32 s7, s7
	v_mov_b32_e32 v2, 5
	s_mov_b32 s8, 0
	s_xor_b32 exec_lo, exec_lo, s7
; %bb.336:                              ;   in Loop: Header=BB198_18 Depth=1
	v_sub_nc_u64_e64 v[26:27], v[26:27], s[18:19]
	v_mov_b32_e32 v2, 0
	s_mov_b32 s8, exec_lo
; %bb.337:                              ;   in Loop: Header=BB198_18 Depth=1
	s_or_b32 exec_lo, exec_lo, s7
	s_delay_alu instid0(VALU_DEP_2)
	v_mov_b64_e32 v[4:5], v[26:27]
	s_and_b32 s7, s8, exec_lo
.LBB198_338:                            ;   in Loop: Header=BB198_18 Depth=1
	s_or_b32 exec_lo, exec_lo, s4
	s_mov_b32 s4, -1
                                        ; implicit-def: $sgpr23
                                        ; implicit-def: $sgpr85
	s_and_saveexec_b32 s8, s7
	s_delay_alu instid0(SALU_CYCLE_1)
	s_xor_b32 s9, exec_lo, s8
	s_cbranch_execz .LBB198_489
; %bb.339:                              ;   in Loop: Header=BB198_18 Depth=1
	v_cmp_eq_u64_e32 vcc_lo, 1, v[4:5]
	s_cmp_eq_u64 s[16:17], 1
                                        ; implicit-def: $sgpr85
                                        ; implicit-def: $sgpr23
	s_cselect_b32 s4, -1, 0
	s_delay_alu instid0(SALU_CYCLE_1)
	s_and_b32 s86, s4, vcc_lo
	s_mov_b32 s4, -1
	s_and_saveexec_b32 s88, s86
	s_cbranch_execz .LBB198_375
; %bb.340:                              ;   in Loop: Header=BB198_18 Depth=1
	ds_load_b64 v[6:7], v3 offset:5120
	s_wait_dscnt 0x0
	s_barrier_signal -1
	s_barrier_wait -1
	v_readfirstlane_b32 s10, v6
	v_readfirstlane_b32 s11, v7
	s_and_saveexec_b32 s4, s6
; %bb.341:                              ;   in Loop: Header=BB198_18 Depth=1
	ds_store_b32 v32, v3
; %bb.342:                              ;   in Loop: Header=BB198_18 Depth=1
	s_or_b32 exec_lo, exec_lo, s4
	s_lshl_b32 s4, 2, s69
	v_or_b32_e32 v37, s24, v37
	v_and_or_b32 v34, v34, s25, s4
	s_mov_b32 s23, -1
	s_mov_b32 s85, 0
	s_cmp_eq_u64 s[10:11], 0
	s_mov_b32 s4, 0
	s_mov_b32 s7, -1
	s_wait_dscnt 0x0
	s_barrier_signal -1
	s_barrier_wait -1
                                        ; implicit-def: $vgpr25
	s_cbranch_scc1 .LBB198_359
; %bb.343:                              ;   in Loop: Header=BB198_18 Depth=1
	s_add_nc_u64 s[18:19], s[10:11], s[74:75]
	s_delay_alu instid0(SALU_CYCLE_1) | instskip(NEXT) | instid1(SALU_CYCLE_1)
	s_and_b64 s[20:21], s[18:19], 0xffffffff00000000
	s_cmp_lg_u64 s[20:21], 0
	s_cbranch_scc0 .LBB198_402
; %bb.344:                              ;   in Loop: Header=BB198_18 Depth=1
	s_cvt_f32_u32 s4, s56
	s_sub_nc_u64 s[62:63], 0, s[56:57]
	s_delay_alu instid0(SALU_CYCLE_2) | instskip(NEXT) | instid1(SALU_CYCLE_3)
	s_fmamk_f32 s4, s68, 0x0, s4
	v_s_rcp_f32 s4, s4
	s_delay_alu instid0(TRANS32_DEP_1) | instskip(NEXT) | instid1(SALU_CYCLE_3)
	s_mul_f32 s4, s4, 0x5f7ffffc
	s_mul_f32 s7, s4, 0x2f800000
	s_delay_alu instid0(SALU_CYCLE_3) | instskip(NEXT) | instid1(SALU_CYCLE_3)
	s_trunc_f32 s7, s7
	s_fmamk_f32 s4, s7, 0xcf800000, s4
	s_cvt_u32_f32 s21, s7
	s_delay_alu instid0(SALU_CYCLE_2) | instskip(NEXT) | instid1(SALU_CYCLE_3)
	s_cvt_u32_f32 s20, s4
	s_mul_u64 s[90:91], s[62:63], s[20:21]
	s_delay_alu instid0(SALU_CYCLE_1)
	s_mul_hi_u32 s93, s20, s91
	s_mul_i32 s92, s20, s91
	s_mul_hi_u32 s28, s20, s90
	s_mul_i32 s7, s21, s90
	s_add_nc_u64 s[92:93], s[28:29], s[92:93]
	s_mul_hi_u32 s4, s21, s90
	s_mul_hi_u32 s8, s21, s91
	s_add_co_u32 s7, s92, s7
	s_add_co_ci_u32 s28, s93, s4
	s_mul_i32 s90, s21, s91
	s_add_co_ci_u32 s91, s8, 0
	s_delay_alu instid0(SALU_CYCLE_1) | instskip(NEXT) | instid1(SALU_CYCLE_1)
	s_add_nc_u64 s[90:91], s[28:29], s[90:91]
	s_add_co_u32 s20, s20, s90
	s_cselect_b32 s4, -1, 0
	s_delay_alu instid0(SALU_CYCLE_1) | instskip(SKIP_1) | instid1(SALU_CYCLE_1)
	s_cmp_lg_u32 s4, 0
	s_add_co_ci_u32 s21, s21, s91
	s_mul_u64 s[62:63], s[62:63], s[20:21]
	s_delay_alu instid0(SALU_CYCLE_1)
	s_mul_hi_u32 s91, s20, s63
	s_mul_i32 s90, s20, s63
	s_mul_hi_u32 s28, s20, s62
	s_mul_i32 s7, s21, s62
	s_add_nc_u64 s[90:91], s[28:29], s[90:91]
	s_mul_hi_u32 s4, s21, s62
	s_mul_hi_u32 s8, s21, s63
	s_add_co_u32 s7, s90, s7
	s_add_co_ci_u32 s28, s91, s4
	s_mul_i32 s62, s21, s63
	s_add_co_ci_u32 s63, s8, 0
	s_delay_alu instid0(SALU_CYCLE_1) | instskip(NEXT) | instid1(SALU_CYCLE_1)
	s_add_nc_u64 s[62:63], s[28:29], s[62:63]
	s_add_co_u32 s4, s20, s62
	s_cselect_b32 s7, -1, 0
	s_mul_hi_u32 s28, s18, s4
	s_cmp_lg_u32 s7, 0
	s_mul_hi_u32 s7, s19, s4
	s_add_co_ci_u32 s8, s21, s63
	s_mul_i32 s4, s19, s4
	s_mul_hi_u32 s21, s18, s8
	s_mul_i32 s20, s18, s8
	s_mul_hi_u32 s40, s19, s8
	s_add_nc_u64 s[20:21], s[28:29], s[20:21]
	s_mul_i32 s62, s19, s8
	s_add_co_u32 s4, s20, s4
	s_add_co_ci_u32 s28, s21, s7
	s_add_co_ci_u32 s63, s40, 0
	s_delay_alu instid0(SALU_CYCLE_1) | instskip(NEXT) | instid1(SALU_CYCLE_1)
	s_add_nc_u64 s[20:21], s[28:29], s[62:63]
	s_and_b64 s[62:63], s[20:21], 0xffffffff00000000
	s_delay_alu instid0(SALU_CYCLE_1) | instskip(NEXT) | instid1(SALU_CYCLE_1)
	s_or_b32 s62, s62, s20
	s_mul_u64 s[20:21], s[56:57], s[62:63]
	s_delay_alu instid0(SALU_CYCLE_1) | instskip(SKIP_1) | instid1(SALU_CYCLE_1)
	s_sub_co_u32 s4, s18, s20
	s_cselect_b32 s7, -1, 0
	s_cmp_lg_u32 s7, 0
	s_sub_co_ci_u32 s7, s19, s21
	s_sub_co_u32 s8, s4, s56
	s_cselect_b32 s20, -1, 0
	s_delay_alu instid0(SALU_CYCLE_1) | instskip(SKIP_3) | instid1(SALU_CYCLE_1)
	s_cmp_lg_u32 s20, 0
	s_sub_co_ci_u32 s20, s7, 0
	s_sub_co_u32 s21, s8, s56
	s_cselect_b32 s28, -1, 0
	s_cmp_lg_u32 s28, 0
	s_sub_co_ci_u32 s28, s20, 0
	s_cmp_ge_u32 s8, s56
	s_cselect_b32 s40, -1, 0
	s_cmp_eq_u32 s20, 0
	s_cselect_b32 s40, s40, -1
	s_delay_alu instid0(SALU_CYCLE_1)
	s_cmp_lg_u32 s40, 0
	s_cselect_b32 s20, s28, s20
	s_cselect_b32 s8, s21, s8
	s_cmp_ge_u32 s4, s56
	s_cselect_b32 s21, -1, 0
	s_cmp_eq_u32 s7, 0
	s_cselect_b32 s21, s21, -1
	s_delay_alu instid0(SALU_CYCLE_1)
	s_cmp_lg_u32 s21, 0
	s_cselect_b32 s21, s20, s7
	s_cselect_b32 s20, s8, s4
	s_cbranch_execnz .LBB198_346
.LBB198_345:                            ;   in Loop: Header=BB198_18 Depth=1
	v_cvt_f32_u32_e32 v6, s56
	s_sub_co_i32 s7, 0, s56
	s_delay_alu instid0(VALU_DEP_1) | instskip(SKIP_1) | instid1(TRANS32_DEP_1)
	v_rcp_iflag_f32_e32 v6, v6
	v_nop
	v_mul_f32_e32 v6, 0x4f7ffffe, v6
	s_delay_alu instid0(VALU_DEP_1) | instskip(NEXT) | instid1(VALU_DEP_1)
	v_cvt_u32_f32_e32 v6, v6
	v_readfirstlane_b32 s4, v6
	s_mul_i32 s7, s7, s4
	s_delay_alu instid0(SALU_CYCLE_1) | instskip(NEXT) | instid1(SALU_CYCLE_1)
	s_mul_hi_u32 s7, s4, s7
	s_add_co_i32 s4, s4, s7
	s_delay_alu instid0(SALU_CYCLE_1) | instskip(NEXT) | instid1(SALU_CYCLE_1)
	s_mul_hi_u32 s4, s18, s4
	s_mul_i32 s4, s4, s56
	s_delay_alu instid0(SALU_CYCLE_1) | instskip(NEXT) | instid1(SALU_CYCLE_1)
	s_sub_co_i32 s4, s18, s4
	s_sub_co_i32 s7, s4, s56
	s_cmp_ge_u32 s4, s56
	s_cselect_b32 s4, s7, s4
	s_delay_alu instid0(SALU_CYCLE_1) | instskip(SKIP_2) | instid1(SALU_CYCLE_1)
	s_sub_co_i32 s7, s4, s56
	s_cmp_ge_u32 s4, s56
	s_cselect_b32 s28, s7, s4
	s_mov_b64 s[20:21], s[28:29]
.LBB198_346:                            ;   in Loop: Header=BB198_18 Depth=1
	s_delay_alu instid0(SALU_CYCLE_1)
	s_sub_nc_u64 s[18:19], s[18:19], s[20:21]
	s_mov_b32 s7, 0
	s_mov_b32 s4, 0
	s_mov_b32 s8, exec_lo
                                        ; implicit-def: $vgpr25
	v_cmpx_gt_u64_e64 s[18:19], v[0:1]
	s_cbranch_execz .LBB198_358
; %bb.347:                              ;   in Loop: Header=BB198_18 Depth=1
	v_mov_b64_e32 v[6:7], v[0:1]
	v_mov_b32_e32 v8, v16
                                        ; implicit-def: $sgpr20
	s_branch .LBB198_351
.LBB198_348:                            ;   in Loop: Header=BB198_351 Depth=2
	s_or_b32 exec_lo, exec_lo, s21
	s_wait_dscnt 0x0
	s_barrier_signal -1
	s_barrier_wait -1
	ds_load_b64 v[24:25], v3 offset:3072
	s_wait_dscnt 0x0
	s_barrier_signal -1
	s_barrier_wait -1
	v_cmp_neq_f32_e32 vcc_lo, 0, v24
	s_cbranch_vccnz .LBB198_354
; %bb.349:                              ;   in Loop: Header=BB198_351 Depth=2
	v_add_nc_u64_e32 v[6:7], s[56:57], v[6:7]
	v_add_nc_u32_e32 v8, vcc_hi, v8
	s_mov_b32 s21, 0
	s_delay_alu instid0(VALU_DEP_2)
	v_cmp_le_u64_e32 vcc_lo, s[18:19], v[6:7]
	s_or_not1_b32 s28, vcc_lo, exec_lo
.LBB198_350:                            ;   in Loop: Header=BB198_351 Depth=2
	s_delay_alu instid0(SALU_CYCLE_1) | instskip(NEXT) | instid1(SALU_CYCLE_1)
	s_and_b32 s28, exec_lo, s28
	s_or_b32 s4, s28, s4
	s_and_not1_b32 s20, s20, exec_lo
	s_and_b32 s21, s21, exec_lo
	s_delay_alu instid0(SALU_CYCLE_1)
	s_or_b32 s20, s20, s21
	s_and_not1_b32 exec_lo, exec_lo, s4
	s_cbranch_execz .LBB198_357
.LBB198_351:                            ;   Parent Loop BB198_18 Depth=1
                                        ; =>  This Inner Loop Header: Depth=2
	s_mov_b32 s21, exec_lo
	s_delay_alu instid0(VALU_DEP_2)
	v_cmpx_gt_u64_e64 s[10:11], v[6:7]
	s_cbranch_execz .LBB198_348
; %bb.352:                              ;   in Loop: Header=BB198_351 Depth=2
	ds_load_b32 v23, v8
	s_wait_dscnt 0x0
	v_cmp_lt_i32_e32 vcc_lo, -1, v23
	v_cndmask_b32_e64 v9, -1, 0x80000000, vcc_lo
	v_cmp_o_f32_e32 vcc_lo, v23, v23
	s_delay_alu instid0(VALU_DEP_2) | instskip(NEXT) | instid1(VALU_DEP_1)
	v_xor_b32_e32 v9, v9, v23
	v_cndmask_b32_e32 v9, -1, v9, vcc_lo
	s_delay_alu instid0(VALU_DEP_1) | instskip(NEXT) | instid1(VALU_DEP_1)
	v_and_b32_e32 v9, v9, v37
	v_cmp_eq_u32_e32 vcc_lo, v9, v34
	s_and_b32 exec_lo, exec_lo, vcc_lo
	s_cbranch_execz .LBB198_348
; %bb.353:                              ;   in Loop: Header=BB198_351 Depth=2
	ds_store_b64 v3, v[22:23] offset:3072
	s_branch .LBB198_348
.LBB198_354:                            ;   in Loop: Header=BB198_351 Depth=2
	s_mov_b32 s28, -1
	s_mov_b32 s21, -1
                                        ; implicit-def: $vgpr6_vgpr7
                                        ; implicit-def: $vgpr8
	s_branch .LBB198_350
.LBB198_355:                            ;   in Loop: Header=BB198_18 Depth=1
                                        ; implicit-def: $sgpr22_sgpr23
	s_branch .LBB198_299
.LBB198_356:                            ;   in Loop: Header=BB198_18 Depth=1
                                        ; implicit-def: $sgpr10_sgpr11
	s_branch .LBB198_315
.LBB198_357:                            ;   in Loop: Header=BB198_18 Depth=1
	s_or_b32 exec_lo, exec_lo, s4
	s_delay_alu instid0(SALU_CYCLE_1)
	s_and_b32 s4, s20, exec_lo
.LBB198_358:                            ;   in Loop: Header=BB198_18 Depth=1
	s_or_b32 exec_lo, exec_lo, s8
.LBB198_359:                            ;   in Loop: Header=BB198_18 Depth=1
	s_delay_alu instid0(SALU_CYCLE_1)
	s_and_b32 vcc_lo, exec_lo, s7
	s_cbranch_vccz .LBB198_374
; %bb.360:                              ;   in Loop: Header=BB198_18 Depth=1
	s_and_b64 s[10:11], s[76:77], 0xffffffff00000000
	s_delay_alu instid0(SALU_CYCLE_1)
	s_cmp_lg_u64 s[10:11], 0
	s_cbranch_scc0 .LBB198_403
; %bb.361:                              ;   in Loop: Header=BB198_18 Depth=1
	s_cvt_f32_u32 s7, s56
	s_sub_nc_u64 s[18:19], 0, s[56:57]
	s_delay_alu instid0(SALU_CYCLE_2) | instskip(NEXT) | instid1(SALU_CYCLE_3)
	s_fmamk_f32 s7, s68, 0x0, s7
	v_s_rcp_f32 s7, s7
	s_delay_alu instid0(TRANS32_DEP_1) | instskip(NEXT) | instid1(SALU_CYCLE_3)
	s_mul_f32 s7, s7, 0x5f7ffffc
	s_mul_f32 s8, s7, 0x2f800000
	s_delay_alu instid0(SALU_CYCLE_3) | instskip(NEXT) | instid1(SALU_CYCLE_3)
	s_trunc_f32 s8, s8
	s_fmamk_f32 s7, s8, 0xcf800000, s7
	s_cvt_u32_f32 s11, s8
	s_delay_alu instid0(SALU_CYCLE_2) | instskip(NEXT) | instid1(SALU_CYCLE_3)
	s_cvt_u32_f32 s10, s7
	s_mul_u64 s[20:21], s[18:19], s[10:11]
	s_delay_alu instid0(SALU_CYCLE_1)
	s_mul_hi_u32 s63, s10, s21
	s_mul_i32 s62, s10, s21
	s_mul_hi_u32 s28, s10, s20
	s_mul_i32 s8, s11, s20
	s_add_nc_u64 s[62:63], s[28:29], s[62:63]
	s_mul_hi_u32 s7, s11, s20
	s_mul_hi_u32 s23, s11, s21
	s_add_co_u32 s8, s62, s8
	s_add_co_ci_u32 s28, s63, s7
	s_mul_i32 s20, s11, s21
	s_add_co_ci_u32 s21, s23, 0
	s_delay_alu instid0(SALU_CYCLE_1) | instskip(NEXT) | instid1(SALU_CYCLE_1)
	s_add_nc_u64 s[20:21], s[28:29], s[20:21]
	s_add_co_u32 s10, s10, s20
	s_cselect_b32 s7, -1, 0
	s_delay_alu instid0(SALU_CYCLE_1) | instskip(SKIP_1) | instid1(SALU_CYCLE_1)
	s_cmp_lg_u32 s7, 0
	s_add_co_ci_u32 s11, s11, s21
	s_mul_u64 s[18:19], s[18:19], s[10:11]
	s_delay_alu instid0(SALU_CYCLE_1)
	s_mul_hi_u32 s21, s10, s19
	s_mul_i32 s20, s10, s19
	s_mul_hi_u32 s28, s10, s18
	s_mul_i32 s8, s11, s18
	s_add_nc_u64 s[20:21], s[28:29], s[20:21]
	s_mul_hi_u32 s7, s11, s18
	s_mul_hi_u32 s23, s11, s19
	s_add_co_u32 s8, s20, s8
	s_add_co_ci_u32 s28, s21, s7
	s_mul_i32 s18, s11, s19
	s_add_co_ci_u32 s19, s23, 0
	s_delay_alu instid0(SALU_CYCLE_1) | instskip(NEXT) | instid1(SALU_CYCLE_1)
	s_add_nc_u64 s[18:19], s[28:29], s[18:19]
	s_add_co_u32 s7, s10, s18
	s_cselect_b32 s8, -1, 0
	s_mul_hi_u32 s28, s76, s7
	s_cmp_lg_u32 s8, 0
	s_mul_hi_u32 s8, s77, s7
	s_add_co_ci_u32 s18, s11, s19
	s_mul_i32 s7, s77, s7
	s_mul_hi_u32 s11, s76, s18
	s_mul_i32 s10, s76, s18
	s_mul_hi_u32 s19, s77, s18
	s_add_nc_u64 s[10:11], s[28:29], s[10:11]
	s_mul_i32 s18, s77, s18
	s_add_co_u32 s7, s10, s7
	s_add_co_ci_u32 s28, s11, s8
	s_add_co_ci_u32 s19, s19, 0
	s_delay_alu instid0(SALU_CYCLE_1) | instskip(NEXT) | instid1(SALU_CYCLE_1)
	s_add_nc_u64 s[10:11], s[28:29], s[18:19]
	s_and_b64 s[18:19], s[10:11], 0xffffffff00000000
	s_delay_alu instid0(SALU_CYCLE_1) | instskip(NEXT) | instid1(SALU_CYCLE_1)
	s_or_b32 s18, s18, s10
	s_mul_u64 s[10:11], s[56:57], s[18:19]
	s_delay_alu instid0(SALU_CYCLE_1) | instskip(SKIP_1) | instid1(SALU_CYCLE_1)
	s_sub_co_u32 s7, s76, s10
	s_cselect_b32 s8, -1, 0
	s_cmp_lg_u32 s8, 0
	s_sub_co_ci_u32 s8, s77, s11
	s_sub_co_u32 s10, s7, s56
	s_cselect_b32 s11, -1, 0
	s_delay_alu instid0(SALU_CYCLE_1) | instskip(SKIP_3) | instid1(SALU_CYCLE_1)
	s_cmp_lg_u32 s11, 0
	s_sub_co_ci_u32 s11, s8, 0
	s_sub_co_u32 s18, s10, s56
	s_cselect_b32 s19, -1, 0
	s_cmp_lg_u32 s19, 0
	s_sub_co_ci_u32 s19, s11, 0
	s_cmp_ge_u32 s10, s56
	s_cselect_b32 s20, -1, 0
	s_cmp_eq_u32 s11, 0
	s_cselect_b32 s20, s20, -1
	s_delay_alu instid0(SALU_CYCLE_1)
	s_cmp_lg_u32 s20, 0
	s_cselect_b32 s11, s19, s11
	s_cselect_b32 s10, s18, s10
	s_cmp_ge_u32 s7, s56
	s_cselect_b32 s18, -1, 0
	s_cmp_eq_u32 s8, 0
	s_cselect_b32 s18, s18, -1
	s_delay_alu instid0(SALU_CYCLE_1)
	s_cmp_lg_u32 s18, 0
	s_cselect_b32 s11, s11, s8
	s_cselect_b32 s10, s10, s7
	s_cbranch_execnz .LBB198_363
.LBB198_362:                            ;   in Loop: Header=BB198_18 Depth=1
	v_cvt_f32_u32_e32 v6, s56
	s_sub_co_i32 s8, 0, s56
	s_delay_alu instid0(VALU_DEP_1) | instskip(SKIP_1) | instid1(TRANS32_DEP_1)
	v_rcp_iflag_f32_e32 v6, v6
	v_nop
	v_mul_f32_e32 v6, 0x4f7ffffe, v6
	s_delay_alu instid0(VALU_DEP_1) | instskip(NEXT) | instid1(VALU_DEP_1)
	v_cvt_u32_f32_e32 v6, v6
	v_readfirstlane_b32 s7, v6
	s_mul_i32 s8, s8, s7
	s_delay_alu instid0(SALU_CYCLE_1) | instskip(NEXT) | instid1(SALU_CYCLE_1)
	s_mul_hi_u32 s8, s7, s8
	s_add_co_i32 s7, s7, s8
	s_delay_alu instid0(SALU_CYCLE_1) | instskip(NEXT) | instid1(SALU_CYCLE_1)
	s_mul_hi_u32 s7, s76, s7
	s_mul_i32 s7, s7, s56
	s_delay_alu instid0(SALU_CYCLE_1) | instskip(NEXT) | instid1(SALU_CYCLE_1)
	s_sub_co_i32 s7, s76, s7
	s_sub_co_i32 s8, s7, s56
	s_cmp_ge_u32 s7, s56
	s_cselect_b32 s7, s8, s7
	s_delay_alu instid0(SALU_CYCLE_1) | instskip(SKIP_2) | instid1(SALU_CYCLE_1)
	s_sub_co_i32 s8, s7, s56
	s_cmp_ge_u32 s7, s56
	s_cselect_b32 s28, s8, s7
	s_mov_b64 s[10:11], s[28:29]
.LBB198_363:                            ;   in Loop: Header=BB198_18 Depth=1
	s_delay_alu instid0(SALU_CYCLE_1)
	s_sub_nc_u64 s[10:11], s[76:77], s[10:11]
	s_mov_b32 s7, exec_lo
                                        ; implicit-def: $vgpr25
	v_cmpx_gt_u64_e64 s[10:11], v[0:1]
	s_cbranch_execz .LBB198_373
; %bb.364:                              ;   in Loop: Header=BB198_18 Depth=1
	v_mov_b64_e32 v[6:7], v[0:1]
	s_mov_b32 s8, 0
                                        ; implicit-def: $sgpr18
	s_branch .LBB198_368
.LBB198_365:                            ;   in Loop: Header=BB198_368 Depth=2
	s_or_b32 exec_lo, exec_lo, s19
	s_wait_dscnt 0x0
	s_barrier_signal -1
	s_barrier_wait -1
	ds_load_b64 v[24:25], v3 offset:3072
	s_wait_dscnt 0x0
	s_barrier_signal -1
	s_barrier_wait -1
	v_cmp_eq_f32_e32 vcc_lo, 0, v24
	s_cbranch_vccz .LBB198_371
; %bb.366:                              ;   in Loop: Header=BB198_368 Depth=2
	v_add_nc_u64_e32 v[6:7], s[56:57], v[6:7]
	s_mov_b32 s19, 0
	s_delay_alu instid0(VALU_DEP_1)
	v_cmp_le_u64_e32 vcc_lo, s[10:11], v[6:7]
	s_or_not1_b32 s20, vcc_lo, exec_lo
.LBB198_367:                            ;   in Loop: Header=BB198_368 Depth=2
	s_delay_alu instid0(SALU_CYCLE_1) | instskip(NEXT) | instid1(SALU_CYCLE_1)
	s_and_b32 s20, exec_lo, s20
	s_or_b32 s8, s20, s8
	s_and_not1_b32 s18, s18, exec_lo
	s_and_b32 s19, s19, exec_lo
	s_delay_alu instid0(SALU_CYCLE_1)
	s_or_b32 s18, s18, s19
	s_and_not1_b32 exec_lo, exec_lo, s8
	s_cbranch_execz .LBB198_372
.LBB198_368:                            ;   Parent Loop BB198_18 Depth=1
                                        ; =>  This Inner Loop Header: Depth=2
	s_mov_b32 s19, exec_lo
	s_delay_alu instid0(VALU_DEP_1)
	v_cmpx_gt_u64_e64 s[36:37], v[6:7]
	s_cbranch_execz .LBB198_365
; %bb.369:                              ;   in Loop: Header=BB198_368 Depth=2
	v_mul_u64_e32 v[8:9], s[30:31], v[6:7]
	s_delay_alu instid0(VALU_DEP_1)
	v_lshl_add_u64 v[8:9], v[8:9], 2, s[34:35]
	global_load_b32 v23, v[8:9], off
	s_wait_loadcnt 0x0
	v_cmp_lt_i32_e32 vcc_lo, -1, v23
	v_cndmask_b32_e64 v8, -1, 0x80000000, vcc_lo
	v_cmp_o_f32_e32 vcc_lo, v23, v23
	s_delay_alu instid0(VALU_DEP_2) | instskip(NEXT) | instid1(VALU_DEP_1)
	v_xor_b32_e32 v8, v8, v23
	v_cndmask_b32_e32 v8, -1, v8, vcc_lo
	s_delay_alu instid0(VALU_DEP_1) | instskip(NEXT) | instid1(VALU_DEP_1)
	v_and_b32_e32 v8, v8, v37
	v_cmp_eq_u32_e32 vcc_lo, v8, v34
	s_and_b32 exec_lo, exec_lo, vcc_lo
	s_cbranch_execz .LBB198_365
; %bb.370:                              ;   in Loop: Header=BB198_368 Depth=2
	ds_store_b64 v3, v[22:23] offset:3072
	s_branch .LBB198_365
.LBB198_371:                            ;   in Loop: Header=BB198_368 Depth=2
	s_mov_b32 s20, -1
	s_mov_b32 s19, -1
                                        ; implicit-def: $vgpr6_vgpr7
	s_branch .LBB198_367
.LBB198_372:                            ;   in Loop: Header=BB198_18 Depth=1
	s_or_b32 exec_lo, exec_lo, s8
	s_delay_alu instid0(SALU_CYCLE_1) | instskip(SKIP_1) | instid1(SALU_CYCLE_1)
	s_and_not1_b32 s4, s4, exec_lo
	s_and_b32 s8, s18, exec_lo
	s_or_b32 s4, s4, s8
.LBB198_373:                            ;   in Loop: Header=BB198_18 Depth=1
	s_or_b32 exec_lo, exec_lo, s7
	s_mov_b32 s23, 0
	s_mov_b32 s85, -1
.LBB198_374:                            ;   in Loop: Header=BB198_18 Depth=1
	s_or_not1_b32 s4, s4, exec_lo
.LBB198_375:                            ;   in Loop: Header=BB198_18 Depth=1
	s_or_b32 exec_lo, exec_lo, s88
	s_mov_b32 s7, 0
	s_and_saveexec_b32 s20, s4
	s_cbranch_execz .LBB198_488
; %bb.376:                              ;   in Loop: Header=BB198_18 Depth=1
	v_mov_b64_e32 v[6:7], 1
	v_mov_b32_e32 v2, 1
	s_xor_b32 s8, s86, -1
	s_delay_alu instid0(SALU_CYCLE_1)
	s_and_saveexec_b32 s4, s8
	s_cbranch_execz .LBB198_385
; %bb.377:                              ;   in Loop: Header=BB198_18 Depth=1
	s_mov_b32 s7, exec_lo
	v_cmpx_ge_u64_e64 s[16:17], v[4:5]
	s_xor_b32 s7, exec_lo, s7
	s_cbranch_execz .LBB198_382
; %bb.378:                              ;   in Loop: Header=BB198_18 Depth=1
	ds_load_b64 v[6:7], v3 offset:5120
	s_lshl_b32 s8, 2, s69
	v_or_b32_e32 v37, s24, v37
	v_and_or_b32 v34, v34, s25, s8
	s_wait_dscnt 0x0
	v_cmp_ne_u64_e32 vcc_lo, 0, v[6:7]
	s_cbranch_vccnz .LBB198_382
; %bb.379:                              ;   in Loop: Header=BB198_18 Depth=1
	s_and_saveexec_b32 s8, s5
; %bb.380:                              ;   in Loop: Header=BB198_18 Depth=1
	v_mov_b64_e32 v[6:7], s[16:17]
	ds_store_b64 v3, v[6:7] offset:5128
; %bb.381:                              ;   in Loop: Header=BB198_18 Depth=1
	s_or_b32 exec_lo, exec_lo, s8
	s_wait_dscnt 0x0
	s_barrier_signal -1
	s_barrier_wait -1
.LBB198_382:                            ;   in Loop: Header=BB198_18 Depth=1
	s_or_saveexec_b32 s7, s7
	v_mov_b32_e32 v2, 5
	s_mov_b32 s8, 0
	s_xor_b32 exec_lo, exec_lo, s7
; %bb.383:                              ;   in Loop: Header=BB198_18 Depth=1
	v_sub_nc_u64_e64 v[4:5], v[4:5], s[16:17]
	v_mov_b32_e32 v2, 0
	s_mov_b32 s8, exec_lo
; %bb.384:                              ;   in Loop: Header=BB198_18 Depth=1
	s_or_b32 exec_lo, exec_lo, s7
	s_delay_alu instid0(VALU_DEP_2)
	v_mov_b64_e32 v[6:7], v[4:5]
	s_and_b32 s7, s8, exec_lo
.LBB198_385:                            ;   in Loop: Header=BB198_18 Depth=1
	s_or_b32 exec_lo, exec_lo, s4
	s_mov_b32 s4, -1
                                        ; implicit-def: $sgpr86
                                        ; implicit-def: $sgpr88
	s_and_saveexec_b32 s21, s7
	s_cbranch_execz .LBB198_487
; %bb.386:                              ;   in Loop: Header=BB198_18 Depth=1
	s_delay_alu instid0(VALU_DEP_1) | instskip(SKIP_2) | instid1(SALU_CYCLE_1)
	v_cmp_eq_u64_e32 vcc_lo, 1, v[6:7]
	s_cmp_eq_u64 s[14:15], 1
                                        ; implicit-def: $sgpr88
                                        ; implicit-def: $sgpr86
	s_cselect_b32 s4, -1, 0
	s_and_b32 s89, s4, vcc_lo
	s_mov_b32 s4, -1
	s_and_saveexec_b32 s90, s89
	s_cbranch_execz .LBB198_422
; %bb.387:                              ;   in Loop: Header=BB198_18 Depth=1
	ds_load_b64 v[4:5], v3 offset:5120
	s_wait_dscnt 0x0
	s_barrier_signal -1
	s_barrier_wait -1
	v_readfirstlane_b32 s10, v4
	v_readfirstlane_b32 s11, v5
	s_and_saveexec_b32 s4, s6
; %bb.388:                              ;   in Loop: Header=BB198_18 Depth=1
	ds_store_b32 v32, v3
; %bb.389:                              ;   in Loop: Header=BB198_18 Depth=1
	s_or_b32 exec_lo, exec_lo, s4
	s_lshl_b32 s4, 1, s69
	v_or_b32_e32 v37, s24, v37
	v_and_or_b32 v34, v34, s25, s4
	s_mov_b32 s86, -1
	s_mov_b32 s88, 0
	s_cmp_eq_u64 s[10:11], 0
	s_mov_b32 s4, 0
	s_mov_b32 s7, -1
	s_wait_dscnt 0x0
	s_barrier_signal -1
	s_barrier_wait -1
                                        ; implicit-def: $vgpr25
	s_cbranch_scc1 .LBB198_406
; %bb.390:                              ;   in Loop: Header=BB198_18 Depth=1
	s_add_nc_u64 s[16:17], s[10:11], s[74:75]
	s_delay_alu instid0(SALU_CYCLE_1) | instskip(NEXT) | instid1(SALU_CYCLE_1)
	s_and_b64 s[18:19], s[16:17], 0xffffffff00000000
	s_cmp_lg_u64 s[18:19], 0
	s_cbranch_scc0 .LBB198_439
; %bb.391:                              ;   in Loop: Header=BB198_18 Depth=1
	s_cvt_f32_u32 s4, s56
	s_sub_nc_u64 s[62:63], 0, s[56:57]
	s_delay_alu instid0(SALU_CYCLE_2) | instskip(NEXT) | instid1(SALU_CYCLE_3)
	s_fmamk_f32 s4, s68, 0x0, s4
	v_s_rcp_f32 s4, s4
	s_delay_alu instid0(TRANS32_DEP_1) | instskip(NEXT) | instid1(SALU_CYCLE_3)
	s_mul_f32 s4, s4, 0x5f7ffffc
	s_mul_f32 s7, s4, 0x2f800000
	s_delay_alu instid0(SALU_CYCLE_3) | instskip(NEXT) | instid1(SALU_CYCLE_3)
	s_trunc_f32 s7, s7
	s_fmamk_f32 s4, s7, 0xcf800000, s4
	s_cvt_u32_f32 s19, s7
	s_delay_alu instid0(SALU_CYCLE_2) | instskip(NEXT) | instid1(SALU_CYCLE_3)
	s_cvt_u32_f32 s18, s4
	s_mul_u64 s[92:93], s[62:63], s[18:19]
	s_delay_alu instid0(SALU_CYCLE_1)
	s_mul_hi_u32 s95, s18, s93
	s_mul_i32 s94, s18, s93
	s_mul_hi_u32 s28, s18, s92
	s_mul_i32 s7, s19, s92
	s_add_nc_u64 s[94:95], s[28:29], s[94:95]
	s_mul_hi_u32 s4, s19, s92
	s_mul_hi_u32 s8, s19, s93
	s_add_co_u32 s7, s94, s7
	s_add_co_ci_u32 s28, s95, s4
	s_mul_i32 s92, s19, s93
	s_add_co_ci_u32 s93, s8, 0
	s_delay_alu instid0(SALU_CYCLE_1) | instskip(NEXT) | instid1(SALU_CYCLE_1)
	s_add_nc_u64 s[92:93], s[28:29], s[92:93]
	s_add_co_u32 s18, s18, s92
	s_cselect_b32 s4, -1, 0
	s_delay_alu instid0(SALU_CYCLE_1) | instskip(SKIP_1) | instid1(SALU_CYCLE_1)
	s_cmp_lg_u32 s4, 0
	s_add_co_ci_u32 s19, s19, s93
	s_mul_u64 s[62:63], s[62:63], s[18:19]
	s_delay_alu instid0(SALU_CYCLE_1)
	s_mul_hi_u32 s93, s18, s63
	s_mul_i32 s92, s18, s63
	s_mul_hi_u32 s28, s18, s62
	s_mul_i32 s7, s19, s62
	s_add_nc_u64 s[92:93], s[28:29], s[92:93]
	s_mul_hi_u32 s4, s19, s62
	s_mul_hi_u32 s8, s19, s63
	s_add_co_u32 s7, s92, s7
	s_add_co_ci_u32 s28, s93, s4
	s_mul_i32 s62, s19, s63
	s_add_co_ci_u32 s63, s8, 0
	s_delay_alu instid0(SALU_CYCLE_1) | instskip(NEXT) | instid1(SALU_CYCLE_1)
	s_add_nc_u64 s[62:63], s[28:29], s[62:63]
	s_add_co_u32 s4, s18, s62
	s_cselect_b32 s7, -1, 0
	s_mul_hi_u32 s28, s16, s4
	s_cmp_lg_u32 s7, 0
	s_mul_hi_u32 s7, s17, s4
	s_add_co_ci_u32 s8, s19, s63
	s_mul_i32 s4, s17, s4
	s_mul_hi_u32 s19, s16, s8
	s_mul_i32 s18, s16, s8
	s_mul_hi_u32 s40, s17, s8
	s_add_nc_u64 s[18:19], s[28:29], s[18:19]
	s_mul_i32 s62, s17, s8
	s_add_co_u32 s4, s18, s4
	s_add_co_ci_u32 s28, s19, s7
	s_add_co_ci_u32 s63, s40, 0
	s_delay_alu instid0(SALU_CYCLE_1) | instskip(NEXT) | instid1(SALU_CYCLE_1)
	s_add_nc_u64 s[18:19], s[28:29], s[62:63]
	s_and_b64 s[62:63], s[18:19], 0xffffffff00000000
	s_delay_alu instid0(SALU_CYCLE_1) | instskip(NEXT) | instid1(SALU_CYCLE_1)
	s_or_b32 s62, s62, s18
	s_mul_u64 s[18:19], s[56:57], s[62:63]
	s_delay_alu instid0(SALU_CYCLE_1) | instskip(SKIP_1) | instid1(SALU_CYCLE_1)
	s_sub_co_u32 s4, s16, s18
	s_cselect_b32 s7, -1, 0
	s_cmp_lg_u32 s7, 0
	s_sub_co_ci_u32 s7, s17, s19
	s_sub_co_u32 s8, s4, s56
	s_cselect_b32 s18, -1, 0
	s_delay_alu instid0(SALU_CYCLE_1) | instskip(SKIP_3) | instid1(SALU_CYCLE_1)
	s_cmp_lg_u32 s18, 0
	s_sub_co_ci_u32 s18, s7, 0
	s_sub_co_u32 s19, s8, s56
	s_cselect_b32 s28, -1, 0
	s_cmp_lg_u32 s28, 0
	s_sub_co_ci_u32 s28, s18, 0
	s_cmp_ge_u32 s8, s56
	s_cselect_b32 s40, -1, 0
	s_cmp_eq_u32 s18, 0
	s_cselect_b32 s40, s40, -1
	s_delay_alu instid0(SALU_CYCLE_1)
	s_cmp_lg_u32 s40, 0
	s_cselect_b32 s18, s28, s18
	s_cselect_b32 s8, s19, s8
	s_cmp_ge_u32 s4, s56
	s_cselect_b32 s19, -1, 0
	s_cmp_eq_u32 s7, 0
	s_cselect_b32 s19, s19, -1
	s_delay_alu instid0(SALU_CYCLE_1)
	s_cmp_lg_u32 s19, 0
	s_cselect_b32 s19, s18, s7
	s_cselect_b32 s18, s8, s4
	s_cbranch_execnz .LBB198_393
.LBB198_392:                            ;   in Loop: Header=BB198_18 Depth=1
	v_cvt_f32_u32_e32 v4, s56
	s_sub_co_i32 s7, 0, s56
	s_delay_alu instid0(VALU_DEP_1) | instskip(SKIP_1) | instid1(TRANS32_DEP_1)
	v_rcp_iflag_f32_e32 v4, v4
	v_nop
	v_mul_f32_e32 v4, 0x4f7ffffe, v4
	s_delay_alu instid0(VALU_DEP_1) | instskip(NEXT) | instid1(VALU_DEP_1)
	v_cvt_u32_f32_e32 v4, v4
	v_readfirstlane_b32 s4, v4
	s_mul_i32 s7, s7, s4
	s_delay_alu instid0(SALU_CYCLE_1) | instskip(NEXT) | instid1(SALU_CYCLE_1)
	s_mul_hi_u32 s7, s4, s7
	s_add_co_i32 s4, s4, s7
	s_delay_alu instid0(SALU_CYCLE_1) | instskip(NEXT) | instid1(SALU_CYCLE_1)
	s_mul_hi_u32 s4, s16, s4
	s_mul_i32 s4, s4, s56
	s_delay_alu instid0(SALU_CYCLE_1) | instskip(NEXT) | instid1(SALU_CYCLE_1)
	s_sub_co_i32 s4, s16, s4
	s_sub_co_i32 s7, s4, s56
	s_cmp_ge_u32 s4, s56
	s_cselect_b32 s4, s7, s4
	s_delay_alu instid0(SALU_CYCLE_1) | instskip(SKIP_2) | instid1(SALU_CYCLE_1)
	s_sub_co_i32 s7, s4, s56
	s_cmp_ge_u32 s4, s56
	s_cselect_b32 s28, s7, s4
	s_mov_b64 s[18:19], s[28:29]
.LBB198_393:                            ;   in Loop: Header=BB198_18 Depth=1
	s_delay_alu instid0(SALU_CYCLE_1)
	s_sub_nc_u64 s[16:17], s[16:17], s[18:19]
	s_mov_b32 s7, 0
	s_mov_b32 s4, 0
	s_mov_b32 s8, exec_lo
                                        ; implicit-def: $vgpr25
	v_cmpx_gt_u64_e64 s[16:17], v[0:1]
	s_cbranch_execz .LBB198_405
; %bb.394:                              ;   in Loop: Header=BB198_18 Depth=1
	v_mov_b64_e32 v[4:5], v[0:1]
	v_mov_b32_e32 v8, v16
                                        ; implicit-def: $sgpr18
	s_branch .LBB198_398
.LBB198_395:                            ;   in Loop: Header=BB198_398 Depth=2
	s_or_b32 exec_lo, exec_lo, s19
	s_wait_dscnt 0x0
	s_barrier_signal -1
	s_barrier_wait -1
	ds_load_b64 v[24:25], v3 offset:3072
	s_wait_dscnt 0x0
	s_barrier_signal -1
	s_barrier_wait -1
	v_cmp_neq_f32_e32 vcc_lo, 0, v24
	s_cbranch_vccnz .LBB198_401
; %bb.396:                              ;   in Loop: Header=BB198_398 Depth=2
	v_add_nc_u64_e32 v[4:5], s[56:57], v[4:5]
	v_add_nc_u32_e32 v8, vcc_hi, v8
	s_mov_b32 s19, 0
	s_delay_alu instid0(VALU_DEP_2)
	v_cmp_le_u64_e32 vcc_lo, s[16:17], v[4:5]
	s_or_not1_b32 s28, vcc_lo, exec_lo
.LBB198_397:                            ;   in Loop: Header=BB198_398 Depth=2
	s_delay_alu instid0(SALU_CYCLE_1) | instskip(NEXT) | instid1(SALU_CYCLE_1)
	s_and_b32 s28, exec_lo, s28
	s_or_b32 s4, s28, s4
	s_and_not1_b32 s18, s18, exec_lo
	s_and_b32 s19, s19, exec_lo
	s_delay_alu instid0(SALU_CYCLE_1)
	s_or_b32 s18, s18, s19
	s_and_not1_b32 exec_lo, exec_lo, s4
	s_cbranch_execz .LBB198_404
.LBB198_398:                            ;   Parent Loop BB198_18 Depth=1
                                        ; =>  This Inner Loop Header: Depth=2
	s_mov_b32 s19, exec_lo
	s_delay_alu instid0(VALU_DEP_2)
	v_cmpx_gt_u64_e64 s[10:11], v[4:5]
	s_cbranch_execz .LBB198_395
; %bb.399:                              ;   in Loop: Header=BB198_398 Depth=2
	ds_load_b32 v23, v8
	s_wait_dscnt 0x0
	v_cmp_lt_i32_e32 vcc_lo, -1, v23
	v_cndmask_b32_e64 v9, -1, 0x80000000, vcc_lo
	v_cmp_o_f32_e32 vcc_lo, v23, v23
	s_delay_alu instid0(VALU_DEP_2) | instskip(NEXT) | instid1(VALU_DEP_1)
	v_xor_b32_e32 v9, v9, v23
	v_cndmask_b32_e32 v9, -1, v9, vcc_lo
	s_delay_alu instid0(VALU_DEP_1) | instskip(NEXT) | instid1(VALU_DEP_1)
	v_and_b32_e32 v9, v9, v37
	v_cmp_eq_u32_e32 vcc_lo, v9, v34
	s_and_b32 exec_lo, exec_lo, vcc_lo
	s_cbranch_execz .LBB198_395
; %bb.400:                              ;   in Loop: Header=BB198_398 Depth=2
	ds_store_b64 v3, v[22:23] offset:3072
	s_branch .LBB198_395
.LBB198_401:                            ;   in Loop: Header=BB198_398 Depth=2
	s_mov_b32 s28, -1
	s_mov_b32 s19, -1
                                        ; implicit-def: $vgpr4_vgpr5
                                        ; implicit-def: $vgpr8
	s_branch .LBB198_397
.LBB198_402:                            ;   in Loop: Header=BB198_18 Depth=1
                                        ; implicit-def: $sgpr20_sgpr21
	s_branch .LBB198_345
.LBB198_403:                            ;   in Loop: Header=BB198_18 Depth=1
                                        ; implicit-def: $sgpr10_sgpr11
	s_branch .LBB198_362
.LBB198_404:                            ;   in Loop: Header=BB198_18 Depth=1
	s_or_b32 exec_lo, exec_lo, s4
	s_delay_alu instid0(SALU_CYCLE_1)
	s_and_b32 s4, s18, exec_lo
.LBB198_405:                            ;   in Loop: Header=BB198_18 Depth=1
	s_or_b32 exec_lo, exec_lo, s8
.LBB198_406:                            ;   in Loop: Header=BB198_18 Depth=1
	s_delay_alu instid0(SALU_CYCLE_1)
	s_and_b32 vcc_lo, exec_lo, s7
	s_cbranch_vccz .LBB198_421
; %bb.407:                              ;   in Loop: Header=BB198_18 Depth=1
	s_and_b64 s[10:11], s[76:77], 0xffffffff00000000
	s_delay_alu instid0(SALU_CYCLE_1)
	s_cmp_lg_u64 s[10:11], 0
	s_cbranch_scc0 .LBB198_440
; %bb.408:                              ;   in Loop: Header=BB198_18 Depth=1
	s_cvt_f32_u32 s7, s56
	s_sub_nc_u64 s[16:17], 0, s[56:57]
	s_delay_alu instid0(SALU_CYCLE_2) | instskip(NEXT) | instid1(SALU_CYCLE_3)
	s_fmamk_f32 s7, s68, 0x0, s7
	v_s_rcp_f32 s7, s7
	s_delay_alu instid0(TRANS32_DEP_1) | instskip(NEXT) | instid1(SALU_CYCLE_3)
	s_mul_f32 s7, s7, 0x5f7ffffc
	s_mul_f32 s8, s7, 0x2f800000
	s_delay_alu instid0(SALU_CYCLE_3) | instskip(NEXT) | instid1(SALU_CYCLE_3)
	s_trunc_f32 s8, s8
	s_fmamk_f32 s7, s8, 0xcf800000, s7
	s_cvt_u32_f32 s11, s8
	s_delay_alu instid0(SALU_CYCLE_2) | instskip(NEXT) | instid1(SALU_CYCLE_3)
	s_cvt_u32_f32 s10, s7
	s_mul_u64 s[18:19], s[16:17], s[10:11]
	s_delay_alu instid0(SALU_CYCLE_1)
	s_mul_hi_u32 s63, s10, s19
	s_mul_i32 s62, s10, s19
	s_mul_hi_u32 s28, s10, s18
	s_mul_i32 s8, s11, s18
	s_add_nc_u64 s[62:63], s[28:29], s[62:63]
	s_mul_hi_u32 s7, s11, s18
	s_mul_hi_u32 s40, s11, s19
	s_add_co_u32 s8, s62, s8
	s_add_co_ci_u32 s28, s63, s7
	s_mul_i32 s18, s11, s19
	s_add_co_ci_u32 s19, s40, 0
	s_delay_alu instid0(SALU_CYCLE_1) | instskip(NEXT) | instid1(SALU_CYCLE_1)
	s_add_nc_u64 s[18:19], s[28:29], s[18:19]
	s_add_co_u32 s10, s10, s18
	s_cselect_b32 s7, -1, 0
	s_delay_alu instid0(SALU_CYCLE_1) | instskip(SKIP_1) | instid1(SALU_CYCLE_1)
	s_cmp_lg_u32 s7, 0
	s_add_co_ci_u32 s11, s11, s19
	s_mul_u64 s[16:17], s[16:17], s[10:11]
	s_delay_alu instid0(SALU_CYCLE_1)
	s_mul_hi_u32 s19, s10, s17
	s_mul_i32 s18, s10, s17
	s_mul_hi_u32 s28, s10, s16
	s_mul_i32 s8, s11, s16
	s_add_nc_u64 s[18:19], s[28:29], s[18:19]
	s_mul_hi_u32 s7, s11, s16
	s_mul_hi_u32 s40, s11, s17
	s_add_co_u32 s8, s18, s8
	s_add_co_ci_u32 s28, s19, s7
	s_mul_i32 s16, s11, s17
	s_add_co_ci_u32 s17, s40, 0
	s_delay_alu instid0(SALU_CYCLE_1) | instskip(NEXT) | instid1(SALU_CYCLE_1)
	s_add_nc_u64 s[16:17], s[28:29], s[16:17]
	s_add_co_u32 s7, s10, s16
	s_cselect_b32 s8, -1, 0
	s_mul_hi_u32 s28, s76, s7
	s_cmp_lg_u32 s8, 0
	s_mul_hi_u32 s8, s77, s7
	s_add_co_ci_u32 s16, s11, s17
	s_mul_i32 s7, s77, s7
	s_mul_hi_u32 s11, s76, s16
	s_mul_i32 s10, s76, s16
	s_mul_hi_u32 s17, s77, s16
	s_add_nc_u64 s[10:11], s[28:29], s[10:11]
	s_mul_i32 s16, s77, s16
	s_add_co_u32 s7, s10, s7
	s_add_co_ci_u32 s28, s11, s8
	s_add_co_ci_u32 s17, s17, 0
	s_delay_alu instid0(SALU_CYCLE_1) | instskip(NEXT) | instid1(SALU_CYCLE_1)
	s_add_nc_u64 s[10:11], s[28:29], s[16:17]
	s_and_b64 s[16:17], s[10:11], 0xffffffff00000000
	s_delay_alu instid0(SALU_CYCLE_1) | instskip(NEXT) | instid1(SALU_CYCLE_1)
	s_or_b32 s16, s16, s10
	s_mul_u64 s[10:11], s[56:57], s[16:17]
	s_delay_alu instid0(SALU_CYCLE_1) | instskip(SKIP_1) | instid1(SALU_CYCLE_1)
	s_sub_co_u32 s7, s76, s10
	s_cselect_b32 s8, -1, 0
	s_cmp_lg_u32 s8, 0
	s_sub_co_ci_u32 s8, s77, s11
	s_sub_co_u32 s10, s7, s56
	s_cselect_b32 s11, -1, 0
	s_delay_alu instid0(SALU_CYCLE_1) | instskip(SKIP_3) | instid1(SALU_CYCLE_1)
	s_cmp_lg_u32 s11, 0
	s_sub_co_ci_u32 s11, s8, 0
	s_sub_co_u32 s16, s10, s56
	s_cselect_b32 s17, -1, 0
	s_cmp_lg_u32 s17, 0
	s_sub_co_ci_u32 s17, s11, 0
	s_cmp_ge_u32 s10, s56
	s_cselect_b32 s18, -1, 0
	s_cmp_eq_u32 s11, 0
	s_cselect_b32 s18, s18, -1
	s_delay_alu instid0(SALU_CYCLE_1)
	s_cmp_lg_u32 s18, 0
	s_cselect_b32 s11, s17, s11
	s_cselect_b32 s10, s16, s10
	s_cmp_ge_u32 s7, s56
	s_cselect_b32 s16, -1, 0
	s_cmp_eq_u32 s8, 0
	s_cselect_b32 s16, s16, -1
	s_delay_alu instid0(SALU_CYCLE_1)
	s_cmp_lg_u32 s16, 0
	s_cselect_b32 s11, s11, s8
	s_cselect_b32 s10, s10, s7
	s_cbranch_execnz .LBB198_410
.LBB198_409:                            ;   in Loop: Header=BB198_18 Depth=1
	v_cvt_f32_u32_e32 v4, s56
	s_sub_co_i32 s8, 0, s56
	s_delay_alu instid0(VALU_DEP_1) | instskip(SKIP_1) | instid1(TRANS32_DEP_1)
	v_rcp_iflag_f32_e32 v4, v4
	v_nop
	v_mul_f32_e32 v4, 0x4f7ffffe, v4
	s_delay_alu instid0(VALU_DEP_1) | instskip(NEXT) | instid1(VALU_DEP_1)
	v_cvt_u32_f32_e32 v4, v4
	v_readfirstlane_b32 s7, v4
	s_mul_i32 s8, s8, s7
	s_delay_alu instid0(SALU_CYCLE_1) | instskip(NEXT) | instid1(SALU_CYCLE_1)
	s_mul_hi_u32 s8, s7, s8
	s_add_co_i32 s7, s7, s8
	s_delay_alu instid0(SALU_CYCLE_1) | instskip(NEXT) | instid1(SALU_CYCLE_1)
	s_mul_hi_u32 s7, s76, s7
	s_mul_i32 s7, s7, s56
	s_delay_alu instid0(SALU_CYCLE_1) | instskip(NEXT) | instid1(SALU_CYCLE_1)
	s_sub_co_i32 s7, s76, s7
	s_sub_co_i32 s8, s7, s56
	s_cmp_ge_u32 s7, s56
	s_cselect_b32 s7, s8, s7
	s_delay_alu instid0(SALU_CYCLE_1) | instskip(SKIP_2) | instid1(SALU_CYCLE_1)
	s_sub_co_i32 s8, s7, s56
	s_cmp_ge_u32 s7, s56
	s_cselect_b32 s28, s8, s7
	s_mov_b64 s[10:11], s[28:29]
.LBB198_410:                            ;   in Loop: Header=BB198_18 Depth=1
	s_delay_alu instid0(SALU_CYCLE_1)
	s_sub_nc_u64 s[10:11], s[76:77], s[10:11]
	s_mov_b32 s7, exec_lo
                                        ; implicit-def: $vgpr25
	v_cmpx_gt_u64_e64 s[10:11], v[0:1]
	s_cbranch_execz .LBB198_420
; %bb.411:                              ;   in Loop: Header=BB198_18 Depth=1
	v_mov_b64_e32 v[4:5], v[0:1]
	s_mov_b32 s8, 0
                                        ; implicit-def: $sgpr16
	s_branch .LBB198_415
.LBB198_412:                            ;   in Loop: Header=BB198_415 Depth=2
	s_or_b32 exec_lo, exec_lo, s17
	s_wait_dscnt 0x0
	s_barrier_signal -1
	s_barrier_wait -1
	ds_load_b64 v[24:25], v3 offset:3072
	s_wait_dscnt 0x0
	s_barrier_signal -1
	s_barrier_wait -1
	v_cmp_eq_f32_e32 vcc_lo, 0, v24
	s_cbranch_vccz .LBB198_418
; %bb.413:                              ;   in Loop: Header=BB198_415 Depth=2
	v_add_nc_u64_e32 v[4:5], s[56:57], v[4:5]
	s_mov_b32 s17, 0
	s_delay_alu instid0(VALU_DEP_1)
	v_cmp_le_u64_e32 vcc_lo, s[10:11], v[4:5]
	s_or_not1_b32 s18, vcc_lo, exec_lo
.LBB198_414:                            ;   in Loop: Header=BB198_415 Depth=2
	s_delay_alu instid0(SALU_CYCLE_1) | instskip(NEXT) | instid1(SALU_CYCLE_1)
	s_and_b32 s18, exec_lo, s18
	s_or_b32 s8, s18, s8
	s_and_not1_b32 s16, s16, exec_lo
	s_and_b32 s17, s17, exec_lo
	s_delay_alu instid0(SALU_CYCLE_1)
	s_or_b32 s16, s16, s17
	s_and_not1_b32 exec_lo, exec_lo, s8
	s_cbranch_execz .LBB198_419
.LBB198_415:                            ;   Parent Loop BB198_18 Depth=1
                                        ; =>  This Inner Loop Header: Depth=2
	s_mov_b32 s17, exec_lo
	s_delay_alu instid0(VALU_DEP_1)
	v_cmpx_gt_u64_e64 s[36:37], v[4:5]
	s_cbranch_execz .LBB198_412
; %bb.416:                              ;   in Loop: Header=BB198_415 Depth=2
	v_mul_u64_e32 v[8:9], s[30:31], v[4:5]
	s_delay_alu instid0(VALU_DEP_1)
	v_lshl_add_u64 v[8:9], v[8:9], 2, s[34:35]
	global_load_b32 v23, v[8:9], off
	s_wait_loadcnt 0x0
	v_cmp_lt_i32_e32 vcc_lo, -1, v23
	v_cndmask_b32_e64 v8, -1, 0x80000000, vcc_lo
	v_cmp_o_f32_e32 vcc_lo, v23, v23
	s_delay_alu instid0(VALU_DEP_2) | instskip(NEXT) | instid1(VALU_DEP_1)
	v_xor_b32_e32 v8, v8, v23
	v_cndmask_b32_e32 v8, -1, v8, vcc_lo
	s_delay_alu instid0(VALU_DEP_1) | instskip(NEXT) | instid1(VALU_DEP_1)
	v_and_b32_e32 v8, v8, v37
	v_cmp_eq_u32_e32 vcc_lo, v8, v34
	s_and_b32 exec_lo, exec_lo, vcc_lo
	s_cbranch_execz .LBB198_412
; %bb.417:                              ;   in Loop: Header=BB198_415 Depth=2
	ds_store_b64 v3, v[22:23] offset:3072
	s_branch .LBB198_412
.LBB198_418:                            ;   in Loop: Header=BB198_415 Depth=2
	s_mov_b32 s18, -1
	s_mov_b32 s17, -1
                                        ; implicit-def: $vgpr4_vgpr5
	s_branch .LBB198_414
.LBB198_419:                            ;   in Loop: Header=BB198_18 Depth=1
	s_or_b32 exec_lo, exec_lo, s8
	s_delay_alu instid0(SALU_CYCLE_1) | instskip(SKIP_1) | instid1(SALU_CYCLE_1)
	s_and_not1_b32 s4, s4, exec_lo
	s_and_b32 s8, s16, exec_lo
	s_or_b32 s4, s4, s8
.LBB198_420:                            ;   in Loop: Header=BB198_18 Depth=1
	s_or_b32 exec_lo, exec_lo, s7
	s_mov_b32 s86, 0
	s_mov_b32 s88, -1
.LBB198_421:                            ;   in Loop: Header=BB198_18 Depth=1
	s_or_not1_b32 s4, s4, exec_lo
.LBB198_422:                            ;   in Loop: Header=BB198_18 Depth=1
	s_or_b32 exec_lo, exec_lo, s90
	s_mov_b32 s7, 0
	s_and_saveexec_b32 s18, s4
	s_cbranch_execz .LBB198_486
; %bb.423:                              ;   in Loop: Header=BB198_18 Depth=1
	v_mov_b64_e32 v[4:5], 1
	v_mov_b32_e32 v2, 1
	s_xor_b32 s8, s89, -1
	s_delay_alu instid0(SALU_CYCLE_1)
	s_and_saveexec_b32 s4, s8
	s_cbranch_execz .LBB198_432
; %bb.424:                              ;   in Loop: Header=BB198_18 Depth=1
	s_mov_b32 s7, exec_lo
	v_cmpx_ge_u64_e64 s[14:15], v[6:7]
	s_xor_b32 s7, exec_lo, s7
	s_cbranch_execz .LBB198_429
; %bb.425:                              ;   in Loop: Header=BB198_18 Depth=1
	ds_load_b64 v[4:5], v3 offset:5120
	s_lshl_b32 s8, 1, s69
	v_or_b32_e32 v37, s24, v37
	v_and_or_b32 v34, v34, s25, s8
	s_wait_dscnt 0x0
	v_cmp_ne_u64_e32 vcc_lo, 0, v[4:5]
	s_cbranch_vccnz .LBB198_429
; %bb.426:                              ;   in Loop: Header=BB198_18 Depth=1
	s_and_saveexec_b32 s8, s5
; %bb.427:                              ;   in Loop: Header=BB198_18 Depth=1
	v_mov_b64_e32 v[4:5], s[14:15]
	ds_store_b64 v3, v[4:5] offset:5128
; %bb.428:                              ;   in Loop: Header=BB198_18 Depth=1
	s_or_b32 exec_lo, exec_lo, s8
	s_wait_dscnt 0x0
	s_barrier_signal -1
	s_barrier_wait -1
.LBB198_429:                            ;   in Loop: Header=BB198_18 Depth=1
	s_or_saveexec_b32 s7, s7
	v_mov_b32_e32 v2, 5
	s_mov_b32 s8, 0
	s_xor_b32 exec_lo, exec_lo, s7
; %bb.430:                              ;   in Loop: Header=BB198_18 Depth=1
	v_sub_nc_u64_e64 v[6:7], v[6:7], s[14:15]
	v_mov_b32_e32 v2, 0
	s_mov_b32 s8, exec_lo
; %bb.431:                              ;   in Loop: Header=BB198_18 Depth=1
	s_or_b32 exec_lo, exec_lo, s7
	s_delay_alu instid0(VALU_DEP_2)
	v_mov_b64_e32 v[4:5], v[6:7]
	s_and_b32 s7, s8, exec_lo
.LBB198_432:                            ;   in Loop: Header=BB198_18 Depth=1
	s_or_b32 exec_lo, exec_lo, s4
	s_mov_b32 s4, -1
                                        ; implicit-def: $sgpr8
                                        ; implicit-def: $sgpr91
	s_and_saveexec_b32 s19, s7
	s_cbranch_execz .LBB198_485
; %bb.433:                              ;   in Loop: Header=BB198_18 Depth=1
	s_delay_alu instid0(VALU_DEP_1) | instskip(SKIP_3) | instid1(SALU_CYCLE_1)
	v_cmp_eq_u64_e32 vcc_lo, 1, v[4:5]
	s_cmp_eq_u64 s[12:13], 1
	s_mov_b32 s7, -1
	s_cselect_b32 s4, -1, 0
                                        ; implicit-def: $sgpr8
                                        ; implicit-def: $sgpr91
	s_and_b32 s89, s4, vcc_lo
	s_delay_alu instid0(SALU_CYCLE_1)
	s_and_saveexec_b32 s90, s89
	s_cbranch_execz .LBB198_473
; %bb.434:                              ;   in Loop: Header=BB198_18 Depth=1
	ds_load_b64 v[6:7], v3 offset:5120
	s_wait_dscnt 0x0
	s_barrier_signal -1
	s_barrier_wait -1
	v_readfirstlane_b32 s10, v6
	v_readfirstlane_b32 s11, v7
	s_and_saveexec_b32 s4, s6
; %bb.435:                              ;   in Loop: Header=BB198_18 Depth=1
	ds_store_b32 v32, v3
; %bb.436:                              ;   in Loop: Header=BB198_18 Depth=1
	s_or_b32 exec_lo, exec_lo, s4
	v_and_b32_e32 v34, s25, v34
	v_or_b32_e32 v37, s24, v37
	s_mov_b32 s91, -1
	s_mov_b32 s8, 0
	s_cmp_eq_u64 s[10:11], 0
	s_mov_b32 s4, 0
	s_wait_dscnt 0x0
	s_barrier_signal -1
	s_barrier_wait -1
                                        ; implicit-def: $vgpr25
	s_cbranch_scc1 .LBB198_455
; %bb.437:                              ;   in Loop: Header=BB198_18 Depth=1
	s_add_nc_u64 s[14:15], s[10:11], s[74:75]
	s_delay_alu instid0(SALU_CYCLE_1) | instskip(NEXT) | instid1(SALU_CYCLE_1)
	s_and_b64 s[16:17], s[14:15], 0xffffffff00000000
	s_cmp_lg_u64 s[16:17], 0
	s_cbranch_scc0 .LBB198_441
; %bb.438:                              ;   in Loop: Header=BB198_18 Depth=1
	s_cvt_f32_u32 s4, s56
	s_sub_nc_u64 s[62:63], 0, s[56:57]
	s_delay_alu instid0(SALU_CYCLE_2) | instskip(NEXT) | instid1(SALU_CYCLE_3)
	s_fmamk_f32 s4, s68, 0x0, s4
	v_s_rcp_f32 s4, s4
	s_delay_alu instid0(TRANS32_DEP_1) | instskip(NEXT) | instid1(SALU_CYCLE_3)
	s_mul_f32 s4, s4, 0x5f7ffffc
	s_mul_f32 s7, s4, 0x2f800000
	s_delay_alu instid0(SALU_CYCLE_3) | instskip(NEXT) | instid1(SALU_CYCLE_3)
	s_trunc_f32 s7, s7
	s_fmamk_f32 s4, s7, 0xcf800000, s4
	s_cvt_u32_f32 s17, s7
	s_delay_alu instid0(SALU_CYCLE_2) | instskip(NEXT) | instid1(SALU_CYCLE_3)
	s_cvt_u32_f32 s16, s4
	s_mul_u64 s[92:93], s[62:63], s[16:17]
	s_delay_alu instid0(SALU_CYCLE_1)
	s_mul_hi_u32 s95, s16, s93
	s_mul_i32 s94, s16, s93
	s_mul_hi_u32 s28, s16, s92
	s_mul_i32 s7, s17, s92
	s_add_nc_u64 s[94:95], s[28:29], s[94:95]
	s_mul_hi_u32 s4, s17, s92
	s_mul_hi_u32 s40, s17, s93
	s_add_co_u32 s7, s94, s7
	s_add_co_ci_u32 s28, s95, s4
	s_mul_i32 s92, s17, s93
	s_add_co_ci_u32 s93, s40, 0
	s_delay_alu instid0(SALU_CYCLE_1) | instskip(NEXT) | instid1(SALU_CYCLE_1)
	s_add_nc_u64 s[92:93], s[28:29], s[92:93]
	s_add_co_u32 s16, s16, s92
	s_cselect_b32 s4, -1, 0
	s_delay_alu instid0(SALU_CYCLE_1) | instskip(SKIP_1) | instid1(SALU_CYCLE_1)
	s_cmp_lg_u32 s4, 0
	s_add_co_ci_u32 s17, s17, s93
	s_mul_u64 s[62:63], s[62:63], s[16:17]
	s_delay_alu instid0(SALU_CYCLE_1)
	s_mul_hi_u32 s93, s16, s63
	s_mul_i32 s92, s16, s63
	s_mul_hi_u32 s28, s16, s62
	s_mul_i32 s7, s17, s62
	s_add_nc_u64 s[92:93], s[28:29], s[92:93]
	s_mul_hi_u32 s4, s17, s62
	s_mul_hi_u32 s40, s17, s63
	s_add_co_u32 s7, s92, s7
	s_add_co_ci_u32 s28, s93, s4
	s_mul_i32 s62, s17, s63
	s_add_co_ci_u32 s63, s40, 0
	s_delay_alu instid0(SALU_CYCLE_1) | instskip(NEXT) | instid1(SALU_CYCLE_1)
	s_add_nc_u64 s[62:63], s[28:29], s[62:63]
	s_add_co_u32 s4, s16, s62
	s_cselect_b32 s7, -1, 0
	s_mul_hi_u32 s28, s14, s4
	s_cmp_lg_u32 s7, 0
	s_mul_hi_u32 s7, s15, s4
	s_add_co_ci_u32 s40, s17, s63
	s_mul_i32 s4, s15, s4
	s_mul_hi_u32 s17, s14, s40
	s_mul_i32 s16, s14, s40
	s_mul_hi_u32 s41, s15, s40
	s_add_nc_u64 s[16:17], s[28:29], s[16:17]
	s_mul_i32 s62, s15, s40
	s_add_co_u32 s4, s16, s4
	s_add_co_ci_u32 s28, s17, s7
	s_add_co_ci_u32 s63, s41, 0
	s_delay_alu instid0(SALU_CYCLE_1) | instskip(NEXT) | instid1(SALU_CYCLE_1)
	s_add_nc_u64 s[16:17], s[28:29], s[62:63]
	s_and_b64 s[62:63], s[16:17], 0xffffffff00000000
	s_delay_alu instid0(SALU_CYCLE_1) | instskip(NEXT) | instid1(SALU_CYCLE_1)
	s_or_b32 s62, s62, s16
	s_mul_u64 s[16:17], s[56:57], s[62:63]
	s_delay_alu instid0(SALU_CYCLE_1) | instskip(SKIP_1) | instid1(SALU_CYCLE_1)
	s_sub_co_u32 s4, s14, s16
	s_cselect_b32 s7, -1, 0
	s_cmp_lg_u32 s7, 0
	s_sub_co_ci_u32 s7, s15, s17
	s_sub_co_u32 s16, s4, s56
	s_cselect_b32 s17, -1, 0
	s_delay_alu instid0(SALU_CYCLE_1) | instskip(SKIP_3) | instid1(SALU_CYCLE_1)
	s_cmp_lg_u32 s17, 0
	s_sub_co_ci_u32 s17, s7, 0
	s_sub_co_u32 s28, s16, s56
	s_cselect_b32 s40, -1, 0
	s_cmp_lg_u32 s40, 0
	s_sub_co_ci_u32 s40, s17, 0
	s_cmp_ge_u32 s16, s56
	s_cselect_b32 s41, -1, 0
	s_cmp_eq_u32 s17, 0
	s_cselect_b32 s41, s41, -1
	s_delay_alu instid0(SALU_CYCLE_1)
	s_cmp_lg_u32 s41, 0
	s_cselect_b32 s17, s40, s17
	s_cselect_b32 s16, s28, s16
	s_cmp_ge_u32 s4, s56
	s_cselect_b32 s28, -1, 0
	s_cmp_eq_u32 s7, 0
	s_cselect_b32 s28, s28, -1
	s_delay_alu instid0(SALU_CYCLE_1)
	s_cmp_lg_u32 s28, 0
	s_cselect_b32 s17, s17, s7
	s_cselect_b32 s16, s16, s4
	s_mov_b32 s4, 0
	s_branch .LBB198_442
.LBB198_439:                            ;   in Loop: Header=BB198_18 Depth=1
                                        ; implicit-def: $sgpr18_sgpr19
	s_branch .LBB198_392
.LBB198_440:                            ;   in Loop: Header=BB198_18 Depth=1
                                        ; implicit-def: $sgpr10_sgpr11
	s_branch .LBB198_409
.LBB198_441:                            ;   in Loop: Header=BB198_18 Depth=1
	s_mov_b32 s4, -1
                                        ; implicit-def: $sgpr16_sgpr17
.LBB198_442:                            ;   in Loop: Header=BB198_18 Depth=1
	s_delay_alu instid0(SALU_CYCLE_1)
	s_and_not1_b32 vcc_lo, exec_lo, s4
	s_cbranch_vccnz .LBB198_444
; %bb.443:                              ;   in Loop: Header=BB198_18 Depth=1
	v_cvt_f32_u32_e32 v6, s56
	s_sub_co_i32 s7, 0, s56
	s_delay_alu instid0(VALU_DEP_1) | instskip(SKIP_1) | instid1(TRANS32_DEP_1)
	v_rcp_iflag_f32_e32 v6, v6
	v_nop
	v_mul_f32_e32 v6, 0x4f7ffffe, v6
	s_delay_alu instid0(VALU_DEP_1) | instskip(NEXT) | instid1(VALU_DEP_1)
	v_cvt_u32_f32_e32 v6, v6
	v_readfirstlane_b32 s4, v6
	s_mul_i32 s7, s7, s4
	s_delay_alu instid0(SALU_CYCLE_1) | instskip(NEXT) | instid1(SALU_CYCLE_1)
	s_mul_hi_u32 s7, s4, s7
	s_add_co_i32 s4, s4, s7
	s_delay_alu instid0(SALU_CYCLE_1) | instskip(NEXT) | instid1(SALU_CYCLE_1)
	s_mul_hi_u32 s4, s14, s4
	s_mul_i32 s4, s4, s56
	s_delay_alu instid0(SALU_CYCLE_1) | instskip(NEXT) | instid1(SALU_CYCLE_1)
	s_sub_co_i32 s4, s14, s4
	s_sub_co_i32 s7, s4, s56
	s_cmp_ge_u32 s4, s56
	s_cselect_b32 s4, s7, s4
	s_delay_alu instid0(SALU_CYCLE_1) | instskip(SKIP_2) | instid1(SALU_CYCLE_1)
	s_sub_co_i32 s7, s4, s56
	s_cmp_ge_u32 s4, s56
	s_cselect_b32 s28, s7, s4
	s_mov_b64 s[16:17], s[28:29]
.LBB198_444:                            ;   in Loop: Header=BB198_18 Depth=1
	s_delay_alu instid0(SALU_CYCLE_1)
	s_sub_nc_u64 s[14:15], s[14:15], s[16:17]
	s_mov_b32 s7, 0
	s_mov_b32 s4, 0
	s_mov_b32 s16, exec_lo
                                        ; implicit-def: $vgpr25
	v_cmpx_gt_u64_e64 s[14:15], v[0:1]
	s_cbranch_execz .LBB198_454
; %bb.445:                              ;   in Loop: Header=BB198_18 Depth=1
	v_mov_b64_e32 v[6:7], v[0:1]
	v_mov_b32_e32 v8, v16
                                        ; implicit-def: $sgpr17
	s_branch .LBB198_449
.LBB198_446:                            ;   in Loop: Header=BB198_449 Depth=2
	s_or_b32 exec_lo, exec_lo, s28
	s_wait_dscnt 0x0
	s_barrier_signal -1
	s_barrier_wait -1
	ds_load_b64 v[24:25], v3 offset:3072
	s_wait_dscnt 0x0
	s_barrier_signal -1
	s_barrier_wait -1
	v_cmp_neq_f32_e32 vcc_lo, 0, v24
	s_cbranch_vccnz .LBB198_452
; %bb.447:                              ;   in Loop: Header=BB198_449 Depth=2
	v_add_nc_u64_e32 v[6:7], s[56:57], v[6:7]
	v_add_nc_u32_e32 v8, vcc_hi, v8
	s_mov_b32 s28, 0
	s_delay_alu instid0(VALU_DEP_2)
	v_cmp_le_u64_e32 vcc_lo, s[14:15], v[6:7]
	s_or_not1_b32 s62, vcc_lo, exec_lo
.LBB198_448:                            ;   in Loop: Header=BB198_449 Depth=2
	s_delay_alu instid0(SALU_CYCLE_1) | instskip(NEXT) | instid1(SALU_CYCLE_1)
	s_and_b32 s40, exec_lo, s62
	s_or_b32 s4, s40, s4
	s_and_not1_b32 s17, s17, exec_lo
	s_and_b32 s28, s28, exec_lo
	s_delay_alu instid0(SALU_CYCLE_1)
	s_or_b32 s17, s17, s28
	s_and_not1_b32 exec_lo, exec_lo, s4
	s_cbranch_execz .LBB198_453
.LBB198_449:                            ;   Parent Loop BB198_18 Depth=1
                                        ; =>  This Inner Loop Header: Depth=2
	s_mov_b32 s28, exec_lo
	s_delay_alu instid0(VALU_DEP_2)
	v_cmpx_gt_u64_e64 s[10:11], v[6:7]
	s_cbranch_execz .LBB198_446
; %bb.450:                              ;   in Loop: Header=BB198_449 Depth=2
	ds_load_b32 v23, v8
	s_wait_dscnt 0x0
	v_cmp_lt_i32_e32 vcc_lo, -1, v23
	v_cndmask_b32_e64 v9, -1, 0x80000000, vcc_lo
	v_cmp_o_f32_e32 vcc_lo, v23, v23
	s_delay_alu instid0(VALU_DEP_2) | instskip(NEXT) | instid1(VALU_DEP_1)
	v_xor_b32_e32 v9, v9, v23
	v_cndmask_b32_e32 v9, -1, v9, vcc_lo
	s_delay_alu instid0(VALU_DEP_1) | instskip(NEXT) | instid1(VALU_DEP_1)
	v_and_b32_e32 v9, v9, v37
	v_cmp_eq_u32_e32 vcc_lo, v9, v34
	s_and_b32 exec_lo, exec_lo, vcc_lo
	s_cbranch_execz .LBB198_446
; %bb.451:                              ;   in Loop: Header=BB198_449 Depth=2
	ds_store_b64 v3, v[22:23] offset:3072
	s_branch .LBB198_446
.LBB198_452:                            ;   in Loop: Header=BB198_449 Depth=2
	s_mov_b32 s62, -1
	s_mov_b32 s28, -1
                                        ; implicit-def: $vgpr6_vgpr7
                                        ; implicit-def: $vgpr8
	s_branch .LBB198_448
.LBB198_453:                            ;   in Loop: Header=BB198_18 Depth=1
	s_or_b32 exec_lo, exec_lo, s4
	s_delay_alu instid0(SALU_CYCLE_1)
	s_and_b32 s4, s17, exec_lo
.LBB198_454:                            ;   in Loop: Header=BB198_18 Depth=1
	s_or_b32 exec_lo, exec_lo, s16
.LBB198_455:                            ;   in Loop: Header=BB198_18 Depth=1
	s_delay_alu instid0(SALU_CYCLE_1)
	s_and_b32 vcc_lo, exec_lo, s7
	s_cbranch_vccz .LBB198_472
; %bb.456:                              ;   in Loop: Header=BB198_18 Depth=1
	s_and_b64 s[10:11], s[76:77], 0xffffffff00000000
	s_delay_alu instid0(SALU_CYCLE_1)
	s_cmp_lg_u64 s[10:11], 0
	s_cbranch_scc0 .LBB198_458
; %bb.457:                              ;   in Loop: Header=BB198_18 Depth=1
	s_cvt_f32_u32 s7, s56
	s_sub_nc_u64 s[14:15], 0, s[56:57]
	s_delay_alu instid0(SALU_CYCLE_2) | instskip(NEXT) | instid1(SALU_CYCLE_3)
	s_fmamk_f32 s7, s68, 0x0, s7
	v_s_rcp_f32 s7, s7
	s_delay_alu instid0(TRANS32_DEP_1) | instskip(NEXT) | instid1(SALU_CYCLE_3)
	s_mul_f32 s7, s7, 0x5f7ffffc
	s_mul_f32 s8, s7, 0x2f800000
	s_delay_alu instid0(SALU_CYCLE_3) | instskip(NEXT) | instid1(SALU_CYCLE_3)
	s_trunc_f32 s8, s8
	s_fmamk_f32 s7, s8, 0xcf800000, s7
	s_cvt_u32_f32 s11, s8
	s_delay_alu instid0(SALU_CYCLE_2) | instskip(NEXT) | instid1(SALU_CYCLE_3)
	s_cvt_u32_f32 s10, s7
	s_mul_u64 s[16:17], s[14:15], s[10:11]
	s_delay_alu instid0(SALU_CYCLE_1)
	s_mul_hi_u32 s63, s10, s17
	s_mul_i32 s62, s10, s17
	s_mul_hi_u32 s28, s10, s16
	s_mul_i32 s8, s11, s16
	s_add_nc_u64 s[62:63], s[28:29], s[62:63]
	s_mul_hi_u32 s7, s11, s16
	s_mul_hi_u32 s40, s11, s17
	s_add_co_u32 s8, s62, s8
	s_add_co_ci_u32 s28, s63, s7
	s_mul_i32 s16, s11, s17
	s_add_co_ci_u32 s17, s40, 0
	s_delay_alu instid0(SALU_CYCLE_1) | instskip(NEXT) | instid1(SALU_CYCLE_1)
	s_add_nc_u64 s[16:17], s[28:29], s[16:17]
	s_add_co_u32 s10, s10, s16
	s_cselect_b32 s7, -1, 0
	s_delay_alu instid0(SALU_CYCLE_1) | instskip(SKIP_1) | instid1(SALU_CYCLE_1)
	s_cmp_lg_u32 s7, 0
	s_add_co_ci_u32 s11, s11, s17
	s_mul_u64 s[14:15], s[14:15], s[10:11]
	s_delay_alu instid0(SALU_CYCLE_1)
	s_mul_hi_u32 s17, s10, s15
	s_mul_i32 s16, s10, s15
	s_mul_hi_u32 s28, s10, s14
	s_mul_i32 s8, s11, s14
	s_add_nc_u64 s[16:17], s[28:29], s[16:17]
	s_mul_hi_u32 s7, s11, s14
	s_mul_hi_u32 s40, s11, s15
	s_add_co_u32 s8, s16, s8
	s_add_co_ci_u32 s28, s17, s7
	s_mul_i32 s14, s11, s15
	s_add_co_ci_u32 s15, s40, 0
	s_delay_alu instid0(SALU_CYCLE_1) | instskip(NEXT) | instid1(SALU_CYCLE_1)
	s_add_nc_u64 s[14:15], s[28:29], s[14:15]
	s_add_co_u32 s7, s10, s14
	s_cselect_b32 s8, -1, 0
	s_mul_hi_u32 s28, s76, s7
	s_cmp_lg_u32 s8, 0
	s_mul_hi_u32 s8, s77, s7
	s_add_co_ci_u32 s14, s11, s15
	s_mul_i32 s7, s77, s7
	s_mul_hi_u32 s11, s76, s14
	s_mul_i32 s10, s76, s14
	s_mul_hi_u32 s15, s77, s14
	s_add_nc_u64 s[10:11], s[28:29], s[10:11]
	s_mul_i32 s14, s77, s14
	s_add_co_u32 s7, s10, s7
	s_add_co_ci_u32 s28, s11, s8
	s_add_co_ci_u32 s15, s15, 0
	s_delay_alu instid0(SALU_CYCLE_1) | instskip(NEXT) | instid1(SALU_CYCLE_1)
	s_add_nc_u64 s[10:11], s[28:29], s[14:15]
	s_and_b64 s[14:15], s[10:11], 0xffffffff00000000
	s_delay_alu instid0(SALU_CYCLE_1) | instskip(NEXT) | instid1(SALU_CYCLE_1)
	s_or_b32 s14, s14, s10
	s_mul_u64 s[10:11], s[56:57], s[14:15]
	s_delay_alu instid0(SALU_CYCLE_1) | instskip(SKIP_1) | instid1(SALU_CYCLE_1)
	s_sub_co_u32 s7, s76, s10
	s_cselect_b32 s8, -1, 0
	s_cmp_lg_u32 s8, 0
	s_sub_co_ci_u32 s8, s77, s11
	s_sub_co_u32 s10, s7, s56
	s_cselect_b32 s11, -1, 0
	s_delay_alu instid0(SALU_CYCLE_1) | instskip(SKIP_3) | instid1(SALU_CYCLE_1)
	s_cmp_lg_u32 s11, 0
	s_sub_co_ci_u32 s11, s8, 0
	s_sub_co_u32 s14, s10, s56
	s_cselect_b32 s15, -1, 0
	s_cmp_lg_u32 s15, 0
	s_sub_co_ci_u32 s15, s11, 0
	s_cmp_ge_u32 s10, s56
	s_cselect_b32 s16, -1, 0
	s_cmp_eq_u32 s11, 0
	s_cselect_b32 s16, s16, -1
	s_delay_alu instid0(SALU_CYCLE_1)
	s_cmp_lg_u32 s16, 0
	s_cselect_b32 s11, s15, s11
	s_cselect_b32 s10, s14, s10
	s_cmp_ge_u32 s7, s56
	s_cselect_b32 s14, -1, 0
	s_cmp_eq_u32 s8, 0
	s_cselect_b32 s14, s14, -1
	s_delay_alu instid0(SALU_CYCLE_1)
	s_cmp_lg_u32 s14, 0
	s_cselect_b32 s11, s11, s8
	s_cselect_b32 s10, s10, s7
	s_mov_b32 s7, 0
	s_branch .LBB198_459
.LBB198_458:                            ;   in Loop: Header=BB198_18 Depth=1
	s_mov_b32 s7, -1
                                        ; implicit-def: $sgpr10_sgpr11
.LBB198_459:                            ;   in Loop: Header=BB198_18 Depth=1
	s_delay_alu instid0(SALU_CYCLE_1)
	s_and_not1_b32 vcc_lo, exec_lo, s7
	s_cbranch_vccnz .LBB198_461
; %bb.460:                              ;   in Loop: Header=BB198_18 Depth=1
	v_cvt_f32_u32_e32 v6, s56
	s_sub_co_i32 s8, 0, s56
	s_delay_alu instid0(VALU_DEP_1) | instskip(SKIP_1) | instid1(TRANS32_DEP_1)
	v_rcp_iflag_f32_e32 v6, v6
	v_nop
	v_mul_f32_e32 v6, 0x4f7ffffe, v6
	s_delay_alu instid0(VALU_DEP_1) | instskip(NEXT) | instid1(VALU_DEP_1)
	v_cvt_u32_f32_e32 v6, v6
	v_readfirstlane_b32 s7, v6
	s_mul_i32 s8, s8, s7
	s_delay_alu instid0(SALU_CYCLE_1) | instskip(NEXT) | instid1(SALU_CYCLE_1)
	s_mul_hi_u32 s8, s7, s8
	s_add_co_i32 s7, s7, s8
	s_delay_alu instid0(SALU_CYCLE_1) | instskip(NEXT) | instid1(SALU_CYCLE_1)
	s_mul_hi_u32 s7, s76, s7
	s_mul_i32 s7, s7, s56
	s_delay_alu instid0(SALU_CYCLE_1) | instskip(NEXT) | instid1(SALU_CYCLE_1)
	s_sub_co_i32 s7, s76, s7
	s_sub_co_i32 s8, s7, s56
	s_cmp_ge_u32 s7, s56
	s_cselect_b32 s7, s8, s7
	s_delay_alu instid0(SALU_CYCLE_1) | instskip(SKIP_2) | instid1(SALU_CYCLE_1)
	s_sub_co_i32 s8, s7, s56
	s_cmp_ge_u32 s7, s56
	s_cselect_b32 s28, s8, s7
	s_mov_b64 s[10:11], s[28:29]
.LBB198_461:                            ;   in Loop: Header=BB198_18 Depth=1
	s_delay_alu instid0(SALU_CYCLE_1)
	s_sub_nc_u64 s[10:11], s[76:77], s[10:11]
	s_mov_b32 s7, exec_lo
                                        ; implicit-def: $vgpr25
	v_cmpx_gt_u64_e64 s[10:11], v[0:1]
	s_cbranch_execz .LBB198_471
; %bb.462:                              ;   in Loop: Header=BB198_18 Depth=1
	v_mov_b64_e32 v[6:7], v[0:1]
	s_mov_b32 s8, 0
                                        ; implicit-def: $sgpr14
	s_branch .LBB198_466
.LBB198_463:                            ;   in Loop: Header=BB198_466 Depth=2
	s_or_b32 exec_lo, exec_lo, s15
	s_wait_dscnt 0x0
	s_barrier_signal -1
	s_barrier_wait -1
	ds_load_b64 v[24:25], v3 offset:3072
	s_wait_dscnt 0x0
	s_barrier_signal -1
	s_barrier_wait -1
	v_cmp_eq_f32_e32 vcc_lo, 0, v24
	s_cbranch_vccz .LBB198_469
; %bb.464:                              ;   in Loop: Header=BB198_466 Depth=2
	v_add_nc_u64_e32 v[6:7], s[56:57], v[6:7]
	s_mov_b32 s15, 0
	s_delay_alu instid0(VALU_DEP_1)
	v_cmp_le_u64_e32 vcc_lo, s[10:11], v[6:7]
	s_or_not1_b32 s16, vcc_lo, exec_lo
.LBB198_465:                            ;   in Loop: Header=BB198_466 Depth=2
	s_delay_alu instid0(SALU_CYCLE_1) | instskip(NEXT) | instid1(SALU_CYCLE_1)
	s_and_b32 s16, exec_lo, s16
	s_or_b32 s8, s16, s8
	s_and_not1_b32 s14, s14, exec_lo
	s_and_b32 s15, s15, exec_lo
	s_delay_alu instid0(SALU_CYCLE_1)
	s_or_b32 s14, s14, s15
	s_and_not1_b32 exec_lo, exec_lo, s8
	s_cbranch_execz .LBB198_470
.LBB198_466:                            ;   Parent Loop BB198_18 Depth=1
                                        ; =>  This Inner Loop Header: Depth=2
	s_mov_b32 s15, exec_lo
	s_delay_alu instid0(VALU_DEP_1)
	v_cmpx_gt_u64_e64 s[36:37], v[6:7]
	s_cbranch_execz .LBB198_463
; %bb.467:                              ;   in Loop: Header=BB198_466 Depth=2
	v_mul_u64_e32 v[8:9], s[30:31], v[6:7]
	s_delay_alu instid0(VALU_DEP_1)
	v_lshl_add_u64 v[8:9], v[8:9], 2, s[34:35]
	global_load_b32 v23, v[8:9], off
	s_wait_loadcnt 0x0
	v_cmp_lt_i32_e32 vcc_lo, -1, v23
	v_cndmask_b32_e64 v8, -1, 0x80000000, vcc_lo
	v_cmp_o_f32_e32 vcc_lo, v23, v23
	s_delay_alu instid0(VALU_DEP_2) | instskip(NEXT) | instid1(VALU_DEP_1)
	v_xor_b32_e32 v8, v8, v23
	v_cndmask_b32_e32 v8, -1, v8, vcc_lo
	s_delay_alu instid0(VALU_DEP_1) | instskip(NEXT) | instid1(VALU_DEP_1)
	v_and_b32_e32 v8, v8, v37
	v_cmp_eq_u32_e32 vcc_lo, v8, v34
	s_and_b32 exec_lo, exec_lo, vcc_lo
	s_cbranch_execz .LBB198_463
; %bb.468:                              ;   in Loop: Header=BB198_466 Depth=2
	ds_store_b64 v3, v[22:23] offset:3072
	s_branch .LBB198_463
.LBB198_469:                            ;   in Loop: Header=BB198_466 Depth=2
	s_mov_b32 s16, -1
	s_mov_b32 s15, -1
                                        ; implicit-def: $vgpr6_vgpr7
	s_branch .LBB198_465
.LBB198_470:                            ;   in Loop: Header=BB198_18 Depth=1
	s_or_b32 exec_lo, exec_lo, s8
	s_delay_alu instid0(SALU_CYCLE_1) | instskip(SKIP_1) | instid1(SALU_CYCLE_1)
	s_and_not1_b32 s4, s4, exec_lo
	s_and_b32 s8, s14, exec_lo
	s_or_b32 s4, s4, s8
.LBB198_471:                            ;   in Loop: Header=BB198_18 Depth=1
	s_or_b32 exec_lo, exec_lo, s7
	s_mov_b32 s91, 0
	s_mov_b32 s8, -1
.LBB198_472:                            ;   in Loop: Header=BB198_18 Depth=1
	s_or_not1_b32 s7, s4, exec_lo
.LBB198_473:                            ;   in Loop: Header=BB198_18 Depth=1
	s_or_b32 exec_lo, exec_lo, s90
	s_mov_b32 s10, 0
	s_and_saveexec_b32 s4, s7
	s_cbranch_execz .LBB198_484
; %bb.474:                              ;   in Loop: Header=BB198_18 Depth=1
	v_mov_b64_e32 v[6:7], 1
	v_mov_b32_e32 v2, 1
	s_xor_b32 s10, s89, -1
	s_delay_alu instid0(SALU_CYCLE_1)
	s_and_saveexec_b32 s7, s10
	s_cbranch_execz .LBB198_483
; %bb.475:                              ;   in Loop: Header=BB198_18 Depth=1
	s_mov_b32 s10, exec_lo
	v_cmpx_ge_u64_e64 s[12:13], v[4:5]
	s_xor_b32 s10, exec_lo, s10
	s_cbranch_execz .LBB198_480
; %bb.476:                              ;   in Loop: Header=BB198_18 Depth=1
	ds_load_b64 v[6:7], v3 offset:5120
	v_and_b32_e32 v34, s25, v34
	v_or_b32_e32 v37, s24, v37
	s_wait_dscnt 0x0
	v_cmp_ne_u64_e32 vcc_lo, 0, v[6:7]
	s_cbranch_vccnz .LBB198_480
; %bb.477:                              ;   in Loop: Header=BB198_18 Depth=1
	s_and_saveexec_b32 s11, s5
; %bb.478:                              ;   in Loop: Header=BB198_18 Depth=1
	v_mov_b64_e32 v[6:7], s[12:13]
	ds_store_b64 v3, v[6:7] offset:5128
; %bb.479:                              ;   in Loop: Header=BB198_18 Depth=1
	s_or_b32 exec_lo, exec_lo, s11
	s_wait_dscnt 0x0
	s_barrier_signal -1
	s_barrier_wait -1
.LBB198_480:                            ;   in Loop: Header=BB198_18 Depth=1
	s_and_not1_saveexec_b32 s10, s10
; %bb.481:                              ;   in Loop: Header=BB198_18 Depth=1
	v_sub_nc_u64_e64 v[4:5], v[4:5], s[12:13]
; %bb.482:                              ;   in Loop: Header=BB198_18 Depth=1
	s_or_b32 exec_lo, exec_lo, s10
	s_delay_alu instid0(VALU_DEP_1)
	v_mov_b64_e32 v[6:7], v[4:5]
	v_mov_b32_e32 v2, 5
.LBB198_483:                            ;   in Loop: Header=BB198_18 Depth=1
	s_or_b32 exec_lo, exec_lo, s7
	s_delay_alu instid0(VALU_DEP_2)
	v_mov_b64_e32 v[4:5], v[6:7]
	s_mov_b32 s10, exec_lo
.LBB198_484:                            ;   in Loop: Header=BB198_18 Depth=1
	s_or_b32 exec_lo, exec_lo, s4
	s_delay_alu instid0(SALU_CYCLE_1)
	s_or_not1_b32 s4, s10, exec_lo
.LBB198_485:                            ;   in Loop: Header=BB198_18 Depth=1
	s_or_b32 exec_lo, exec_lo, s19
	s_delay_alu instid0(SALU_CYCLE_1)
	s_and_not1_b32 s7, s88, exec_lo
	s_and_b32 s8, s8, exec_lo
	s_and_not1_b32 s10, s86, exec_lo
	s_and_b32 s11, s91, exec_lo
	v_mov_b64_e32 v[6:7], v[4:5]
	s_or_b32 s88, s7, s8
	s_or_b32 s86, s10, s11
	s_and_b32 s7, s4, exec_lo
.LBB198_486:                            ;   in Loop: Header=BB198_18 Depth=1
	s_or_b32 exec_lo, exec_lo, s18
	s_delay_alu instid0(SALU_CYCLE_1)
	s_or_not1_b32 s4, s7, exec_lo
.LBB198_487:                            ;   in Loop: Header=BB198_18 Depth=1
	s_or_b32 exec_lo, exec_lo, s21
	s_delay_alu instid0(SALU_CYCLE_1)
	s_and_not1_b32 s7, s85, exec_lo
	s_and_b32 s8, s88, exec_lo
	s_and_not1_b32 s10, s23, exec_lo
	s_and_b32 s11, s86, exec_lo
	v_mov_b64_e32 v[4:5], v[6:7]
	s_or_b32 s85, s7, s8
	s_or_b32 s23, s10, s11
	s_and_b32 s7, s4, exec_lo
.LBB198_488:                            ;   in Loop: Header=BB198_18 Depth=1
	s_or_b32 exec_lo, exec_lo, s20
	s_delay_alu instid0(SALU_CYCLE_1)
	s_or_not1_b32 s4, s7, exec_lo
.LBB198_489:                            ;   in Loop: Header=BB198_18 Depth=1
	s_or_b32 exec_lo, exec_lo, s9
	s_mov_b32 s7, s84
	s_mov_b32 s8, s27
	s_and_saveexec_b32 s10, s4
; %bb.490:                              ;   in Loop: Header=BB198_18 Depth=1
	v_cmp_ne_u32_e32 vcc_lo, 5, v2
	v_cmp_eq_u32_e64 s9, 5, v2
	s_and_not1_b32 s4, s27, exec_lo
	s_and_not1_b32 s7, s84, exec_lo
	s_and_b32 s8, vcc_lo, exec_lo
	s_and_b32 s9, s9, exec_lo
	s_or_b32 s8, s4, s8
	s_or_b32 s7, s7, s9
; %bb.491:                              ;   in Loop: Header=BB198_18 Depth=1
	s_or_b32 exec_lo, exec_lo, s10
	s_delay_alu instid0(SALU_CYCLE_1)
	s_and_not1_b32 s4, s87, exec_lo
	s_and_b32 s9, s85, exec_lo
	s_and_not1_b32 s10, s26, exec_lo
	s_and_b32 s11, s23, exec_lo
	s_or_b32 s87, s4, s9
	s_and_not1_b32 s4, s27, exec_lo
	s_and_b32 s8, s8, exec_lo
	s_and_not1_b32 s9, s84, exec_lo
	s_and_b32 s7, s7, exec_lo
	s_or_b32 s26, s10, s11
	s_or_b32 s27, s4, s8
	;; [unrolled: 1-line block ×3, first 2 shown]
.LBB198_492:                            ;   in Loop: Header=BB198_18 Depth=1
	s_or_b32 exec_lo, exec_lo, s22
	s_mov_b32 s85, 0
	s_mov_b32 s86, 0
	s_and_saveexec_b32 s4, s84
.LBB198_493:                            ;   in Loop: Header=BB198_18 Depth=1
	v_mov_b32_e32 v2, 0
	s_or_b32 s27, s27, exec_lo
.LBB198_494:                            ;   in Loop: Header=BB198_18 Depth=1
	s_or_b32 exec_lo, exec_lo, s4
	v_mov_b64_e32 v[26:27], v[4:5]
	s_and_not1_b32 s4, s53, exec_lo
	s_and_b32 s8, s87, exec_lo
	s_and_not1_b32 s9, s51, exec_lo
	s_and_b32 s10, s26, exec_lo
	s_or_b32 s53, s4, s8
	s_or_b32 s51, s9, s10
	s_and_not1_b32 s4, s55, exec_lo
	s_and_b32 s8, s86, exec_lo
	s_and_not1_b32 s9, s54, exec_lo
	s_and_b32 s10, s85, exec_lo
	s_mov_b32 s7, -1
	s_and_not1_b32 s52, s52, exec_lo
	s_or_b32 s55, s4, s8
	s_or_b32 s54, s9, s10
	s_and_saveexec_b32 s4, s27
	s_delay_alu instid0(SALU_CYCLE_1)
	s_xor_b32 s4, exec_lo, s4
	s_cbranch_execz .LBB198_17
; %bb.495:                              ;   in Loop: Header=BB198_18 Depth=1
	s_mov_b32 s8, -1
	s_mov_b32 s9, exec_lo
	v_cmpx_eq_u32_e32 0, v2
	s_cbranch_execz .LBB198_16
; %bb.496:                              ;   in Loop: Header=BB198_18 Depth=1
	s_xor_b32 s72, s72, 1
	s_add_co_i32 s10, s69, -2
	s_cmp_eq_u32 s69, 0
	s_mov_b32 s69, s10
	s_cselect_b32 s7, -1, 0
	s_xor_b32 s8, exec_lo, -1
	s_or_not1_b32 s7, s7, exec_lo
	s_branch .LBB198_16
.LBB198_497:
	s_or_b32 exec_lo, exec_lo, s70
	s_xor_b32 s6, s50, -1
	s_xor_b32 s8, s48, -1
	;; [unrolled: 1-line block ×5, first 2 shown]
	s_mov_b32 s7, 0
	s_and_saveexec_b32 s11, s10
	s_delay_alu instid0(SALU_CYCLE_1)
	s_xor_b32 s16, exec_lo, s11
	s_cbranch_execnz .LBB198_502
; %bb.498:
	s_and_not1_saveexec_b32 s0, s16
	s_cbranch_execnz .LBB198_521
.LBB198_499:
	s_or_b32 exec_lo, exec_lo, s0
	s_and_saveexec_b32 s0, s7
.LBB198_500:
	; divergent unreachable
.LBB198_501:
	s_endpgm
.LBB198_502:
	s_and_saveexec_b32 s10, s9
	s_delay_alu instid0(SALU_CYCLE_1)
	s_xor_b32 s17, exec_lo, s10
	s_cbranch_execz .LBB198_519
; %bb.503:
	s_and_saveexec_b32 s9, s8
	s_delay_alu instid0(SALU_CYCLE_1)
	s_xor_b32 s18, exec_lo, s9
	s_cbranch_execz .LBB198_517
; %bb.504:
	;; [unrolled: 5-line block ×3, first 2 shown]
	s_and_saveexec_b32 s6, s4
	s_delay_alu instid0(SALU_CYCLE_1)
	s_xor_b32 s4, exec_lo, s6
; %bb.506:
	v_cmp_lt_i32_e32 vcc_lo, -1, v34
	v_cndmask_b32_e64 v2, 0x80000000, -1, vcc_lo
	s_delay_alu instid0(VALU_DEP_1)
	v_xor_b32_e32 v25, v2, v34
; %bb.507:
	s_or_b32 exec_lo, exec_lo, s4
	s_and_saveexec_b32 s4, s5
; %bb.508:
	v_mov_b64_e32 v[2:3], 0
	v_mov_b32_e32 v4, 0
	ds_store_b64 v4, v[2:3] offset:5136
; %bb.509:
	s_or_b32 exec_lo, exec_lo, s4
	v_mov_b32_e32 v16, 0
	s_wait_dscnt 0x0
	s_barrier_signal -1
	s_barrier_wait -1
	s_and_saveexec_b32 s4, s3
	v_readlane_b32 s6, v45, 6
	v_readlane_b32 s7, v45, 7
	s_cbranch_execz .LBB198_511
; %bb.510:
	global_load_b32 v16, v[14:15], off
.LBB198_511:
	s_wait_xcnt 0x0
	s_or_b32 exec_lo, exec_lo, s4
	s_clause 0x2
	s_load_b128 s[24:27], s[0:1], 0x1d8
	s_load_b128 s[40:43], s[0:1], 0x298
	s_load_b64 s[4:5], s[0:1], 0x450
	v_readlane_b32 s28, v45, 8
	v_readlane_b32 s29, v45, 9
	v_cmp_lt_i32_e32 vcc_lo, -1, v25
	s_add_nc_u64 s[10:11], s[36:37], 31
	s_mov_b64 s[12:13], 0xffffffffffffffe0
	s_mul_u64 s[14:15], s[6:7], s[46:47]
	s_and_b64 s[10:11], s[10:11], s[12:13]
	s_sub_nc_u64 s[12:13], s[58:59], s[14:15]
	v_cndmask_b32_e64 v2, -1, 0x80000000, vcc_lo
	v_cmp_o_f32_e32 vcc_lo, v25, v25
	s_mov_b32 s20, -1
	s_delay_alu instid0(VALU_DEP_2)
	v_xor_b32_e32 v2, v2, v25
	s_wait_kmcnt 0x0
	s_mul_u64 s[22:23], s[64:65], s[24:25]
	s_mul_u64 s[24:25], s[64:65], s[40:41]
	;; [unrolled: 1-line block ×3, first 2 shown]
	s_mov_b64 s[40:41], s[6:7]
	s_clause 0x1
	s_load_b64 s[6:7], s[0:1], 0x510
	s_load_b64 s[8:9], s[0:1], 0x368
	s_wait_xcnt 0x0
	s_sub_nc_u64 s[0:1], s[60:61], s[22:23]
	v_readlane_b32 s22, v45, 4
	v_readlane_b32 s23, v45, 5
	s_sub_nc_u64 s[14:15], s[58:59], s[26:27]
	v_readlane_b32 s26, v45, 12
	v_readlane_b32 s27, v45, 13
	s_mul_u64 s[4:5], s[12:13], s[4:5]
	s_mul_u64 s[12:13], s[28:29], s[44:45]
	;; [unrolled: 1-line block ×3, first 2 shown]
	s_sub_nc_u64 s[12:13], s[40:41], s[12:13]
	s_mul_u64 s[14:15], s[14:15], s[22:23]
	v_readlane_b32 s40, v45, 0
	s_lshl_b64 s[22:23], s[24:25], 2
	v_readlane_b32 s41, v45, 1
	s_add_nc_u64 s[22:23], s[26:27], s[22:23]
	s_lshl_b64 s[0:1], s[0:1], 2
	v_readlane_b32 s42, v45, 2
	v_readlane_b32 s43, v45, 3
	s_add_nc_u64 s[0:1], s[22:23], s[0:1]
	v_readlane_b32 s22, v45, 10
	v_readlane_b32 s23, v45, 11
	s_mul_u64 s[24:25], s[28:29], s[40:41]
	s_mul_u64 s[12:13], s[12:13], s[42:43]
	s_lshl_b64 s[24:25], s[24:25], 3
	v_cndmask_b32_e32 v13, -1, v2, vcc_lo
	v_cmp_gt_u64_e32 vcc_lo, s[10:11], v[0:1]
	s_add_nc_u64 s[22:23], s[22:23], s[24:25]
	s_lshl_b64 s[12:13], s[12:13], 3
	s_lshl_b64 s[14:15], s[14:15], 2
	s_add_nc_u64 s[22:23], s[22:23], s[12:13]
	s_lshl_b64 s[4:5], s[4:5], 3
	s_add_nc_u64 s[12:13], s[0:1], s[14:15]
	s_add_nc_u64 s[14:15], s[22:23], s[4:5]
	s_mov_b32 s5, 0
	s_mov_b32 s1, 0
	s_and_saveexec_b32 s4, vcc_lo
	s_cbranch_execnz .LBB198_522
; %bb.512:
	s_or_b32 exec_lo, exec_lo, s4
	s_and_saveexec_b32 s4, s20
	s_cbranch_execnz .LBB198_539
.LBB198_513:
	s_or_b32 exec_lo, exec_lo, s4
	s_and_saveexec_b32 s0, s1
	s_delay_alu instid0(SALU_CYCLE_1)
	s_xor_b32 s0, exec_lo, s0
	s_cbranch_execnz .LBB198_562
.LBB198_514:
	s_or_b32 exec_lo, exec_lo, s0
	s_wait_kmcnt 0x0
	s_and_b32 s7, s5, exec_lo
.LBB198_515:
	s_and_not1_saveexec_b32 s0, s19
	s_cbranch_execnz .LBB198_564
.LBB198_516:
	s_or_b32 exec_lo, exec_lo, s0
	s_delay_alu instid0(SALU_CYCLE_1)
	s_and_b32 s7, s7, exec_lo
.LBB198_517:
	s_and_not1_saveexec_b32 s0, s18
	s_cbranch_execnz .LBB198_563
.LBB198_518:
	s_or_b32 exec_lo, exec_lo, s0
	s_delay_alu instid0(SALU_CYCLE_1)
	s_and_b32 s7, s7, exec_lo
.LBB198_519:
	s_and_not1_saveexec_b32 s0, s17
	s_cbranch_execnz .LBB198_558
.LBB198_520:
	s_or_b32 exec_lo, exec_lo, s0
	s_delay_alu instid0(SALU_CYCLE_1)
	s_and_b32 s7, s7, exec_lo
	s_and_not1_saveexec_b32 s0, s16
	s_cbranch_execz .LBB198_499
.LBB198_521:
	s_or_b32 s7, s7, exec_lo
	s_trap 2
	s_or_b32 exec_lo, exec_lo, s0
	s_and_saveexec_b32 s0, s7
	s_cbranch_execnz .LBB198_500
	s_branch .LBB198_501
.LBB198_522:
	v_mov_b64_e32 v[8:9], v[0:1]
	v_mov_b32_e32 v3, 0
	s_mov_b32 s20, 0
                                        ; implicit-def: $sgpr21
                                        ; implicit-def: $vgpr6_vgpr7
	s_branch .LBB198_524
.LBB198_523:                            ;   in Loop: Header=BB198_524 Depth=1
	s_or_b32 exec_lo, exec_lo, s23
	s_xor_b32 s0, s22, -1
	s_and_b32 s1, exec_lo, s1
	v_mov_b64_e32 v[8:9], v[4:5]
	s_wait_loadcnt 0x0
	v_mov_b32_e32 v16, v17
	s_or_b32 s20, s1, s20
	s_and_not1_b32 s1, s21, exec_lo
	s_and_b32 s0, s0, exec_lo
	s_delay_alu instid0(SALU_CYCLE_1)
	s_or_b32 s21, s1, s0
	s_and_not1_b32 exec_lo, exec_lo, s20
	s_cbranch_execz .LBB198_538
.LBB198_524:                            ; =>This Inner Loop Header: Depth=1
	s_delay_alu instid0(VALU_DEP_2) | instskip(SKIP_2) | instid1(VALU_DEP_2)
	v_add_nc_u64_e32 v[4:5], s[56:57], v[8:9]
	v_mov_b32_e32 v17, 0
	s_mov_b32 s1, exec_lo
	v_cmpx_gt_u64_e64 s[36:37], v[4:5]
	s_cbranch_execz .LBB198_526
; %bb.525:                              ;   in Loop: Header=BB198_524 Depth=1
	v_mul_u64_e32 v[10:11], s[30:31], v[4:5]
	s_delay_alu instid0(VALU_DEP_1)
	v_lshl_add_u64 v[10:11], v[10:11], 2, s[34:35]
	global_load_b32 v17, v[10:11], off
.LBB198_526:                            ;   in Loop: Header=BB198_524 Depth=1
	s_wait_xcnt 0x0
	s_or_b32 exec_lo, exec_lo, s1
	s_mov_b32 s22, 0
	s_mov_b32 s1, exec_lo
	v_cmpx_gt_u64_e64 s[36:37], v[8:9]
	s_cbranch_execz .LBB198_528
; %bb.527:                              ;   in Loop: Header=BB198_524 Depth=1
	s_wait_loadcnt 0x0
	v_cmp_lt_i32_e64 s0, -1, v16
	s_delay_alu instid0(VALU_DEP_1) | instskip(SKIP_1) | instid1(VALU_DEP_2)
	v_cndmask_b32_e64 v2, -1, 0x80000000, s0
	v_cmp_o_f32_e64 s0, v16, v16
	v_xor_b32_e32 v2, v2, v16
	s_delay_alu instid0(VALU_DEP_1) | instskip(NEXT) | instid1(VALU_DEP_1)
	v_cndmask_b32_e64 v2, -1, v2, s0
	v_cmp_gt_u32_e64 s0, v2, v13
	s_delay_alu instid0(VALU_DEP_1) | instskip(SKIP_1) | instid1(VALU_DEP_1)
	v_cndmask_b32_e64 v10, 0, 1, s0
	v_cmp_lt_u32_e64 s0, v2, v13
	v_cndmask_b32_e64 v2, 0, 1, s0
	s_delay_alu instid0(VALU_DEP_1) | instskip(NEXT) | instid1(VALU_DEP_1)
	v_cndmask_b32_e64 v2, v2, v10, s66
	v_and_b32_e32 v2, 1, v2
	s_delay_alu instid0(VALU_DEP_1)
	v_cmp_eq_u32_e64 s0, 1, v2
	s_and_b32 s22, s0, exec_lo
.LBB198_528:                            ;   in Loop: Header=BB198_524 Depth=1
	s_or_b32 exec_lo, exec_lo, s1
	v_cndmask_b32_e64 v2, 0, 1, s22
	s_delay_alu instid0(VALU_DEP_1) | instskip(SKIP_2) | instid1(SALU_CYCLE_1)
	v_cmp_ne_u32_e64 s0, 0, v2
	s_cmp_lg_u32 s0, 0
	s_cselect_b32 s1, -1, 0
	s_and_b32 s1, s2, s1
	s_delay_alu instid0(SALU_CYCLE_1)
	s_and_saveexec_b32 s23, s1
	s_cbranch_execz .LBB198_532
; %bb.529:                              ;   in Loop: Header=BB198_524 Depth=1
	s_mov_b32 s26, exec_lo
	s_bcnt1_i32_b32 s24, s0
	v_mbcnt_lo_u32_b32 v10, s26, 0
	s_mov_b32 s25, exec_lo
                                        ; implicit-def: $vgpr6_vgpr7
	s_delay_alu instid0(VALU_DEP_1)
	v_cmpx_eq_u32_e32 0, v10
	s_cbranch_execz .LBB198_531
; %bb.530:                              ;   in Loop: Header=BB198_524 Depth=1
	s_bcnt1_i32_b32 s1, s26
	s_delay_alu instid0(SALU_CYCLE_1) | instskip(NEXT) | instid1(SALU_CYCLE_1)
	s_mul_i32 s1, s24, s1
	v_mov_b32_e32 v2, s1
	s_wait_dscnt 0x0
	ds_add_rtn_u64 v[6:7], v3, v[2:3] offset:5136
.LBB198_531:                            ;   in Loop: Header=BB198_524 Depth=1
	s_or_b32 exec_lo, exec_lo, s25
	s_wait_dscnt 0x0
	v_readfirstlane_b32 s27, v7
	v_readfirstlane_b32 s26, v6
	s_delay_alu instid0(VALU_DEP_1)
	v_mad_nc_u64_u32 v[6:7], s24, v10, s[26:27]
.LBB198_532:                            ;   in Loop: Header=BB198_524 Depth=1
	s_or_b32 exec_lo, exec_lo, s23
	s_wait_dscnt 0x1
	ds_bpermute_b32 v6, v3, v6
	s_wait_dscnt 0x1
	ds_bpermute_b32 v7, v3, v7
	s_mov_b32 s1, -1
	s_mov_b32 s24, -1
	s_and_saveexec_b32 s23, s22
	s_cbranch_execz .LBB198_536
; %bb.533:                              ;   in Loop: Header=BB198_524 Depth=1
	v_and_b32_e32 v2, s0, v12
	s_mov_b32 s22, 0
	s_mov_b32 s24, exec_lo
	s_delay_alu instid0(VALU_DEP_1) | instskip(SKIP_1) | instid1(VALU_DEP_1)
	v_bcnt_u32_b32 v2, v2, 0
	s_wait_dscnt 0x0
	v_add_nc_u64_e32 v[10:11], v[6:7], v[2:3]
	s_delay_alu instid0(VALU_DEP_1)
	v_cmpx_gt_u64_e64 s[38:39], v[10:11]
	s_cbranch_execz .LBB198_535
; %bb.534:                              ;   in Loop: Header=BB198_524 Depth=1
	s_wait_kmcnt 0x0
	v_mul_u64_e32 v[18:19], s[8:9], v[10:11]
	v_mul_u64_e32 v[10:11], s[6:7], v[10:11]
	s_mov_b32 s22, exec_lo
	s_delay_alu instid0(VALU_DEP_2) | instskip(NEXT) | instid1(VALU_DEP_2)
	v_lshl_add_u64 v[18:19], v[18:19], 2, s[12:13]
	v_lshl_add_u64 v[10:11], v[10:11], 3, s[14:15]
	s_wait_loadcnt 0x0
	global_store_b32 v[18:19], v16, off
	global_store_b64 v[10:11], v[8:9], off
.LBB198_535:                            ;   in Loop: Header=BB198_524 Depth=1
	s_wait_xcnt 0x0
	s_or_b32 exec_lo, exec_lo, s24
	s_delay_alu instid0(SALU_CYCLE_1)
	s_or_not1_b32 s24, s22, exec_lo
.LBB198_536:                            ;   in Loop: Header=BB198_524 Depth=1
	s_or_b32 exec_lo, exec_lo, s23
	s_mov_b32 s22, -1
	s_and_saveexec_b32 s23, s24
	s_cbranch_execz .LBB198_523
; %bb.537:                              ;   in Loop: Header=BB198_524 Depth=1
	v_cmp_le_u64_e64 s0, s[10:11], v[4:5]
	s_xor_b32 s22, exec_lo, -1
	s_or_not1_b32 s1, s0, exec_lo
	s_branch .LBB198_523
.LBB198_538:
	s_or_b32 exec_lo, exec_lo, s20
	s_delay_alu instid0(SALU_CYCLE_1)
	s_mov_b32 s1, exec_lo
	s_or_not1_b32 s20, s21, exec_lo
	s_or_b32 exec_lo, exec_lo, s4
	s_and_saveexec_b32 s4, s20
	s_cbranch_execz .LBB198_513
.LBB198_539:
	v_mov_b32_e32 v11, 0
	s_wait_storecnt 0x0
	s_wait_loadcnt_dscnt 0x0
	s_barrier_signal -1
	s_barrier_wait -1
	s_and_saveexec_b32 s0, s3
	s_cbranch_execz .LBB198_541
; %bb.540:
	global_load_b32 v11, v[14:15], off
.LBB198_541:
	s_wait_xcnt 0x0
	s_or_b32 exec_lo, exec_lo, s0
	s_mov_b32 s0, 0
	s_and_saveexec_b32 s3, vcc_lo
	s_cbranch_execz .LBB198_561
; %bb.542:
	v_mov_b32_e32 v3, 0
	s_mov_b32 s5, 0
                                        ; implicit-def: $sgpr20
                                        ; implicit-def: $vgpr6_vgpr7
	s_branch .LBB198_545
.LBB198_543:                            ;   in Loop: Header=BB198_545 Depth=1
	s_or_b32 exec_lo, exec_lo, s21
	s_delay_alu instid0(SALU_CYCLE_1)
	s_or_not1_b32 s23, s23, exec_lo
	s_or_not1_b32 s22, s22, exec_lo
.LBB198_544:                            ;   in Loop: Header=BB198_545 Depth=1
	s_or_b32 exec_lo, exec_lo, s0
	s_xor_b32 s0, s23, -1
	s_and_b32 s21, exec_lo, s22
	v_mov_b64_e32 v[0:1], v[4:5]
	s_or_b32 s5, s21, s5
	v_mov_b32_e32 v11, v10
	s_and_not1_b32 s20, s20, exec_lo
	s_and_b32 s0, s0, exec_lo
	s_delay_alu instid0(SALU_CYCLE_1)
	s_or_b32 s20, s20, s0
	s_and_not1_b32 exec_lo, exec_lo, s5
	s_cbranch_execz .LBB198_559
.LBB198_545:                            ; =>This Inner Loop Header: Depth=1
	v_add_nc_u64_e32 v[4:5], s[56:57], v[0:1]
	v_mov_b32_e32 v10, 0
	s_mov_b32 s0, exec_lo
	s_delay_alu instid0(VALU_DEP_2)
	v_cmpx_gt_u64_e64 s[36:37], v[4:5]
	s_cbranch_execz .LBB198_547
; %bb.546:                              ;   in Loop: Header=BB198_545 Depth=1
	v_mul_u64_e32 v[8:9], s[30:31], v[4:5]
	s_delay_alu instid0(VALU_DEP_1)
	v_lshl_add_u64 v[8:9], v[8:9], 2, s[34:35]
	global_load_b32 v10, v[8:9], off
.LBB198_547:                            ;   in Loop: Header=BB198_545 Depth=1
	s_wait_xcnt 0x0
	s_or_b32 exec_lo, exec_lo, s0
	s_wait_loadcnt 0x0
	v_cmp_lt_i32_e32 vcc_lo, -1, v11
	v_cndmask_b32_e64 v2, -1, 0x80000000, vcc_lo
	v_cmp_o_f32_e32 vcc_lo, v11, v11
	s_delay_alu instid0(VALU_DEP_2) | instskip(NEXT) | instid1(VALU_DEP_1)
	v_xor_b32_e32 v2, v2, v11
	v_cndmask_b32_e32 v2, -1, v2, vcc_lo
	v_cmp_gt_u64_e32 vcc_lo, s[36:37], v[0:1]
	s_delay_alu instid0(VALU_DEP_2) | instskip(SKIP_1) | instid1(SALU_CYCLE_1)
	v_cmp_eq_u32_e64 s0, v2, v13
	s_and_b32 s21, vcc_lo, s0
	v_cndmask_b32_e64 v2, 0, 1, s21
	s_delay_alu instid0(VALU_DEP_1) | instskip(SKIP_2) | instid1(SALU_CYCLE_1)
	v_cmp_ne_u32_e32 vcc_lo, 0, v2
	s_cmp_lg_u32 vcc_lo, 0
	s_cselect_b32 s0, -1, 0
	s_and_b32 s0, s2, s0
	s_delay_alu instid0(SALU_CYCLE_1)
	s_and_saveexec_b32 s22, s0
	s_cbranch_execz .LBB198_551
; %bb.548:                              ;   in Loop: Header=BB198_545 Depth=1
	s_mov_b32 s25, exec_lo
	s_bcnt1_i32_b32 s23, vcc_lo
	v_mbcnt_lo_u32_b32 v8, s25, 0
	s_mov_b32 s24, exec_lo
                                        ; implicit-def: $vgpr6_vgpr7
	s_delay_alu instid0(VALU_DEP_1)
	v_cmpx_eq_u32_e32 0, v8
; %bb.549:                              ;   in Loop: Header=BB198_545 Depth=1
	s_bcnt1_i32_b32 s0, s25
	s_delay_alu instid0(SALU_CYCLE_1) | instskip(NEXT) | instid1(SALU_CYCLE_1)
	s_mul_i32 s0, s23, s0
	v_mov_b32_e32 v2, s0
	ds_add_rtn_u64 v[6:7], v3, v[2:3] offset:5136
; %bb.550:                              ;   in Loop: Header=BB198_545 Depth=1
	s_or_b32 exec_lo, exec_lo, s24
	s_wait_dscnt 0x0
	v_readfirstlane_b32 s25, v7
	v_readfirstlane_b32 s24, v6
	s_delay_alu instid0(VALU_DEP_1)
	v_mad_nc_u64_u32 v[6:7], s23, v8, s[24:25]
.LBB198_551:                            ;   in Loop: Header=BB198_545 Depth=1
	s_or_b32 exec_lo, exec_lo, s22
	ds_bpermute_b32 v6, v3, v6
	ds_bpermute_b32 v7, v3, v7
	s_cmp_eq_u32 vcc_lo, 0
	s_mov_b32 s22, -1
	s_cselect_b32 s23, -1, 0
	s_wait_dscnt 0x0
	v_cmp_gt_u64_e64 s0, s[38:39], v[6:7]
	s_or_b32 s24, s23, s0
	s_mov_b32 s23, -1
	s_and_saveexec_b32 s0, s24
	s_cbranch_execz .LBB198_544
; %bb.552:                              ;   in Loop: Header=BB198_545 Depth=1
	v_and_b32_e32 v2, vcc_lo, v12
	v_sub_nc_u64_e32 v[8:9], s[38:39], v[6:7]
	s_mov_b32 s24, -1
	s_delay_alu instid0(VALU_DEP_2) | instskip(NEXT) | instid1(VALU_DEP_1)
	v_bcnt_u32_b32 v2, v2, 0
	v_bcnt_u32_b32 v2, 0, v2
	s_delay_alu instid0(VALU_DEP_1) | instskip(SKIP_1) | instid1(SALU_CYCLE_1)
	v_cmp_gt_u64_e32 vcc_lo, v[8:9], v[2:3]
	s_and_b32 s25, s21, vcc_lo
	s_and_saveexec_b32 s21, s25
	s_cbranch_execz .LBB198_556
; %bb.553:                              ;   in Loop: Header=BB198_545 Depth=1
	v_add_nc_u64_e32 v[8:9], v[6:7], v[2:3]
	s_mov_b32 s24, 0
	s_mov_b32 s23, exec_lo
	s_delay_alu instid0(VALU_DEP_1)
	v_cmpx_gt_u64_e64 s[38:39], v[8:9]
	s_cbranch_execz .LBB198_555
; %bb.554:                              ;   in Loop: Header=BB198_545 Depth=1
	s_wait_kmcnt 0x0
	v_mul_u64_e32 v[14:15], s[8:9], v[8:9]
	v_mul_u64_e32 v[8:9], s[6:7], v[8:9]
	s_mov_b32 s24, exec_lo
	s_delay_alu instid0(VALU_DEP_2) | instskip(NEXT) | instid1(VALU_DEP_2)
	v_lshl_add_u64 v[14:15], v[14:15], 2, s[12:13]
	v_lshl_add_u64 v[8:9], v[8:9], 3, s[14:15]
	global_store_b32 v[14:15], v11, off
	global_store_b64 v[8:9], v[0:1], off
.LBB198_555:                            ;   in Loop: Header=BB198_545 Depth=1
	s_wait_xcnt 0x0
	s_or_b32 exec_lo, exec_lo, s23
	s_delay_alu instid0(SALU_CYCLE_1)
	s_xor_b32 s23, exec_lo, -1
	s_or_not1_b32 s24, s24, exec_lo
.LBB198_556:                            ;   in Loop: Header=BB198_545 Depth=1
	s_or_b32 exec_lo, exec_lo, s21
	s_and_saveexec_b32 s21, s24
	s_cbranch_execz .LBB198_543
; %bb.557:                              ;   in Loop: Header=BB198_545 Depth=1
	v_cmp_le_u64_e32 vcc_lo, s[10:11], v[4:5]
	s_or_b32 s23, s23, exec_lo
	s_or_not1_b32 s22, vcc_lo, exec_lo
	s_branch .LBB198_543
.LBB198_558:
	s_or_b32 s7, s7, exec_lo
	s_trap 2
	s_branch .LBB198_520
.LBB198_559:
	s_or_b32 exec_lo, exec_lo, s5
	s_mov_b32 s0, 0
	s_and_saveexec_b32 s2, s20
	s_delay_alu instid0(SALU_CYCLE_1)
	s_xor_b32 s2, exec_lo, s2
	s_cbranch_execnz .LBB198_565
.LBB198_560:
	s_or_b32 exec_lo, exec_lo, s2
	s_delay_alu instid0(SALU_CYCLE_1)
	s_and_b32 s0, s0, exec_lo
.LBB198_561:
	s_or_b32 exec_lo, exec_lo, s3
	s_delay_alu instid0(SALU_CYCLE_1) | instskip(SKIP_3) | instid1(SALU_CYCLE_1)
	s_and_b32 s5, s0, exec_lo
	s_and_not1_b32 s1, s1, exec_lo
	s_or_b32 exec_lo, exec_lo, s4
	s_and_saveexec_b32 s0, s1
	s_xor_b32 s0, exec_lo, s0
	s_cbranch_execz .LBB198_514
.LBB198_562:
	s_or_b32 s5, s5, exec_lo
	s_trap 2
	s_branch .LBB198_514
.LBB198_563:
	s_or_b32 s7, s7, exec_lo
	s_trap 2
	s_branch .LBB198_518
.LBB198_564:
	s_or_b32 s7, s7, exec_lo
	s_trap 2
	s_branch .LBB198_516
.LBB198_565:
	s_mov_b32 s0, exec_lo
	s_trap 2
	s_branch .LBB198_560
	.section	.rodata,"a",@progbits
	.p2align	6, 0x0
	.amdhsa_kernel _ZN2at6native6sbtopk10gatherTopKIfmLi3ELb0EEEvNS_4cuda6detail10TensorInfoIKT_T0_EES8_S8_bS8_S8_NS5_IS6_S8_EES8_NS5_IlS8_EES8_PS6_
		.amdhsa_group_segment_fixed_size 5152
		.amdhsa_private_segment_fixed_size 0
		.amdhsa_kernarg_size 1568
		.amdhsa_user_sgpr_count 2
		.amdhsa_user_sgpr_dispatch_ptr 0
		.amdhsa_user_sgpr_queue_ptr 0
		.amdhsa_user_sgpr_kernarg_segment_ptr 1
		.amdhsa_user_sgpr_dispatch_id 0
		.amdhsa_user_sgpr_kernarg_preload_length 0
		.amdhsa_user_sgpr_kernarg_preload_offset 0
		.amdhsa_user_sgpr_private_segment_size 0
		.amdhsa_wavefront_size32 1
		.amdhsa_uses_dynamic_stack 0
		.amdhsa_enable_private_segment 0
		.amdhsa_system_sgpr_workgroup_id_x 1
		.amdhsa_system_sgpr_workgroup_id_y 1
		.amdhsa_system_sgpr_workgroup_id_z 1
		.amdhsa_system_sgpr_workgroup_info 0
		.amdhsa_system_vgpr_workitem_id 0
		.amdhsa_next_free_vgpr 46
		.amdhsa_next_free_sgpr 105
		.amdhsa_named_barrier_count 0
		.amdhsa_reserve_vcc 1
		.amdhsa_float_round_mode_32 0
		.amdhsa_float_round_mode_16_64 0
		.amdhsa_float_denorm_mode_32 3
		.amdhsa_float_denorm_mode_16_64 3
		.amdhsa_fp16_overflow 0
		.amdhsa_memory_ordered 1
		.amdhsa_forward_progress 1
		.amdhsa_inst_pref_size 204
		.amdhsa_round_robin_scheduling 0
		.amdhsa_exception_fp_ieee_invalid_op 0
		.amdhsa_exception_fp_denorm_src 0
		.amdhsa_exception_fp_ieee_div_zero 0
		.amdhsa_exception_fp_ieee_overflow 0
		.amdhsa_exception_fp_ieee_underflow 0
		.amdhsa_exception_fp_ieee_inexact 0
		.amdhsa_exception_int_div_zero 0
	.end_amdhsa_kernel
	.section	.text._ZN2at6native6sbtopk10gatherTopKIfmLi3ELb0EEEvNS_4cuda6detail10TensorInfoIKT_T0_EES8_S8_bS8_S8_NS5_IS6_S8_EES8_NS5_IlS8_EES8_PS6_,"axG",@progbits,_ZN2at6native6sbtopk10gatherTopKIfmLi3ELb0EEEvNS_4cuda6detail10TensorInfoIKT_T0_EES8_S8_bS8_S8_NS5_IS6_S8_EES8_NS5_IlS8_EES8_PS6_,comdat
.Lfunc_end198:
	.size	_ZN2at6native6sbtopk10gatherTopKIfmLi3ELb0EEEvNS_4cuda6detail10TensorInfoIKT_T0_EES8_S8_bS8_S8_NS5_IS6_S8_EES8_NS5_IlS8_EES8_PS6_, .Lfunc_end198-_ZN2at6native6sbtopk10gatherTopKIfmLi3ELb0EEEvNS_4cuda6detail10TensorInfoIKT_T0_EES8_S8_bS8_S8_NS5_IS6_S8_EES8_NS5_IlS8_EES8_PS6_
                                        ; -- End function
	.set _ZN2at6native6sbtopk10gatherTopKIfmLi3ELb0EEEvNS_4cuda6detail10TensorInfoIKT_T0_EES8_S8_bS8_S8_NS5_IS6_S8_EES8_NS5_IlS8_EES8_PS6_.num_vgpr, 46
	.set _ZN2at6native6sbtopk10gatherTopKIfmLi3ELb0EEEvNS_4cuda6detail10TensorInfoIKT_T0_EES8_S8_bS8_S8_NS5_IS6_S8_EES8_NS5_IlS8_EES8_PS6_.num_agpr, 0
	.set _ZN2at6native6sbtopk10gatherTopKIfmLi3ELb0EEEvNS_4cuda6detail10TensorInfoIKT_T0_EES8_S8_bS8_S8_NS5_IS6_S8_EES8_NS5_IlS8_EES8_PS6_.numbered_sgpr, 105
	.set _ZN2at6native6sbtopk10gatherTopKIfmLi3ELb0EEEvNS_4cuda6detail10TensorInfoIKT_T0_EES8_S8_bS8_S8_NS5_IS6_S8_EES8_NS5_IlS8_EES8_PS6_.num_named_barrier, 0
	.set _ZN2at6native6sbtopk10gatherTopKIfmLi3ELb0EEEvNS_4cuda6detail10TensorInfoIKT_T0_EES8_S8_bS8_S8_NS5_IS6_S8_EES8_NS5_IlS8_EES8_PS6_.private_seg_size, 0
	.set _ZN2at6native6sbtopk10gatherTopKIfmLi3ELb0EEEvNS_4cuda6detail10TensorInfoIKT_T0_EES8_S8_bS8_S8_NS5_IS6_S8_EES8_NS5_IlS8_EES8_PS6_.uses_vcc, 1
	.set _ZN2at6native6sbtopk10gatherTopKIfmLi3ELb0EEEvNS_4cuda6detail10TensorInfoIKT_T0_EES8_S8_bS8_S8_NS5_IS6_S8_EES8_NS5_IlS8_EES8_PS6_.uses_flat_scratch, 0
	.set _ZN2at6native6sbtopk10gatherTopKIfmLi3ELb0EEEvNS_4cuda6detail10TensorInfoIKT_T0_EES8_S8_bS8_S8_NS5_IS6_S8_EES8_NS5_IlS8_EES8_PS6_.has_dyn_sized_stack, 0
	.set _ZN2at6native6sbtopk10gatherTopKIfmLi3ELb0EEEvNS_4cuda6detail10TensorInfoIKT_T0_EES8_S8_bS8_S8_NS5_IS6_S8_EES8_NS5_IlS8_EES8_PS6_.has_recursion, 0
	.set _ZN2at6native6sbtopk10gatherTopKIfmLi3ELb0EEEvNS_4cuda6detail10TensorInfoIKT_T0_EES8_S8_bS8_S8_NS5_IS6_S8_EES8_NS5_IlS8_EES8_PS6_.has_indirect_call, 0
	.section	.AMDGPU.csdata,"",@progbits
; Kernel info:
; codeLenInByte = 26088
; TotalNumSgprs: 107
; NumVgprs: 46
; ScratchSize: 0
; MemoryBound: 0
; FloatMode: 240
; IeeeMode: 1
; LDSByteSize: 5152 bytes/workgroup (compile time only)
; SGPRBlocks: 0
; VGPRBlocks: 2
; NumSGPRsForWavesPerEU: 107
; NumVGPRsForWavesPerEU: 46
; NamedBarCnt: 0
; Occupancy: 16
; WaveLimiterHint : 1
; COMPUTE_PGM_RSRC2:SCRATCH_EN: 0
; COMPUTE_PGM_RSRC2:USER_SGPR: 2
; COMPUTE_PGM_RSRC2:TRAP_HANDLER: 0
; COMPUTE_PGM_RSRC2:TGID_X_EN: 1
; COMPUTE_PGM_RSRC2:TGID_Y_EN: 1
; COMPUTE_PGM_RSRC2:TGID_Z_EN: 1
; COMPUTE_PGM_RSRC2:TIDIG_COMP_CNT: 0
	.section	.text._ZN2at6native6mbtopk23computeBlockDigitCountsIfmjLin1EEEvNS_4cuda6detail10TensorInfoIKT_T0_EEjPjjS8_iijT1_PSB_Ps,"axG",@progbits,_ZN2at6native6mbtopk23computeBlockDigitCountsIfmjLin1EEEvNS_4cuda6detail10TensorInfoIKT_T0_EEjPjjS8_iijT1_PSB_Ps,comdat
	.protected	_ZN2at6native6mbtopk23computeBlockDigitCountsIfmjLin1EEEvNS_4cuda6detail10TensorInfoIKT_T0_EEjPjjS8_iijT1_PSB_Ps ; -- Begin function _ZN2at6native6mbtopk23computeBlockDigitCountsIfmjLin1EEEvNS_4cuda6detail10TensorInfoIKT_T0_EEjPjjS8_iijT1_PSB_Ps
	.globl	_ZN2at6native6mbtopk23computeBlockDigitCountsIfmjLin1EEEvNS_4cuda6detail10TensorInfoIKT_T0_EEjPjjS8_iijT1_PSB_Ps
	.p2align	8
	.type	_ZN2at6native6mbtopk23computeBlockDigitCountsIfmjLin1EEEvNS_4cuda6detail10TensorInfoIKT_T0_EEjPjjS8_iijT1_PSB_Ps,@function
_ZN2at6native6mbtopk23computeBlockDigitCountsIfmjLin1EEEvNS_4cuda6detail10TensorInfoIKT_T0_EEjPjjS8_iijT1_PSB_Ps: ; @_ZN2at6native6mbtopk23computeBlockDigitCountsIfmjLin1EEEvNS_4cuda6detail10TensorInfoIKT_T0_EEjPjjS8_iijT1_PSB_Ps
; %bb.0:
	s_load_b128 s[4:7], s[0:1], 0x1c0
	s_bfe_u32 s2, ttmp6, 0x40010
	s_and_b32 s8, ttmp7, 0xffff
	s_add_co_i32 s9, s2, 1
	s_bfe_u32 s10, ttmp6, 0x40004
	s_mul_i32 s9, s8, s9
	s_load_b64 s[2:3], s[0:1], 0x1e0
	s_add_co_i32 s10, s10, s9
	s_bfe_u32 s11, ttmp6, 0x4000c
	s_bfe_u32 s13, ttmp6, 0x40014
	s_add_co_i32 s11, s11, 1
	s_and_b32 s12, ttmp6, 15
	s_mul_i32 s11, ttmp9, s11
	s_add_co_i32 s13, s13, 1
	s_add_co_i32 s12, s12, s11
	s_getreg_b32 s14, hwreg(HW_REG_IB_STS2, 6, 4)
	s_wait_kmcnt 0x0
	s_cvt_f32_u32 s9, s6
	s_delay_alu instid0(SALU_CYCLE_3) | instskip(SKIP_1) | instid1(SALU_CYCLE_1)
	v_rcp_iflag_f32_e32 v1, s9
	s_lshr_b32 s9, ttmp7, 16
	s_mul_i32 s11, s9, s13
	s_bfe_u32 s13, ttmp6, 0x40008
	s_delay_alu instid0(SALU_CYCLE_1) | instskip(SKIP_1) | instid1(TRANS32_DEP_1)
	s_add_co_i32 s13, s13, s11
	v_nop
	v_readfirstlane_b32 s15, v1
	s_cmp_eq_u32 s14, 0
	s_cselect_b32 s9, s9, s13
	s_load_b32 s13, s[0:1], 0x1b0
	s_mul_f32 s11, s15, 0x4f7ffffe
	s_mul_i32 s3, s3, s9
	s_cselect_b32 s9, ttmp9, s12
	s_cselect_b32 s8, s8, s10
	s_cvt_u32_f32 s11, s11
	s_sub_co_i32 s10, 0, s6
	s_add_co_i32 s3, s3, s8
	s_delay_alu instid0(SALU_CYCLE_1) | instskip(SKIP_3) | instid1(SALU_CYCLE_1)
	s_mul_i32 s24, s3, s2
	s_mul_i32 s10, s10, s11
	s_add_co_i32 s24, s24, s9
	s_mul_hi_u32 s2, s11, s10
	s_add_co_i32 s11, s11, s2
	s_delay_alu instid0(SALU_CYCLE_1) | instskip(NEXT) | instid1(SALU_CYCLE_1)
	s_mul_hi_u32 s2, s24, s11
	s_mul_i32 s3, s2, s6
	s_add_co_i32 s8, s2, 1
	s_sub_co_i32 s3, s24, s3
	s_delay_alu instid0(SALU_CYCLE_1)
	s_sub_co_i32 s9, s3, s6
	s_cmp_ge_u32 s3, s6
	s_cselect_b32 s2, s8, s2
	s_cselect_b32 s3, s9, s3
	s_add_co_i32 s8, s2, 1
	s_cmp_ge_u32 s3, s6
	s_cselect_b32 s12, s8, s2
	s_wait_kmcnt 0x0
	s_cmp_ge_u32 s12, s13
	s_mov_b32 s13, 0
	s_cbranch_scc1 .LBB199_28
; %bb.1:
	s_clause 0x1
	s_load_b32 s14, s[0:1], 0x198
	s_load_b128 s[8:11], s[0:1], 0x1d0
	s_mov_b64 s[2:3], 0
	s_wait_kmcnt 0x0
	s_cmp_lt_i32 s14, 2
	s_cbranch_scc1 .LBB199_7
; %bb.2:
	s_add_co_i32 s16, s14, -1
	s_mov_b32 s17, 0
	s_add_co_i32 s25, s14, 1
	s_lshl_b64 s[2:3], s[16:17], 3
	s_mov_b64 s[20:21], s[12:13]
	s_add_nc_u64 s[14:15], s[0:1], s[2:3]
	s_mov_b64 s[2:3], 0
	s_add_nc_u64 s[18:19], s[14:15], 8
.LBB199_3:                              ; =>This Inner Loop Header: Depth=1
	s_load_b64 s[22:23], s[18:19], 0x0
	s_mov_b64 s[14:15], 0
	s_wait_kmcnt 0x0
	v_cmp_lt_u64_e64 s13, s[20:21], s[22:23]
	s_and_b32 vcc_lo, exec_lo, s13
	s_cbranch_vccnz .LBB199_5
; %bb.4:                                ;   in Loop: Header=BB199_3 Depth=1
	v_cvt_f32_u32_e32 v1, s22
	s_sub_co_i32 s14, 0, s22
	s_delay_alu instid0(VALU_DEP_1) | instskip(SKIP_1) | instid1(TRANS32_DEP_1)
	v_rcp_iflag_f32_e32 v1, v1
	v_nop
	v_mul_f32_e32 v1, 0x4f7ffffe, v1
	s_delay_alu instid0(VALU_DEP_1) | instskip(NEXT) | instid1(VALU_DEP_1)
	v_cvt_u32_f32_e32 v1, v1
	v_readfirstlane_b32 s13, v1
	s_mul_i32 s14, s14, s13
	s_delay_alu instid0(SALU_CYCLE_1) | instskip(NEXT) | instid1(SALU_CYCLE_1)
	s_mul_hi_u32 s14, s13, s14
	s_add_co_i32 s13, s13, s14
	s_delay_alu instid0(SALU_CYCLE_1) | instskip(NEXT) | instid1(SALU_CYCLE_1)
	s_mul_hi_u32 s13, s20, s13
	s_mul_i32 s14, s13, s22
	s_add_co_i32 s15, s13, 1
	s_sub_co_i32 s14, s20, s14
	s_delay_alu instid0(SALU_CYCLE_1)
	s_sub_co_i32 s16, s14, s22
	s_cmp_ge_u32 s14, s22
	s_cselect_b32 s13, s15, s13
	s_cselect_b32 s14, s16, s14
	s_add_co_i32 s15, s13, 1
	s_cmp_ge_u32 s14, s22
	s_cselect_b32 s16, s15, s13
	s_delay_alu instid0(SALU_CYCLE_1)
	s_mov_b64 s[14:15], s[16:17]
.LBB199_5:                              ;   in Loop: Header=BB199_3 Depth=1
	s_load_b64 s[26:27], s[18:19], 0xc8
	s_mul_u64 s[22:23], s[14:15], s[22:23]
	s_add_co_i32 s25, s25, -1
	s_sub_nc_u64 s[20:21], s[20:21], s[22:23]
	s_cmp_gt_u32 s25, 2
	s_wait_xcnt 0x0
	s_add_nc_u64 s[18:19], s[18:19], -8
	s_wait_kmcnt 0x0
	s_mul_u64 s[20:21], s[26:27], s[20:21]
	s_delay_alu instid0(SALU_CYCLE_1)
	s_add_nc_u64 s[2:3], s[20:21], s[2:3]
	s_cbranch_scc0 .LBB199_8
; %bb.6:                                ;   in Loop: Header=BB199_3 Depth=1
	s_mov_b64 s[20:21], s[14:15]
	s_branch .LBB199_3
.LBB199_7:
	s_mov_b64 s[14:15], s[12:13]
.LBB199_8:
	s_load_b32 s16, s[8:9], s12 offset:0x0 scale_offset
	v_cmp_gt_u32_e32 vcc_lo, 0x100, v0
	v_lshlrev_b32_e32 v1, 2, v0
	s_wait_xcnt 0x0
	s_and_saveexec_b32 s8, vcc_lo
; %bb.9:
	v_mov_b32_e32 v2, 0
	ds_store_b32 v1, v2
; %bb.10:
	s_or_b32 exec_lo, exec_lo, s8
	s_load_b32 s17, s[0:1], 0x1a0
	s_mul_i32 s8, s12, s6
	s_mov_b32 s13, 0
	s_sub_co_i32 s19, s24, s8
	s_wait_dscnt 0x0
	s_mul_i32 s8, s5, s19
	s_add_co_i32 s19, s19, 1
	s_lshl_b32 s18, s8, 8
	s_barrier_signal -1
	s_barrier_wait -1
	s_wait_kmcnt 0x0
	s_sub_co_i32 s12, s17, s18
	s_delay_alu instid0(SALU_CYCLE_1) | instskip(NEXT) | instid1(SALU_CYCLE_1)
	s_add_nc_u64 s[8:9], s[12:13], 0xff
	s_lshr_b64 s[8:9], s[8:9], 8
	s_cmp_lt_u32 s19, s6
	s_cselect_b32 s5, s5, s8
	s_delay_alu instid0(SALU_CYCLE_1)
	s_cmp_lt_i32 s5, 1
	s_cbranch_scc1 .LBB199_26
; %bb.11:
	s_clause 0x2
	s_load_b64 s[20:21], s[0:1], 0xd0
	s_load_b64 s[8:9], s[0:1], 0x1b8
	;; [unrolled: 1-line block ×3, first 2 shown]
	v_add_nc_u32_e32 v6, s18, v0
	s_lshl_b64 s[2:3], s[2:3], 2
	s_wait_kmcnt 0x0
	s_mul_u64 s[0:1], s[20:21], s[14:15]
	s_delay_alu instid0(SALU_CYCLE_1) | instskip(NEXT) | instid1(SALU_CYCLE_1)
	s_lshl_b64 s[0:1], s[0:1], 2
	s_add_nc_u64 s[14:15], s[22:23], s[0:1]
	s_and_b32 s1, s4, 0xff
	s_cmp_eq_u32 s5, 1
	s_add_nc_u64 s[2:3], s[14:15], s[2:3]
	s_cbranch_scc1 .LBB199_21
; %bb.12:
	v_dual_mov_b32 v3, 0 :: v_dual_mov_b32 v7, 1
	v_mov_b32_e32 v2, v6
	s_and_b32 s4, s5, 0x7ffffffe
	s_mov_b32 s6, 0
	s_branch .LBB199_14
.LBB199_13:                             ;   in Loop: Header=BB199_14 Depth=1
	s_or_b32 exec_lo, exec_lo, s12
	v_add_nc_u32_e32 v2, 0x200, v2
	s_add_co_i32 s6, s6, 2
	s_delay_alu instid0(SALU_CYCLE_1)
	s_cmp_eq_u32 s4, s6
	s_cbranch_scc1 .LBB199_20
.LBB199_14:                             ; =>This Inner Loop Header: Depth=1
	s_mov_b32 s12, exec_lo
	v_cmpx_gt_u32_e64 s17, v2
	s_cbranch_execz .LBB199_17
; %bb.15:                               ;   in Loop: Header=BB199_14 Depth=1
	v_mul_u64_e32 v[4:5], s[8:9], v[2:3]
	s_delay_alu instid0(VALU_DEP_1) | instskip(SKIP_4) | instid1(VALU_DEP_1)
	v_lshl_add_u64 v[4:5], v[4:5], 2, s[2:3]
	global_load_b32 v4, v[4:5], off
	s_wait_loadcnt 0x0
	v_cmp_lt_i32_e64 s0, -1, v4
	s_wait_xcnt 0x0
	v_cndmask_b32_e64 v5, -1, 0x80000000, s0
	v_cmp_o_f32_e64 s0, v4, v4
	s_delay_alu instid0(VALU_DEP_2) | instskip(NEXT) | instid1(VALU_DEP_1)
	v_xor_b32_e32 v5, v5, v4
	v_cndmask_b32_e64 v4, -1, v5, s0
	s_delay_alu instid0(VALU_DEP_1) | instskip(NEXT) | instid1(VALU_DEP_1)
	v_bitop3_b32 v5, v4, s7, s16 bitop3:0x48
	v_cmp_eq_u32_e64 s0, 0, v5
	s_and_b32 exec_lo, exec_lo, s0
; %bb.16:                               ;   in Loop: Header=BB199_14 Depth=1
	v_bfe_u32 v4, v4, s1, 8
	s_delay_alu instid0(VALU_DEP_1)
	v_lshlrev_b32_e32 v4, 2, v4
	ds_add_u32 v4, v7
.LBB199_17:                             ;   in Loop: Header=BB199_14 Depth=1
	s_or_b32 exec_lo, exec_lo, s12
	v_add_nc_u32_e32 v4, 0x100, v2
	s_mov_b32 s12, exec_lo
	s_delay_alu instid0(VALU_DEP_1)
	v_cmpx_gt_u32_e64 s17, v4
	s_cbranch_execz .LBB199_13
; %bb.18:                               ;   in Loop: Header=BB199_14 Depth=1
	v_mov_b32_e32 v5, v3
	s_delay_alu instid0(VALU_DEP_1) | instskip(NEXT) | instid1(VALU_DEP_1)
	v_mul_u64_e32 v[4:5], s[8:9], v[4:5]
	v_lshl_add_u64 v[4:5], v[4:5], 2, s[2:3]
	global_load_b32 v4, v[4:5], off
	s_wait_loadcnt 0x0
	v_cmp_lt_i32_e64 s0, -1, v4
	s_delay_alu instid0(VALU_DEP_1) | instskip(SKIP_1) | instid1(VALU_DEP_2)
	v_cndmask_b32_e64 v5, -1, 0x80000000, s0
	v_cmp_o_f32_e64 s0, v4, v4
	v_xor_b32_e32 v5, v5, v4
	s_delay_alu instid0(VALU_DEP_1) | instskip(NEXT) | instid1(VALU_DEP_1)
	v_cndmask_b32_e64 v4, -1, v5, s0
	v_bitop3_b32 v5, v4, s7, s16 bitop3:0x48
	s_delay_alu instid0(VALU_DEP_1)
	v_cmp_eq_u32_e64 s0, 0, v5
	s_and_b32 exec_lo, exec_lo, s0
	s_cbranch_execz .LBB199_13
; %bb.19:                               ;   in Loop: Header=BB199_14 Depth=1
	v_bfe_u32 v4, v4, s1, 8
	s_delay_alu instid0(VALU_DEP_1)
	v_lshlrev_b32_e32 v4, 2, v4
	ds_add_u32 v4, v7
	s_branch .LBB199_13
.LBB199_20:
	s_lshl_b32 s13, s4, 8
.LBB199_21:
	s_bitcmp0_b32 s5, 0
	s_cbranch_scc1 .LBB199_26
; %bb.22:
	v_add_nc_u32_e32 v2, s13, v6
	s_mov_b32 s4, exec_lo
	s_delay_alu instid0(VALU_DEP_1)
	v_cmpx_gt_u32_e64 s17, v2
	s_cbranch_execz .LBB199_25
; %bb.23:
	v_mov_b32_e32 v3, 0
	s_delay_alu instid0(VALU_DEP_1) | instskip(NEXT) | instid1(VALU_DEP_1)
	v_mul_u64_e32 v[2:3], s[8:9], v[2:3]
	v_lshl_add_u64 v[2:3], v[2:3], 2, s[2:3]
	global_load_b32 v2, v[2:3], off
	s_wait_loadcnt 0x0
	v_cmp_lt_i32_e64 s0, -1, v2
	s_delay_alu instid0(VALU_DEP_1) | instskip(SKIP_1) | instid1(VALU_DEP_2)
	v_cndmask_b32_e64 v3, -1, 0x80000000, s0
	v_cmp_o_f32_e64 s0, v2, v2
	v_xor_b32_e32 v3, v3, v2
	s_delay_alu instid0(VALU_DEP_1) | instskip(NEXT) | instid1(VALU_DEP_1)
	v_cndmask_b32_e64 v2, -1, v3, s0
	v_bitop3_b32 v3, v2, s7, s16 bitop3:0x48
	s_delay_alu instid0(VALU_DEP_1)
	v_cmp_eq_u32_e64 s0, 0, v3
	s_and_b32 exec_lo, exec_lo, s0
; %bb.24:
	v_bfe_u32 v2, v2, s1, 8
	s_delay_alu instid0(VALU_DEP_1)
	v_dual_mov_b32 v3, 1 :: v_dual_lshlrev_b32 v2, 2, v2
	ds_add_u32 v2, v3
.LBB199_25:
	s_or_b32 exec_lo, exec_lo, s4
.LBB199_26:
	s_wait_dscnt 0x0
	s_barrier_signal -1
	s_barrier_wait -1
	s_and_saveexec_b32 s0, vcc_lo
	s_cbranch_execz .LBB199_28
; %bb.27:
	ds_load_b32 v1, v1
	v_lshl_or_b32 v0, s24, 8, v0
	s_wait_dscnt 0x0
	global_store_b16 v0, v1, s[10:11] scale_offset
.LBB199_28:
	s_endpgm
	.section	.rodata,"a",@progbits
	.p2align	6, 0x0
	.amdhsa_kernel _ZN2at6native6mbtopk23computeBlockDigitCountsIfmjLin1EEEvNS_4cuda6detail10TensorInfoIKT_T0_EEjPjjS8_iijT1_PSB_Ps
		.amdhsa_group_segment_fixed_size 1024
		.amdhsa_private_segment_fixed_size 0
		.amdhsa_kernarg_size 736
		.amdhsa_user_sgpr_count 2
		.amdhsa_user_sgpr_dispatch_ptr 0
		.amdhsa_user_sgpr_queue_ptr 0
		.amdhsa_user_sgpr_kernarg_segment_ptr 1
		.amdhsa_user_sgpr_dispatch_id 0
		.amdhsa_user_sgpr_kernarg_preload_length 0
		.amdhsa_user_sgpr_kernarg_preload_offset 0
		.amdhsa_user_sgpr_private_segment_size 0
		.amdhsa_wavefront_size32 1
		.amdhsa_uses_dynamic_stack 0
		.amdhsa_enable_private_segment 0
		.amdhsa_system_sgpr_workgroup_id_x 1
		.amdhsa_system_sgpr_workgroup_id_y 1
		.amdhsa_system_sgpr_workgroup_id_z 1
		.amdhsa_system_sgpr_workgroup_info 0
		.amdhsa_system_vgpr_workitem_id 0
		.amdhsa_next_free_vgpr 8
		.amdhsa_next_free_sgpr 28
		.amdhsa_named_barrier_count 0
		.amdhsa_reserve_vcc 1
		.amdhsa_float_round_mode_32 0
		.amdhsa_float_round_mode_16_64 0
		.amdhsa_float_denorm_mode_32 3
		.amdhsa_float_denorm_mode_16_64 3
		.amdhsa_fp16_overflow 0
		.amdhsa_memory_ordered 1
		.amdhsa_forward_progress 1
		.amdhsa_inst_pref_size 11
		.amdhsa_round_robin_scheduling 0
		.amdhsa_exception_fp_ieee_invalid_op 0
		.amdhsa_exception_fp_denorm_src 0
		.amdhsa_exception_fp_ieee_div_zero 0
		.amdhsa_exception_fp_ieee_overflow 0
		.amdhsa_exception_fp_ieee_underflow 0
		.amdhsa_exception_fp_ieee_inexact 0
		.amdhsa_exception_int_div_zero 0
	.end_amdhsa_kernel
	.section	.text._ZN2at6native6mbtopk23computeBlockDigitCountsIfmjLin1EEEvNS_4cuda6detail10TensorInfoIKT_T0_EEjPjjS8_iijT1_PSB_Ps,"axG",@progbits,_ZN2at6native6mbtopk23computeBlockDigitCountsIfmjLin1EEEvNS_4cuda6detail10TensorInfoIKT_T0_EEjPjjS8_iijT1_PSB_Ps,comdat
.Lfunc_end199:
	.size	_ZN2at6native6mbtopk23computeBlockDigitCountsIfmjLin1EEEvNS_4cuda6detail10TensorInfoIKT_T0_EEjPjjS8_iijT1_PSB_Ps, .Lfunc_end199-_ZN2at6native6mbtopk23computeBlockDigitCountsIfmjLin1EEEvNS_4cuda6detail10TensorInfoIKT_T0_EEjPjjS8_iijT1_PSB_Ps
                                        ; -- End function
	.set _ZN2at6native6mbtopk23computeBlockDigitCountsIfmjLin1EEEvNS_4cuda6detail10TensorInfoIKT_T0_EEjPjjS8_iijT1_PSB_Ps.num_vgpr, 8
	.set _ZN2at6native6mbtopk23computeBlockDigitCountsIfmjLin1EEEvNS_4cuda6detail10TensorInfoIKT_T0_EEjPjjS8_iijT1_PSB_Ps.num_agpr, 0
	.set _ZN2at6native6mbtopk23computeBlockDigitCountsIfmjLin1EEEvNS_4cuda6detail10TensorInfoIKT_T0_EEjPjjS8_iijT1_PSB_Ps.numbered_sgpr, 28
	.set _ZN2at6native6mbtopk23computeBlockDigitCountsIfmjLin1EEEvNS_4cuda6detail10TensorInfoIKT_T0_EEjPjjS8_iijT1_PSB_Ps.num_named_barrier, 0
	.set _ZN2at6native6mbtopk23computeBlockDigitCountsIfmjLin1EEEvNS_4cuda6detail10TensorInfoIKT_T0_EEjPjjS8_iijT1_PSB_Ps.private_seg_size, 0
	.set _ZN2at6native6mbtopk23computeBlockDigitCountsIfmjLin1EEEvNS_4cuda6detail10TensorInfoIKT_T0_EEjPjjS8_iijT1_PSB_Ps.uses_vcc, 1
	.set _ZN2at6native6mbtopk23computeBlockDigitCountsIfmjLin1EEEvNS_4cuda6detail10TensorInfoIKT_T0_EEjPjjS8_iijT1_PSB_Ps.uses_flat_scratch, 0
	.set _ZN2at6native6mbtopk23computeBlockDigitCountsIfmjLin1EEEvNS_4cuda6detail10TensorInfoIKT_T0_EEjPjjS8_iijT1_PSB_Ps.has_dyn_sized_stack, 0
	.set _ZN2at6native6mbtopk23computeBlockDigitCountsIfmjLin1EEEvNS_4cuda6detail10TensorInfoIKT_T0_EEjPjjS8_iijT1_PSB_Ps.has_recursion, 0
	.set _ZN2at6native6mbtopk23computeBlockDigitCountsIfmjLin1EEEvNS_4cuda6detail10TensorInfoIKT_T0_EEjPjjS8_iijT1_PSB_Ps.has_indirect_call, 0
	.section	.AMDGPU.csdata,"",@progbits
; Kernel info:
; codeLenInByte = 1376
; TotalNumSgprs: 30
; NumVgprs: 8
; ScratchSize: 0
; MemoryBound: 0
; FloatMode: 240
; IeeeMode: 1
; LDSByteSize: 1024 bytes/workgroup (compile time only)
; SGPRBlocks: 0
; VGPRBlocks: 0
; NumSGPRsForWavesPerEU: 30
; NumVGPRsForWavesPerEU: 8
; NamedBarCnt: 0
; Occupancy: 16
; WaveLimiterHint : 0
; COMPUTE_PGM_RSRC2:SCRATCH_EN: 0
; COMPUTE_PGM_RSRC2:USER_SGPR: 2
; COMPUTE_PGM_RSRC2:TRAP_HANDLER: 0
; COMPUTE_PGM_RSRC2:TGID_X_EN: 1
; COMPUTE_PGM_RSRC2:TGID_Y_EN: 1
; COMPUTE_PGM_RSRC2:TGID_Z_EN: 1
; COMPUTE_PGM_RSRC2:TIDIG_COMP_CNT: 0
	.section	.text._ZN2at6native6mbtopk10gatherTopKIfmLin1EEEvNS_4cuda6detail10TensorInfoIKT_T0_EES8_S8_bjS8_NS5_IS6_S8_EES8_NS5_IlS8_EES8_jjPS6_PjSD_j,"axG",@progbits,_ZN2at6native6mbtopk10gatherTopKIfmLin1EEEvNS_4cuda6detail10TensorInfoIKT_T0_EES8_S8_bjS8_NS5_IS6_S8_EES8_NS5_IlS8_EES8_jjPS6_PjSD_j,comdat
	.protected	_ZN2at6native6mbtopk10gatherTopKIfmLin1EEEvNS_4cuda6detail10TensorInfoIKT_T0_EES8_S8_bjS8_NS5_IS6_S8_EES8_NS5_IlS8_EES8_jjPS6_PjSD_j ; -- Begin function _ZN2at6native6mbtopk10gatherTopKIfmLin1EEEvNS_4cuda6detail10TensorInfoIKT_T0_EES8_S8_bjS8_NS5_IS6_S8_EES8_NS5_IlS8_EES8_jjPS6_PjSD_j
	.globl	_ZN2at6native6mbtopk10gatherTopKIfmLin1EEEvNS_4cuda6detail10TensorInfoIKT_T0_EES8_S8_bjS8_NS5_IS6_S8_EES8_NS5_IlS8_EES8_jjPS6_PjSD_j
	.p2align	8
	.type	_ZN2at6native6mbtopk10gatherTopKIfmLin1EEEvNS_4cuda6detail10TensorInfoIKT_T0_EES8_S8_bjS8_NS5_IS6_S8_EES8_NS5_IlS8_EES8_jjPS6_PjSD_j,@function
_ZN2at6native6mbtopk10gatherTopKIfmLin1EEEvNS_4cuda6detail10TensorInfoIKT_T0_EES8_S8_bjS8_NS5_IS6_S8_EES8_NS5_IlS8_EES8_jjPS6_PjSD_j: ; @_ZN2at6native6mbtopk10gatherTopKIfmLin1EEEvNS_4cuda6detail10TensorInfoIKT_T0_EES8_S8_bjS8_NS5_IS6_S8_EES8_NS5_IlS8_EES8_jjPS6_PjSD_j
; %bb.0:
	s_bfe_u32 s2, ttmp6, 0x40010
	s_and_b32 s4, ttmp7, 0xffff
	s_add_co_i32 s5, s2, 1
	s_clause 0x1
	s_load_b32 s6, s[0:1], 0x530
	s_load_b64 s[2:3], s[0:1], 0x538
	s_bfe_u32 s8, ttmp6, 0x4000c
	s_mul_i32 s5, s4, s5
	s_bfe_u32 s7, ttmp6, 0x40004
	s_add_co_i32 s8, s8, 1
	s_bfe_u32 s9, ttmp6, 0x40014
	s_add_co_i32 s7, s7, s5
	s_and_b32 s5, ttmp6, 15
	s_mul_i32 s8, ttmp9, s8
	s_lshr_b32 s10, ttmp7, 16
	s_add_co_i32 s9, s9, 1
	s_add_co_i32 s5, s5, s8
	s_mul_i32 s8, s10, s9
	s_bfe_u32 s9, ttmp6, 0x40008
	s_getreg_b32 s11, hwreg(HW_REG_IB_STS2, 6, 4)
	s_add_co_i32 s9, s9, s8
	s_cmp_eq_u32 s11, 0
	s_cselect_b32 s8, s10, s9
	s_cselect_b32 s4, s4, s7
	s_wait_kmcnt 0x0
	s_mul_i32 s3, s3, s8
	s_cselect_b32 s5, ttmp9, s5
	s_add_co_i32 s3, s3, s4
	s_delay_alu instid0(SALU_CYCLE_1) | instskip(NEXT) | instid1(SALU_CYCLE_1)
	s_mul_i32 s3, s3, s2
	s_add_co_i32 s3, s3, s5
	s_delay_alu instid0(SALU_CYCLE_1)
	s_cmp_ge_u32 s3, s6
	s_cbranch_scc1 .LBB200_61
; %bb.1:
	s_load_b64 s[16:17], s[0:1], 0x510
	s_wait_kmcnt 0x0
	s_cvt_f32_u32 s2, s17
	s_sub_co_i32 s4, 0, s17
	s_lshl_b32 s33, s16, 8
	s_delay_alu instid0(SALU_CYCLE_1) | instskip(SKIP_1) | instid1(TRANS32_DEP_1)
	v_rcp_iflag_f32_e32 v1, s2
	v_nop
	v_readfirstlane_b32 s2, v1
	s_mul_f32 s2, s2, 0x4f7ffffe
	s_delay_alu instid0(SALU_CYCLE_3) | instskip(NEXT) | instid1(SALU_CYCLE_3)
	s_cvt_u32_f32 s2, s2
	s_mul_i32 s4, s4, s2
	s_delay_alu instid0(SALU_CYCLE_1) | instskip(NEXT) | instid1(SALU_CYCLE_1)
	s_mul_hi_u32 s4, s2, s4
	s_add_co_i32 s2, s2, s4
	s_load_b128 s[4:7], s[0:1], 0x1a0
	s_mul_hi_u32 s2, s3, s2
	s_delay_alu instid0(SALU_CYCLE_1) | instskip(SKIP_2) | instid1(SALU_CYCLE_1)
	s_mul_i32 s8, s2, s17
	s_add_co_i32 s9, s2, 1
	s_sub_co_i32 s8, s3, s8
	s_sub_co_i32 s10, s8, s17
	s_cmp_ge_u32 s8, s17
	s_cselect_b32 s2, s9, s2
	s_cselect_b32 s8, s10, s8
	s_add_co_i32 s9, s2, 1
	s_cmp_ge_u32 s8, s17
	s_cselect_b32 s2, s9, s2
	s_delay_alu instid0(SALU_CYCLE_1) | instskip(NEXT) | instid1(SALU_CYCLE_1)
	s_mul_i32 s20, s2, s17
	s_sub_co_i32 s44, s3, s20
	s_delay_alu instid0(SALU_CYCLE_1) | instskip(NEXT) | instid1(SALU_CYCLE_1)
	s_add_co_i32 s3, s44, 1
	s_cmp_lt_u32 s3, s17
	s_cbranch_scc1 .LBB200_3
; %bb.2:
	s_mul_i32 s8, s44, s33
	s_mov_b32 s9, 0
	s_wait_kmcnt 0x0
	s_sub_nc_u64 s[10:11], s[4:5], s[8:9]
	s_delay_alu instid0(SALU_CYCLE_1) | instskip(NEXT) | instid1(SALU_CYCLE_1)
	s_add_nc_u64 s[10:11], s[10:11], 0xff
	s_ashr_i32 s3, s11, 31
	s_delay_alu instid0(SALU_CYCLE_1) | instskip(NEXT) | instid1(SALU_CYCLE_1)
	s_lshr_b32 s8, s3, 24
	s_add_nc_u64 s[8:9], s[10:11], s[8:9]
	s_delay_alu instid0(SALU_CYCLE_1) | instskip(NEXT) | instid1(SALU_CYCLE_1)
	s_lshr_b64 s[8:9], s[8:9], 8
	s_mov_b32 s16, s8
.LBB200_3:
	s_load_b32 s10, s[0:1], 0x198
	s_mov_b32 s9, 0
	s_mov_b64 s[18:19], 0
	s_mov_b32 s3, s9
	s_delay_alu instid0(SALU_CYCLE_1)
	s_mov_b64 s[22:23], s[2:3]
	s_wait_kmcnt 0x0
	s_cmp_lt_i32 s10, 2
	s_cbranch_scc1 .LBB200_9
; %bb.4:
	s_add_co_i32 s8, s10, -1
	s_add_co_i32 s21, s10, 1
	s_lshl_b64 s[12:13], s[8:9], 3
	s_delay_alu instid0(SALU_CYCLE_1)
	s_add_nc_u64 s[10:11], s[0:1], s[12:13]
	s_mov_b64 s[12:13], s[2:3]
	s_add_nc_u64 s[10:11], s[10:11], 8
.LBB200_5:                              ; =>This Inner Loop Header: Depth=1
	s_load_b64 s[14:15], s[10:11], 0x0
	s_mov_b64 s[22:23], 0
	s_wait_kmcnt 0x0
	v_cmp_lt_u64_e64 s8, s[12:13], s[14:15]
	s_and_b32 vcc_lo, exec_lo, s8
	s_cbranch_vccnz .LBB200_7
; %bb.6:                                ;   in Loop: Header=BB200_5 Depth=1
	v_cvt_f32_u32_e32 v1, s14
	s_sub_co_i32 s22, 0, s14
	s_delay_alu instid0(VALU_DEP_1) | instskip(SKIP_1) | instid1(TRANS32_DEP_1)
	v_rcp_iflag_f32_e32 v1, v1
	v_nop
	v_mul_f32_e32 v1, 0x4f7ffffe, v1
	s_delay_alu instid0(VALU_DEP_1) | instskip(NEXT) | instid1(VALU_DEP_1)
	v_cvt_u32_f32_e32 v1, v1
	v_readfirstlane_b32 s8, v1
	s_mul_i32 s22, s22, s8
	s_delay_alu instid0(SALU_CYCLE_1) | instskip(NEXT) | instid1(SALU_CYCLE_1)
	s_mul_hi_u32 s22, s8, s22
	s_add_co_i32 s8, s8, s22
	s_delay_alu instid0(SALU_CYCLE_1) | instskip(NEXT) | instid1(SALU_CYCLE_1)
	s_mul_hi_u32 s8, s12, s8
	s_mul_i32 s22, s8, s14
	s_add_co_i32 s23, s8, 1
	s_sub_co_i32 s22, s12, s22
	s_delay_alu instid0(SALU_CYCLE_1)
	s_sub_co_i32 s24, s22, s14
	s_cmp_ge_u32 s22, s14
	s_cselect_b32 s8, s23, s8
	s_cselect_b32 s22, s24, s22
	s_add_co_i32 s23, s8, 1
	s_cmp_ge_u32 s22, s14
	s_cselect_b32 s8, s23, s8
	s_delay_alu instid0(SALU_CYCLE_1)
	s_mov_b64 s[22:23], s[8:9]
.LBB200_7:                              ;   in Loop: Header=BB200_5 Depth=1
	s_load_b64 s[24:25], s[10:11], 0xc8
	s_mul_u64 s[14:15], s[22:23], s[14:15]
	s_add_co_i32 s21, s21, -1
	s_sub_nc_u64 s[12:13], s[12:13], s[14:15]
	s_cmp_gt_u32 s21, 2
	s_wait_xcnt 0x0
	s_add_nc_u64 s[10:11], s[10:11], -8
	s_wait_kmcnt 0x0
	s_mul_u64 s[12:13], s[24:25], s[12:13]
	s_delay_alu instid0(SALU_CYCLE_1)
	s_add_nc_u64 s[18:19], s[12:13], s[18:19]
	s_cbranch_scc0 .LBB200_9
; %bb.8:                                ;   in Loop: Header=BB200_5 Depth=1
	s_mov_b64 s[12:13], s[22:23]
	s_branch .LBB200_5
.LBB200_9:
	s_load_b32 s12, s[0:1], 0x358
	s_add_nc_u64 s[8:9], s[0:1], 0x1c0
	s_mov_b64 s[24:25], 0
	s_mov_b64 s[26:27], s[2:3]
	s_wait_kmcnt 0x0
	s_cmp_lt_i32 s12, 2
	s_cbranch_scc1 .LBB200_15
; %bb.10:
	s_add_co_i32 s10, s12, -1
	s_mov_b32 s11, 0
	s_add_co_i32 s21, s12, 1
	s_lshl_b64 s[14:15], s[10:11], 3
	s_delay_alu instid0(SALU_CYCLE_1)
	s_add_nc_u64 s[12:13], s[8:9], s[14:15]
	s_mov_b64 s[14:15], s[2:3]
	s_add_nc_u64 s[12:13], s[12:13], 8
.LBB200_11:                             ; =>This Inner Loop Header: Depth=1
	s_load_b64 s[28:29], s[12:13], 0x0
	s_mov_b64 s[26:27], 0
	s_wait_kmcnt 0x0
	v_cmp_lt_u64_e64 s10, s[14:15], s[28:29]
	s_and_b32 vcc_lo, exec_lo, s10
	s_cbranch_vccnz .LBB200_13
; %bb.12:                               ;   in Loop: Header=BB200_11 Depth=1
	v_cvt_f32_u32_e32 v1, s28
	s_sub_co_i32 s26, 0, s28
	s_delay_alu instid0(VALU_DEP_1) | instskip(SKIP_1) | instid1(TRANS32_DEP_1)
	v_rcp_iflag_f32_e32 v1, v1
	v_nop
	v_mul_f32_e32 v1, 0x4f7ffffe, v1
	s_delay_alu instid0(VALU_DEP_1) | instskip(NEXT) | instid1(VALU_DEP_1)
	v_cvt_u32_f32_e32 v1, v1
	v_readfirstlane_b32 s10, v1
	s_mul_i32 s26, s26, s10
	s_delay_alu instid0(SALU_CYCLE_1) | instskip(NEXT) | instid1(SALU_CYCLE_1)
	s_mul_hi_u32 s26, s10, s26
	s_add_co_i32 s10, s10, s26
	s_delay_alu instid0(SALU_CYCLE_1) | instskip(NEXT) | instid1(SALU_CYCLE_1)
	s_mul_hi_u32 s10, s14, s10
	s_mul_i32 s26, s10, s28
	s_add_co_i32 s27, s10, 1
	s_sub_co_i32 s26, s14, s26
	s_delay_alu instid0(SALU_CYCLE_1)
	s_sub_co_i32 s30, s26, s28
	s_cmp_ge_u32 s26, s28
	s_cselect_b32 s10, s27, s10
	s_cselect_b32 s26, s30, s26
	s_add_co_i32 s27, s10, 1
	s_cmp_ge_u32 s26, s28
	s_cselect_b32 s10, s27, s10
	s_delay_alu instid0(SALU_CYCLE_1)
	s_mov_b64 s[26:27], s[10:11]
.LBB200_13:                             ;   in Loop: Header=BB200_11 Depth=1
	s_load_b64 s[30:31], s[12:13], 0xc8
	s_mul_u64 s[28:29], s[26:27], s[28:29]
	s_add_co_i32 s21, s21, -1
	s_sub_nc_u64 s[14:15], s[14:15], s[28:29]
	s_cmp_gt_u32 s21, 2
	s_wait_xcnt 0x0
	s_add_nc_u64 s[12:13], s[12:13], -8
	s_wait_kmcnt 0x0
	s_mul_u64 s[14:15], s[30:31], s[14:15]
	s_delay_alu instid0(SALU_CYCLE_1)
	s_add_nc_u64 s[24:25], s[14:15], s[24:25]
	s_cbranch_scc0 .LBB200_15
; %bb.14:                               ;   in Loop: Header=BB200_11 Depth=1
	s_mov_b64 s[14:15], s[26:27]
	s_branch .LBB200_11
.LBB200_15:
	s_clause 0x1
	s_load_b64 s[30:31], s[0:1], 0xd0
	s_load_b32 s12, s[0:1], 0x500
	s_mov_b64 s[28:29], 0
	s_wait_kmcnt 0x0
	s_cmp_lt_i32 s12, 2
	s_cbranch_scc1 .LBB200_21
; %bb.16:
	s_add_co_i32 s10, s12, -1
	s_mov_b32 s11, 0
	s_add_nc_u64 s[14:15], s[0:1], 0x368
	s_lshl_b64 s[28:29], s[10:11], 3
	s_add_co_i32 s21, s12, 1
	s_add_nc_u64 s[14:15], s[14:15], s[28:29]
	s_mov_b64 s[28:29], 0
	s_add_nc_u64 s[12:13], s[14:15], 8
	s_mov_b64 s[14:15], s[2:3]
.LBB200_17:                             ; =>This Inner Loop Header: Depth=1
	s_load_b64 s[36:37], s[12:13], 0x0
	s_mov_b64 s[34:35], 0
	s_wait_kmcnt 0x0
	v_cmp_lt_u64_e64 s10, s[14:15], s[36:37]
	s_and_b32 vcc_lo, exec_lo, s10
	s_cbranch_vccnz .LBB200_19
; %bb.18:                               ;   in Loop: Header=BB200_17 Depth=1
	v_cvt_f32_u32_e32 v1, s36
	s_sub_co_i32 s34, 0, s36
	s_delay_alu instid0(VALU_DEP_1) | instskip(SKIP_1) | instid1(TRANS32_DEP_1)
	v_rcp_iflag_f32_e32 v1, v1
	v_nop
	v_mul_f32_e32 v1, 0x4f7ffffe, v1
	s_delay_alu instid0(VALU_DEP_1) | instskip(NEXT) | instid1(VALU_DEP_1)
	v_cvt_u32_f32_e32 v1, v1
	v_readfirstlane_b32 s10, v1
	s_mul_i32 s34, s34, s10
	s_delay_alu instid0(SALU_CYCLE_1) | instskip(NEXT) | instid1(SALU_CYCLE_1)
	s_mul_hi_u32 s34, s10, s34
	s_add_co_i32 s10, s10, s34
	s_delay_alu instid0(SALU_CYCLE_1) | instskip(NEXT) | instid1(SALU_CYCLE_1)
	s_mul_hi_u32 s10, s14, s10
	s_mul_i32 s34, s10, s36
	s_add_co_i32 s35, s10, 1
	s_sub_co_i32 s34, s14, s34
	s_delay_alu instid0(SALU_CYCLE_1)
	s_sub_co_i32 s38, s34, s36
	s_cmp_ge_u32 s34, s36
	s_cselect_b32 s10, s35, s10
	s_cselect_b32 s34, s38, s34
	s_add_co_i32 s35, s10, 1
	s_cmp_ge_u32 s34, s36
	s_cselect_b32 s10, s35, s10
	s_delay_alu instid0(SALU_CYCLE_1)
	s_mov_b64 s[34:35], s[10:11]
.LBB200_19:                             ;   in Loop: Header=BB200_17 Depth=1
	s_load_b64 s[38:39], s[12:13], 0xc8
	s_mul_u64 s[36:37], s[34:35], s[36:37]
	s_add_co_i32 s21, s21, -1
	s_sub_nc_u64 s[14:15], s[14:15], s[36:37]
	s_cmp_gt_u32 s21, 2
	s_wait_xcnt 0x0
	s_add_nc_u64 s[12:13], s[12:13], -8
	s_wait_kmcnt 0x0
	s_mul_u64 s[14:15], s[38:39], s[14:15]
	s_delay_alu instid0(SALU_CYCLE_1)
	s_add_nc_u64 s[28:29], s[14:15], s[28:29]
	s_cbranch_scc0 .LBB200_22
; %bb.20:                               ;   in Loop: Header=BB200_17 Depth=1
	s_mov_b64 s[14:15], s[34:35]
	s_branch .LBB200_17
.LBB200_21:
	s_mov_b64 s[34:35], s[2:3]
.LBB200_22:
	s_load_b64 s[36:37], s[8:9], 0xd0
	s_wait_xcnt 0x0
	s_load_b128 s[8:11], s[0:1], 0x518
	s_lshl_b64 s[2:3], s[2:3], 2
	s_mov_b32 s21, 0
	s_wait_kmcnt 0x0
	s_add_nc_u64 s[2:3], s[8:9], s[2:3]
	s_load_b32 s45, s[2:3], 0x0
	s_wait_xcnt 0x0
	v_cmp_ne_u32_e64 s2, 0, v0
	v_cmp_eq_u32_e64 s3, 0, v0
	s_and_saveexec_b32 s46, s3
	s_cbranch_execz .LBB200_38
; %bb.23:
	s_load_b64 s[38:39], s[0:1], 0x528
	s_cmp_lt_u32 s17, 4
	s_cbranch_scc1 .LBB200_35
; %bb.24:
	s_lshl_b64 s[40:41], s[20:21], 2
	s_mov_b64 s[8:9], 0
	s_mov_b32 s20, 0
.LBB200_25:                             ; =>This Inner Loop Header: Depth=1
	s_add_nc_u64 s[42:43], s[10:11], s[40:41]
	s_cmp_ge_u32 s20, s44
	s_load_b128 s[12:15], s[42:43], 0x0
	s_wait_kmcnt 0x0
	s_add_nc_u64 s[42:43], s[38:39], s[40:41]
	s_cbranch_scc0 .LBB200_32
; %bb.26:                               ;   in Loop: Header=BB200_25 Depth=1
	s_add_co_i32 s47, s20, 1
	s_delay_alu instid0(SALU_CYCLE_1)
	s_cmp_ge_u32 s47, s44
	s_cbranch_scc0 .LBB200_33
.LBB200_27:                             ;   in Loop: Header=BB200_25 Depth=1
	s_add_co_i32 s47, s47, 1
	s_delay_alu instid0(SALU_CYCLE_1)
	s_cmp_ge_u32 s47, s44
	s_cbranch_scc0 .LBB200_34
.LBB200_28:                             ;   in Loop: Header=BB200_25 Depth=1
	s_add_co_i32 s47, s47, 1
	s_delay_alu instid0(SALU_CYCLE_1)
	s_cmp_ge_u32 s47, s44
	s_cbranch_scc1 .LBB200_30
.LBB200_29:                             ;   in Loop: Header=BB200_25 Depth=1
	s_load_b32 s42, s[42:43], 0xc
	s_add_co_i32 s9, s15, s9
	s_wait_kmcnt 0x0
	s_add_co_i32 s8, s42, s8
.LBB200_30:                             ;   in Loop: Header=BB200_25 Depth=1
	s_add_co_i32 s12, s12, s21
	s_add_nc_u64 s[10:11], s[10:11], 16
	s_add_co_i32 s12, s12, s13
	s_add_co_i32 s13, s47, 4
	;; [unrolled: 1-line block ×3, first 2 shown]
	s_add_nc_u64 s[38:39], s[38:39], 16
	s_add_co_i32 s21, s12, s15
	s_add_co_i32 s12, s47, 1
	s_cmp_ge_u32 s13, s17
	s_cbranch_scc1 .LBB200_36
; %bb.31:                               ;   in Loop: Header=BB200_25 Depth=1
	s_mov_b32 s20, s12
	s_branch .LBB200_25
.LBB200_32:                             ;   in Loop: Header=BB200_25 Depth=1
	s_load_b32 s47, s[42:43], 0x0
	s_add_co_i32 s9, s12, s9
	s_wait_kmcnt 0x0
	s_add_co_i32 s8, s47, s8
	s_add_co_i32 s47, s20, 1
	s_delay_alu instid0(SALU_CYCLE_1)
	s_cmp_ge_u32 s47, s44
	s_cbranch_scc1 .LBB200_27
.LBB200_33:                             ;   in Loop: Header=BB200_25 Depth=1
	s_load_b32 s48, s[42:43], 0x4
	s_add_co_i32 s9, s13, s9
	s_wait_kmcnt 0x0
	s_add_co_i32 s8, s48, s8
	s_add_co_i32 s47, s47, 1
	s_delay_alu instid0(SALU_CYCLE_1)
	s_cmp_ge_u32 s47, s44
	s_cbranch_scc1 .LBB200_28
.LBB200_34:                             ;   in Loop: Header=BB200_25 Depth=1
	s_load_b32 s48, s[42:43], 0x8
	s_add_co_i32 s9, s14, s9
	s_wait_kmcnt 0x0
	s_add_co_i32 s8, s48, s8
	s_add_co_i32 s47, s47, 1
	s_delay_alu instid0(SALU_CYCLE_1)
	s_cmp_ge_u32 s47, s44
	s_cbranch_scc0 .LBB200_29
	s_branch .LBB200_30
.LBB200_35:
	s_lshl_b64 s[12:13], s[20:21], 2
	s_mov_b64 s[8:9], 0
	s_add_nc_u64 s[10:11], s[10:11], s[12:13]
	s_wait_kmcnt 0x0
	s_add_nc_u64 s[12:13], s[38:39], s[12:13]
	s_mov_b32 s14, s21
	s_delay_alu instid0(SALU_CYCLE_1)
	s_cmp_ge_u32 s14, s17
	s_cbranch_scc0 .LBB200_59
	s_branch .LBB200_37
.LBB200_36:
	s_add_co_i32 s14, s20, 4
	s_add_nc_u64 s[12:13], s[38:39], s[40:41]
	s_add_nc_u64 s[10:11], s[10:11], s[40:41]
	s_cmp_ge_u32 s14, s17
	s_cbranch_scc0 .LBB200_59
.LBB200_37:
	v_dual_mov_b32 v2, s8 :: v_dual_mov_b32 v3, s21
	v_dual_mov_b32 v4, s9 :: v_dual_mov_b32 v1, 0
	ds_store_b96 v1, v[2:4] offset:1056
.LBB200_38:
	s_or_b32 exec_lo, exec_lo, s46
	s_clause 0x3
	s_load_b64 s[14:15], s[0:1], 0x438
	s_load_b64 s[10:11], s[0:1], 0x0
	;; [unrolled: 1-line block ×4, first 2 shown]
	s_cmp_eq_u32 s16, 0
	s_wait_dscnt 0x0
	s_barrier_signal -1
	s_barrier_wait -1
	s_cbranch_scc1 .LBB200_61
; %bb.39:
	v_dual_mov_b32 v7, 0 :: v_dual_lshrrev_b32 v1, 3, v0
	s_mul_u64 s[20:21], s[36:37], s[26:27]
	s_mul_u64 s[22:23], s[30:31], s[22:23]
	s_lshl_b64 s[20:21], s[20:21], 2
	ds_load_b96 v[2:4], v7 offset:1056
	s_lshl_b64 s[22:23], s[22:23], 2
	s_wait_kmcnt 0x0
	s_mul_u64 s[14:15], s[14:15], s[34:35]
	s_add_nc_u64 s[10:11], s[10:11], s[22:23]
	s_lshl_b64 s[18:19], s[18:19], 2
	s_add_nc_u64 s[20:21], s[8:9], s[20:21]
	s_lshl_b64 s[22:23], s[24:25], 2
	s_add_nc_u64 s[8:9], s[10:11], s[18:19]
	s_add_nc_u64 s[10:11], s[20:21], s[22:23]
	s_lshl_b64 s[14:15], s[14:15], 3
	s_lshl_b64 s[20:21], s[28:29], 3
	s_cmp_gt_i32 s45, -1
	s_load_b32 s24, s[0:1], 0x1b0
	s_add_nc_u64 s[22:23], s[12:13], s[14:15]
	s_cselect_b32 s12, 0x80000000, -1
	v_dual_add_nc_u32 v9, -1, v0 :: v_dual_bitop2_b32 v1, 28, v1 bitop3:0x40
	s_xor_b32 s17, s12, s45
	s_clause 0x2
	s_load_b64 s[12:13], s[0:1], 0x1b8
	s_load_b64 s[14:15], s[0:1], 0x360
	s_load_b64 s[18:19], s[0:1], 0x508
	v_dual_lshlrev_b32 v10, 5, v0 :: v_dual_lshrrev_b32 v6, 3, v9
	s_wait_dscnt 0x0
	v_add_nc_u32_e32 v2, v2, v3
	v_lshl_add_u32 v5, v0, 2, v1
	v_and_b32_e32 v1, 0xfc, v0
	v_mbcnt_lo_u32_b32 v8, -1, 0
	v_and_b32_e32 v3, 0x1ffffffc, v6
	v_mad_u32 v6, s44, s33, v0
	s_cmp_o_f32 s45, s45
	s_wait_xcnt 0x0
	v_cmp_gt_u32_e64 s0, 32, v0
	v_dual_add_nc_u32 v10, v1, v10 :: v_dual_bitop2_b32 v11, 15, v8 bitop3:0x40
	v_lshl_add_u32 v9, v9, 2, v3
	v_bfe_i32 v12, v8, 4, 1
	v_add_nc_u32_e32 v13, -1, v8
	s_cselect_b32 s17, s17, -1
	s_wait_kmcnt 0x0
	s_bitcmp1_b32 s24, 0
	s_add_nc_u64 s[20:21], s[22:23], s[20:21]
	s_cselect_b32 s1, -1, 0
                                        ; implicit-def: $vgpr14
	s_branch .LBB200_42
.LBB200_40:                             ;   in Loop: Header=BB200_42 Depth=1
	s_wait_xcnt 0x0
	s_or_b32 exec_lo, exec_lo, s22
	v_add_nc_u32_e32 v2, v3, v2
.LBB200_41:                             ;   in Loop: Header=BB200_42 Depth=1
	v_add_nc_u32_e32 v4, v15, v4
	v_add_nc_u32_e32 v6, 0x100, v6
	s_add_co_i32 s16, s16, -1
	s_delay_alu instid0(SALU_CYCLE_1)
	s_cmp_lg_u32 s16, 0
	s_cbranch_scc0 .LBB200_61
.LBB200_42:                             ; =>This Inner Loop Header: Depth=1
	v_dual_mov_b32 v1, v7 :: v_dual_mov_b32 v0, v7
	s_mov_b32 s22, exec_lo
	v_cmpx_gt_u64_e64 s[4:5], v[6:7]
	s_cbranch_execz .LBB200_44
; %bb.43:                               ;   in Loop: Header=BB200_42 Depth=1
	v_mul_u64_e32 v[0:1], s[12:13], v[6:7]
	s_delay_alu instid0(VALU_DEP_1)
	v_lshl_add_u64 v[0:1], v[0:1], 2, s[8:9]
	global_load_b32 v14, v[0:1], off
	s_wait_loadcnt 0x0
	v_cmp_lt_i32_e32 vcc_lo, -1, v14
	s_wait_xcnt 0x0
	v_cndmask_b32_e64 v0, -1, 0x80000000, vcc_lo
	v_cmp_o_f32_e32 vcc_lo, v14, v14
	s_delay_alu instid0(VALU_DEP_2) | instskip(NEXT) | instid1(VALU_DEP_1)
	v_xor_b32_e32 v0, v0, v14
	v_cndmask_b32_e32 v0, -1, v0, vcc_lo
	s_delay_alu instid0(VALU_DEP_1) | instskip(SKIP_3) | instid1(VALU_DEP_1)
	v_cmp_lt_u32_e32 vcc_lo, s17, v0
	v_cndmask_b32_e64 v1, 0, 1, vcc_lo
	v_cmp_gt_u32_e32 vcc_lo, s17, v0
	v_cndmask_b32_e64 v3, 0, 1, vcc_lo
	v_cndmask_b32_e64 v1, v3, v1, s1
	s_delay_alu instid0(VALU_DEP_1)
	v_and_b32_e32 v1, 1, v1
	v_cmp_eq_u32_e32 vcc_lo, s17, v0
	v_cndmask_b32_e64 v0, 0, 1, vcc_lo
.LBB200_44:                             ;   in Loop: Header=BB200_42 Depth=1
	s_or_b32 exec_lo, exec_lo, s22
	ds_store_b32 v5, v1
	s_wait_dscnt 0x0
	s_barrier_signal -1
	s_barrier_wait -1
	s_and_saveexec_b32 s22, s0
	s_cbranch_execz .LBB200_46
; %bb.45:                               ;   in Loop: Header=BB200_42 Depth=1
	ds_load_2addr_b32 v[16:17], v10 offset1:1
	ds_load_2addr_b32 v[18:19], v10 offset0:2 offset1:3
	ds_load_2addr_b32 v[20:21], v10 offset0:4 offset1:5
	;; [unrolled: 1-line block ×3, first 2 shown]
	v_cmp_ne_u32_e32 vcc_lo, 0, v11
	; wave barrier
	s_wait_dscnt 0x3
	v_add_nc_u32_e32 v3, v17, v16
	s_wait_dscnt 0x2
	s_delay_alu instid0(VALU_DEP_1) | instskip(SKIP_1) | instid1(VALU_DEP_1)
	v_add3_u32 v3, v3, v18, v19
	s_wait_dscnt 0x1
	v_add3_u32 v3, v3, v20, v21
	s_wait_dscnt 0x0
	s_delay_alu instid0(VALU_DEP_1) | instskip(NEXT) | instid1(VALU_DEP_1)
	v_add3_u32 v3, v3, v22, v23
	v_mov_b32_dpp v15, v3 row_shr:1 row_mask:0xf bank_mask:0xf
	s_delay_alu instid0(VALU_DEP_1) | instskip(SKIP_1) | instid1(VALU_DEP_2)
	v_cndmask_b32_e32 v15, 0, v15, vcc_lo
	v_cmp_lt_u32_e32 vcc_lo, 1, v11
	v_add_nc_u32_e32 v3, v15, v3
	s_delay_alu instid0(VALU_DEP_1) | instskip(NEXT) | instid1(VALU_DEP_1)
	v_mov_b32_dpp v15, v3 row_shr:2 row_mask:0xf bank_mask:0xf
	v_cndmask_b32_e32 v15, 0, v15, vcc_lo
	v_cmp_lt_u32_e32 vcc_lo, 3, v11
	s_delay_alu instid0(VALU_DEP_2) | instskip(NEXT) | instid1(VALU_DEP_1)
	v_add_nc_u32_e32 v3, v3, v15
	v_mov_b32_dpp v15, v3 row_shr:4 row_mask:0xf bank_mask:0xf
	s_delay_alu instid0(VALU_DEP_1) | instskip(SKIP_1) | instid1(VALU_DEP_2)
	v_cndmask_b32_e32 v15, 0, v15, vcc_lo
	v_cmp_lt_u32_e32 vcc_lo, 7, v11
	v_add_nc_u32_e32 v3, v3, v15
	s_delay_alu instid0(VALU_DEP_1) | instskip(NEXT) | instid1(VALU_DEP_1)
	v_mov_b32_dpp v15, v3 row_shr:8 row_mask:0xf bank_mask:0xf
	v_cndmask_b32_e32 v15, 0, v15, vcc_lo
	v_cmp_gt_i32_e32 vcc_lo, 0, v13
	s_delay_alu instid0(VALU_DEP_2) | instskip(SKIP_3) | instid1(VALU_DEP_1)
	v_dual_add_nc_u32 v3, v3, v15 :: v_dual_cndmask_b32 v17, v13, v8, vcc_lo
	ds_swizzle_b32 v15, v3 offset:swizzle(BROADCAST,32,15)
	s_wait_dscnt 0x0
	v_dual_lshlrev_b32 v17, 2, v17 :: v_dual_bitop2_b32 v15, v12, v15 bitop3:0x40
	v_add_nc_u32_e32 v3, v3, v15
	ds_bpermute_b32 v3, v17, v3
	s_wait_dscnt 0x0
	v_add_nc_u32_e32 v3, v3, v16
	s_delay_alu instid0(VALU_DEP_1)
	v_cndmask_b32_e64 v3, v3, v1, s3
	ds_store_b32 v10, v3
	; wave barrier
	ds_load_2addr_b32 v[16:17], v10 offset0:1 offset1:2
	ds_load_2addr_b32 v[18:19], v10 offset0:3 offset1:4
	ds_load_2addr_b32 v[20:21], v10 offset0:5 offset1:6
	ds_load_b32 v15, v10 offset:28
	s_wait_dscnt 0x3
	v_add_nc_u32_e32 v3, v16, v3
	s_delay_alu instid0(VALU_DEP_1) | instskip(SKIP_1) | instid1(VALU_DEP_1)
	v_add_nc_u32_e32 v16, v17, v3
	s_wait_dscnt 0x2
	v_add_nc_u32_e32 v17, v18, v16
	s_delay_alu instid0(VALU_DEP_1) | instskip(SKIP_1) | instid1(VALU_DEP_1)
	v_add_nc_u32_e32 v18, v19, v17
	;; [unrolled: 4-line block ×3, first 2 shown]
	s_wait_dscnt 0x0
	v_add_nc_u32_e32 v15, v15, v20
	ds_store_2addr_b32 v10, v3, v16 offset0:1 offset1:2
	ds_store_2addr_b32 v10, v17, v18 offset0:3 offset1:4
	;; [unrolled: 1-line block ×3, first 2 shown]
	ds_store_b32 v10, v15 offset:28
.LBB200_46:                             ;   in Loop: Header=BB200_42 Depth=1
	s_or_b32 exec_lo, exec_lo, s22
	v_mov_b32_e32 v3, 0
	s_wait_dscnt 0x0
	s_barrier_signal -1
	s_barrier_wait -1
	s_and_saveexec_b32 s22, s2
; %bb.47:                               ;   in Loop: Header=BB200_42 Depth=1
	ds_load_b32 v3, v9
; %bb.48:                               ;   in Loop: Header=BB200_42 Depth=1
	s_or_b32 exec_lo, exec_lo, s22
	ds_load_b32 v15, v7 offset:1048
	s_mov_b32 s22, exec_lo
	s_wait_dscnt 0x0
	s_barrier_signal -1
	s_barrier_wait -1
	v_cmpx_ne_u32_e32 0, v1
	s_cbranch_execz .LBB200_50
; %bb.49:                               ;   in Loop: Header=BB200_42 Depth=1
	v_add_nc_u32_e32 v16, v3, v4
	v_mov_b32_e32 v17, v7
	s_delay_alu instid0(VALU_DEP_1) | instskip(SKIP_1) | instid1(VALU_DEP_2)
	v_mul_u64_e32 v[18:19], s[14:15], v[16:17]
	v_mul_u64_e32 v[16:17], s[18:19], v[16:17]
	v_lshl_add_u64 v[18:19], v[18:19], 2, s[10:11]
	s_delay_alu instid0(VALU_DEP_2)
	v_lshl_add_u64 v[16:17], v[16:17], 3, s[20:21]
	global_store_b32 v[18:19], v14, off
	global_store_b64 v[16:17], v[6:7], off
.LBB200_50:                             ;   in Loop: Header=BB200_42 Depth=1
	s_wait_xcnt 0x0
	s_or_b32 exec_lo, exec_lo, s22
	v_mov_b32_e32 v3, v7
	s_delay_alu instid0(VALU_DEP_1)
	v_cmp_le_u64_e32 vcc_lo, s[6:7], v[2:3]
	s_cbranch_vccnz .LBB200_41
; %bb.51:                               ;   in Loop: Header=BB200_42 Depth=1
	ds_store_b32 v5, v0
	s_wait_storecnt_dscnt 0x0
	s_barrier_signal -1
	s_barrier_wait -1
	s_and_saveexec_b32 s22, s0
	s_cbranch_execz .LBB200_53
; %bb.52:                               ;   in Loop: Header=BB200_42 Depth=1
	ds_load_2addr_b32 v[16:17], v10 offset1:1
	ds_load_2addr_b32 v[18:19], v10 offset0:2 offset1:3
	ds_load_2addr_b32 v[20:21], v10 offset0:4 offset1:5
	;; [unrolled: 1-line block ×3, first 2 shown]
	v_cmp_ne_u32_e32 vcc_lo, 0, v11
	; wave barrier
	s_wait_dscnt 0x3
	v_add_nc_u32_e32 v1, v17, v16
	s_wait_dscnt 0x2
	s_delay_alu instid0(VALU_DEP_1) | instskip(SKIP_1) | instid1(VALU_DEP_1)
	v_add3_u32 v1, v1, v18, v19
	s_wait_dscnt 0x1
	v_add3_u32 v1, v1, v20, v21
	s_wait_dscnt 0x0
	s_delay_alu instid0(VALU_DEP_1) | instskip(NEXT) | instid1(VALU_DEP_1)
	v_add3_u32 v1, v1, v22, v23
	v_mov_b32_dpp v3, v1 row_shr:1 row_mask:0xf bank_mask:0xf
	s_delay_alu instid0(VALU_DEP_1) | instskip(SKIP_1) | instid1(VALU_DEP_2)
	v_cndmask_b32_e32 v3, 0, v3, vcc_lo
	v_cmp_lt_u32_e32 vcc_lo, 1, v11
	v_add_nc_u32_e32 v1, v3, v1
	s_delay_alu instid0(VALU_DEP_1) | instskip(NEXT) | instid1(VALU_DEP_1)
	v_mov_b32_dpp v3, v1 row_shr:2 row_mask:0xf bank_mask:0xf
	v_cndmask_b32_e32 v3, 0, v3, vcc_lo
	v_cmp_lt_u32_e32 vcc_lo, 3, v11
	s_delay_alu instid0(VALU_DEP_2) | instskip(NEXT) | instid1(VALU_DEP_1)
	v_add_nc_u32_e32 v1, v1, v3
	v_mov_b32_dpp v3, v1 row_shr:4 row_mask:0xf bank_mask:0xf
	s_delay_alu instid0(VALU_DEP_1) | instskip(SKIP_1) | instid1(VALU_DEP_2)
	v_cndmask_b32_e32 v3, 0, v3, vcc_lo
	v_cmp_lt_u32_e32 vcc_lo, 7, v11
	v_add_nc_u32_e32 v1, v1, v3
	s_delay_alu instid0(VALU_DEP_1) | instskip(NEXT) | instid1(VALU_DEP_1)
	v_mov_b32_dpp v3, v1 row_shr:8 row_mask:0xf bank_mask:0xf
	v_cndmask_b32_e32 v3, 0, v3, vcc_lo
	v_cmp_gt_i32_e32 vcc_lo, 0, v13
	s_delay_alu instid0(VALU_DEP_2) | instskip(SKIP_4) | instid1(VALU_DEP_1)
	v_add_nc_u32_e32 v1, v1, v3
	v_cndmask_b32_e32 v17, v13, v8, vcc_lo
	ds_swizzle_b32 v3, v1 offset:swizzle(BROADCAST,32,15)
	s_wait_dscnt 0x0
	v_dual_lshlrev_b32 v17, 2, v17 :: v_dual_bitop2_b32 v3, v12, v3 bitop3:0x40
	v_add_nc_u32_e32 v1, v1, v3
	ds_bpermute_b32 v1, v17, v1
	s_wait_dscnt 0x0
	v_add_nc_u32_e32 v1, v1, v16
	s_delay_alu instid0(VALU_DEP_1)
	v_cndmask_b32_e64 v1, v1, v0, s3
	ds_store_b32 v10, v1
	; wave barrier
	ds_load_2addr_b32 v[16:17], v10 offset0:1 offset1:2
	ds_load_2addr_b32 v[18:19], v10 offset0:3 offset1:4
	;; [unrolled: 1-line block ×3, first 2 shown]
	ds_load_b32 v3, v10 offset:28
	s_wait_dscnt 0x3
	v_add_nc_u32_e32 v1, v16, v1
	s_delay_alu instid0(VALU_DEP_1) | instskip(SKIP_1) | instid1(VALU_DEP_1)
	v_add_nc_u32_e32 v16, v17, v1
	s_wait_dscnt 0x2
	v_add_nc_u32_e32 v17, v18, v16
	s_delay_alu instid0(VALU_DEP_1) | instskip(SKIP_1) | instid1(VALU_DEP_1)
	v_add_nc_u32_e32 v18, v19, v17
	;; [unrolled: 4-line block ×3, first 2 shown]
	s_wait_dscnt 0x0
	v_add_nc_u32_e32 v3, v3, v20
	ds_store_2addr_b32 v10, v1, v16 offset0:1 offset1:2
	ds_store_2addr_b32 v10, v17, v18 offset0:3 offset1:4
	;; [unrolled: 1-line block ×3, first 2 shown]
	ds_store_b32 v10, v3 offset:28
.LBB200_53:                             ;   in Loop: Header=BB200_42 Depth=1
	s_or_b32 exec_lo, exec_lo, s22
	v_mov_b32_e32 v1, 0
	s_wait_dscnt 0x0
	s_barrier_signal -1
	s_barrier_wait -1
	s_and_saveexec_b32 s22, s2
; %bb.54:                               ;   in Loop: Header=BB200_42 Depth=1
	ds_load_b32 v1, v9
; %bb.55:                               ;   in Loop: Header=BB200_42 Depth=1
	s_or_b32 exec_lo, exec_lo, s22
	ds_load_b32 v3, v7 offset:1048
	s_mov_b32 s22, exec_lo
	s_wait_dscnt 0x0
	s_barrier_signal -1
	s_barrier_wait -1
	v_cmpx_ne_u32_e32 0, v0
	s_cbranch_execz .LBB200_40
; %bb.56:                               ;   in Loop: Header=BB200_42 Depth=1
	v_dual_mov_b32 v1, v7 :: v_dual_add_nc_u32 v0, v1, v2
	s_delay_alu instid0(VALU_DEP_1)
	v_cmp_gt_u64_e32 vcc_lo, s[6:7], v[0:1]
	s_and_b32 exec_lo, exec_lo, vcc_lo
	s_cbranch_execz .LBB200_40
; %bb.57:                               ;   in Loop: Header=BB200_42 Depth=1
	v_mul_u64_e32 v[16:17], s[14:15], v[0:1]
	v_mul_u64_e32 v[0:1], s[18:19], v[0:1]
	s_delay_alu instid0(VALU_DEP_2) | instskip(NEXT) | instid1(VALU_DEP_2)
	v_lshl_add_u64 v[16:17], v[16:17], 2, s[10:11]
	v_lshl_add_u64 v[0:1], v[0:1], 3, s[20:21]
	global_store_b32 v[16:17], v14, off
	global_store_b64 v[0:1], v[6:7], off
	s_branch .LBB200_40
.LBB200_58:                             ;   in Loop: Header=BB200_59 Depth=1
	s_add_co_i32 s14, s14, 1
	s_wait_kmcnt 0x0
	s_add_co_i32 s21, s15, s21
	s_add_nc_u64 s[10:11], s[10:11], 4
	s_cmp_lt_u32 s14, s17
	s_add_nc_u64 s[12:13], s[12:13], 4
	s_cbranch_scc0 .LBB200_37
.LBB200_59:                             ; =>This Inner Loop Header: Depth=1
	s_load_b32 s15, s[10:11], 0x0
	s_cmp_ge_u32 s14, s44
	s_cbranch_scc1 .LBB200_58
; %bb.60:                               ;   in Loop: Header=BB200_59 Depth=1
	s_load_b32 s20, s[12:13], 0x0
	s_wait_kmcnt 0x0
	s_add_co_i32 s9, s15, s9
	s_add_co_i32 s8, s20, s8
	s_branch .LBB200_58
.LBB200_61:
	s_endpgm
	.section	.rodata,"a",@progbits
	.p2align	6, 0x0
	.amdhsa_kernel _ZN2at6native6mbtopk10gatherTopKIfmLin1EEEvNS_4cuda6detail10TensorInfoIKT_T0_EES8_S8_bjS8_NS5_IS6_S8_EES8_NS5_IlS8_EES8_jjPS6_PjSD_j
		.amdhsa_group_segment_fixed_size 1068
		.amdhsa_private_segment_fixed_size 0
		.amdhsa_kernarg_size 1592
		.amdhsa_user_sgpr_count 2
		.amdhsa_user_sgpr_dispatch_ptr 0
		.amdhsa_user_sgpr_queue_ptr 0
		.amdhsa_user_sgpr_kernarg_segment_ptr 1
		.amdhsa_user_sgpr_dispatch_id 0
		.amdhsa_user_sgpr_kernarg_preload_length 0
		.amdhsa_user_sgpr_kernarg_preload_offset 0
		.amdhsa_user_sgpr_private_segment_size 0
		.amdhsa_wavefront_size32 1
		.amdhsa_uses_dynamic_stack 0
		.amdhsa_enable_private_segment 0
		.amdhsa_system_sgpr_workgroup_id_x 1
		.amdhsa_system_sgpr_workgroup_id_y 1
		.amdhsa_system_sgpr_workgroup_id_z 1
		.amdhsa_system_sgpr_workgroup_info 0
		.amdhsa_system_vgpr_workitem_id 0
		.amdhsa_next_free_vgpr 24
		.amdhsa_next_free_sgpr 49
		.amdhsa_named_barrier_count 0
		.amdhsa_reserve_vcc 1
		.amdhsa_float_round_mode_32 0
		.amdhsa_float_round_mode_16_64 0
		.amdhsa_float_denorm_mode_32 3
		.amdhsa_float_denorm_mode_16_64 3
		.amdhsa_fp16_overflow 0
		.amdhsa_memory_ordered 1
		.amdhsa_forward_progress 1
		.amdhsa_inst_pref_size 27
		.amdhsa_round_robin_scheduling 0
		.amdhsa_exception_fp_ieee_invalid_op 0
		.amdhsa_exception_fp_denorm_src 0
		.amdhsa_exception_fp_ieee_div_zero 0
		.amdhsa_exception_fp_ieee_overflow 0
		.amdhsa_exception_fp_ieee_underflow 0
		.amdhsa_exception_fp_ieee_inexact 0
		.amdhsa_exception_int_div_zero 0
	.end_amdhsa_kernel
	.section	.text._ZN2at6native6mbtopk10gatherTopKIfmLin1EEEvNS_4cuda6detail10TensorInfoIKT_T0_EES8_S8_bjS8_NS5_IS6_S8_EES8_NS5_IlS8_EES8_jjPS6_PjSD_j,"axG",@progbits,_ZN2at6native6mbtopk10gatherTopKIfmLin1EEEvNS_4cuda6detail10TensorInfoIKT_T0_EES8_S8_bjS8_NS5_IS6_S8_EES8_NS5_IlS8_EES8_jjPS6_PjSD_j,comdat
.Lfunc_end200:
	.size	_ZN2at6native6mbtopk10gatherTopKIfmLin1EEEvNS_4cuda6detail10TensorInfoIKT_T0_EES8_S8_bjS8_NS5_IS6_S8_EES8_NS5_IlS8_EES8_jjPS6_PjSD_j, .Lfunc_end200-_ZN2at6native6mbtopk10gatherTopKIfmLin1EEEvNS_4cuda6detail10TensorInfoIKT_T0_EES8_S8_bjS8_NS5_IS6_S8_EES8_NS5_IlS8_EES8_jjPS6_PjSD_j
                                        ; -- End function
	.set _ZN2at6native6mbtopk10gatherTopKIfmLin1EEEvNS_4cuda6detail10TensorInfoIKT_T0_EES8_S8_bjS8_NS5_IS6_S8_EES8_NS5_IlS8_EES8_jjPS6_PjSD_j.num_vgpr, 24
	.set _ZN2at6native6mbtopk10gatherTopKIfmLin1EEEvNS_4cuda6detail10TensorInfoIKT_T0_EES8_S8_bjS8_NS5_IS6_S8_EES8_NS5_IlS8_EES8_jjPS6_PjSD_j.num_agpr, 0
	.set _ZN2at6native6mbtopk10gatherTopKIfmLin1EEEvNS_4cuda6detail10TensorInfoIKT_T0_EES8_S8_bjS8_NS5_IS6_S8_EES8_NS5_IlS8_EES8_jjPS6_PjSD_j.numbered_sgpr, 49
	.set _ZN2at6native6mbtopk10gatherTopKIfmLin1EEEvNS_4cuda6detail10TensorInfoIKT_T0_EES8_S8_bjS8_NS5_IS6_S8_EES8_NS5_IlS8_EES8_jjPS6_PjSD_j.num_named_barrier, 0
	.set _ZN2at6native6mbtopk10gatherTopKIfmLin1EEEvNS_4cuda6detail10TensorInfoIKT_T0_EES8_S8_bjS8_NS5_IS6_S8_EES8_NS5_IlS8_EES8_jjPS6_PjSD_j.private_seg_size, 0
	.set _ZN2at6native6mbtopk10gatherTopKIfmLin1EEEvNS_4cuda6detail10TensorInfoIKT_T0_EES8_S8_bjS8_NS5_IS6_S8_EES8_NS5_IlS8_EES8_jjPS6_PjSD_j.uses_vcc, 1
	.set _ZN2at6native6mbtopk10gatherTopKIfmLin1EEEvNS_4cuda6detail10TensorInfoIKT_T0_EES8_S8_bjS8_NS5_IS6_S8_EES8_NS5_IlS8_EES8_jjPS6_PjSD_j.uses_flat_scratch, 0
	.set _ZN2at6native6mbtopk10gatherTopKIfmLin1EEEvNS_4cuda6detail10TensorInfoIKT_T0_EES8_S8_bjS8_NS5_IS6_S8_EES8_NS5_IlS8_EES8_jjPS6_PjSD_j.has_dyn_sized_stack, 0
	.set _ZN2at6native6mbtopk10gatherTopKIfmLin1EEEvNS_4cuda6detail10TensorInfoIKT_T0_EES8_S8_bjS8_NS5_IS6_S8_EES8_NS5_IlS8_EES8_jjPS6_PjSD_j.has_recursion, 0
	.set _ZN2at6native6mbtopk10gatherTopKIfmLin1EEEvNS_4cuda6detail10TensorInfoIKT_T0_EES8_S8_bjS8_NS5_IS6_S8_EES8_NS5_IlS8_EES8_jjPS6_PjSD_j.has_indirect_call, 0
	.section	.AMDGPU.csdata,"",@progbits
; Kernel info:
; codeLenInByte = 3384
; TotalNumSgprs: 51
; NumVgprs: 24
; ScratchSize: 0
; MemoryBound: 0
; FloatMode: 240
; IeeeMode: 1
; LDSByteSize: 1068 bytes/workgroup (compile time only)
; SGPRBlocks: 0
; VGPRBlocks: 1
; NumSGPRsForWavesPerEU: 51
; NumVGPRsForWavesPerEU: 24
; NamedBarCnt: 0
; Occupancy: 16
; WaveLimiterHint : 1
; COMPUTE_PGM_RSRC2:SCRATCH_EN: 0
; COMPUTE_PGM_RSRC2:USER_SGPR: 2
; COMPUTE_PGM_RSRC2:TRAP_HANDLER: 0
; COMPUTE_PGM_RSRC2:TGID_X_EN: 1
; COMPUTE_PGM_RSRC2:TGID_Y_EN: 1
; COMPUTE_PGM_RSRC2:TGID_Z_EN: 1
; COMPUTE_PGM_RSRC2:TIDIG_COMP_CNT: 0
	.section	.text._ZN2at6native6sbtopk10gatherTopKIfmLin1ELb0EEEvNS_4cuda6detail10TensorInfoIKT_T0_EES8_S8_bS8_S8_NS5_IS6_S8_EES8_NS5_IlS8_EES8_PS6_,"axG",@progbits,_ZN2at6native6sbtopk10gatherTopKIfmLin1ELb0EEEvNS_4cuda6detail10TensorInfoIKT_T0_EES8_S8_bS8_S8_NS5_IS6_S8_EES8_NS5_IlS8_EES8_PS6_,comdat
	.protected	_ZN2at6native6sbtopk10gatherTopKIfmLin1ELb0EEEvNS_4cuda6detail10TensorInfoIKT_T0_EES8_S8_bS8_S8_NS5_IS6_S8_EES8_NS5_IlS8_EES8_PS6_ ; -- Begin function _ZN2at6native6sbtopk10gatherTopKIfmLin1ELb0EEEvNS_4cuda6detail10TensorInfoIKT_T0_EES8_S8_bS8_S8_NS5_IS6_S8_EES8_NS5_IlS8_EES8_PS6_
	.globl	_ZN2at6native6sbtopk10gatherTopKIfmLin1ELb0EEEvNS_4cuda6detail10TensorInfoIKT_T0_EES8_S8_bS8_S8_NS5_IS6_S8_EES8_NS5_IlS8_EES8_PS6_
	.p2align	8
	.type	_ZN2at6native6sbtopk10gatherTopKIfmLin1ELb0EEEvNS_4cuda6detail10TensorInfoIKT_T0_EES8_S8_bS8_S8_NS5_IS6_S8_EES8_NS5_IlS8_EES8_PS6_,@function
_ZN2at6native6sbtopk10gatherTopKIfmLin1ELb0EEEvNS_4cuda6detail10TensorInfoIKT_T0_EES8_S8_bS8_S8_NS5_IS6_S8_EES8_NS5_IlS8_EES8_PS6_: ; @_ZN2at6native6sbtopk10gatherTopKIfmLin1ELb0EEEvNS_4cuda6detail10TensorInfoIKT_T0_EES8_S8_bS8_S8_NS5_IS6_S8_EES8_NS5_IlS8_EES8_PS6_
; %bb.0:
	s_clause 0x1
	s_load_b128 s[28:31], s[0:1], 0x1b8
	s_load_b64 s[8:9], s[0:1], 0x520
	s_bfe_u32 s2, ttmp6, 0x40010
	s_and_b32 s3, ttmp7, 0xffff
	s_add_co_i32 s2, s2, 1
	s_bfe_u32 s5, ttmp6, 0x4000c
	s_mul_i32 s2, s3, s2
	s_bfe_u32 s4, ttmp6, 0x40004
	s_add_co_i32 s5, s5, 1
	s_bfe_u32 s6, ttmp6, 0x40014
	s_add_co_i32 s4, s4, s2
	s_and_b32 s2, ttmp6, 15
	s_mul_i32 s5, ttmp9, s5
	s_lshr_b32 s7, ttmp7, 16
	s_add_co_i32 s6, s6, 1
	s_add_co_i32 s2, s2, s5
	s_mul_i32 s5, s7, s6
	s_bfe_u32 s6, ttmp6, 0x40008
	s_getreg_b32 s10, hwreg(HW_REG_IB_STS2, 6, 4)
	s_add_co_i32 s6, s6, s5
	s_cmp_eq_u32 s10, 0
	s_cselect_b32 s5, s7, s6
	s_cselect_b32 s3, s3, s4
	s_wait_kmcnt 0x0
	s_mul_i32 s5, s9, s5
	s_cselect_b32 s9, ttmp9, s2
	s_add_co_i32 s2, s5, s3
	s_mov_b32 s5, 0
	s_mul_i32 s2, s2, s8
	s_delay_alu instid0(SALU_CYCLE_1) | instskip(NEXT) | instid1(SALU_CYCLE_1)
	s_add_co_i32 s4, s2, s9
	v_cmp_le_u64_e64 s2, s[28:29], s[4:5]
	s_and_b32 vcc_lo, exec_lo, s2
	s_cbranch_vccnz .LBB201_514
; %bb.1:
	s_load_b32 s12, s[0:1], 0x198
	s_mov_b64 s[2:3], 0
	s_mov_b64 s[6:7], s[4:5]
	s_wait_kmcnt 0x0
	s_cmp_lt_i32 s12, 2
	s_cbranch_scc1 .LBB201_9
; %bb.2:
	s_add_co_i32 s10, s12, -1
	s_mov_b32 s11, 0
	s_add_co_i32 s18, s12, 1
	s_lshl_b64 s[2:3], s[10:11], 3
	s_mov_b64 s[14:15], s[4:5]
	s_add_nc_u64 s[6:7], s[0:1], s[2:3]
	s_mov_b64 s[2:3], 0
	s_add_nc_u64 s[12:13], s[6:7], 8
.LBB201_3:                              ; =>This Inner Loop Header: Depth=1
	s_load_b64 s[16:17], s[12:13], 0x0
	s_mov_b32 s10, -1
	s_wait_kmcnt 0x0
	s_or_b64 s[6:7], s[14:15], s[16:17]
	s_delay_alu instid0(SALU_CYCLE_1) | instskip(NEXT) | instid1(SALU_CYCLE_1)
	s_and_b64 s[6:7], s[6:7], 0xffffffff00000000
	s_cmp_lg_u64 s[6:7], 0
                                        ; implicit-def: $sgpr6_sgpr7
	s_cbranch_scc0 .LBB201_5
; %bb.4:                                ;   in Loop: Header=BB201_3 Depth=1
	s_cvt_f32_u32 s6, s16
	s_cvt_f32_u32 s7, s17
	s_sub_nc_u64 s[20:21], 0, s[16:17]
	s_delay_alu instid0(SALU_CYCLE_2) | instskip(NEXT) | instid1(SALU_CYCLE_3)
	s_fmamk_f32 s6, s7, 0x4f800000, s6
	v_s_rcp_f32 s6, s6
	s_delay_alu instid0(TRANS32_DEP_1) | instskip(NEXT) | instid1(SALU_CYCLE_3)
	s_mul_f32 s6, s6, 0x5f7ffffc
	s_mul_f32 s7, s6, 0x2f800000
	s_delay_alu instid0(SALU_CYCLE_3) | instskip(NEXT) | instid1(SALU_CYCLE_3)
	s_trunc_f32 s7, s7
	s_fmamk_f32 s6, s7, 0xcf800000, s6
	s_cvt_u32_f32 s7, s7
	s_delay_alu instid0(SALU_CYCLE_2) | instskip(NEXT) | instid1(SALU_CYCLE_3)
	s_cvt_u32_f32 s6, s6
	s_mul_u64 s[22:23], s[20:21], s[6:7]
	s_delay_alu instid0(SALU_CYCLE_1)
	s_mul_hi_u32 s25, s6, s23
	s_mul_i32 s24, s6, s23
	s_mul_hi_u32 s10, s6, s22
	s_mul_i32 s26, s7, s22
	s_add_nc_u64 s[24:25], s[10:11], s[24:25]
	s_mul_hi_u32 s19, s7, s22
	s_mul_hi_u32 s27, s7, s23
	s_add_co_u32 s10, s24, s26
	s_add_co_ci_u32 s10, s25, s19
	s_mul_i32 s22, s7, s23
	s_add_co_ci_u32 s23, s27, 0
	s_delay_alu instid0(SALU_CYCLE_1) | instskip(NEXT) | instid1(SALU_CYCLE_1)
	s_add_nc_u64 s[22:23], s[10:11], s[22:23]
	s_add_co_u32 s6, s6, s22
	s_cselect_b32 s10, -1, 0
	s_delay_alu instid0(SALU_CYCLE_1) | instskip(SKIP_1) | instid1(SALU_CYCLE_1)
	s_cmp_lg_u32 s10, 0
	s_add_co_ci_u32 s7, s7, s23
	s_mul_u64 s[20:21], s[20:21], s[6:7]
	s_delay_alu instid0(SALU_CYCLE_1)
	s_mul_hi_u32 s23, s6, s21
	s_mul_i32 s22, s6, s21
	s_mul_hi_u32 s10, s6, s20
	s_mul_i32 s24, s7, s20
	s_add_nc_u64 s[22:23], s[10:11], s[22:23]
	s_mul_hi_u32 s19, s7, s20
	s_mul_hi_u32 s25, s7, s21
	s_add_co_u32 s10, s22, s24
	s_add_co_ci_u32 s10, s23, s19
	s_mul_i32 s20, s7, s21
	s_add_co_ci_u32 s21, s25, 0
	s_delay_alu instid0(SALU_CYCLE_1) | instskip(NEXT) | instid1(SALU_CYCLE_1)
	s_add_nc_u64 s[20:21], s[10:11], s[20:21]
	s_add_co_u32 s6, s6, s20
	s_cselect_b32 s19, -1, 0
	s_mul_hi_u32 s10, s14, s6
	s_cmp_lg_u32 s19, 0
	s_mul_hi_u32 s19, s15, s6
	s_add_co_ci_u32 s20, s7, s21
	s_mul_i32 s21, s15, s6
	s_mul_hi_u32 s7, s14, s20
	s_mul_i32 s6, s14, s20
	s_mul_hi_u32 s22, s15, s20
	s_add_nc_u64 s[6:7], s[10:11], s[6:7]
	s_mul_i32 s20, s15, s20
	s_add_co_u32 s6, s6, s21
	s_add_co_ci_u32 s10, s7, s19
	s_add_co_ci_u32 s21, s22, 0
	s_delay_alu instid0(SALU_CYCLE_1) | instskip(NEXT) | instid1(SALU_CYCLE_1)
	s_add_nc_u64 s[6:7], s[10:11], s[20:21]
	s_and_b64 s[20:21], s[6:7], 0xffffffff00000000
	s_delay_alu instid0(SALU_CYCLE_1) | instskip(NEXT) | instid1(SALU_CYCLE_1)
	s_or_b32 s20, s20, s6
	s_mul_u64 s[6:7], s[16:17], s[20:21]
	s_delay_alu instid0(SALU_CYCLE_1)
	s_sub_co_u32 s6, s14, s6
	s_cselect_b32 s10, -1, 0
	s_sub_co_i32 s19, s15, s7
	s_cmp_lg_u32 s10, 0
	s_sub_co_ci_u32 s19, s19, s17
	s_sub_co_u32 s22, s6, s16
	s_cselect_b32 s23, -1, 0
	s_delay_alu instid0(SALU_CYCLE_1) | instskip(SKIP_1) | instid1(SALU_CYCLE_1)
	s_cmp_lg_u32 s23, 0
	s_sub_co_ci_u32 s19, s19, 0
	s_cmp_ge_u32 s19, s17
	s_cselect_b32 s24, -1, 0
	s_cmp_ge_u32 s22, s16
	s_add_nc_u64 s[22:23], s[20:21], 1
	s_cselect_b32 s25, -1, 0
	s_cmp_eq_u32 s19, s17
	s_cselect_b32 s19, s25, s24
	s_add_nc_u64 s[24:25], s[20:21], 2
	s_cmp_lg_u32 s19, 0
	s_cselect_b32 s19, s24, s22
	s_cselect_b32 s22, s25, s23
	s_cmp_lg_u32 s10, 0
	s_sub_co_ci_u32 s7, s15, s7
	s_delay_alu instid0(SALU_CYCLE_1)
	s_cmp_ge_u32 s7, s17
	s_cselect_b32 s10, -1, 0
	s_cmp_ge_u32 s6, s16
	s_cselect_b32 s6, -1, 0
	s_cmp_eq_u32 s7, s17
	s_cselect_b32 s6, s6, s10
	s_mov_b32 s10, 0
	s_cmp_lg_u32 s6, 0
	s_cselect_b32 s7, s22, s21
	s_cselect_b32 s6, s19, s20
.LBB201_5:                              ;   in Loop: Header=BB201_3 Depth=1
	s_and_not1_b32 vcc_lo, exec_lo, s10
	s_cbranch_vccnz .LBB201_7
; %bb.6:                                ;   in Loop: Header=BB201_3 Depth=1
	v_cvt_f32_u32_e32 v1, s16
	s_sub_co_i32 s7, 0, s16
	s_delay_alu instid0(VALU_DEP_1) | instskip(SKIP_1) | instid1(TRANS32_DEP_1)
	v_rcp_iflag_f32_e32 v1, v1
	v_nop
	v_mul_f32_e32 v1, 0x4f7ffffe, v1
	s_delay_alu instid0(VALU_DEP_1) | instskip(NEXT) | instid1(VALU_DEP_1)
	v_cvt_u32_f32_e32 v1, v1
	v_readfirstlane_b32 s6, v1
	s_mul_i32 s7, s7, s6
	s_delay_alu instid0(SALU_CYCLE_1) | instskip(NEXT) | instid1(SALU_CYCLE_1)
	s_mul_hi_u32 s7, s6, s7
	s_add_co_i32 s6, s6, s7
	s_delay_alu instid0(SALU_CYCLE_1) | instskip(NEXT) | instid1(SALU_CYCLE_1)
	s_mul_hi_u32 s6, s14, s6
	s_mul_i32 s7, s6, s16
	s_add_co_i32 s10, s6, 1
	s_sub_co_i32 s7, s14, s7
	s_delay_alu instid0(SALU_CYCLE_1)
	s_sub_co_i32 s19, s7, s16
	s_cmp_ge_u32 s7, s16
	s_cselect_b32 s6, s10, s6
	s_cselect_b32 s7, s19, s7
	s_add_co_i32 s10, s6, 1
	s_cmp_ge_u32 s7, s16
	s_cselect_b32 s10, s10, s6
	s_delay_alu instid0(SALU_CYCLE_1)
	s_mov_b64 s[6:7], s[10:11]
.LBB201_7:                              ;   in Loop: Header=BB201_3 Depth=1
	s_load_b64 s[20:21], s[12:13], 0xc8
	s_mul_u64 s[16:17], s[6:7], s[16:17]
	s_add_co_i32 s18, s18, -1
	s_sub_nc_u64 s[14:15], s[14:15], s[16:17]
	s_cmp_gt_u32 s18, 2
	s_wait_xcnt 0x0
	s_add_nc_u64 s[12:13], s[12:13], -8
	s_wait_kmcnt 0x0
	s_mul_u64 s[14:15], s[20:21], s[14:15]
	s_delay_alu instid0(SALU_CYCLE_1)
	s_add_nc_u64 s[2:3], s[14:15], s[2:3]
	s_cbranch_scc0 .LBB201_9
; %bb.8:                                ;   in Loop: Header=BB201_3 Depth=1
	s_mov_b64 s[14:15], s[6:7]
	s_branch .LBB201_3
.LBB201_9:
	s_load_b32 s16, s[0:1], 0x360
	s_add_nc_u64 s[10:11], s[0:1], 0x520
	s_add_nc_u64 s[12:13], s[0:1], 0x1c8
	s_mov_b64 s[34:35], 0
	s_mov_b64 s[42:43], s[4:5]
	s_wait_kmcnt 0x0
	s_cmp_lt_i32 s16, 2
	s_cbranch_scc1 .LBB201_17
; %bb.10:
	s_add_co_i32 s14, s16, -1
	s_mov_b32 s15, 0
	s_add_co_i32 s22, s16, 1
	s_lshl_b64 s[18:19], s[14:15], 3
	s_delay_alu instid0(SALU_CYCLE_1)
	s_add_nc_u64 s[16:17], s[12:13], s[18:19]
	s_mov_b64 s[18:19], s[4:5]
	s_add_nc_u64 s[16:17], s[16:17], 8
.LBB201_11:                             ; =>This Inner Loop Header: Depth=1
	s_load_b64 s[20:21], s[16:17], 0x0
	s_mov_b32 s14, -1
                                        ; implicit-def: $sgpr42_sgpr43
	s_wait_kmcnt 0x0
	s_or_b64 s[24:25], s[18:19], s[20:21]
	s_delay_alu instid0(SALU_CYCLE_1) | instskip(NEXT) | instid1(SALU_CYCLE_1)
	s_and_b64 s[24:25], s[24:25], 0xffffffff00000000
	s_cmp_lg_u64 s[24:25], 0
	s_cbranch_scc0 .LBB201_13
; %bb.12:                               ;   in Loop: Header=BB201_11 Depth=1
	s_cvt_f32_u32 s14, s20
	s_cvt_f32_u32 s23, s21
	s_sub_nc_u64 s[26:27], 0, s[20:21]
	s_delay_alu instid0(SALU_CYCLE_2) | instskip(NEXT) | instid1(SALU_CYCLE_3)
	s_fmamk_f32 s14, s23, 0x4f800000, s14
	v_s_rcp_f32 s14, s14
	s_delay_alu instid0(TRANS32_DEP_1) | instskip(NEXT) | instid1(SALU_CYCLE_3)
	s_mul_f32 s14, s14, 0x5f7ffffc
	s_mul_f32 s23, s14, 0x2f800000
	s_delay_alu instid0(SALU_CYCLE_3) | instskip(NEXT) | instid1(SALU_CYCLE_3)
	s_trunc_f32 s23, s23
	s_fmamk_f32 s14, s23, 0xcf800000, s14
	s_cvt_u32_f32 s25, s23
	s_delay_alu instid0(SALU_CYCLE_2) | instskip(NEXT) | instid1(SALU_CYCLE_3)
	s_cvt_u32_f32 s24, s14
	s_mul_u64 s[28:29], s[26:27], s[24:25]
	s_delay_alu instid0(SALU_CYCLE_1)
	s_mul_hi_u32 s37, s24, s29
	s_mul_i32 s36, s24, s29
	s_mul_hi_u32 s14, s24, s28
	s_mul_i32 s33, s25, s28
	s_add_nc_u64 s[36:37], s[14:15], s[36:37]
	s_mul_hi_u32 s23, s25, s28
	s_mul_hi_u32 s38, s25, s29
	s_add_co_u32 s14, s36, s33
	s_add_co_ci_u32 s14, s37, s23
	s_mul_i32 s28, s25, s29
	s_add_co_ci_u32 s29, s38, 0
	s_delay_alu instid0(SALU_CYCLE_1) | instskip(NEXT) | instid1(SALU_CYCLE_1)
	s_add_nc_u64 s[28:29], s[14:15], s[28:29]
	s_add_co_u32 s24, s24, s28
	s_cselect_b32 s14, -1, 0
	s_delay_alu instid0(SALU_CYCLE_1) | instskip(SKIP_1) | instid1(SALU_CYCLE_1)
	s_cmp_lg_u32 s14, 0
	s_add_co_ci_u32 s25, s25, s29
	s_mul_u64 s[26:27], s[26:27], s[24:25]
	s_delay_alu instid0(SALU_CYCLE_1)
	s_mul_hi_u32 s29, s24, s27
	s_mul_i32 s28, s24, s27
	s_mul_hi_u32 s14, s24, s26
	s_mul_i32 s33, s25, s26
	s_add_nc_u64 s[28:29], s[14:15], s[28:29]
	s_mul_hi_u32 s23, s25, s26
	s_mul_hi_u32 s36, s25, s27
	s_add_co_u32 s14, s28, s33
	s_add_co_ci_u32 s14, s29, s23
	s_mul_i32 s26, s25, s27
	s_add_co_ci_u32 s27, s36, 0
	s_delay_alu instid0(SALU_CYCLE_1) | instskip(NEXT) | instid1(SALU_CYCLE_1)
	s_add_nc_u64 s[26:27], s[14:15], s[26:27]
	s_add_co_u32 s23, s24, s26
	s_cselect_b32 s24, -1, 0
	s_mul_hi_u32 s14, s18, s23
	s_cmp_lg_u32 s24, 0
	s_mul_hi_u32 s28, s19, s23
	s_add_co_ci_u32 s26, s25, s27
	s_mul_i32 s23, s19, s23
	s_mul_hi_u32 s25, s18, s26
	s_mul_i32 s24, s18, s26
	s_mul_hi_u32 s27, s19, s26
	s_add_nc_u64 s[24:25], s[14:15], s[24:25]
	s_mul_i32 s26, s19, s26
	s_add_co_u32 s14, s24, s23
	s_add_co_ci_u32 s14, s25, s28
	s_add_co_ci_u32 s27, s27, 0
	s_delay_alu instid0(SALU_CYCLE_1) | instskip(NEXT) | instid1(SALU_CYCLE_1)
	s_add_nc_u64 s[24:25], s[14:15], s[26:27]
	s_and_b64 s[26:27], s[24:25], 0xffffffff00000000
	s_delay_alu instid0(SALU_CYCLE_1) | instskip(NEXT) | instid1(SALU_CYCLE_1)
	s_or_b32 s26, s26, s24
	s_mul_u64 s[24:25], s[20:21], s[26:27]
	s_delay_alu instid0(SALU_CYCLE_1)
	s_sub_co_u32 s14, s18, s24
	s_cselect_b32 s23, -1, 0
	s_sub_co_i32 s24, s19, s25
	s_cmp_lg_u32 s23, 0
	s_sub_co_ci_u32 s24, s24, s21
	s_sub_co_u32 s28, s14, s20
	s_cselect_b32 s29, -1, 0
	s_delay_alu instid0(SALU_CYCLE_1) | instskip(SKIP_1) | instid1(SALU_CYCLE_1)
	s_cmp_lg_u32 s29, 0
	s_sub_co_ci_u32 s24, s24, 0
	s_cmp_ge_u32 s24, s21
	s_cselect_b32 s33, -1, 0
	s_cmp_ge_u32 s28, s20
	s_add_nc_u64 s[28:29], s[26:27], 1
	s_cselect_b32 s36, -1, 0
	s_cmp_eq_u32 s24, s21
	s_cselect_b32 s24, s36, s33
	s_add_nc_u64 s[36:37], s[26:27], 2
	s_cmp_lg_u32 s24, 0
	s_cselect_b32 s24, s36, s28
	s_cselect_b32 s28, s37, s29
	s_cmp_lg_u32 s23, 0
	s_sub_co_ci_u32 s23, s19, s25
	s_delay_alu instid0(SALU_CYCLE_1)
	s_cmp_ge_u32 s23, s21
	s_cselect_b32 s25, -1, 0
	s_cmp_ge_u32 s14, s20
	s_cselect_b32 s14, -1, 0
	s_cmp_eq_u32 s23, s21
	s_cselect_b32 s14, s14, s25
	s_delay_alu instid0(SALU_CYCLE_1)
	s_cmp_lg_u32 s14, 0
	s_mov_b32 s14, 0
	s_cselect_b32 s43, s28, s27
	s_cselect_b32 s42, s24, s26
.LBB201_13:                             ;   in Loop: Header=BB201_11 Depth=1
	s_and_not1_b32 vcc_lo, exec_lo, s14
	s_cbranch_vccnz .LBB201_15
; %bb.14:                               ;   in Loop: Header=BB201_11 Depth=1
	v_cvt_f32_u32_e32 v1, s20
	s_sub_co_i32 s23, 0, s20
	s_delay_alu instid0(VALU_DEP_1) | instskip(SKIP_1) | instid1(TRANS32_DEP_1)
	v_rcp_iflag_f32_e32 v1, v1
	v_nop
	v_mul_f32_e32 v1, 0x4f7ffffe, v1
	s_delay_alu instid0(VALU_DEP_1) | instskip(NEXT) | instid1(VALU_DEP_1)
	v_cvt_u32_f32_e32 v1, v1
	v_readfirstlane_b32 s14, v1
	s_mul_i32 s23, s23, s14
	s_delay_alu instid0(SALU_CYCLE_1) | instskip(NEXT) | instid1(SALU_CYCLE_1)
	s_mul_hi_u32 s23, s14, s23
	s_add_co_i32 s14, s14, s23
	s_delay_alu instid0(SALU_CYCLE_1) | instskip(NEXT) | instid1(SALU_CYCLE_1)
	s_mul_hi_u32 s14, s18, s14
	s_mul_i32 s23, s14, s20
	s_add_co_i32 s24, s14, 1
	s_sub_co_i32 s23, s18, s23
	s_delay_alu instid0(SALU_CYCLE_1)
	s_sub_co_i32 s25, s23, s20
	s_cmp_ge_u32 s23, s20
	s_cselect_b32 s14, s24, s14
	s_cselect_b32 s23, s25, s23
	s_add_co_i32 s24, s14, 1
	s_cmp_ge_u32 s23, s20
	s_cselect_b32 s14, s24, s14
	s_delay_alu instid0(SALU_CYCLE_1)
	s_mov_b64 s[42:43], s[14:15]
.LBB201_15:                             ;   in Loop: Header=BB201_11 Depth=1
	s_load_b64 s[24:25], s[16:17], 0xc8
	s_mul_u64 s[20:21], s[42:43], s[20:21]
	s_add_co_i32 s22, s22, -1
	s_sub_nc_u64 s[18:19], s[18:19], s[20:21]
	s_cmp_gt_u32 s22, 2
	s_wait_xcnt 0x0
	s_add_nc_u64 s[16:17], s[16:17], -8
	s_wait_kmcnt 0x0
	s_mul_u64 s[18:19], s[24:25], s[18:19]
	s_delay_alu instid0(SALU_CYCLE_1)
	s_add_nc_u64 s[34:35], s[18:19], s[34:35]
	s_cbranch_scc0 .LBB201_17
; %bb.16:                               ;   in Loop: Header=BB201_11 Depth=1
	s_mov_b64 s[18:19], s[42:43]
	s_branch .LBB201_11
.LBB201_17:
	s_clause 0x1
	s_load_b64 s[14:15], s[0:1], 0xd0
	s_load_b32 s18, s[0:1], 0x508
	s_mov_b64 s[46:47], 0
	s_wait_kmcnt 0x0
	s_cmp_lt_i32 s18, 2
	s_cbranch_scc1 .LBB201_25
; %bb.18:
	s_add_co_i32 s16, s18, -1
	s_mov_b32 s17, 0
	s_add_nc_u64 s[20:21], s[0:1], 0x370
	s_lshl_b64 s[22:23], s[16:17], 3
	s_delay_alu instid0(SALU_CYCLE_1)
	s_add_nc_u64 s[20:21], s[20:21], s[22:23]
	s_add_co_i32 s22, s18, 1
	s_add_nc_u64 s[18:19], s[20:21], 8
.LBB201_19:                             ; =>This Inner Loop Header: Depth=1
	s_load_b64 s[20:21], s[18:19], 0x0
	s_mov_b32 s16, -1
                                        ; implicit-def: $sgpr50_sgpr51
	s_wait_kmcnt 0x0
	s_or_b64 s[24:25], s[4:5], s[20:21]
	s_delay_alu instid0(SALU_CYCLE_1) | instskip(NEXT) | instid1(SALU_CYCLE_1)
	s_and_b64 s[24:25], s[24:25], 0xffffffff00000000
	s_cmp_lg_u64 s[24:25], 0
	s_cbranch_scc0 .LBB201_21
; %bb.20:                               ;   in Loop: Header=BB201_19 Depth=1
	s_cvt_f32_u32 s16, s20
	s_cvt_f32_u32 s23, s21
	s_sub_nc_u64 s[26:27], 0, s[20:21]
	s_delay_alu instid0(SALU_CYCLE_2) | instskip(NEXT) | instid1(SALU_CYCLE_3)
	s_fmamk_f32 s16, s23, 0x4f800000, s16
	v_s_rcp_f32 s16, s16
	s_delay_alu instid0(TRANS32_DEP_1) | instskip(NEXT) | instid1(SALU_CYCLE_3)
	s_mul_f32 s16, s16, 0x5f7ffffc
	s_mul_f32 s23, s16, 0x2f800000
	s_delay_alu instid0(SALU_CYCLE_3) | instskip(NEXT) | instid1(SALU_CYCLE_3)
	s_trunc_f32 s23, s23
	s_fmamk_f32 s16, s23, 0xcf800000, s16
	s_cvt_u32_f32 s25, s23
	s_delay_alu instid0(SALU_CYCLE_2) | instskip(NEXT) | instid1(SALU_CYCLE_3)
	s_cvt_u32_f32 s24, s16
	s_mul_u64 s[28:29], s[26:27], s[24:25]
	s_delay_alu instid0(SALU_CYCLE_1)
	s_mul_hi_u32 s37, s24, s29
	s_mul_i32 s36, s24, s29
	s_mul_hi_u32 s16, s24, s28
	s_mul_i32 s33, s25, s28
	s_add_nc_u64 s[36:37], s[16:17], s[36:37]
	s_mul_hi_u32 s23, s25, s28
	s_mul_hi_u32 s38, s25, s29
	s_add_co_u32 s16, s36, s33
	s_add_co_ci_u32 s16, s37, s23
	s_mul_i32 s28, s25, s29
	s_add_co_ci_u32 s29, s38, 0
	s_delay_alu instid0(SALU_CYCLE_1) | instskip(NEXT) | instid1(SALU_CYCLE_1)
	s_add_nc_u64 s[28:29], s[16:17], s[28:29]
	s_add_co_u32 s24, s24, s28
	s_cselect_b32 s16, -1, 0
	s_delay_alu instid0(SALU_CYCLE_1) | instskip(SKIP_1) | instid1(SALU_CYCLE_1)
	s_cmp_lg_u32 s16, 0
	s_add_co_ci_u32 s25, s25, s29
	s_mul_u64 s[26:27], s[26:27], s[24:25]
	s_delay_alu instid0(SALU_CYCLE_1)
	s_mul_hi_u32 s29, s24, s27
	s_mul_i32 s28, s24, s27
	s_mul_hi_u32 s16, s24, s26
	s_mul_i32 s33, s25, s26
	s_add_nc_u64 s[28:29], s[16:17], s[28:29]
	s_mul_hi_u32 s23, s25, s26
	s_mul_hi_u32 s36, s25, s27
	s_add_co_u32 s16, s28, s33
	s_add_co_ci_u32 s16, s29, s23
	s_mul_i32 s26, s25, s27
	s_add_co_ci_u32 s27, s36, 0
	s_delay_alu instid0(SALU_CYCLE_1) | instskip(NEXT) | instid1(SALU_CYCLE_1)
	s_add_nc_u64 s[26:27], s[16:17], s[26:27]
	s_add_co_u32 s23, s24, s26
	s_cselect_b32 s24, -1, 0
	s_mul_hi_u32 s16, s4, s23
	s_cmp_lg_u32 s24, 0
	s_mul_hi_u32 s28, s5, s23
	s_add_co_ci_u32 s26, s25, s27
	s_mul_i32 s23, s5, s23
	s_mul_hi_u32 s25, s4, s26
	s_mul_i32 s24, s4, s26
	s_mul_hi_u32 s27, s5, s26
	s_add_nc_u64 s[24:25], s[16:17], s[24:25]
	s_mul_i32 s26, s5, s26
	s_add_co_u32 s16, s24, s23
	s_add_co_ci_u32 s16, s25, s28
	s_add_co_ci_u32 s27, s27, 0
	s_delay_alu instid0(SALU_CYCLE_1) | instskip(NEXT) | instid1(SALU_CYCLE_1)
	s_add_nc_u64 s[24:25], s[16:17], s[26:27]
	s_and_b64 s[26:27], s[24:25], 0xffffffff00000000
	s_delay_alu instid0(SALU_CYCLE_1) | instskip(NEXT) | instid1(SALU_CYCLE_1)
	s_or_b32 s26, s26, s24
	s_mul_u64 s[24:25], s[20:21], s[26:27]
	s_delay_alu instid0(SALU_CYCLE_1)
	s_sub_co_u32 s16, s4, s24
	s_cselect_b32 s23, -1, 0
	s_sub_co_i32 s24, s5, s25
	s_cmp_lg_u32 s23, 0
	s_sub_co_ci_u32 s24, s24, s21
	s_sub_co_u32 s28, s16, s20
	s_cselect_b32 s29, -1, 0
	s_delay_alu instid0(SALU_CYCLE_1) | instskip(SKIP_1) | instid1(SALU_CYCLE_1)
	s_cmp_lg_u32 s29, 0
	s_sub_co_ci_u32 s24, s24, 0
	s_cmp_ge_u32 s24, s21
	s_cselect_b32 s33, -1, 0
	s_cmp_ge_u32 s28, s20
	s_add_nc_u64 s[28:29], s[26:27], 1
	s_cselect_b32 s36, -1, 0
	s_cmp_eq_u32 s24, s21
	s_cselect_b32 s24, s36, s33
	s_add_nc_u64 s[36:37], s[26:27], 2
	s_cmp_lg_u32 s24, 0
	s_cselect_b32 s24, s36, s28
	s_cselect_b32 s28, s37, s29
	s_cmp_lg_u32 s23, 0
	s_sub_co_ci_u32 s23, s5, s25
	s_delay_alu instid0(SALU_CYCLE_1)
	s_cmp_ge_u32 s23, s21
	s_cselect_b32 s25, -1, 0
	s_cmp_ge_u32 s16, s20
	s_cselect_b32 s16, -1, 0
	s_cmp_eq_u32 s23, s21
	s_cselect_b32 s16, s16, s25
	s_delay_alu instid0(SALU_CYCLE_1)
	s_cmp_lg_u32 s16, 0
	s_mov_b32 s16, 0
	s_cselect_b32 s51, s28, s27
	s_cselect_b32 s50, s24, s26
.LBB201_21:                             ;   in Loop: Header=BB201_19 Depth=1
	s_and_not1_b32 vcc_lo, exec_lo, s16
	s_cbranch_vccnz .LBB201_23
; %bb.22:                               ;   in Loop: Header=BB201_19 Depth=1
	v_cvt_f32_u32_e32 v1, s20
	s_sub_co_i32 s23, 0, s20
	s_delay_alu instid0(VALU_DEP_1) | instskip(SKIP_1) | instid1(TRANS32_DEP_1)
	v_rcp_iflag_f32_e32 v1, v1
	v_nop
	v_mul_f32_e32 v1, 0x4f7ffffe, v1
	s_delay_alu instid0(VALU_DEP_1) | instskip(NEXT) | instid1(VALU_DEP_1)
	v_cvt_u32_f32_e32 v1, v1
	v_readfirstlane_b32 s16, v1
	s_mul_i32 s23, s23, s16
	s_delay_alu instid0(SALU_CYCLE_1) | instskip(NEXT) | instid1(SALU_CYCLE_1)
	s_mul_hi_u32 s23, s16, s23
	s_add_co_i32 s16, s16, s23
	s_delay_alu instid0(SALU_CYCLE_1) | instskip(NEXT) | instid1(SALU_CYCLE_1)
	s_mul_hi_u32 s16, s4, s16
	s_mul_i32 s23, s16, s20
	s_add_co_i32 s24, s16, 1
	s_sub_co_i32 s23, s4, s23
	s_delay_alu instid0(SALU_CYCLE_1)
	s_sub_co_i32 s25, s23, s20
	s_cmp_ge_u32 s23, s20
	s_cselect_b32 s16, s24, s16
	s_cselect_b32 s23, s25, s23
	s_add_co_i32 s24, s16, 1
	s_cmp_ge_u32 s23, s20
	s_cselect_b32 s16, s24, s16
	s_delay_alu instid0(SALU_CYCLE_1)
	s_mov_b64 s[50:51], s[16:17]
.LBB201_23:                             ;   in Loop: Header=BB201_19 Depth=1
	s_load_b64 s[24:25], s[18:19], 0xc8
	s_mul_u64 s[20:21], s[50:51], s[20:21]
	s_add_co_i32 s22, s22, -1
	s_sub_nc_u64 s[4:5], s[4:5], s[20:21]
	s_cmp_gt_u32 s22, 2
	s_wait_xcnt 0x0
	s_add_nc_u64 s[18:19], s[18:19], -8
	s_wait_kmcnt 0x0
	s_mul_u64 s[4:5], s[24:25], s[4:5]
	s_delay_alu instid0(SALU_CYCLE_1)
	s_add_nc_u64 s[46:47], s[4:5], s[46:47]
	s_cbranch_scc0 .LBB201_26
; %bb.24:                               ;   in Loop: Header=BB201_19 Depth=1
	s_mov_b64 s[4:5], s[50:51]
	s_branch .LBB201_19
.LBB201_25:
	s_mov_b64 s[50:51], s[4:5]
.LBB201_26:
	s_clause 0x1
	s_load_b64 s[4:5], s[12:13], 0xd0
	s_load_b128 s[36:39], s[0:1], 0x1a0
	s_wait_xcnt 0x0
	s_load_b64 s[12:13], s[0:1], 0x0
                                        ; implicit-def: $vgpr62 : SGPR spill to VGPR lane
	s_mov_b32 s29, 0
	s_wait_kmcnt 0x0
	v_writelane_b32 v62, s4, 0
	v_writelane_b32 v62, s5, 1
	v_cmp_eq_u32_e64 s5, 0, v0
	s_and_saveexec_b32 s4, s5
	s_cbranch_execz .LBB201_28
; %bb.27:
	v_dual_mov_b32 v2, 0 :: v_dual_mov_b32 v4, s36
	s_delay_alu instid0(VALU_DEP_1)
	v_dual_mov_b32 v5, s37 :: v_dual_mov_b32 v3, v2
	ds_store_b32 v2, v2 offset:5144
	ds_store_b128 v2, v[2:5] offset:5120
.LBB201_28:
	s_or_b32 exec_lo, exec_lo, s4
	s_lshl_b64 s[60:61], s[2:3], 2
	s_load_b64 s[2:3], s[0:1], 0x440
	v_dual_mov_b32 v3, 0 :: v_dual_add_nc_u32 v2, 2, v0
	s_wait_dscnt 0x0
	s_barrier_signal -1
	s_barrier_wait -1
	s_delay_alu instid0(VALU_DEP_1)
	v_max_u64 v[4:5], s[36:37], v[2:3]
	s_load_b32 s18, s[10:11], 0xc
	v_dual_mov_b32 v9, -1 :: v_dual_mov_b32 v17, v3
	v_not_b32_e32 v8, v0
	v_mbcnt_lo_u32_b32 v13, -1, 0
	s_mul_u64 s[14:15], s[14:15], s[6:7]
	v_cmp_gt_u32_e32 vcc_lo, 32, v0
	v_dual_mov_b32 v1, v3 :: v_dual_lshlrev_b32 v16, 2, v0
	s_delay_alu instid0(VALU_DEP_3)
	v_cmp_gt_i32_e64 s7, 4, v13
	s_lshl_b64 s[14:15], s[14:15], 2
	v_dual_mov_b32 v35, 0 :: v_dual_lshlrev_b32 v52, 4, v0
	s_wait_kmcnt 0x0
	v_writelane_b32 v62, s2, 2
	v_mul_u64_e32 v[6:7], s[30:31], v[0:1]
	s_add_nc_u64 s[16:17], s[12:13], s[14:15]
	s_load_b32 s4, s[0:1], 0x1b0
	v_dual_mov_b32 v53, 0 :: v_dual_bitop2_b32 v2, 12, v52 bitop3:0x54
	v_writelane_b32 v62, s3, 3
	s_load_b64 s[2:3], s[0:1], 0x1c8
	v_lshlrev_b64_e64 v[10:11], v13, -1
	s_delay_alu instid0(VALU_DEP_3)
	v_mad_nc_u64_u32 v[22:23], s30, v2, s[16:17]
	s_add_nc_u64 s[62:63], s[16:17], s[60:61]
	v_cmp_lt_u64_e64 s33, 0x300, s[36:37]
	s_movk_i32 s19, 0x3e0
	v_mov_b64_e32 v[36:37], s[38:39]
	s_mov_b32 s41, s29
	v_cmp_gt_u32_e64 s6, 2, v0
	v_not_b32_e32 v12, v10
	v_and_or_b32 v51, v0, s19, 0xc00
	v_add_nc_u64_e32 v[4:5], v[4:5], v[8:9]
	v_add_nc_u32_e32 v50, 0xc00, v16
	v_mad_u32 v23, s31, v2, v23
	v_lshl_or_b32 v54, v13, 3, 0xc00
	v_mov_b32_e32 v32, 1.0
	s_wait_kmcnt 0x0
	s_bitcmp1_b32 s4, 0
	s_mov_b32 s68, s30
	s_cselect_b32 s97, -1, 0
	s_and_b32 s94, vcc_lo, s7
	v_writelane_b32 v62, s2, 4
	v_cmp_lt_u64_e64 s7, 1, v[4:5]
	v_dual_mov_b32 v19, v5 :: v_dual_bitop2_b32 v18, -2, v4 bitop3:0x40
	s_and_b32 s40, s18, 0xffff
	v_writelane_b32 v62, s3, 5
	s_load_b64 s[2:3], s[0:1], 0x370
	s_bfe_u32 s4, s18, 0xb0005
	s_xor_b32 s95, s97, -1
	s_cmp_gt_u32 s40, 31
	v_lshlrev_b64_e32 v[8:9], 2, v[6:7]
	s_cselect_b32 s96, -1, 0
	s_cmp_lt_u32 s9, s8
	v_add_nc_u64_e32 v[20:21], v[18:19], v[0:1]
	s_cselect_b32 s28, 12, 18
	s_bfe_u32 s8, s40, 0x30005
	v_lshl_add_u64 v[28:29], v[6:7], 4, s[16:17]
	v_add_nc_u64_e32 v[14:15], s[62:63], v[8:9]
	s_add_nc_u64 s[64:65], s[40:41], -1
	s_mov_b32 s69, s31
	s_add_nc_u64 s[66:67], s[64:65], s[36:37]
	s_mov_b32 s103, 30
	s_mov_b32 s102, 0x4f800000
	s_add_nc_u64 s[78:79], s[10:11], s[28:29]
	s_mov_b32 s104, 0
	s_mov_b32 s52, 0
	s_wait_kmcnt 0x0
	v_writelane_b32 v62, s2, 6
                                        ; implicit-def: $vcc_hi
                                        ; implicit-def: $sgpr55
                                        ; implicit-def: $sgpr54
                                        ; implicit-def: $sgpr56
                                        ; implicit-def: $sgpr53
                                        ; implicit-def: $sgpr48
                                        ; implicit-def: $sgpr57
                                        ; implicit-def: $sgpr59
                                        ; implicit-def: $sgpr58
	v_mov_b32_e32 v55, 0
	v_writelane_b32 v62, s3, 7
	v_cmp_gt_u64_e64 s3, s[36:37], v[0:1]
	v_cmp_eq_u32_e64 s2, 0, v13
	v_writelane_b32 v62, s7, 8
	v_cmp_ne_u64_e64 s7, v[4:5], v[18:19]
	v_or_b32_e32 v4, 8, v52
	v_or_b32_e32 v5, 4, v52
	s_delay_alu instid0(VALU_DEP_2) | instskip(NEXT) | instid1(VALU_DEP_4)
	v_mad_nc_u64_u32 v[24:25], s30, v4, s[16:17]
	v_writelane_b32 v62, s7, 9
	s_add_co_i32 s7, s4, -1
	s_delay_alu instid0(VALU_DEP_3) | instskip(SKIP_1) | instid1(SALU_CYCLE_1)
	v_mad_nc_u64_u32 v[26:27], s30, v5, s[16:17]
	s_and_b32 s7, s7, 0xffff
	s_cmp_gt_u32 s7, 6
	v_writelane_b32 v62, s8, 10
	s_cselect_b32 s98, -1, 0
	s_and_b32 s99, s4, 0x7f8
	s_cmp_lg_u32 s8, 0
	s_add_nc_u64 s[8:9], s[14:15], s[60:61]
	s_cselect_b32 s100, -1, 0
	s_add_nc_u64 s[8:9], s[12:13], s[8:9]
	v_mad_u32 v25, s31, v4, v25
	v_writelane_b32 v62, s8, 11
	v_mad_u32 v27, s31, v5, v27
	s_lshl_b32 s101, s40, 2
	s_and_b64 s[76:77], s[36:37], 0xffffffff00000000
	v_writelane_b32 v62, s9, 12
	s_lshl_b64 s[8:9], s[30:31], 2
	s_delay_alu instid0(SALU_CYCLE_1) | instskip(SKIP_2) | instid1(SALU_CYCLE_1)
	v_writelane_b32 v62, s8, 13
	v_writelane_b32 v62, s9, 14
	s_lshl_b64 s[8:9], s[30:31], 4
	v_writelane_b32 v62, s8, 15
	v_writelane_b32 v62, s9, 16
	s_add_nc_u64 s[8:9], s[12:13], s[60:61]
	s_delay_alu instid0(SALU_CYCLE_1)
	s_add_nc_u64 s[12:13], s[8:9], s[14:15]
	s_mul_u64 s[8:9], s[30:31], s[40:41]
	v_writelane_b32 v62, s12, 17
	v_add_nc_u64_e32 v[30:31], s[12:13], v[8:9]
	s_lshl_b64 s[44:45], s[8:9], 2
                                        ; implicit-def: $sgpr8
	v_writelane_b32 v62, s13, 18
	s_branch .LBB201_31
.LBB201_29:                             ;   in Loop: Header=BB201_31 Depth=1
	s_or_b32 exec_lo, exec_lo, s10
	v_mov_b64_e32 v[36:37], v[4:5]
	s_and_not1_b32 s10, s58, exec_lo
	s_and_b32 s9, s9, exec_lo
	s_and_not1_b32 s59, s59, exec_lo
	s_or_b32 s58, s10, s9
	s_and_not1_b32 s57, s57, exec_lo
	s_and_not1_b32 s48, s48, exec_lo
	;; [unrolled: 1-line block ×3, first 2 shown]
	s_or_not1_b32 s7, s7, exec_lo
.LBB201_30:                             ;   in Loop: Header=BB201_31 Depth=1
	s_or_b32 exec_lo, exec_lo, s4
	s_delay_alu instid0(SALU_CYCLE_1) | instskip(NEXT) | instid1(SALU_CYCLE_1)
	s_and_b32 s4, exec_lo, s7
	s_or_b32 s104, s4, s104
	s_and_not1_b32 s4, s53, exec_lo
	s_and_b32 s7, s58, exec_lo
	s_and_not1_b32 s9, s56, exec_lo
	s_or_b32 s53, s4, s7
	s_and_b32 s4, s59, exec_lo
	s_and_not1_b32 s7, s54, exec_lo
	s_and_b32 s10, s57, exec_lo
	s_or_b32 s56, s9, s4
	s_or_b32 s54, s7, s10
	s_and_not1_b32 s4, s55, exec_lo
	s_and_b32 s7, s48, exec_lo
	s_and_not1_b32 s9, vcc_hi, exec_lo
	s_and_b32 s10, s8, exec_lo
	s_or_b32 s55, s4, s7
	s_or_b32 vcc_hi, s9, s10
	s_and_not1_b32 exec_lo, exec_lo, s104
	s_cbranch_execz .LBB201_510
.LBB201_31:                             ; =>This Loop Header: Depth=1
                                        ;     Child Loop BB201_37 Depth 2
                                        ;     Child Loop BB201_51 Depth 2
	;; [unrolled: 1-line block ×25, first 2 shown]
	ds_load_b128 v[4:7], v3 offset:5120
	s_wait_dscnt 0x0
	v_readfirstlane_b32 s81, v5
	v_readfirstlane_b32 s80, v4
	s_cmp_lg_u64 s[80:81], 0
	s_cbranch_scc1 .LBB201_64
; %bb.32:                               ;   in Loop: Header=BB201_31 Depth=1
	s_and_b32 vcc_lo, exec_lo, s33
	s_cbranch_vccz .LBB201_45
; %bb.33:                               ;   in Loop: Header=BB201_31 Depth=1
	v_cmp_gt_u64_e32 vcc_lo, 0x301, v[6:7]
	s_mov_b32 s4, 0
	s_mov_b32 s7, 0
	s_cbranch_vccz .LBB201_46
; %bb.34:                               ;   in Loop: Header=BB201_31 Depth=1
	s_and_saveexec_b32 s7, s3
	s_cbranch_execz .LBB201_119
; %bb.35:                               ;   in Loop: Header=BB201_31 Depth=1
	global_load_u16 v2, v3, s[78:79]
	global_load_b32 v10, v[14:15], off
	v_readlane_b32 s12, v62, 13
	v_readlane_b32 s13, v62, 14
	;; [unrolled: 1-line block ×4, first 2 shown]
	s_wait_loadcnt 0x1
	v_and_b32_e32 v2, 0xffff, v2
	s_delay_alu instid0(VALU_DEP_1) | instskip(SKIP_1) | instid1(VALU_DEP_1)
	v_mul_u64_e32 v[4:5], s[12:13], v[2:3]
	v_add_nc_u32_e32 v8, v0, v2
	v_mad_nc_u64_u32 v[6:7], s12, v8, s[10:11]
	s_mov_b32 s11, 0
	s_delay_alu instid0(VALU_DEP_1)
	v_mad_u32 v7, s13, v8, v7
	v_mov_b64_e32 v[8:9], v[0:1]
	s_branch .LBB201_37
.LBB201_36:                             ;   in Loop: Header=BB201_37 Depth=2
	s_or_b32 exec_lo, exec_lo, s10
	v_add_nc_u64_e32 v[6:7], v[6:7], v[4:5]
	v_mov_b32_e32 v10, v11
	s_and_not1_b32 exec_lo, exec_lo, s11
	s_cbranch_execz .LBB201_119
.LBB201_37:                             ;   Parent Loop BB201_31 Depth=1
                                        ; =>  This Inner Loop Header: Depth=2
	s_delay_alu instid0(VALU_DEP_1) | instskip(SKIP_3) | instid1(VALU_DEP_2)
	v_add_nc_u64_e32 v[8:9], v[8:9], v[2:3]
	s_wait_dscnt 0x0
	v_dual_mov_b32 v33, 0 :: v_dual_mov_b32 v11, 0
	s_mov_b32 s10, exec_lo
	v_cmp_le_u64_e32 vcc_lo, s[36:37], v[8:9]
	s_wait_xcnt 0x0
	v_cmpx_gt_u64_e64 s[36:37], v[8:9]
	s_cbranch_execz .LBB201_39
; %bb.38:                               ;   in Loop: Header=BB201_37 Depth=2
	global_load_b32 v11, v[6:7], off
.LBB201_39:                             ;   in Loop: Header=BB201_37 Depth=2
	s_wait_xcnt 0x0
	s_or_b32 exec_lo, exec_lo, s10
	s_wait_loadcnt 0x0
	v_cmp_lt_i32_e64 s9, -1, v10
	s_delay_alu instid0(VALU_DEP_1) | instskip(SKIP_1) | instid1(VALU_DEP_2)
	v_cndmask_b32_e64 v34, -1, 0x80000000, s9
	v_cmp_o_f32_e64 s9, v10, v10
	v_xor_b32_e32 v34, v34, v10
	s_delay_alu instid0(VALU_DEP_1) | instskip(NEXT) | instid1(VALU_DEP_1)
	v_cndmask_b32_e64 v34, -1, v34, s9
	v_and_b32_e32 v34, v34, v55
	s_delay_alu instid0(VALU_DEP_1) | instskip(SKIP_2) | instid1(SALU_CYCLE_1)
	v_cmp_eq_u32_e64 s9, v34, v53
	s_cmp_lg_u32 s9, 0
	s_cselect_b32 s10, -1, 0
	s_and_b32 s10, s2, s10
	s_delay_alu instid0(SALU_CYCLE_1)
	s_and_saveexec_b32 s12, s10
	s_cbranch_execz .LBB201_43
; %bb.40:                               ;   in Loop: Header=BB201_37 Depth=2
	s_mov_b32 s15, exec_lo
	s_bcnt1_i32_b32 s13, s9
	v_mbcnt_lo_u32_b32 v33, s15, 0
	s_mov_b32 s14, exec_lo
                                        ; implicit-def: $vgpr34
	s_delay_alu instid0(VALU_DEP_1)
	v_cmpx_eq_u32_e32 0, v33
; %bb.41:                               ;   in Loop: Header=BB201_37 Depth=2
	s_bcnt1_i32_b32 s10, s15
	s_delay_alu instid0(SALU_CYCLE_1) | instskip(NEXT) | instid1(SALU_CYCLE_1)
	s_mul_i32 s10, s13, s10
	v_mov_b32_e32 v34, s10
	ds_add_rtn_u32 v34, v3, v34 offset:5144
; %bb.42:                               ;   in Loop: Header=BB201_37 Depth=2
	s_or_b32 exec_lo, exec_lo, s14
	s_wait_dscnt 0x0
	v_readfirstlane_b32 s10, v34
	s_delay_alu instid0(VALU_DEP_1)
	v_mad_u32_u24 v33, s13, v33, s10
.LBB201_43:                             ;   in Loop: Header=BB201_37 Depth=2
	s_or_b32 exec_lo, exec_lo, s12
	ds_bpermute_b32 v33, v3, v33
	s_and_b32 s10, exec_lo, vcc_lo
	s_delay_alu instid0(SALU_CYCLE_1)
	s_or_b32 s11, s10, s11
	s_and_saveexec_b32 s10, s9
	s_cbranch_execz .LBB201_36
; %bb.44:                               ;   in Loop: Header=BB201_37 Depth=2
	v_and_b32_e32 v34, s9, v12
	s_delay_alu instid0(VALU_DEP_1) | instskip(NEXT) | instid1(VALU_DEP_1)
	v_bcnt_u32_b32 v34, v34, 0
	v_lshlrev_b32_e32 v34, 2, v34
	s_wait_dscnt 0x0
	s_delay_alu instid0(VALU_DEP_1)
	v_lshl_add_u32 v33, v33, 2, v34
	ds_store_b32 v33, v10
	s_branch .LBB201_36
.LBB201_45:                             ;   in Loop: Header=BB201_31 Depth=1
	s_mov_b32 s4, -1
	s_mov_b32 s7, 0
.LBB201_46:                             ;   in Loop: Header=BB201_31 Depth=1
	s_and_b32 vcc_lo, exec_lo, s4
	s_cbranch_vccz .LBB201_62
.LBB201_47:                             ;   in Loop: Header=BB201_31 Depth=1
	s_and_saveexec_b32 s4, s3
	s_cbranch_execz .LBB201_59
; %bb.48:                               ;   in Loop: Header=BB201_31 Depth=1
	global_load_u16 v4, v3, s[78:79]
	global_load_b32 v10, v[14:15], off
	s_mov_b32 s7, exec_lo
	v_mov_b32_e32 v8, v0
	s_wait_loadcnt 0x1
	v_and_b32_e32 v2, 0xffff, v4
	v_readfirstlane_b32 s9, v4
	s_delay_alu instid0(VALU_DEP_2) | instskip(SKIP_1) | instid1(VALU_DEP_1)
	v_add_nc_u32_e32 v2, v2, v0
	s_wait_xcnt 0x0
	v_cmpx_gt_u64_e64 s[36:37], v[2:3]
	s_cbranch_execz .LBB201_58
; %bb.49:                               ;   in Loop: Header=BB201_31 Depth=1
	s_and_b32 s28, s9, 0xffff
	v_mov_b64_e32 v[6:7], v[0:1]
	v_mov_b64_e32 v[4:5], v[2:3]
	v_readlane_b32 s10, v62, 8
	s_cmp_eq_u32 s28, 1
                                        ; implicit-def: $vgpr11
                                        ; implicit-def: $vgpr8_vgpr9
	s_cselect_b32 s9, -1, 0
	s_delay_alu instid0(SALU_CYCLE_1)
	s_and_b32 s11, s10, s9
	s_mov_b32 s10, -1
	s_and_saveexec_b32 s9, s11
	s_cbranch_execz .LBB201_53
; %bb.50:                               ;   in Loop: Header=BB201_31 Depth=1
	v_add_nc_u64_e32 v[4:5], 1, v[2:3]
	v_mov_b64_e32 v[8:9], v[18:19]
	v_mov_b32_e32 v33, v16
	s_mov_b32 s10, 0
	s_delay_alu instid0(VALU_DEP_3)
	v_mov_b64_e32 v[6:7], v[4:5]
	v_mov_b64_e32 v[4:5], v[2:3]
.LBB201_51:                             ;   Parent Loop BB201_31 Depth=1
                                        ; =>  This Inner Loop Header: Depth=2
	s_delay_alu instid0(VALU_DEP_1) | instskip(NEXT) | instid1(VALU_DEP_3)
	v_mul_u64_e32 v[38:39], s[68:69], v[4:5]
	v_mul_u64_e32 v[40:41], s[30:31], v[6:7]
	v_add_nc_u64_e32 v[8:9], -2, v[8:9]
	v_add_nc_u64_e32 v[6:7], 2, v[6:7]
	v_add_nc_u64_e32 v[4:5], 2, v[4:5]
	s_delay_alu instid0(VALU_DEP_3)
	v_cmp_eq_u64_e32 vcc_lo, 0, v[8:9]
	s_or_b32 s10, vcc_lo, s10
	v_lshl_add_u64 v[38:39], v[38:39], 2, s[62:63]
	v_lshl_add_u64 v[40:41], v[40:41], 2, s[62:63]
	s_clause 0x1
	global_load_b32 v34, v[38:39], off
	global_load_b32 v11, v[40:41], off
	s_wait_loadcnt 0x1
	ds_store_2addr_b32 v33, v10, v34 offset1:1
	s_wait_loadcnt 0x0
	v_dual_mov_b32 v10, v11 :: v_dual_add_nc_u32 v33, 8, v33
	s_wait_xcnt 0x0
	s_and_not1_b32 exec_lo, exec_lo, s10
	s_cbranch_execnz .LBB201_51
; %bb.52:                               ;   in Loop: Header=BB201_31 Depth=1
	s_or_b32 exec_lo, exec_lo, s10
	v_add_nc_u64_e32 v[4:5], v[2:3], v[18:19]
	v_mov_b64_e32 v[6:7], v[20:21]
	v_readlane_b32 s10, v62, 9
	v_mov_b32_e32 v10, v11
	s_or_not1_b32 s10, s10, exec_lo
	v_add_nc_u64_e32 v[8:9], -1, v[4:5]
.LBB201_53:                             ;   in Loop: Header=BB201_31 Depth=1
	s_or_b32 exec_lo, exec_lo, s9
	s_and_saveexec_b32 s9, s10
	s_cbranch_execz .LBB201_57
; %bb.54:                               ;   in Loop: Header=BB201_31 Depth=1
	v_readlane_b32 s10, v62, 11
	v_readlane_b32 s11, v62, 12
	v_readlane_b32 s12, v62, 13
	v_readlane_b32 s13, v62, 14
	s_mov_b32 s14, 0
	v_mad_nc_u64_u32 v[8:9], s12, v4, s[10:11]
	s_sub_nc_u64 s[10:11], 0, s[28:29]
	s_delay_alu instid0(VALU_DEP_1) | instskip(NEXT) | instid1(VALU_DEP_1)
	v_mad_u32 v2, s13, v4, v9
	v_mad_u32 v9, s12, v5, v2
	s_mul_u64 s[12:13], s[12:13], s[28:29]
.LBB201_55:                             ;   Parent Loop BB201_31 Depth=1
                                        ; =>  This Inner Loop Header: Depth=2
	global_load_b32 v11, v[8:9], off
	v_mov_b64_e32 v[38:39], v[4:5]
	v_lshlrev_b32_e32 v2, 2, v6
	s_wait_xcnt 0x0
	v_add_nc_u64_e32 v[8:9], s[12:13], v[8:9]
	s_wait_loadcnt 0x1
	ds_store_b32 v2, v10
	v_add_nc_u64_e32 v[4:5], s[28:29], v[38:39]
	v_mov_b64_e32 v[6:7], v[38:39]
	s_delay_alu instid0(VALU_DEP_2)
	v_cmp_le_u64_e32 vcc_lo, s[36:37], v[4:5]
	s_or_b32 s14, vcc_lo, s14
	s_wait_loadcnt 0x0
	v_mov_b32_e32 v10, v11
	s_and_not1_b32 exec_lo, exec_lo, s14
	s_cbranch_execnz .LBB201_55
; %bb.56:                               ;   in Loop: Header=BB201_31 Depth=1
	s_or_b32 exec_lo, exec_lo, s14
	v_add_nc_u64_e32 v[8:9], s[10:11], v[4:5]
.LBB201_57:                             ;   in Loop: Header=BB201_31 Depth=1
	s_or_b32 exec_lo, exec_lo, s9
	s_wait_loadcnt 0x0
	v_mov_b32_e32 v10, v11
.LBB201_58:                             ;   in Loop: Header=BB201_31 Depth=1
	s_or_b32 exec_lo, exec_lo, s7
	s_delay_alu instid0(VALU_DEP_2)
	v_lshlrev_b32_e32 v2, 2, v8
	s_wait_loadcnt 0x0
	ds_store_b32 v2, v10
.LBB201_59:                             ;   in Loop: Header=BB201_31 Depth=1
	s_or_b32 exec_lo, exec_lo, s4
	s_wait_dscnt 0x0
	s_barrier_signal -1
	s_barrier_wait -1
	s_and_saveexec_b32 s4, s5
; %bb.60:                               ;   in Loop: Header=BB201_31 Depth=1
	v_mov_b64_e32 v[4:5], s[36:37]
	ds_store_b64 v3, v[4:5] offset:5120
; %bb.61:                               ;   in Loop: Header=BB201_31 Depth=1
	s_or_b32 exec_lo, exec_lo, s4
	s_wait_dscnt 0x0
	s_barrier_signal -1
	s_mov_b32 s7, -1
	s_barrier_wait -1
.LBB201_62:                             ;   in Loop: Header=BB201_31 Depth=1
	s_and_b32 vcc_lo, exec_lo, s7
	s_mov_b64 s[80:81], 0
	s_cbranch_vccz .LBB201_64
; %bb.63:                               ;   in Loop: Header=BB201_31 Depth=1
	ds_load_b64 v[4:5], v3 offset:5120
	s_wait_dscnt 0x0
	v_readfirstlane_b32 s80, v4
	v_readfirstlane_b32 s81, v5
.LBB201_64:                             ;   in Loop: Header=BB201_31 Depth=1
	s_delay_alu instid0(VALU_DEP_2)
	s_cmp_lt_i32 s80, 1
	s_mov_b32 s4, -1
                                        ; implicit-def: $vgpr4_vgpr5
                                        ; implicit-def: $vgpr8_vgpr9
	s_cbranch_scc1 .LBB201_74
; %bb.65:                               ;   in Loop: Header=BB201_31 Depth=1
	s_and_b32 vcc_lo, exec_lo, s4
	s_cbranch_vccnz .LBB201_88
.LBB201_66:                             ;   in Loop: Header=BB201_31 Depth=1
	s_lshl_b32 s4, s52, 7
	s_and_saveexec_b32 s7, s2
	s_cbranch_execz .LBB201_68
.LBB201_67:                             ;   in Loop: Header=BB201_31 Depth=1
	v_lshl_add_u32 v2, s4, 3, v51
	ds_store_b128 v2, v[4:7]
	ds_store_b128 v2, v[8:11] offset:16
.LBB201_68:                             ;   in Loop: Header=BB201_31 Depth=1
	s_or_b32 exec_lo, exec_lo, s7
	s_wait_dscnt 0x0
	s_barrier_signal -1
	s_barrier_wait -1
	s_and_saveexec_b32 s7, s94
	s_cbranch_execz .LBB201_102
; %bb.69:                               ;   in Loop: Header=BB201_31 Depth=1
	v_mov_b64_e32 v[4:5], 0
	s_and_not1_b32 vcc_lo, exec_lo, s96
	s_cbranch_vccnz .LBB201_101
; %bb.70:                               ;   in Loop: Header=BB201_31 Depth=1
	v_mov_b64_e32 v[4:5], 0
	s_and_not1_b32 vcc_lo, exec_lo, s98
	s_cbranch_vccnz .LBB201_98
; %bb.71:                               ;   in Loop: Header=BB201_31 Depth=1
	v_lshl_add_u32 v2, s52, 10, v54
	s_mov_b32 s9, 0
.LBB201_72:                             ;   Parent Loop BB201_31 Depth=1
                                        ; =>  This Inner Loop Header: Depth=2
	ds_load_2addr_b64 v[6:9], v2 offset1:4
	ds_load_2addr_b64 v[38:41], v2 offset0:8 offset1:12
	s_add_co_i32 s9, s9, 8
	s_delay_alu instid0(SALU_CYCLE_1) | instskip(SKIP_2) | instid1(VALU_DEP_1)
	s_cmp_eq_u32 s99, s9
	s_wait_dscnt 0x1
	v_add_nc_u64_e32 v[4:5], v[6:7], v[4:5]
	v_add_nc_u64_e32 v[8:9], v[8:9], v[4:5]
	ds_load_2addr_b64 v[4:7], v2 offset0:16 offset1:20
	s_wait_dscnt 0x1
	v_add_nc_u64_e32 v[8:9], v[38:39], v[8:9]
	s_delay_alu instid0(VALU_DEP_1) | instskip(SKIP_4) | instid1(VALU_DEP_1)
	v_add_nc_u64_e32 v[38:39], v[40:41], v[8:9]
	ds_load_2addr_b64 v[8:11], v2 offset0:24 offset1:28
	v_add_nc_u32_e32 v2, 0x100, v2
	s_wait_dscnt 0x1
	v_add_nc_u64_e32 v[4:5], v[4:5], v[38:39]
	v_add_nc_u64_e32 v[4:5], v[6:7], v[4:5]
	s_wait_dscnt 0x0
	s_delay_alu instid0(VALU_DEP_1) | instskip(NEXT) | instid1(VALU_DEP_1)
	v_add_nc_u64_e32 v[4:5], v[8:9], v[4:5]
	v_add_nc_u64_e32 v[4:5], v[10:11], v[4:5]
	s_cbranch_scc0 .LBB201_72
; %bb.73:                               ;   in Loop: Header=BB201_31 Depth=1
	s_mov_b32 s9, s99
	s_and_not1_b32 vcc_lo, exec_lo, s100
	s_cbranch_vccz .LBB201_99
	s_branch .LBB201_101
.LBB201_74:                             ;   in Loop: Header=BB201_31 Depth=1
	global_load_u16 v2, v3, s[78:79]
	s_mov_b32 s83, s29
	s_wait_loadcnt 0x0
	v_readfirstlane_b32 s4, v2
	s_and_b32 s4, 0xffff, s4
	s_delay_alu instid0(SALU_CYCLE_1)
	s_lshl_b32 s82, s4, 2
	s_cmp_lg_u64 s[76:77], 0
	s_cbranch_scc0 .LBB201_97
; %bb.75:                               ;   in Loop: Header=BB201_31 Depth=1
	s_cvt_f32_u32 s4, s82
	s_sub_nc_u64 s[12:13], 0, s[82:83]
	s_delay_alu instid0(SALU_CYCLE_2) | instskip(NEXT) | instid1(SALU_CYCLE_3)
	s_fmamk_f32 s4, s102, 0x0, s4
	v_s_rcp_f32 s4, s4
	s_delay_alu instid0(TRANS32_DEP_1) | instskip(NEXT) | instid1(SALU_CYCLE_3)
	s_mul_f32 s4, s4, 0x5f7ffffc
	s_mul_f32 s7, s4, 0x2f800000
	s_delay_alu instid0(SALU_CYCLE_3) | instskip(NEXT) | instid1(SALU_CYCLE_3)
	s_trunc_f32 s7, s7
	s_fmamk_f32 s4, s7, 0xcf800000, s4
	s_cvt_u32_f32 s11, s7
	s_delay_alu instid0(SALU_CYCLE_2) | instskip(NEXT) | instid1(SALU_CYCLE_3)
	s_cvt_u32_f32 s10, s4
	s_mul_u64 s[14:15], s[12:13], s[10:11]
	s_delay_alu instid0(SALU_CYCLE_1)
	s_mul_hi_u32 s17, s10, s15
	s_mul_i32 s16, s10, s15
	s_mul_hi_u32 s28, s10, s14
	s_mul_i32 s7, s11, s14
	s_add_nc_u64 s[16:17], s[28:29], s[16:17]
	s_mul_hi_u32 s4, s11, s14
	s_mul_hi_u32 s9, s11, s15
	s_add_co_u32 s7, s16, s7
	s_add_co_ci_u32 s28, s17, s4
	s_mul_i32 s14, s11, s15
	s_add_co_ci_u32 s15, s9, 0
	s_delay_alu instid0(SALU_CYCLE_1) | instskip(NEXT) | instid1(SALU_CYCLE_1)
	s_add_nc_u64 s[14:15], s[28:29], s[14:15]
	s_add_co_u32 s10, s10, s14
	s_cselect_b32 s4, -1, 0
	s_delay_alu instid0(SALU_CYCLE_1) | instskip(SKIP_1) | instid1(SALU_CYCLE_1)
	s_cmp_lg_u32 s4, 0
	s_add_co_ci_u32 s11, s11, s15
	s_mul_u64 s[12:13], s[12:13], s[10:11]
	s_delay_alu instid0(SALU_CYCLE_1)
	s_mul_hi_u32 s15, s10, s13
	s_mul_i32 s14, s10, s13
	s_mul_hi_u32 s28, s10, s12
	s_mul_i32 s7, s11, s12
	s_add_nc_u64 s[14:15], s[28:29], s[14:15]
	s_mul_hi_u32 s4, s11, s12
	s_mul_hi_u32 s9, s11, s13
	s_add_co_u32 s7, s14, s7
	s_add_co_ci_u32 s28, s15, s4
	s_mul_i32 s12, s11, s13
	s_add_co_ci_u32 s13, s9, 0
	s_delay_alu instid0(SALU_CYCLE_1) | instskip(NEXT) | instid1(SALU_CYCLE_1)
	s_add_nc_u64 s[12:13], s[28:29], s[12:13]
	s_add_co_u32 s4, s10, s12
	s_cselect_b32 s7, -1, 0
	s_mul_hi_u32 s28, s36, s4
	s_cmp_lg_u32 s7, 0
	s_mul_hi_u32 s7, s37, s4
	s_add_co_ci_u32 s9, s11, s13
	s_mul_i32 s4, s37, s4
	s_mul_hi_u32 s11, s36, s9
	s_mul_i32 s10, s36, s9
	s_mul_hi_u32 s13, s37, s9
	s_add_nc_u64 s[10:11], s[28:29], s[10:11]
	s_mul_i32 s12, s37, s9
	s_add_co_u32 s4, s10, s4
	s_add_co_ci_u32 s28, s11, s7
	s_add_co_ci_u32 s13, s13, 0
	s_delay_alu instid0(SALU_CYCLE_1) | instskip(NEXT) | instid1(SALU_CYCLE_1)
	s_add_nc_u64 s[10:11], s[28:29], s[12:13]
	s_and_b64 s[12:13], s[10:11], 0xffffffff00000000
	s_delay_alu instid0(SALU_CYCLE_1) | instskip(NEXT) | instid1(SALU_CYCLE_1)
	s_or_b32 s12, s12, s10
	s_mul_u64 s[10:11], s[82:83], s[12:13]
	s_delay_alu instid0(SALU_CYCLE_1) | instskip(SKIP_1) | instid1(SALU_CYCLE_1)
	s_sub_co_u32 s4, s36, s10
	s_cselect_b32 s7, -1, 0
	s_cmp_lg_u32 s7, 0
	s_sub_co_ci_u32 s7, s37, s11
	s_sub_co_u32 s9, s4, s82
	s_cselect_b32 s10, -1, 0
	s_delay_alu instid0(SALU_CYCLE_1) | instskip(SKIP_3) | instid1(SALU_CYCLE_1)
	s_cmp_lg_u32 s10, 0
	s_sub_co_ci_u32 s10, s7, 0
	s_sub_co_u32 s11, s9, s82
	s_cselect_b32 s12, -1, 0
	s_cmp_lg_u32 s12, 0
	s_sub_co_ci_u32 s12, s10, 0
	s_cmp_ge_u32 s9, s82
	s_cselect_b32 s13, -1, 0
	s_cmp_eq_u32 s10, 0
	s_cselect_b32 s13, s13, -1
	s_delay_alu instid0(SALU_CYCLE_1)
	s_cmp_lg_u32 s13, 0
	s_cselect_b32 s10, s12, s10
	s_cselect_b32 s9, s11, s9
	s_cmp_ge_u32 s4, s82
	s_cselect_b32 s11, -1, 0
	s_cmp_eq_u32 s7, 0
	s_cselect_b32 s11, s11, -1
	s_delay_alu instid0(SALU_CYCLE_1)
	s_cmp_lg_u32 s11, 0
	s_cselect_b32 s11, s10, s7
	s_cselect_b32 s10, s9, s4
	s_cbranch_execnz .LBB201_77
.LBB201_76:                             ;   in Loop: Header=BB201_31 Depth=1
	v_cvt_f32_u32_e32 v4, s82
	s_sub_co_i32 s7, 0, s82
	s_delay_alu instid0(VALU_DEP_1) | instskip(SKIP_1) | instid1(TRANS32_DEP_1)
	v_rcp_iflag_f32_e32 v4, v4
	v_nop
	v_mul_f32_e32 v4, 0x4f7ffffe, v4
	s_delay_alu instid0(VALU_DEP_1) | instskip(NEXT) | instid1(VALU_DEP_1)
	v_cvt_u32_f32_e32 v4, v4
	v_readfirstlane_b32 s4, v4
	s_mul_i32 s7, s7, s4
	s_delay_alu instid0(SALU_CYCLE_1) | instskip(NEXT) | instid1(SALU_CYCLE_1)
	s_mul_hi_u32 s7, s4, s7
	s_add_co_i32 s4, s4, s7
	s_delay_alu instid0(SALU_CYCLE_1) | instskip(NEXT) | instid1(SALU_CYCLE_1)
	s_mul_hi_u32 s4, s36, s4
	s_mul_i32 s4, s4, s82
	s_delay_alu instid0(SALU_CYCLE_1) | instskip(NEXT) | instid1(SALU_CYCLE_1)
	s_sub_co_i32 s4, s36, s4
	s_sub_co_i32 s7, s4, s82
	s_cmp_ge_u32 s4, s82
	s_cselect_b32 s4, s7, s4
	s_delay_alu instid0(SALU_CYCLE_1) | instskip(SKIP_2) | instid1(SALU_CYCLE_1)
	s_sub_co_i32 s7, s4, s82
	s_cmp_ge_u32 s4, s82
	s_cselect_b32 s28, s7, s4
	s_mov_b64 s[10:11], s[28:29]
.LBB201_77:                             ;   in Loop: Header=BB201_31 Depth=1
	v_mov_b64_e32 v[4:5], 0
	v_mov_b64_e32 v[6:7], 0
	;; [unrolled: 1-line block ×4, first 2 shown]
	v_and_b32_e32 v2, 0xffff, v2
	s_sub_nc_u64 s[84:85], s[36:37], s[10:11]
	s_mov_b32 s4, exec_lo
	v_cmpx_gt_u64_e64 s[84:85], v[16:17]
	s_cbranch_execz .LBB201_81
; %bb.78:                               ;   in Loop: Header=BB201_31 Depth=1
	v_readlane_b32 s10, v62, 15
	v_readlane_b32 s11, v62, 16
	v_mov_b64_e32 v[40:41], v[28:29]
	v_mov_b64_e32 v[42:43], v[26:27]
	;; [unrolled: 1-line block ×4, first 2 shown]
	v_mul_u64_e32 v[38:39], s[10:11], v[2:3]
	v_mov_b64_e32 v[48:49], v[16:17]
	s_mov_b64 s[86:87], 0
	s_mov_b32 s49, 0
	s_mov_b64 s[88:89], 0
	s_mov_b64 s[90:91], 0
	;; [unrolled: 1-line block ×3, first 2 shown]
.LBB201_79:                             ;   Parent Loop BB201_31 Depth=1
                                        ; =>  This Inner Loop Header: Depth=2
	v_add_nc_u64_e32 v[4:5], s[60:61], v[40:41]
	v_add_nc_u64_e32 v[6:7], s[60:61], v[42:43]
	;; [unrolled: 1-line block ×7, first 2 shown]
	global_load_b32 v4, v[4:5], off
	global_load_b32 v5, v[6:7], off
	;; [unrolled: 1-line block ×4, first 2 shown]
	v_add_nc_u64_e32 v[42:43], v[42:43], v[38:39]
	v_add_nc_u64_e32 v[40:41], v[40:41], v[38:39]
	v_cmp_le_u64_e32 vcc_lo, s[84:85], v[48:49]
	s_wait_loadcnt 0x3
	v_cmp_lt_i32_e64 s9, -1, v4
	s_wait_loadcnt 0x2
	v_cmp_lt_i32_e64 s10, -1, v5
	;; [unrolled: 2-line block ×4, first 2 shown]
	v_cmp_o_f32_e64 s13, v5, v5
	v_cndmask_b32_e64 v8, -1, 0x80000000, s9
	v_cndmask_b32_e64 v9, -1, 0x80000000, s10
	;; [unrolled: 1-line block ×4, first 2 shown]
	v_cmp_o_f32_e64 s16, v4, v4
	v_cmp_o_f32_e64 s14, v6, v6
	v_xor_b32_e32 v5, v9, v5
	v_xor_b32_e32 v4, v8, v4
	v_cmp_o_f32_e64 s15, v7, v7
	v_xor_b32_e32 v7, v11, v7
	s_delay_alu instid0(VALU_DEP_4) | instskip(NEXT) | instid1(VALU_DEP_2)
	v_dual_cndmask_b32 v5, -1, v5, s13 :: v_dual_bitop2_b32 v6, v10, v6 bitop3:0x14
	v_dual_cndmask_b32 v4, -1, v4, s16 :: v_dual_cndmask_b32 v7, -1, v7, s15
	s_delay_alu instid0(VALU_DEP_2) | instskip(NEXT) | instid1(VALU_DEP_2)
	v_dual_cndmask_b32 v6, -1, v6, s14 :: v_dual_bitop2_b32 v9, v5, v55 bitop3:0x40
	v_and_b32_e32 v8, v4, v55
	v_bfe_u32 v4, v4, s103, 2
	v_bfe_u32 v5, v5, s103, 2
	s_delay_alu instid0(VALU_DEP_4)
	v_and_b32_e32 v10, v6, v55
	v_and_b32_e32 v11, v7, v55
	v_bfe_u32 v6, v6, s103, 2
	v_bfe_u32 v7, v7, s103, 2
	v_cmp_eq_u32_e64 s9, v8, v53
	v_cmp_eq_u32_e64 s10, v9, v53
	;; [unrolled: 1-line block ×16, first 2 shown]
	s_and_b32 s7, s9, s13
	s_and_b32 s13, s10, s14
	v_cmp_eq_u32_e64 s23, 2, v6
	v_cmp_eq_u32_e64 s24, 2, v7
	v_cmp_eq_u32_e64 s27, 3, v6
	v_cmp_eq_u32_e64 s28, 3, v7
	s_and_b32 s14, s11, s15
	s_and_b32 s15, s12, s16
	;; [unrolled: 1-line block ×4, first 2 shown]
	v_cndmask_b32_e64 v4, 0, 1, s7
	v_cndmask_b32_e64 v5, 0, 1, s13
	s_and_b32 s18, s11, s19
	s_and_b32 s19, s12, s20
	;; [unrolled: 1-line block ×4, first 2 shown]
	v_cndmask_b32_e64 v6, 0, 1, s14
	v_cndmask_b32_e64 v7, 0, 1, s15
	;; [unrolled: 1-line block ×4, first 2 shown]
	s_and_b32 s9, s9, s25
	s_and_b32 s10, s10, s26
	;; [unrolled: 1-line block ×4, first 2 shown]
	v_cndmask_b32_e64 v10, 0, 1, s18
	v_cndmask_b32_e64 v11, 0, 1, s19
	;; [unrolled: 1-line block ×4, first 2 shown]
	s_and_b32 s11, s11, s27
	s_and_b32 s12, s12, s28
	v_cndmask_b32_e64 v58, 0, 1, s9
	v_cndmask_b32_e64 v59, 0, 1, s10
	v_cmp_ne_u32_e64 s9, 0, v4
	v_cmp_ne_u32_e64 s10, 0, v5
	v_cndmask_b32_e64 v56, 0, 1, s22
	v_cndmask_b32_e64 v57, 0, 1, s23
	;; [unrolled: 1-line block ×4, first 2 shown]
	v_cmp_ne_u32_e64 s11, 0, v6
	v_cmp_ne_u32_e64 s12, 0, v7
	;; [unrolled: 1-line block ×8, first 2 shown]
	s_bcnt1_i32_b32 s7, s9
	s_bcnt1_i32_b32 s9, s10
	v_cmp_ne_u32_e64 s19, 0, v56
	v_cmp_ne_u32_e64 s20, 0, v57
	v_cmp_ne_u32_e64 s21, 0, v58
	v_cmp_ne_u32_e64 s22, 0, v59
	s_bcnt1_i32_b32 s10, s11
	s_bcnt1_i32_b32 s11, s12
	;; [unrolled: 1-line block ×4, first 2 shown]
	s_add_co_i32 s7, s9, s7
	v_cmp_ne_u32_e64 s23, 0, v60
	s_bcnt1_i32_b32 s14, s15
	s_bcnt1_i32_b32 s15, s16
	;; [unrolled: 1-line block ×4, first 2 shown]
	s_add_co_i32 s9, s13, s12
	s_add_co_i32 s7, s7, s10
	v_cmp_ne_u32_e64 s24, 0, v61
	s_bcnt1_i32_b32 s18, s19
	s_bcnt1_i32_b32 s19, s20
	;; [unrolled: 1-line block ×4, first 2 shown]
	s_add_co_i32 s12, s17, s16
	s_add_co_i32 s9, s9, s14
	;; [unrolled: 1-line block ×3, first 2 shown]
	s_bcnt1_i32_b32 s22, s23
	s_add_co_i32 s13, s21, s20
	s_add_co_i32 s10, s12, s18
	s_add_nc_u64 s[92:93], s[92:93], s[28:29]
	s_add_co_i32 s28, s9, s15
	s_bcnt1_i32_b32 s23, s24
	s_add_co_i32 s12, s13, s22
	s_add_nc_u64 s[90:91], s[90:91], s[28:29]
	s_add_co_i32 s28, s10, s19
	v_mov_b64_e32 v[4:5], s[92:93]
	s_add_nc_u64 s[88:89], s[88:89], s[28:29]
	s_add_co_i32 s28, s12, s23
	v_mov_b64_e32 v[6:7], s[90:91]
	s_add_nc_u64 s[86:87], s[86:87], s[28:29]
	v_mov_b64_e32 v[8:9], s[88:89]
	v_mov_b64_e32 v[10:11], s[86:87]
	s_or_b32 s49, vcc_lo, s49
	s_delay_alu instid0(SALU_CYCLE_1)
	s_and_not1_b32 exec_lo, exec_lo, s49
	s_cbranch_execnz .LBB201_79
; %bb.80:                               ;   in Loop: Header=BB201_31 Depth=1
	s_or_b32 exec_lo, exec_lo, s49
.LBB201_81:                             ;   in Loop: Header=BB201_31 Depth=1
	s_delay_alu instid0(SALU_CYCLE_1) | instskip(SKIP_2) | instid1(VALU_DEP_1)
	s_or_b32 exec_lo, exec_lo, s4
	v_add_nc_u64_e32 v[38:39], s[84:85], v[0:1]
	s_mov_b32 s4, exec_lo
	v_cmpx_gt_u64_e64 s[36:37], v[38:39]
	s_cbranch_execz .LBB201_87
; %bb.82:                               ;   in Loop: Header=BB201_31 Depth=1
	v_mul_u64_e32 v[40:41], s[30:31], v[38:39]
	s_mov_b32 s7, 0
	s_delay_alu instid0(VALU_DEP_1)
	v_lshl_add_u64 v[40:41], v[40:41], 2, s[62:63]
	global_load_b32 v34, v[40:41], off
	s_branch .LBB201_84
.LBB201_83:                             ;   in Loop: Header=BB201_84 Depth=2
	s_wait_xcnt 0x0
	s_or_b32 exec_lo, exec_lo, s10
	s_wait_loadcnt 0x0
	v_cmp_lt_i32_e64 s9, -1, v34
	s_and_b32 s11, exec_lo, vcc_lo
	s_delay_alu instid0(SALU_CYCLE_1) | instskip(SKIP_2) | instid1(VALU_DEP_2)
	s_or_b32 s7, s11, s7
	v_cndmask_b32_e64 v40, -1, 0x80000000, s9
	v_cmp_o_f32_e64 s9, v34, v34
	v_xor_b32_e32 v40, v40, v34
	s_delay_alu instid0(VALU_DEP_1) | instskip(NEXT) | instid1(VALU_DEP_1)
	v_cndmask_b32_e64 v34, -1, v40, s9
	v_and_b32_e32 v40, v34, v55
	v_bfe_u32 v34, v34, s103, 2
	s_delay_alu instid0(VALU_DEP_2) | instskip(NEXT) | instid1(VALU_DEP_2)
	v_cmp_eq_u32_e64 s9, v40, v53
	v_cmp_eq_u32_e64 s10, 0, v34
	v_cmp_eq_u32_e32 vcc_lo, 1, v34
	s_and_b32 s10, s9, s10
	s_and_b32 s11, s9, vcc_lo
	v_cndmask_b32_e64 v40, 0, 1, s10
	v_cmp_eq_u32_e64 s10, 2, v34
	v_cmp_eq_u32_e32 vcc_lo, 3, v34
	v_cndmask_b32_e64 v41, 0, 1, s11
	s_delay_alu instid0(VALU_DEP_4)
	v_cmp_ne_u32_e64 s11, 0, v40
	s_and_b32 s10, s9, s10
	s_and_b32 s9, s9, vcc_lo
	v_cndmask_b32_e64 v34, 0, 1, s10
	v_cndmask_b32_e64 v40, 0, 1, s9
	v_cmp_ne_u32_e64 s10, 0, v41
	s_bcnt1_i32_b32 s28, s11
	v_cmp_ne_u32_e32 vcc_lo, 0, v34
	v_cmp_ne_u32_e64 s9, 0, v40
	v_add_nc_u64_e32 v[4:5], s[28:29], v[4:5]
	s_bcnt1_i32_b32 s28, s10
	v_mov_b32_e32 v34, v33
	v_add_nc_u64_e32 v[6:7], s[28:29], v[6:7]
	s_bcnt1_i32_b32 s28, vcc_lo
	s_delay_alu instid0(SALU_CYCLE_1) | instskip(SKIP_1) | instid1(SALU_CYCLE_1)
	v_add_nc_u64_e32 v[8:9], s[28:29], v[8:9]
	s_bcnt1_i32_b32 s28, s9
	v_add_nc_u64_e32 v[10:11], s[28:29], v[10:11]
	s_and_not1_b32 exec_lo, exec_lo, s7
	s_cbranch_execz .LBB201_86
.LBB201_84:                             ;   Parent Loop BB201_31 Depth=1
                                        ; =>  This Inner Loop Header: Depth=2
	v_add_nc_u64_e32 v[38:39], v[38:39], v[2:3]
	v_mov_b32_e32 v33, 0
	s_mov_b32 s10, exec_lo
	s_delay_alu instid0(VALU_DEP_2)
	v_cmp_le_u64_e32 vcc_lo, s[36:37], v[38:39]
	s_wait_xcnt 0x0
	v_cmpx_gt_u64_e64 s[36:37], v[38:39]
	s_cbranch_execz .LBB201_83
; %bb.85:                               ;   in Loop: Header=BB201_84 Depth=2
	v_mul_u64_e32 v[40:41], s[30:31], v[38:39]
	s_delay_alu instid0(VALU_DEP_1)
	v_lshl_add_u64 v[40:41], v[40:41], 2, s[62:63]
	global_load_b32 v33, v[40:41], off
	s_branch .LBB201_83
.LBB201_86:                             ;   in Loop: Header=BB201_31 Depth=1
	s_or_b32 exec_lo, exec_lo, s7
.LBB201_87:                             ;   in Loop: Header=BB201_31 Depth=1
	s_delay_alu instid0(SALU_CYCLE_1)
	s_or_b32 exec_lo, exec_lo, s4
	s_branch .LBB201_66
.LBB201_88:                             ;   in Loop: Header=BB201_31 Depth=1
	global_load_u16 v2, v3, s[78:79]
	s_mov_b32 s85, s29
	v_mov_b64_e32 v[6:7], 0
	v_mov_b64_e32 v[8:9], 0
	;; [unrolled: 1-line block ×3, first 2 shown]
	s_mov_b32 s49, exec_lo
	s_wait_loadcnt 0x0
	v_readfirstlane_b32 s4, v2
	v_and_b32_e32 v2, 0xffff, v2
	s_and_b32 s4, 0xffff, s4
	s_delay_alu instid0(SALU_CYCLE_1) | instskip(NEXT) | instid1(SALU_CYCLE_1)
	s_lshl_b32 s82, s4, 2
	s_cvt_f32_u32 s7, s82
	s_sub_co_i32 s9, 0, s82
	s_delay_alu instid0(SALU_CYCLE_2) | instskip(SKIP_1) | instid1(TRANS32_DEP_1)
	v_rcp_iflag_f32_e32 v4, s7
	v_nop
	v_readfirstlane_b32 s7, v4
	s_mul_f32 s7, s7, 0x4f7ffffe
	s_delay_alu instid0(SALU_CYCLE_3) | instskip(NEXT) | instid1(SALU_CYCLE_3)
	s_cvt_u32_f32 s7, s7
	s_mul_i32 s9, s9, s7
	s_delay_alu instid0(SALU_CYCLE_1) | instskip(NEXT) | instid1(SALU_CYCLE_1)
	s_mul_hi_u32 s9, s7, s9
	s_add_co_i32 s7, s7, s9
	s_delay_alu instid0(SALU_CYCLE_1) | instskip(NEXT) | instid1(SALU_CYCLE_1)
	s_mul_hi_u32 s7, s80, s7
	s_mul_i32 s9, s7, s82
	s_add_co_i32 s10, s7, 1
	s_sub_co_i32 s9, s80, s9
	s_delay_alu instid0(SALU_CYCLE_1)
	s_sub_co_i32 s11, s9, s82
	s_cmp_ge_u32 s9, s82
	s_cselect_b32 s7, s10, s7
	s_cselect_b32 s9, s11, s9
	s_add_co_i32 s10, s7, 1
	s_cmp_ge_u32 s9, s82
	s_cselect_b32 s84, s10, s7
	s_delay_alu instid0(SALU_CYCLE_1) | instskip(NEXT) | instid1(VALU_DEP_1)
	v_mul_u64_e32 v[4:5], s[84:85], v[2:3]
	v_lshlrev_b64_e32 v[38:39], 2, v[4:5]
	v_mov_b64_e32 v[4:5], 0
	s_delay_alu instid0(VALU_DEP_2)
	v_cmpx_gt_u64_e64 v[38:39], v[16:17]
	s_cbranch_execz .LBB201_92
; %bb.89:                               ;   in Loop: Header=BB201_31 Depth=1
	v_mov_b64_e32 v[40:41], v[16:17]
	v_mov_b32_e32 v33, v52
	s_mov_b32 s83, s29
	s_mov_b32 s85, s103
	s_lshl_b32 s7, s4, 4
	s_mov_b64 s[86:87], 0
	s_mov_b32 s70, 0
	s_mov_b64 s[88:89], 0
	s_mov_b64 s[90:91], 0
	;; [unrolled: 1-line block ×3, first 2 shown]
.LBB201_90:                             ;   Parent Loop BB201_31 Depth=1
                                        ; =>  This Inner Loop Header: Depth=2
	ds_load_b128 v[4:7], v33
	v_add_nc_u64_e32 v[40:41], s[82:83], v[40:41]
	s_delay_alu instid0(VALU_DEP_1)
	v_cmp_ge_u64_e32 vcc_lo, v[40:41], v[38:39]
	s_wait_dscnt 0x0
	v_cmp_lt_i32_e64 s9, -1, v5
	v_cmp_lt_i32_e64 s10, -1, v4
	;; [unrolled: 1-line block ×4, first 2 shown]
	v_cmp_o_f32_e64 s13, v5, v5
	v_cndmask_b32_e64 v9, -1, 0x80000000, s9
	v_cndmask_b32_e64 v8, -1, 0x80000000, s10
	v_add_nc_u32_e32 v33, s7, v33
	v_cmp_o_f32_e64 s16, v4, v4
	v_cndmask_b32_e64 v10, -1, 0x80000000, s12
	v_cndmask_b32_e64 v11, -1, 0x80000000, s11
	v_xor_b32_e32 v4, v8, v4
	v_xor_b32_e32 v5, v9, v5
	v_cmp_o_f32_e64 s14, v6, v6
	v_cmp_o_f32_e64 s15, v7, v7
	s_delay_alu instid0(VALU_DEP_4) | instskip(NEXT) | instid1(VALU_DEP_4)
	v_dual_cndmask_b32 v4, -1, v4, s16 :: v_dual_bitop2_b32 v7, v10, v7 bitop3:0x14
	v_dual_cndmask_b32 v5, -1, v5, s13 :: v_dual_bitop2_b32 v6, v11, v6 bitop3:0x14
	s_delay_alu instid0(VALU_DEP_2) | instskip(NEXT) | instid1(VALU_DEP_3)
	v_and_b32_e32 v8, v4, v55
	v_cndmask_b32_e64 v7, -1, v7, s15
	s_delay_alu instid0(VALU_DEP_3) | instskip(NEXT) | instid1(VALU_DEP_4)
	v_dual_lshrrev_b32 v5, s85, v5 :: v_dual_bitop2_b32 v9, v5, v55 bitop3:0x40
	v_dual_cndmask_b32 v6, -1, v6, s14 :: v_dual_lshrrev_b32 v4, s103, v4
	s_delay_alu instid0(VALU_DEP_3) | instskip(NEXT) | instid1(VALU_DEP_3)
	v_and_b32_e32 v11, v7, v55
	v_dual_lshrrev_b32 v7, s85, v7 :: v_dual_bitop2_b32 v5, 3, v5 bitop3:0x40
	s_delay_alu instid0(VALU_DEP_3) | instskip(NEXT) | instid1(VALU_DEP_4)
	v_dual_lshrrev_b32 v6, s103, v6 :: v_dual_bitop2_b32 v10, v6, v55 bitop3:0x40
	v_and_b32_e32 v4, 3, v4
	s_delay_alu instid0(VALU_DEP_3)
	v_and_b32_e32 v7, 3, v7
	v_cmp_eq_u32_e64 s9, v8, v53
	v_cmp_eq_u32_e64 s10, v9, v53
	v_and_b32_e32 v6, 3, v6
	v_cmp_eq_u32_e64 s13, 0, v4
	v_cmp_eq_u32_e64 s14, 0, v5
	;; [unrolled: 1-line block ×13, first 2 shown]
	s_and_b32 s13, s9, s13
	s_and_b32 s14, s10, s14
	v_cmp_eq_u32_e64 s24, 1, v7
	v_cmp_eq_u32_e64 s25, 2, v6
	;; [unrolled: 1-line block ×5, first 2 shown]
	s_and_b32 s15, s9, s15
	s_and_b32 s16, s10, s16
	;; [unrolled: 1-line block ×3, first 2 shown]
	v_cndmask_b32_e64 v4, 0, 1, s13
	v_cndmask_b32_e64 v5, 0, 1, s14
	s_and_b32 s17, s9, s17
	s_and_b32 s18, s10, s18
	;; [unrolled: 1-line block ×4, first 2 shown]
	v_cndmask_b32_e64 v6, 0, 1, s15
	v_cndmask_b32_e64 v7, 0, 1, s16
	;; [unrolled: 1-line block ×3, first 2 shown]
	s_and_b32 s9, s9, s20
	s_and_b32 s10, s10, s19
	;; [unrolled: 1-line block ×4, first 2 shown]
	v_cndmask_b32_e64 v8, 0, 1, s17
	v_cndmask_b32_e64 v9, 0, 1, s18
	;; [unrolled: 1-line block ×4, first 2 shown]
	s_and_b32 s26, s12, s26
	s_and_b32 s11, s11, s28
	;; [unrolled: 1-line block ×3, first 2 shown]
	v_cndmask_b32_e64 v45, 0, 1, s9
	v_cndmask_b32_e64 v46, 0, 1, s10
	v_cmp_ne_u32_e64 s9, 0, v4
	v_cmp_ne_u32_e64 s10, 0, v5
	v_cndmask_b32_e64 v42, 0, 1, s24
	v_cndmask_b32_e64 v43, 0, 1, s25
	;; [unrolled: 1-line block ×4, first 2 shown]
	v_cmp_ne_u32_e64 s11, 0, v6
	v_cmp_ne_u32_e64 s12, 0, v7
	;; [unrolled: 1-line block ×3, first 2 shown]
	v_cndmask_b32_e64 v44, 0, 1, s26
	v_cmp_ne_u32_e64 s13, 0, v8
	v_cmp_ne_u32_e64 s14, 0, v9
	;; [unrolled: 1-line block ×4, first 2 shown]
	s_bcnt1_i32_b32 s9, s9
	s_bcnt1_i32_b32 s10, s10
	v_cmp_ne_u32_e64 s18, 0, v42
	v_cmp_ne_u32_e64 s19, 0, v43
	v_cmp_ne_u32_e64 s21, 0, v45
	v_cmp_ne_u32_e64 s22, 0, v46
	s_bcnt1_i32_b32 s11, s11
	s_bcnt1_i32_b32 s12, s12
	;; [unrolled: 1-line block ×3, first 2 shown]
	s_add_co_i32 s9, s10, s9
	v_cmp_ne_u32_e64 s20, 0, v44
	v_cmp_ne_u32_e64 s23, 0, v47
	s_bcnt1_i32_b32 s13, s13
	s_bcnt1_i32_b32 s14, s14
	;; [unrolled: 1-line block ×4, first 2 shown]
	s_add_co_i32 s10, s12, s11
	s_add_co_i32 s9, s9, s15
	v_cmp_ne_u32_e64 s24, 0, v48
	s_bcnt1_i32_b32 s18, s18
	s_bcnt1_i32_b32 s19, s19
	;; [unrolled: 1-line block ×4, first 2 shown]
	s_add_co_i32 s11, s14, s13
	s_add_co_i32 s10, s10, s17
	;; [unrolled: 1-line block ×3, first 2 shown]
	s_bcnt1_i32_b32 s20, s20
	s_bcnt1_i32_b32 s23, s23
	s_add_co_i32 s12, s22, s21
	s_add_co_i32 s11, s11, s19
	s_add_nc_u64 s[92:93], s[92:93], s[28:29]
	s_add_co_i32 s28, s10, s18
	s_bcnt1_i32_b32 s24, s24
	s_add_co_i32 s12, s12, s23
	s_add_nc_u64 s[90:91], s[90:91], s[28:29]
	s_add_co_i32 s28, s11, s20
	v_mov_b64_e32 v[4:5], s[92:93]
	s_add_nc_u64 s[88:89], s[88:89], s[28:29]
	s_add_co_i32 s28, s12, s24
	v_mov_b64_e32 v[6:7], s[90:91]
	s_add_nc_u64 s[86:87], s[86:87], s[28:29]
	v_mov_b64_e32 v[8:9], s[88:89]
	v_mov_b64_e32 v[10:11], s[86:87]
	s_or_b32 s70, vcc_lo, s70
	s_delay_alu instid0(SALU_CYCLE_1)
	s_and_not1_b32 exec_lo, exec_lo, s70
	s_cbranch_execnz .LBB201_90
; %bb.91:                               ;   in Loop: Header=BB201_31 Depth=1
	s_or_b32 exec_lo, exec_lo, s70
.LBB201_92:                             ;   in Loop: Header=BB201_31 Depth=1
	s_delay_alu instid0(SALU_CYCLE_1) | instskip(SKIP_3) | instid1(VALU_DEP_1)
	s_or_b32 exec_lo, exec_lo, s49
	v_add_nc_u64_e32 v[38:39], v[38:39], v[0:1]
	s_and_b64 s[14:15], s[80:81], 0x7fffffff
	s_mov_b32 s7, exec_lo
	v_cmpx_gt_u64_e64 s[14:15], v[38:39]
	s_cbranch_execz .LBB201_96
; %bb.93:                               ;   in Loop: Header=BB201_31 Depth=1
	s_mul_i32 s4, s84, s4
	s_delay_alu instid0(SALU_CYCLE_1)
	v_lshl_add_u32 v33, s4, 4, v16
	s_mov_b32 s4, 0
.LBB201_94:                             ;   Parent Loop BB201_31 Depth=1
                                        ; =>  This Inner Loop Header: Depth=2
	ds_load_b32 v34, v33
	v_add_nc_u64_e32 v[38:39], v[38:39], v[2:3]
	v_add_nc_u32_e32 v33, s82, v33
	s_delay_alu instid0(VALU_DEP_2) | instskip(SKIP_2) | instid1(VALU_DEP_1)
	v_cmp_le_u64_e32 vcc_lo, s[14:15], v[38:39]
	s_wait_dscnt 0x0
	v_cmp_lt_i32_e64 s9, -1, v34
	v_cndmask_b32_e64 v40, -1, 0x80000000, s9
	v_cmp_o_f32_e64 s9, v34, v34
	s_delay_alu instid0(VALU_DEP_2) | instskip(NEXT) | instid1(VALU_DEP_1)
	v_xor_b32_e32 v40, v40, v34
	v_cndmask_b32_e64 v34, -1, v40, s9
	s_delay_alu instid0(VALU_DEP_1) | instskip(SKIP_1) | instid1(VALU_DEP_2)
	v_and_b32_e32 v40, v34, v55
	v_bfe_u32 v34, v34, s103, 2
	v_cmp_eq_u32_e64 s9, v40, v53
	s_delay_alu instid0(VALU_DEP_2) | instskip(SKIP_4) | instid1(SALU_CYCLE_1)
	v_cmp_eq_u32_e64 s10, 0, v34
	v_cmp_eq_u32_e64 s11, 1, v34
	;; [unrolled: 1-line block ×4, first 2 shown]
	s_and_b32 s10, s9, s10
	v_cndmask_b32_e64 v34, 0, 1, s10
	s_and_b32 s10, s9, s11
	s_delay_alu instid0(SALU_CYCLE_1)
	v_cndmask_b32_e64 v40, 0, 1, s10
	s_and_b32 s10, s9, s12
	s_and_b32 s9, s9, s13
	v_cndmask_b32_e64 v41, 0, 1, s10
	v_cndmask_b32_e64 v42, 0, 1, s9
	v_cmp_ne_u32_e64 s9, 0, v34
	v_cmp_ne_u32_e64 s10, 0, v40
	s_delay_alu instid0(VALU_DEP_4) | instskip(NEXT) | instid1(VALU_DEP_4)
	v_cmp_ne_u32_e64 s11, 0, v41
	v_cmp_ne_u32_e64 s12, 0, v42
	s_bcnt1_i32_b32 s28, s9
	s_delay_alu instid0(SALU_CYCLE_1) | instskip(SKIP_1) | instid1(SALU_CYCLE_1)
	v_add_nc_u64_e32 v[4:5], s[28:29], v[4:5]
	s_bcnt1_i32_b32 s28, s10
	v_add_nc_u64_e32 v[6:7], s[28:29], v[6:7]
	s_bcnt1_i32_b32 s28, s11
	s_delay_alu instid0(SALU_CYCLE_1)
	v_add_nc_u64_e32 v[8:9], s[28:29], v[8:9]
	s_bcnt1_i32_b32 s28, s12
	s_or_b32 s4, vcc_lo, s4
	v_add_nc_u64_e32 v[10:11], s[28:29], v[10:11]
	s_and_not1_b32 exec_lo, exec_lo, s4
	s_cbranch_execnz .LBB201_94
; %bb.95:                               ;   in Loop: Header=BB201_31 Depth=1
	s_or_b32 exec_lo, exec_lo, s4
.LBB201_96:                             ;   in Loop: Header=BB201_31 Depth=1
	s_delay_alu instid0(SALU_CYCLE_1)
	s_or_b32 exec_lo, exec_lo, s7
	s_lshl_b32 s4, s52, 7
	s_and_saveexec_b32 s7, s2
	s_cbranch_execnz .LBB201_67
	s_branch .LBB201_68
.LBB201_97:                             ;   in Loop: Header=BB201_31 Depth=1
                                        ; implicit-def: $sgpr10_sgpr11
	s_branch .LBB201_76
.LBB201_98:                             ;   in Loop: Header=BB201_31 Depth=1
	s_mov_b32 s9, 0
	s_and_not1_b32 vcc_lo, exec_lo, s100
	s_cbranch_vccnz .LBB201_101
.LBB201_99:                             ;   in Loop: Header=BB201_31 Depth=1
	s_lshl_b32 s10, s52, 10
	s_lshl_b32 s9, s9, 5
	s_delay_alu instid0(SALU_CYCLE_1)
	v_add3_u32 v2, s10, s9, v54
	v_readlane_b32 s9, v62, 10
.LBB201_100:                            ;   Parent Loop BB201_31 Depth=1
                                        ; =>  This Inner Loop Header: Depth=2
	ds_load_b64 v[6:7], v2
	v_add_nc_u32_e32 v2, 32, v2
	s_add_co_i32 s9, s9, -1
	s_delay_alu instid0(SALU_CYCLE_1)
	s_cmp_lg_u32 s9, 0
	s_wait_dscnt 0x0
	v_add_nc_u64_e32 v[4:5], v[6:7], v[4:5]
	s_cbranch_scc1 .LBB201_100
.LBB201_101:                            ;   in Loop: Header=BB201_31 Depth=1
	v_add_lshl_u32 v2, s4, v13, 3
	ds_store_b64 v2, v[4:5] offset:3072
.LBB201_102:                            ;   in Loop: Header=BB201_31 Depth=1
	s_or_b32 exec_lo, exec_lo, s7
	s_lshl_b32 s4, s4, 3
	s_wait_dscnt 0x0
	v_mov_b32_e32 v2, s4
	s_barrier_signal -1
	s_barrier_wait -1
	v_cmp_eq_u64_e64 s9, 1, v[36:37]
	ds_load_b128 v[4:7], v2 offset:3072
	ds_load_b128 v[8:11], v2 offset:3088
	s_lshl_b32 s24, 3, s103
	s_mov_b32 s82, -1
	s_not_b32 s25, s24
	s_mov_b32 s26, 0
	s_and_not1_b32 vcc_lo, exec_lo, s95
	s_mov_b32 s49, 0
	s_mov_b32 s27, 0
                                        ; implicit-def: $sgpr80
                                        ; implicit-def: $sgpr81
                                        ; implicit-def: $vgpr2
                                        ; implicit-def: $vgpr34
                                        ; implicit-def: $vgpr38
	s_wait_dscnt 0x1
	v_readfirstlane_b32 s13, v5
	v_readfirstlane_b32 s12, v4
	;; [unrolled: 1-line block ×4, first 2 shown]
	s_wait_dscnt 0x0
	v_readfirstlane_b32 s17, v9
	v_readfirstlane_b32 s16, v8
	;; [unrolled: 1-line block ×4, first 2 shown]
                                        ; implicit-def: $vgpr4_vgpr5
                                        ; implicit-def: $vgpr7
	s_cbranch_vccnz .LBB201_305
; %bb.103:                              ;   in Loop: Header=BB201_31 Depth=1
	s_cmp_eq_u64 s[12:13], 1
	v_dual_mov_b32 v34, v53 :: v_dual_mov_b32 v38, v55
	v_mov_b32_e32 v7, v35
	s_cselect_b32 s4, -1, 0
                                        ; implicit-def: $sgpr81
                                        ; implicit-def: $sgpr80
	s_delay_alu instid0(SALU_CYCLE_1)
	s_and_b32 s84, s4, s9
	s_mov_b32 s4, -1
	s_and_saveexec_b32 s27, s84
	s_cbranch_execz .LBB201_140
; %bb.104:                              ;   in Loop: Header=BB201_31 Depth=1
	ds_load_b64 v[4:5], v3 offset:5120
	s_wait_dscnt 0x0
	s_barrier_signal -1
	s_barrier_wait -1
	v_readfirstlane_b32 s10, v4
	v_readfirstlane_b32 s11, v5
	s_and_saveexec_b32 s4, s6
; %bb.105:                              ;   in Loop: Header=BB201_31 Depth=1
	ds_store_b32 v50, v3
; %bb.106:                              ;   in Loop: Header=BB201_31 Depth=1
	s_or_b32 exec_lo, exec_lo, s4
	v_and_b32_e32 v34, s25, v53
	v_or_b32_e32 v38, s24, v55
	s_mov_b32 s80, -1
	s_mov_b32 s81, 0
	s_cmp_eq_u64 s[10:11], 0
	s_mov_b32 s4, 0
	s_mov_b32 s7, -1
	s_wait_dscnt 0x0
	s_barrier_signal -1
	s_barrier_wait -1
                                        ; implicit-def: $vgpr7
	s_cbranch_scc1 .LBB201_124
; %bb.107:                              ;   in Loop: Header=BB201_31 Depth=1
	s_add_nc_u64 s[20:21], s[10:11], s[64:65]
	s_delay_alu instid0(SALU_CYCLE_1) | instskip(NEXT) | instid1(SALU_CYCLE_1)
	s_and_b64 s[22:23], s[20:21], 0xffffffff00000000
	s_cmp_lg_u64 s[22:23], 0
	s_cbranch_scc0 .LBB201_167
; %bb.108:                              ;   in Loop: Header=BB201_31 Depth=1
	s_cvt_f32_u32 s4, s40
	s_sub_nc_u64 s[70:71], 0, s[40:41]
	s_delay_alu instid0(SALU_CYCLE_2) | instskip(NEXT) | instid1(SALU_CYCLE_3)
	s_fmamk_f32 s4, s102, 0x0, s4
	v_s_rcp_f32 s4, s4
	s_delay_alu instid0(TRANS32_DEP_1) | instskip(NEXT) | instid1(SALU_CYCLE_3)
	s_mul_f32 s4, s4, 0x5f7ffffc
	s_mul_f32 s7, s4, 0x2f800000
	s_delay_alu instid0(SALU_CYCLE_3) | instskip(NEXT) | instid1(SALU_CYCLE_3)
	s_trunc_f32 s7, s7
	s_fmamk_f32 s4, s7, 0xcf800000, s4
	s_cvt_u32_f32 s23, s7
	s_delay_alu instid0(SALU_CYCLE_2) | instskip(NEXT) | instid1(SALU_CYCLE_3)
	s_cvt_u32_f32 s22, s4
	s_mul_u64 s[72:73], s[70:71], s[22:23]
	s_delay_alu instid0(SALU_CYCLE_1)
	s_mul_hi_u32 s75, s22, s73
	s_mul_i32 s74, s22, s73
	s_mul_hi_u32 s28, s22, s72
	s_mul_i32 s7, s23, s72
	s_add_nc_u64 s[74:75], s[28:29], s[74:75]
	s_mul_hi_u32 s4, s23, s72
	s_mul_hi_u32 s49, s23, s73
	s_add_co_u32 s7, s74, s7
	s_add_co_ci_u32 s28, s75, s4
	s_mul_i32 s72, s23, s73
	s_add_co_ci_u32 s73, s49, 0
	s_delay_alu instid0(SALU_CYCLE_1) | instskip(NEXT) | instid1(SALU_CYCLE_1)
	s_add_nc_u64 s[72:73], s[28:29], s[72:73]
	s_add_co_u32 s22, s22, s72
	s_cselect_b32 s4, -1, 0
	s_delay_alu instid0(SALU_CYCLE_1) | instskip(SKIP_1) | instid1(SALU_CYCLE_1)
	s_cmp_lg_u32 s4, 0
	s_add_co_ci_u32 s23, s23, s73
	s_mul_u64 s[70:71], s[70:71], s[22:23]
	s_delay_alu instid0(SALU_CYCLE_1)
	s_mul_hi_u32 s73, s22, s71
	s_mul_i32 s72, s22, s71
	s_mul_hi_u32 s28, s22, s70
	s_mul_i32 s7, s23, s70
	s_add_nc_u64 s[72:73], s[28:29], s[72:73]
	s_mul_hi_u32 s4, s23, s70
	s_mul_hi_u32 s49, s23, s71
	s_add_co_u32 s7, s72, s7
	s_add_co_ci_u32 s28, s73, s4
	s_mul_i32 s70, s23, s71
	s_add_co_ci_u32 s71, s49, 0
	s_delay_alu instid0(SALU_CYCLE_1) | instskip(NEXT) | instid1(SALU_CYCLE_1)
	s_add_nc_u64 s[70:71], s[28:29], s[70:71]
	s_add_co_u32 s4, s22, s70
	s_cselect_b32 s7, -1, 0
	s_mul_hi_u32 s28, s20, s4
	s_cmp_lg_u32 s7, 0
	s_mul_hi_u32 s7, s21, s4
	s_add_co_ci_u32 s49, s23, s71
	s_mul_i32 s4, s21, s4
	s_mul_hi_u32 s23, s20, s49
	s_mul_i32 s22, s20, s49
	s_mul_hi_u32 s71, s21, s49
	s_add_nc_u64 s[22:23], s[28:29], s[22:23]
	s_mul_i32 s70, s21, s49
	s_add_co_u32 s4, s22, s4
	s_add_co_ci_u32 s28, s23, s7
	s_add_co_ci_u32 s71, s71, 0
	s_delay_alu instid0(SALU_CYCLE_1) | instskip(NEXT) | instid1(SALU_CYCLE_1)
	s_add_nc_u64 s[22:23], s[28:29], s[70:71]
	s_and_b64 s[70:71], s[22:23], 0xffffffff00000000
	s_delay_alu instid0(SALU_CYCLE_1) | instskip(NEXT) | instid1(SALU_CYCLE_1)
	s_or_b32 s70, s70, s22
	s_mul_u64 s[22:23], s[40:41], s[70:71]
	s_delay_alu instid0(SALU_CYCLE_1) | instskip(SKIP_1) | instid1(SALU_CYCLE_1)
	s_sub_co_u32 s4, s20, s22
	s_cselect_b32 s7, -1, 0
	s_cmp_lg_u32 s7, 0
	s_sub_co_ci_u32 s7, s21, s23
	s_sub_co_u32 s22, s4, s40
	s_cselect_b32 s23, -1, 0
	s_delay_alu instid0(SALU_CYCLE_1) | instskip(SKIP_3) | instid1(SALU_CYCLE_1)
	s_cmp_lg_u32 s23, 0
	s_sub_co_ci_u32 s23, s7, 0
	s_sub_co_u32 s28, s22, s40
	s_cselect_b32 s49, -1, 0
	s_cmp_lg_u32 s49, 0
	s_sub_co_ci_u32 s49, s23, 0
	s_cmp_ge_u32 s22, s40
	s_cselect_b32 s70, -1, 0
	s_cmp_eq_u32 s23, 0
	s_cselect_b32 s70, s70, -1
	s_delay_alu instid0(SALU_CYCLE_1)
	s_cmp_lg_u32 s70, 0
	s_cselect_b32 s23, s49, s23
	s_cselect_b32 s22, s28, s22
	s_cmp_ge_u32 s4, s40
	s_cselect_b32 s28, -1, 0
	s_cmp_eq_u32 s7, 0
	s_cselect_b32 s28, s28, -1
	s_delay_alu instid0(SALU_CYCLE_1)
	s_cmp_lg_u32 s28, 0
	s_cselect_b32 s23, s23, s7
	s_cselect_b32 s22, s22, s4
	s_cbranch_execnz .LBB201_110
.LBB201_109:                            ;   in Loop: Header=BB201_31 Depth=1
	v_cvt_f32_u32_e32 v2, s40
	s_sub_co_i32 s7, 0, s40
	s_delay_alu instid0(VALU_DEP_1) | instskip(SKIP_1) | instid1(TRANS32_DEP_1)
	v_rcp_iflag_f32_e32 v2, v2
	v_nop
	v_mul_f32_e32 v2, 0x4f7ffffe, v2
	s_delay_alu instid0(VALU_DEP_1) | instskip(NEXT) | instid1(VALU_DEP_1)
	v_cvt_u32_f32_e32 v2, v2
	v_readfirstlane_b32 s4, v2
	s_mul_i32 s7, s7, s4
	s_delay_alu instid0(SALU_CYCLE_1) | instskip(NEXT) | instid1(SALU_CYCLE_1)
	s_mul_hi_u32 s7, s4, s7
	s_add_co_i32 s4, s4, s7
	s_delay_alu instid0(SALU_CYCLE_1) | instskip(NEXT) | instid1(SALU_CYCLE_1)
	s_mul_hi_u32 s4, s20, s4
	s_mul_i32 s4, s4, s40
	s_delay_alu instid0(SALU_CYCLE_1) | instskip(NEXT) | instid1(SALU_CYCLE_1)
	s_sub_co_i32 s4, s20, s4
	s_sub_co_i32 s7, s4, s40
	s_cmp_ge_u32 s4, s40
	s_cselect_b32 s4, s7, s4
	s_delay_alu instid0(SALU_CYCLE_1) | instskip(SKIP_2) | instid1(SALU_CYCLE_1)
	s_sub_co_i32 s7, s4, s40
	s_cmp_ge_u32 s4, s40
	s_cselect_b32 s28, s7, s4
	s_mov_b64 s[22:23], s[28:29]
.LBB201_110:                            ;   in Loop: Header=BB201_31 Depth=1
	s_delay_alu instid0(SALU_CYCLE_1)
	s_sub_nc_u64 s[20:21], s[20:21], s[22:23]
	s_mov_b32 s7, 0
	s_mov_b32 s4, 0
	s_mov_b32 s22, exec_lo
                                        ; implicit-def: $vgpr7
	v_cmpx_gt_u64_e64 s[20:21], v[0:1]
	s_cbranch_execz .LBB201_123
; %bb.111:                              ;   in Loop: Header=BB201_31 Depth=1
	v_mov_b64_e32 v[4:5], v[0:1]
	v_mov_b32_e32 v2, v16
                                        ; implicit-def: $sgpr23
	s_branch .LBB201_115
.LBB201_112:                            ;   in Loop: Header=BB201_115 Depth=2
	s_or_b32 exec_lo, exec_lo, s28
	s_wait_dscnt 0x0
	s_barrier_signal -1
	s_barrier_wait -1
	ds_load_b64 v[6:7], v3 offset:3072
	s_wait_dscnt 0x0
	s_barrier_signal -1
	s_barrier_wait -1
	v_cmp_neq_f32_e32 vcc_lo, 0, v6
	s_cbranch_vccnz .LBB201_118
; %bb.113:                              ;   in Loop: Header=BB201_115 Depth=2
	v_add_nc_u64_e32 v[4:5], s[40:41], v[4:5]
	v_add_nc_u32_e32 v2, s101, v2
	s_mov_b32 s28, 0
	s_delay_alu instid0(VALU_DEP_2)
	v_cmp_le_u64_e32 vcc_lo, s[20:21], v[4:5]
	s_or_not1_b32 s49, vcc_lo, exec_lo
.LBB201_114:                            ;   in Loop: Header=BB201_115 Depth=2
	s_delay_alu instid0(SALU_CYCLE_1) | instskip(NEXT) | instid1(SALU_CYCLE_1)
	s_and_b32 s49, exec_lo, s49
	s_or_b32 s4, s49, s4
	s_and_not1_b32 s23, s23, exec_lo
	s_and_b32 s28, s28, exec_lo
	s_delay_alu instid0(SALU_CYCLE_1)
	s_or_b32 s23, s23, s28
	s_and_not1_b32 exec_lo, exec_lo, s4
	s_cbranch_execz .LBB201_122
.LBB201_115:                            ;   Parent Loop BB201_31 Depth=1
                                        ; =>  This Inner Loop Header: Depth=2
	s_mov_b32 s28, exec_lo
	s_delay_alu instid0(VALU_DEP_2)
	v_cmpx_gt_u64_e64 s[10:11], v[4:5]
	s_cbranch_execz .LBB201_112
; %bb.116:                              ;   in Loop: Header=BB201_115 Depth=2
	ds_load_b32 v33, v2
	s_wait_dscnt 0x0
	v_cmp_lt_i32_e32 vcc_lo, -1, v33
	v_cndmask_b32_e64 v6, -1, 0x80000000, vcc_lo
	v_cmp_o_f32_e32 vcc_lo, v33, v33
	s_delay_alu instid0(VALU_DEP_2) | instskip(NEXT) | instid1(VALU_DEP_1)
	v_xor_b32_e32 v6, v6, v33
	v_cndmask_b32_e32 v6, -1, v6, vcc_lo
	s_delay_alu instid0(VALU_DEP_1) | instskip(NEXT) | instid1(VALU_DEP_1)
	v_and_b32_e32 v6, v6, v38
	v_cmp_eq_u32_e32 vcc_lo, v6, v34
	s_and_b32 exec_lo, exec_lo, vcc_lo
	s_cbranch_execz .LBB201_112
; %bb.117:                              ;   in Loop: Header=BB201_115 Depth=2
	ds_store_b64 v3, v[32:33] offset:3072
	s_branch .LBB201_112
.LBB201_118:                            ;   in Loop: Header=BB201_115 Depth=2
	s_mov_b32 s49, -1
	s_mov_b32 s28, -1
                                        ; implicit-def: $vgpr4_vgpr5
                                        ; implicit-def: $vgpr2
	s_branch .LBB201_114
.LBB201_119:                            ;   in Loop: Header=BB201_31 Depth=1
	s_or_b32 exec_lo, exec_lo, s7
	s_wait_dscnt 0x0
	s_barrier_signal -1
	s_barrier_wait -1
	s_and_saveexec_b32 s7, s5
	s_cbranch_execz .LBB201_121
; %bb.120:                              ;   in Loop: Header=BB201_31 Depth=1
	ds_load_b32 v4, v3 offset:5144
	s_wait_dscnt 0x0
	v_ashrrev_i32_e32 v5, 31, v4
	ds_store_b64 v3, v[4:5] offset:5120
.LBB201_121:                            ;   in Loop: Header=BB201_31 Depth=1
	s_or_b32 exec_lo, exec_lo, s7
	s_wait_dscnt 0x0
	s_barrier_signal -1
	s_mov_b32 s7, -1
	s_barrier_wait -1
	s_and_b32 vcc_lo, exec_lo, s4
	s_cbranch_vccnz .LBB201_47
	s_branch .LBB201_62
.LBB201_122:                            ;   in Loop: Header=BB201_31 Depth=1
	s_or_b32 exec_lo, exec_lo, s4
	s_delay_alu instid0(SALU_CYCLE_1)
	s_and_b32 s4, s23, exec_lo
.LBB201_123:                            ;   in Loop: Header=BB201_31 Depth=1
	s_or_b32 exec_lo, exec_lo, s22
.LBB201_124:                            ;   in Loop: Header=BB201_31 Depth=1
	s_delay_alu instid0(SALU_CYCLE_1)
	s_and_b32 vcc_lo, exec_lo, s7
	s_cbranch_vccz .LBB201_139
; %bb.125:                              ;   in Loop: Header=BB201_31 Depth=1
	s_and_b64 s[10:11], s[66:67], 0xffffffff00000000
	s_delay_alu instid0(SALU_CYCLE_1)
	s_cmp_lg_u64 s[10:11], 0
	s_cbranch_scc0 .LBB201_168
; %bb.126:                              ;   in Loop: Header=BB201_31 Depth=1
	s_cvt_f32_u32 s7, s40
	s_sub_nc_u64 s[20:21], 0, s[40:41]
	s_delay_alu instid0(SALU_CYCLE_2) | instskip(NEXT) | instid1(SALU_CYCLE_3)
	s_fmamk_f32 s7, s102, 0x0, s7
	v_s_rcp_f32 s7, s7
	s_delay_alu instid0(TRANS32_DEP_1) | instskip(NEXT) | instid1(SALU_CYCLE_3)
	s_mul_f32 s7, s7, 0x5f7ffffc
	s_mul_f32 s10, s7, 0x2f800000
	s_delay_alu instid0(SALU_CYCLE_3) | instskip(NEXT) | instid1(SALU_CYCLE_3)
	s_trunc_f32 s10, s10
	s_fmamk_f32 s7, s10, 0xcf800000, s7
	s_cvt_u32_f32 s11, s10
	s_delay_alu instid0(SALU_CYCLE_2) | instskip(NEXT) | instid1(SALU_CYCLE_3)
	s_cvt_u32_f32 s10, s7
	s_mul_u64 s[22:23], s[20:21], s[10:11]
	s_delay_alu instid0(SALU_CYCLE_1)
	s_mul_hi_u32 s71, s10, s23
	s_mul_i32 s70, s10, s23
	s_mul_hi_u32 s28, s10, s22
	s_mul_i32 s49, s11, s22
	s_add_nc_u64 s[70:71], s[28:29], s[70:71]
	s_mul_hi_u32 s7, s11, s22
	s_mul_hi_u32 s72, s11, s23
	s_mul_i32 s22, s11, s23
	s_add_co_u32 s23, s70, s49
	s_add_co_ci_u32 s28, s71, s7
	s_add_co_ci_u32 s23, s72, 0
	s_delay_alu instid0(SALU_CYCLE_1) | instskip(NEXT) | instid1(SALU_CYCLE_1)
	s_add_nc_u64 s[22:23], s[28:29], s[22:23]
	s_add_co_u32 s10, s10, s22
	s_cselect_b32 s7, -1, 0
	s_delay_alu instid0(SALU_CYCLE_1) | instskip(SKIP_1) | instid1(SALU_CYCLE_1)
	s_cmp_lg_u32 s7, 0
	s_add_co_ci_u32 s11, s11, s23
	s_mul_u64 s[20:21], s[20:21], s[10:11]
	s_delay_alu instid0(SALU_CYCLE_1)
	s_mul_hi_u32 s23, s10, s21
	s_mul_i32 s22, s10, s21
	s_mul_hi_u32 s28, s10, s20
	s_mul_i32 s49, s11, s20
	s_add_nc_u64 s[22:23], s[28:29], s[22:23]
	s_mul_hi_u32 s7, s11, s20
	s_mul_hi_u32 s70, s11, s21
	s_mul_i32 s20, s11, s21
	s_add_co_u32 s21, s22, s49
	s_add_co_ci_u32 s28, s23, s7
	s_add_co_ci_u32 s21, s70, 0
	s_delay_alu instid0(SALU_CYCLE_1) | instskip(NEXT) | instid1(SALU_CYCLE_1)
	s_add_nc_u64 s[20:21], s[28:29], s[20:21]
	s_add_co_u32 s7, s10, s20
	s_cselect_b32 s10, -1, 0
	s_mul_hi_u32 s28, s66, s7
	s_cmp_lg_u32 s10, 0
	s_mul_hi_u32 s22, s67, s7
	s_add_co_ci_u32 s20, s11, s21
	s_mul_i32 s7, s67, s7
	s_mul_hi_u32 s11, s66, s20
	s_mul_i32 s10, s66, s20
	s_mul_hi_u32 s21, s67, s20
	s_add_nc_u64 s[10:11], s[28:29], s[10:11]
	s_mul_i32 s20, s67, s20
	s_add_co_u32 s7, s10, s7
	s_add_co_ci_u32 s28, s11, s22
	s_add_co_ci_u32 s21, s21, 0
	s_delay_alu instid0(SALU_CYCLE_1) | instskip(NEXT) | instid1(SALU_CYCLE_1)
	s_add_nc_u64 s[10:11], s[28:29], s[20:21]
	s_and_b64 s[20:21], s[10:11], 0xffffffff00000000
	s_delay_alu instid0(SALU_CYCLE_1) | instskip(NEXT) | instid1(SALU_CYCLE_1)
	s_or_b32 s20, s20, s10
	s_mul_u64 s[10:11], s[40:41], s[20:21]
	s_delay_alu instid0(SALU_CYCLE_1) | instskip(SKIP_1) | instid1(SALU_CYCLE_1)
	s_sub_co_u32 s7, s66, s10
	s_cselect_b32 s10, -1, 0
	s_cmp_lg_u32 s10, 0
	s_sub_co_ci_u32 s10, s67, s11
	s_sub_co_u32 s11, s7, s40
	s_cselect_b32 s20, -1, 0
	s_delay_alu instid0(SALU_CYCLE_1) | instskip(SKIP_3) | instid1(SALU_CYCLE_1)
	s_cmp_lg_u32 s20, 0
	s_sub_co_ci_u32 s20, s10, 0
	s_sub_co_u32 s21, s11, s40
	s_cselect_b32 s22, -1, 0
	s_cmp_lg_u32 s22, 0
	s_sub_co_ci_u32 s22, s20, 0
	s_cmp_ge_u32 s11, s40
	s_cselect_b32 s23, -1, 0
	s_cmp_eq_u32 s20, 0
	s_cselect_b32 s23, s23, -1
	s_delay_alu instid0(SALU_CYCLE_1)
	s_cmp_lg_u32 s23, 0
	s_cselect_b32 s20, s22, s20
	s_cselect_b32 s21, s21, s11
	s_cmp_ge_u32 s7, s40
	s_cselect_b32 s11, -1, 0
	s_cmp_eq_u32 s10, 0
	s_cselect_b32 s11, s11, -1
	s_delay_alu instid0(SALU_CYCLE_1)
	s_cmp_lg_u32 s11, 0
	s_cselect_b32 s11, s20, s10
	s_cselect_b32 s10, s21, s7
	s_cbranch_execnz .LBB201_128
.LBB201_127:                            ;   in Loop: Header=BB201_31 Depth=1
	v_cvt_f32_u32_e32 v2, s40
	s_sub_co_i32 s10, 0, s40
	s_delay_alu instid0(VALU_DEP_1) | instskip(SKIP_1) | instid1(TRANS32_DEP_1)
	v_rcp_iflag_f32_e32 v2, v2
	v_nop
	v_mul_f32_e32 v2, 0x4f7ffffe, v2
	s_delay_alu instid0(VALU_DEP_1) | instskip(NEXT) | instid1(VALU_DEP_1)
	v_cvt_u32_f32_e32 v2, v2
	v_readfirstlane_b32 s7, v2
	s_mul_i32 s10, s10, s7
	s_delay_alu instid0(SALU_CYCLE_1) | instskip(NEXT) | instid1(SALU_CYCLE_1)
	s_mul_hi_u32 s10, s7, s10
	s_add_co_i32 s7, s7, s10
	s_delay_alu instid0(SALU_CYCLE_1) | instskip(NEXT) | instid1(SALU_CYCLE_1)
	s_mul_hi_u32 s7, s66, s7
	s_mul_i32 s7, s7, s40
	s_delay_alu instid0(SALU_CYCLE_1) | instskip(NEXT) | instid1(SALU_CYCLE_1)
	s_sub_co_i32 s7, s66, s7
	s_sub_co_i32 s10, s7, s40
	s_cmp_ge_u32 s7, s40
	s_cselect_b32 s7, s10, s7
	s_delay_alu instid0(SALU_CYCLE_1) | instskip(SKIP_2) | instid1(SALU_CYCLE_1)
	s_sub_co_i32 s10, s7, s40
	s_cmp_ge_u32 s7, s40
	s_cselect_b32 s28, s10, s7
	s_mov_b64 s[10:11], s[28:29]
.LBB201_128:                            ;   in Loop: Header=BB201_31 Depth=1
	s_delay_alu instid0(SALU_CYCLE_1)
	s_sub_nc_u64 s[10:11], s[66:67], s[10:11]
	s_mov_b32 s7, exec_lo
                                        ; implicit-def: $vgpr7
	v_cmpx_gt_u64_e64 s[10:11], v[0:1]
	s_cbranch_execz .LBB201_138
; %bb.129:                              ;   in Loop: Header=BB201_31 Depth=1
	v_mov_b64_e32 v[4:5], v[30:31]
	v_mov_b64_e32 v[8:9], v[0:1]
	s_mov_b32 s20, 0
                                        ; implicit-def: $sgpr21
	s_branch .LBB201_133
.LBB201_130:                            ;   in Loop: Header=BB201_133 Depth=2
	s_or_b32 exec_lo, exec_lo, s22
	s_wait_dscnt 0x0
	s_barrier_signal -1
	s_barrier_wait -1
	ds_load_b64 v[6:7], v3 offset:3072
	s_wait_dscnt 0x0
	s_barrier_signal -1
	s_barrier_wait -1
	v_cmp_neq_f32_e32 vcc_lo, 0, v6
	s_cbranch_vccnz .LBB201_136
; %bb.131:                              ;   in Loop: Header=BB201_133 Depth=2
	v_add_nc_u64_e32 v[8:9], s[40:41], v[8:9]
	v_add_nc_u64_e32 v[4:5], s[44:45], v[4:5]
	s_mov_b32 s22, 0
	s_delay_alu instid0(VALU_DEP_2)
	v_cmp_le_u64_e32 vcc_lo, s[10:11], v[8:9]
	s_or_not1_b32 s23, vcc_lo, exec_lo
.LBB201_132:                            ;   in Loop: Header=BB201_133 Depth=2
	s_delay_alu instid0(SALU_CYCLE_1) | instskip(NEXT) | instid1(SALU_CYCLE_1)
	s_and_b32 s23, exec_lo, s23
	s_or_b32 s20, s23, s20
	s_and_not1_b32 s21, s21, exec_lo
	s_and_b32 s22, s22, exec_lo
	s_delay_alu instid0(SALU_CYCLE_1)
	s_or_b32 s21, s21, s22
	s_and_not1_b32 exec_lo, exec_lo, s20
	s_cbranch_execz .LBB201_137
.LBB201_133:                            ;   Parent Loop BB201_31 Depth=1
                                        ; =>  This Inner Loop Header: Depth=2
	s_mov_b32 s22, exec_lo
	s_delay_alu instid0(VALU_DEP_1)
	v_cmpx_gt_u64_e64 s[36:37], v[8:9]
	s_cbranch_execz .LBB201_130
; %bb.134:                              ;   in Loop: Header=BB201_133 Depth=2
	global_load_b32 v33, v[4:5], off
	s_wait_loadcnt 0x0
	v_cmp_lt_i32_e32 vcc_lo, -1, v33
	v_cndmask_b32_e64 v2, -1, 0x80000000, vcc_lo
	v_cmp_o_f32_e32 vcc_lo, v33, v33
	s_delay_alu instid0(VALU_DEP_2) | instskip(NEXT) | instid1(VALU_DEP_1)
	v_xor_b32_e32 v2, v2, v33
	v_cndmask_b32_e32 v2, -1, v2, vcc_lo
	s_delay_alu instid0(VALU_DEP_1) | instskip(NEXT) | instid1(VALU_DEP_1)
	v_and_b32_e32 v2, v2, v38
	v_cmp_eq_u32_e32 vcc_lo, v2, v34
	s_and_b32 exec_lo, exec_lo, vcc_lo
	s_cbranch_execz .LBB201_130
; %bb.135:                              ;   in Loop: Header=BB201_133 Depth=2
	ds_store_b64 v3, v[32:33] offset:3072
	s_branch .LBB201_130
.LBB201_136:                            ;   in Loop: Header=BB201_133 Depth=2
	s_mov_b32 s23, -1
	s_mov_b32 s22, -1
                                        ; implicit-def: $vgpr8_vgpr9
                                        ; implicit-def: $vgpr4_vgpr5
	s_branch .LBB201_132
.LBB201_137:                            ;   in Loop: Header=BB201_31 Depth=1
	s_or_b32 exec_lo, exec_lo, s20
	s_delay_alu instid0(SALU_CYCLE_1) | instskip(SKIP_1) | instid1(SALU_CYCLE_1)
	s_and_not1_b32 s4, s4, exec_lo
	s_and_b32 s10, s21, exec_lo
	s_or_b32 s4, s4, s10
.LBB201_138:                            ;   in Loop: Header=BB201_31 Depth=1
	s_or_b32 exec_lo, exec_lo, s7
	s_mov_b32 s80, 0
	s_mov_b32 s81, -1
.LBB201_139:                            ;   in Loop: Header=BB201_31 Depth=1
	s_or_not1_b32 s4, s4, exec_lo
.LBB201_140:                            ;   in Loop: Header=BB201_31 Depth=1
	s_or_b32 exec_lo, exec_lo, s27
	s_mov_b32 s82, 0
	s_mov_b32 s49, 0
	;; [unrolled: 1-line block ×3, first 2 shown]
                                        ; implicit-def: $vgpr4_vgpr5
                                        ; implicit-def: $vgpr2
	s_and_saveexec_b32 s83, s4
	s_cbranch_execz .LBB201_304
; %bb.141:                              ;   in Loop: Header=BB201_31 Depth=1
	v_mov_b64_e32 v[4:5], 1
	v_mov_b32_e32 v2, 1
	s_xor_b32 s10, s84, -1
	s_mov_b32 s7, 0
	s_and_saveexec_b32 s4, s10
	s_cbranch_execz .LBB201_150
; %bb.142:                              ;   in Loop: Header=BB201_31 Depth=1
	s_mov_b32 s7, exec_lo
	v_cmpx_ge_u64_e64 s[12:13], v[36:37]
	s_xor_b32 s7, exec_lo, s7
	s_cbranch_execz .LBB201_147
; %bb.143:                              ;   in Loop: Header=BB201_31 Depth=1
	ds_load_b64 v[4:5], v3 offset:5120
	v_and_b32_e32 v34, s25, v34
	v_or_b32_e32 v38, s24, v38
	s_wait_dscnt 0x0
	v_cmp_ne_u64_e32 vcc_lo, 0, v[4:5]
	s_cbranch_vccnz .LBB201_147
; %bb.144:                              ;   in Loop: Header=BB201_31 Depth=1
	s_and_saveexec_b32 s10, s5
; %bb.145:                              ;   in Loop: Header=BB201_31 Depth=1
	v_mov_b64_e32 v[4:5], s[12:13]
	ds_store_b64 v3, v[4:5] offset:5128
; %bb.146:                              ;   in Loop: Header=BB201_31 Depth=1
	s_or_b32 exec_lo, exec_lo, s10
	s_wait_dscnt 0x0
	s_barrier_signal -1
	s_barrier_wait -1
.LBB201_147:                            ;   in Loop: Header=BB201_31 Depth=1
	s_or_saveexec_b32 s7, s7
	v_mov_b64_e32 v[4:5], v[36:37]
	v_mov_b32_e32 v2, 8
	s_mov_b32 s10, 0
	s_xor_b32 exec_lo, exec_lo, s7
; %bb.148:                              ;   in Loop: Header=BB201_31 Depth=1
	v_sub_nc_u64_e64 v[4:5], v[36:37], s[12:13]
	v_mov_b32_e32 v2, 0
	s_mov_b32 s10, exec_lo
; %bb.149:                              ;   in Loop: Header=BB201_31 Depth=1
	s_or_b32 exec_lo, exec_lo, s7
	s_delay_alu instid0(SALU_CYCLE_1)
	s_and_b32 s7, s10, exec_lo
.LBB201_150:                            ;   in Loop: Header=BB201_31 Depth=1
	s_or_b32 exec_lo, exec_lo, s4
	s_mov_b32 s4, -1
                                        ; implicit-def: $sgpr49
                                        ; implicit-def: $sgpr84
	s_and_saveexec_b32 s10, s7
	s_delay_alu instid0(SALU_CYCLE_1)
	s_xor_b32 s27, exec_lo, s10
	s_cbranch_execz .LBB201_301
; %bb.151:                              ;   in Loop: Header=BB201_31 Depth=1
	v_cmp_eq_u64_e32 vcc_lo, 1, v[4:5]
	s_cmp_eq_u64 s[14:15], 1
                                        ; implicit-def: $sgpr84
                                        ; implicit-def: $sgpr49
	s_cselect_b32 s4, -1, 0
	s_delay_alu instid0(SALU_CYCLE_1)
	s_and_b32 s86, s4, vcc_lo
	s_mov_b32 s4, -1
	s_and_saveexec_b32 s85, s86
	s_cbranch_execz .LBB201_187
; %bb.152:                              ;   in Loop: Header=BB201_31 Depth=1
	ds_load_b64 v[6:7], v3 offset:5120
	s_wait_dscnt 0x0
	s_barrier_signal -1
	s_barrier_wait -1
	v_readfirstlane_b32 s10, v6
	v_readfirstlane_b32 s11, v7
	s_and_saveexec_b32 s4, s6
; %bb.153:                              ;   in Loop: Header=BB201_31 Depth=1
	ds_store_b32 v50, v3
; %bb.154:                              ;   in Loop: Header=BB201_31 Depth=1
	s_or_b32 exec_lo, exec_lo, s4
	s_lshl_b32 s4, 1, s103
	v_or_b32_e32 v38, s24, v38
	v_and_or_b32 v34, v34, s25, s4
	s_mov_b32 s49, -1
	s_mov_b32 s84, 0
	s_cmp_eq_u64 s[10:11], 0
	s_mov_b32 s4, 0
	s_mov_b32 s7, -1
	s_wait_dscnt 0x0
	s_barrier_signal -1
	s_barrier_wait -1
                                        ; implicit-def: $vgpr7
	s_cbranch_scc1 .LBB201_171
; %bb.155:                              ;   in Loop: Header=BB201_31 Depth=1
	s_add_nc_u64 s[20:21], s[10:11], s[64:65]
	s_delay_alu instid0(SALU_CYCLE_1) | instskip(NEXT) | instid1(SALU_CYCLE_1)
	s_and_b64 s[22:23], s[20:21], 0xffffffff00000000
	s_cmp_lg_u64 s[22:23], 0
	s_cbranch_scc0 .LBB201_214
; %bb.156:                              ;   in Loop: Header=BB201_31 Depth=1
	s_cvt_f32_u32 s4, s40
	s_sub_nc_u64 s[70:71], 0, s[40:41]
	s_delay_alu instid0(SALU_CYCLE_2) | instskip(NEXT) | instid1(SALU_CYCLE_3)
	s_fmamk_f32 s4, s102, 0x0, s4
	v_s_rcp_f32 s4, s4
	s_delay_alu instid0(TRANS32_DEP_1) | instskip(NEXT) | instid1(SALU_CYCLE_3)
	s_mul_f32 s4, s4, 0x5f7ffffc
	s_mul_f32 s7, s4, 0x2f800000
	s_delay_alu instid0(SALU_CYCLE_3) | instskip(NEXT) | instid1(SALU_CYCLE_3)
	s_trunc_f32 s7, s7
	s_fmamk_f32 s4, s7, 0xcf800000, s4
	s_cvt_u32_f32 s23, s7
	s_delay_alu instid0(SALU_CYCLE_2) | instskip(NEXT) | instid1(SALU_CYCLE_3)
	s_cvt_u32_f32 s22, s4
	s_mul_u64 s[88:89], s[70:71], s[22:23]
	s_delay_alu instid0(SALU_CYCLE_1)
	s_mul_hi_u32 s91, s22, s89
	s_mul_i32 s90, s22, s89
	s_mul_hi_u32 s28, s22, s88
	s_mul_i32 s7, s23, s88
	s_add_nc_u64 s[90:91], s[28:29], s[90:91]
	s_mul_hi_u32 s4, s23, s88
	s_mul_hi_u32 s72, s23, s89
	s_add_co_u32 s7, s90, s7
	s_add_co_ci_u32 s28, s91, s4
	s_mul_i32 s88, s23, s89
	s_add_co_ci_u32 s89, s72, 0
	s_delay_alu instid0(SALU_CYCLE_1) | instskip(NEXT) | instid1(SALU_CYCLE_1)
	s_add_nc_u64 s[88:89], s[28:29], s[88:89]
	s_add_co_u32 s22, s22, s88
	s_cselect_b32 s4, -1, 0
	s_delay_alu instid0(SALU_CYCLE_1) | instskip(SKIP_1) | instid1(SALU_CYCLE_1)
	s_cmp_lg_u32 s4, 0
	s_add_co_ci_u32 s23, s23, s89
	s_mul_u64 s[70:71], s[70:71], s[22:23]
	s_delay_alu instid0(SALU_CYCLE_1)
	s_mul_hi_u32 s89, s22, s71
	s_mul_i32 s88, s22, s71
	s_mul_hi_u32 s28, s22, s70
	s_mul_i32 s7, s23, s70
	s_add_nc_u64 s[88:89], s[28:29], s[88:89]
	s_mul_hi_u32 s4, s23, s70
	s_mul_hi_u32 s72, s23, s71
	s_add_co_u32 s7, s88, s7
	s_add_co_ci_u32 s28, s89, s4
	s_mul_i32 s70, s23, s71
	s_add_co_ci_u32 s71, s72, 0
	s_delay_alu instid0(SALU_CYCLE_1) | instskip(NEXT) | instid1(SALU_CYCLE_1)
	s_add_nc_u64 s[70:71], s[28:29], s[70:71]
	s_add_co_u32 s4, s22, s70
	s_cselect_b32 s7, -1, 0
	s_mul_hi_u32 s28, s20, s4
	s_cmp_lg_u32 s7, 0
	s_mul_hi_u32 s7, s21, s4
	s_add_co_ci_u32 s70, s23, s71
	s_mul_i32 s4, s21, s4
	s_mul_hi_u32 s23, s20, s70
	s_mul_i32 s22, s20, s70
	s_mul_hi_u32 s71, s21, s70
	s_add_nc_u64 s[22:23], s[28:29], s[22:23]
	s_mul_i32 s70, s21, s70
	s_add_co_u32 s4, s22, s4
	s_add_co_ci_u32 s28, s23, s7
	s_add_co_ci_u32 s71, s71, 0
	s_delay_alu instid0(SALU_CYCLE_1) | instskip(NEXT) | instid1(SALU_CYCLE_1)
	s_add_nc_u64 s[22:23], s[28:29], s[70:71]
	s_and_b64 s[70:71], s[22:23], 0xffffffff00000000
	s_delay_alu instid0(SALU_CYCLE_1) | instskip(NEXT) | instid1(SALU_CYCLE_1)
	s_or_b32 s70, s70, s22
	s_mul_u64 s[22:23], s[40:41], s[70:71]
	s_delay_alu instid0(SALU_CYCLE_1) | instskip(SKIP_1) | instid1(SALU_CYCLE_1)
	s_sub_co_u32 s4, s20, s22
	s_cselect_b32 s7, -1, 0
	s_cmp_lg_u32 s7, 0
	s_sub_co_ci_u32 s7, s21, s23
	s_sub_co_u32 s22, s4, s40
	s_cselect_b32 s23, -1, 0
	s_delay_alu instid0(SALU_CYCLE_1) | instskip(SKIP_3) | instid1(SALU_CYCLE_1)
	s_cmp_lg_u32 s23, 0
	s_sub_co_ci_u32 s23, s7, 0
	s_sub_co_u32 s28, s22, s40
	s_cselect_b32 s70, -1, 0
	s_cmp_lg_u32 s70, 0
	s_sub_co_ci_u32 s70, s23, 0
	s_cmp_ge_u32 s22, s40
	s_cselect_b32 s71, -1, 0
	s_cmp_eq_u32 s23, 0
	s_cselect_b32 s71, s71, -1
	s_delay_alu instid0(SALU_CYCLE_1)
	s_cmp_lg_u32 s71, 0
	s_cselect_b32 s23, s70, s23
	s_cselect_b32 s22, s28, s22
	s_cmp_ge_u32 s4, s40
	s_cselect_b32 s28, -1, 0
	s_cmp_eq_u32 s7, 0
	s_cselect_b32 s28, s28, -1
	s_delay_alu instid0(SALU_CYCLE_1)
	s_cmp_lg_u32 s28, 0
	s_cselect_b32 s23, s23, s7
	s_cselect_b32 s22, s22, s4
	s_cbranch_execnz .LBB201_158
.LBB201_157:                            ;   in Loop: Header=BB201_31 Depth=1
	v_cvt_f32_u32_e32 v6, s40
	s_sub_co_i32 s7, 0, s40
	s_delay_alu instid0(VALU_DEP_1) | instskip(SKIP_1) | instid1(TRANS32_DEP_1)
	v_rcp_iflag_f32_e32 v6, v6
	v_nop
	v_mul_f32_e32 v6, 0x4f7ffffe, v6
	s_delay_alu instid0(VALU_DEP_1) | instskip(NEXT) | instid1(VALU_DEP_1)
	v_cvt_u32_f32_e32 v6, v6
	v_readfirstlane_b32 s4, v6
	s_mul_i32 s7, s7, s4
	s_delay_alu instid0(SALU_CYCLE_1) | instskip(NEXT) | instid1(SALU_CYCLE_1)
	s_mul_hi_u32 s7, s4, s7
	s_add_co_i32 s4, s4, s7
	s_delay_alu instid0(SALU_CYCLE_1) | instskip(NEXT) | instid1(SALU_CYCLE_1)
	s_mul_hi_u32 s4, s20, s4
	s_mul_i32 s4, s4, s40
	s_delay_alu instid0(SALU_CYCLE_1) | instskip(NEXT) | instid1(SALU_CYCLE_1)
	s_sub_co_i32 s4, s20, s4
	s_sub_co_i32 s7, s4, s40
	s_cmp_ge_u32 s4, s40
	s_cselect_b32 s4, s7, s4
	s_delay_alu instid0(SALU_CYCLE_1) | instskip(SKIP_2) | instid1(SALU_CYCLE_1)
	s_sub_co_i32 s7, s4, s40
	s_cmp_ge_u32 s4, s40
	s_cselect_b32 s28, s7, s4
	s_mov_b64 s[22:23], s[28:29]
.LBB201_158:                            ;   in Loop: Header=BB201_31 Depth=1
	s_delay_alu instid0(SALU_CYCLE_1)
	s_sub_nc_u64 s[20:21], s[20:21], s[22:23]
	s_mov_b32 s7, 0
	s_mov_b32 s4, 0
	s_mov_b32 s22, exec_lo
                                        ; implicit-def: $vgpr7
	v_cmpx_gt_u64_e64 s[20:21], v[0:1]
	s_cbranch_execz .LBB201_170
; %bb.159:                              ;   in Loop: Header=BB201_31 Depth=1
	v_mov_b64_e32 v[8:9], v[0:1]
	v_mov_b32_e32 v10, v16
                                        ; implicit-def: $sgpr23
	s_branch .LBB201_163
.LBB201_160:                            ;   in Loop: Header=BB201_163 Depth=2
	s_or_b32 exec_lo, exec_lo, s28
	s_wait_dscnt 0x0
	s_barrier_signal -1
	s_barrier_wait -1
	ds_load_b64 v[6:7], v3 offset:3072
	s_wait_dscnt 0x0
	s_barrier_signal -1
	s_barrier_wait -1
	v_cmp_neq_f32_e32 vcc_lo, 0, v6
	s_cbranch_vccnz .LBB201_166
; %bb.161:                              ;   in Loop: Header=BB201_163 Depth=2
	v_add_nc_u64_e32 v[8:9], s[40:41], v[8:9]
	v_add_nc_u32_e32 v10, s101, v10
	s_mov_b32 s28, 0
	s_delay_alu instid0(VALU_DEP_2)
	v_cmp_le_u64_e32 vcc_lo, s[20:21], v[8:9]
	s_or_not1_b32 s70, vcc_lo, exec_lo
.LBB201_162:                            ;   in Loop: Header=BB201_163 Depth=2
	s_delay_alu instid0(SALU_CYCLE_1) | instskip(NEXT) | instid1(SALU_CYCLE_1)
	s_and_b32 s70, exec_lo, s70
	s_or_b32 s4, s70, s4
	s_and_not1_b32 s23, s23, exec_lo
	s_and_b32 s28, s28, exec_lo
	s_delay_alu instid0(SALU_CYCLE_1)
	s_or_b32 s23, s23, s28
	s_and_not1_b32 exec_lo, exec_lo, s4
	s_cbranch_execz .LBB201_169
.LBB201_163:                            ;   Parent Loop BB201_31 Depth=1
                                        ; =>  This Inner Loop Header: Depth=2
	s_mov_b32 s28, exec_lo
	s_delay_alu instid0(VALU_DEP_2)
	v_cmpx_gt_u64_e64 s[10:11], v[8:9]
	s_cbranch_execz .LBB201_160
; %bb.164:                              ;   in Loop: Header=BB201_163 Depth=2
	ds_load_b32 v33, v10
	s_wait_dscnt 0x0
	v_cmp_lt_i32_e32 vcc_lo, -1, v33
	v_cndmask_b32_e64 v6, -1, 0x80000000, vcc_lo
	v_cmp_o_f32_e32 vcc_lo, v33, v33
	s_delay_alu instid0(VALU_DEP_2) | instskip(NEXT) | instid1(VALU_DEP_1)
	v_xor_b32_e32 v6, v6, v33
	v_cndmask_b32_e32 v6, -1, v6, vcc_lo
	s_delay_alu instid0(VALU_DEP_1) | instskip(NEXT) | instid1(VALU_DEP_1)
	v_and_b32_e32 v6, v6, v38
	v_cmp_eq_u32_e32 vcc_lo, v6, v34
	s_and_b32 exec_lo, exec_lo, vcc_lo
	s_cbranch_execz .LBB201_160
; %bb.165:                              ;   in Loop: Header=BB201_163 Depth=2
	ds_store_b64 v3, v[32:33] offset:3072
	s_branch .LBB201_160
.LBB201_166:                            ;   in Loop: Header=BB201_163 Depth=2
	s_mov_b32 s70, -1
	s_mov_b32 s28, -1
                                        ; implicit-def: $vgpr8_vgpr9
                                        ; implicit-def: $vgpr10
	s_branch .LBB201_162
.LBB201_167:                            ;   in Loop: Header=BB201_31 Depth=1
                                        ; implicit-def: $sgpr22_sgpr23
	s_branch .LBB201_109
.LBB201_168:                            ;   in Loop: Header=BB201_31 Depth=1
                                        ; implicit-def: $sgpr10_sgpr11
	s_branch .LBB201_127
.LBB201_169:                            ;   in Loop: Header=BB201_31 Depth=1
	s_or_b32 exec_lo, exec_lo, s4
	s_delay_alu instid0(SALU_CYCLE_1)
	s_and_b32 s4, s23, exec_lo
.LBB201_170:                            ;   in Loop: Header=BB201_31 Depth=1
	s_or_b32 exec_lo, exec_lo, s22
.LBB201_171:                            ;   in Loop: Header=BB201_31 Depth=1
	s_delay_alu instid0(SALU_CYCLE_1)
	s_and_b32 vcc_lo, exec_lo, s7
	s_cbranch_vccz .LBB201_186
; %bb.172:                              ;   in Loop: Header=BB201_31 Depth=1
	s_and_b64 s[10:11], s[66:67], 0xffffffff00000000
	s_delay_alu instid0(SALU_CYCLE_1)
	s_cmp_lg_u64 s[10:11], 0
	s_cbranch_scc0 .LBB201_215
; %bb.173:                              ;   in Loop: Header=BB201_31 Depth=1
	s_cvt_f32_u32 s7, s40
	s_sub_nc_u64 s[20:21], 0, s[40:41]
	s_delay_alu instid0(SALU_CYCLE_2) | instskip(NEXT) | instid1(SALU_CYCLE_3)
	s_fmamk_f32 s7, s102, 0x0, s7
	v_s_rcp_f32 s7, s7
	s_delay_alu instid0(TRANS32_DEP_1) | instskip(NEXT) | instid1(SALU_CYCLE_3)
	s_mul_f32 s7, s7, 0x5f7ffffc
	s_mul_f32 s10, s7, 0x2f800000
	s_delay_alu instid0(SALU_CYCLE_3) | instskip(NEXT) | instid1(SALU_CYCLE_3)
	s_trunc_f32 s10, s10
	s_fmamk_f32 s7, s10, 0xcf800000, s7
	s_cvt_u32_f32 s11, s10
	s_delay_alu instid0(SALU_CYCLE_2) | instskip(NEXT) | instid1(SALU_CYCLE_3)
	s_cvt_u32_f32 s10, s7
	s_mul_u64 s[22:23], s[20:21], s[10:11]
	s_delay_alu instid0(SALU_CYCLE_1)
	s_mul_hi_u32 s71, s10, s23
	s_mul_i32 s70, s10, s23
	s_mul_hi_u32 s28, s10, s22
	s_mul_i32 s49, s11, s22
	s_add_nc_u64 s[70:71], s[28:29], s[70:71]
	s_mul_hi_u32 s7, s11, s22
	s_mul_hi_u32 s72, s11, s23
	s_mul_i32 s22, s11, s23
	s_add_co_u32 s23, s70, s49
	s_add_co_ci_u32 s28, s71, s7
	s_add_co_ci_u32 s23, s72, 0
	s_delay_alu instid0(SALU_CYCLE_1) | instskip(NEXT) | instid1(SALU_CYCLE_1)
	s_add_nc_u64 s[22:23], s[28:29], s[22:23]
	s_add_co_u32 s10, s10, s22
	s_cselect_b32 s7, -1, 0
	s_delay_alu instid0(SALU_CYCLE_1) | instskip(SKIP_1) | instid1(SALU_CYCLE_1)
	s_cmp_lg_u32 s7, 0
	s_add_co_ci_u32 s11, s11, s23
	s_mul_u64 s[20:21], s[20:21], s[10:11]
	s_delay_alu instid0(SALU_CYCLE_1)
	s_mul_hi_u32 s23, s10, s21
	s_mul_i32 s22, s10, s21
	s_mul_hi_u32 s28, s10, s20
	s_mul_i32 s49, s11, s20
	s_add_nc_u64 s[22:23], s[28:29], s[22:23]
	s_mul_hi_u32 s7, s11, s20
	s_mul_hi_u32 s70, s11, s21
	s_mul_i32 s20, s11, s21
	s_add_co_u32 s21, s22, s49
	s_add_co_ci_u32 s28, s23, s7
	s_add_co_ci_u32 s21, s70, 0
	s_delay_alu instid0(SALU_CYCLE_1) | instskip(NEXT) | instid1(SALU_CYCLE_1)
	s_add_nc_u64 s[20:21], s[28:29], s[20:21]
	s_add_co_u32 s7, s10, s20
	s_cselect_b32 s10, -1, 0
	s_mul_hi_u32 s28, s66, s7
	s_cmp_lg_u32 s10, 0
	s_mul_hi_u32 s22, s67, s7
	s_add_co_ci_u32 s20, s11, s21
	s_mul_i32 s7, s67, s7
	s_mul_hi_u32 s11, s66, s20
	s_mul_i32 s10, s66, s20
	s_mul_hi_u32 s21, s67, s20
	s_add_nc_u64 s[10:11], s[28:29], s[10:11]
	s_mul_i32 s20, s67, s20
	s_add_co_u32 s7, s10, s7
	s_add_co_ci_u32 s28, s11, s22
	s_add_co_ci_u32 s21, s21, 0
	s_delay_alu instid0(SALU_CYCLE_1) | instskip(NEXT) | instid1(SALU_CYCLE_1)
	s_add_nc_u64 s[10:11], s[28:29], s[20:21]
	s_and_b64 s[20:21], s[10:11], 0xffffffff00000000
	s_delay_alu instid0(SALU_CYCLE_1) | instskip(NEXT) | instid1(SALU_CYCLE_1)
	s_or_b32 s20, s20, s10
	s_mul_u64 s[10:11], s[40:41], s[20:21]
	s_delay_alu instid0(SALU_CYCLE_1) | instskip(SKIP_1) | instid1(SALU_CYCLE_1)
	s_sub_co_u32 s7, s66, s10
	s_cselect_b32 s10, -1, 0
	s_cmp_lg_u32 s10, 0
	s_sub_co_ci_u32 s10, s67, s11
	s_sub_co_u32 s11, s7, s40
	s_cselect_b32 s20, -1, 0
	s_delay_alu instid0(SALU_CYCLE_1) | instskip(SKIP_3) | instid1(SALU_CYCLE_1)
	s_cmp_lg_u32 s20, 0
	s_sub_co_ci_u32 s20, s10, 0
	s_sub_co_u32 s21, s11, s40
	s_cselect_b32 s22, -1, 0
	s_cmp_lg_u32 s22, 0
	s_sub_co_ci_u32 s22, s20, 0
	s_cmp_ge_u32 s11, s40
	s_cselect_b32 s23, -1, 0
	s_cmp_eq_u32 s20, 0
	s_cselect_b32 s23, s23, -1
	s_delay_alu instid0(SALU_CYCLE_1)
	s_cmp_lg_u32 s23, 0
	s_cselect_b32 s20, s22, s20
	s_cselect_b32 s21, s21, s11
	s_cmp_ge_u32 s7, s40
	s_cselect_b32 s11, -1, 0
	s_cmp_eq_u32 s10, 0
	s_cselect_b32 s11, s11, -1
	s_delay_alu instid0(SALU_CYCLE_1)
	s_cmp_lg_u32 s11, 0
	s_cselect_b32 s11, s20, s10
	s_cselect_b32 s10, s21, s7
	s_cbranch_execnz .LBB201_175
.LBB201_174:                            ;   in Loop: Header=BB201_31 Depth=1
	v_cvt_f32_u32_e32 v6, s40
	s_sub_co_i32 s10, 0, s40
	s_delay_alu instid0(VALU_DEP_1) | instskip(SKIP_1) | instid1(TRANS32_DEP_1)
	v_rcp_iflag_f32_e32 v6, v6
	v_nop
	v_mul_f32_e32 v6, 0x4f7ffffe, v6
	s_delay_alu instid0(VALU_DEP_1) | instskip(NEXT) | instid1(VALU_DEP_1)
	v_cvt_u32_f32_e32 v6, v6
	v_readfirstlane_b32 s7, v6
	s_mul_i32 s10, s10, s7
	s_delay_alu instid0(SALU_CYCLE_1) | instskip(NEXT) | instid1(SALU_CYCLE_1)
	s_mul_hi_u32 s10, s7, s10
	s_add_co_i32 s7, s7, s10
	s_delay_alu instid0(SALU_CYCLE_1) | instskip(NEXT) | instid1(SALU_CYCLE_1)
	s_mul_hi_u32 s7, s66, s7
	s_mul_i32 s7, s7, s40
	s_delay_alu instid0(SALU_CYCLE_1) | instskip(NEXT) | instid1(SALU_CYCLE_1)
	s_sub_co_i32 s7, s66, s7
	s_sub_co_i32 s10, s7, s40
	s_cmp_ge_u32 s7, s40
	s_cselect_b32 s7, s10, s7
	s_delay_alu instid0(SALU_CYCLE_1) | instskip(SKIP_2) | instid1(SALU_CYCLE_1)
	s_sub_co_i32 s10, s7, s40
	s_cmp_ge_u32 s7, s40
	s_cselect_b32 s28, s10, s7
	s_mov_b64 s[10:11], s[28:29]
.LBB201_175:                            ;   in Loop: Header=BB201_31 Depth=1
	s_delay_alu instid0(SALU_CYCLE_1)
	s_sub_nc_u64 s[10:11], s[66:67], s[10:11]
	s_mov_b32 s7, exec_lo
                                        ; implicit-def: $vgpr7
	v_cmpx_gt_u64_e64 s[10:11], v[0:1]
	s_cbranch_execz .LBB201_185
; %bb.176:                              ;   in Loop: Header=BB201_31 Depth=1
	v_mov_b64_e32 v[8:9], v[30:31]
	v_mov_b64_e32 v[10:11], v[0:1]
	s_mov_b32 s20, 0
                                        ; implicit-def: $sgpr21
	s_branch .LBB201_180
.LBB201_177:                            ;   in Loop: Header=BB201_180 Depth=2
	s_or_b32 exec_lo, exec_lo, s22
	s_wait_dscnt 0x0
	s_barrier_signal -1
	s_barrier_wait -1
	ds_load_b64 v[6:7], v3 offset:3072
	s_wait_dscnt 0x0
	s_barrier_signal -1
	s_barrier_wait -1
	v_cmp_eq_f32_e32 vcc_lo, 0, v6
	s_cbranch_vccz .LBB201_183
; %bb.178:                              ;   in Loop: Header=BB201_180 Depth=2
	v_add_nc_u64_e32 v[10:11], s[40:41], v[10:11]
	v_add_nc_u64_e32 v[8:9], s[44:45], v[8:9]
	s_mov_b32 s22, 0
	s_delay_alu instid0(VALU_DEP_2)
	v_cmp_le_u64_e32 vcc_lo, s[10:11], v[10:11]
	s_or_not1_b32 s23, vcc_lo, exec_lo
.LBB201_179:                            ;   in Loop: Header=BB201_180 Depth=2
	s_delay_alu instid0(SALU_CYCLE_1) | instskip(NEXT) | instid1(SALU_CYCLE_1)
	s_and_b32 s23, exec_lo, s23
	s_or_b32 s20, s23, s20
	s_and_not1_b32 s21, s21, exec_lo
	s_and_b32 s22, s22, exec_lo
	s_delay_alu instid0(SALU_CYCLE_1)
	s_or_b32 s21, s21, s22
	s_and_not1_b32 exec_lo, exec_lo, s20
	s_cbranch_execz .LBB201_184
.LBB201_180:                            ;   Parent Loop BB201_31 Depth=1
                                        ; =>  This Inner Loop Header: Depth=2
	s_mov_b32 s22, exec_lo
	s_delay_alu instid0(VALU_DEP_1)
	v_cmpx_gt_u64_e64 s[36:37], v[10:11]
	s_cbranch_execz .LBB201_177
; %bb.181:                              ;   in Loop: Header=BB201_180 Depth=2
	global_load_b32 v33, v[8:9], off
	s_wait_loadcnt 0x0
	v_cmp_lt_i32_e32 vcc_lo, -1, v33
	v_cndmask_b32_e64 v6, -1, 0x80000000, vcc_lo
	v_cmp_o_f32_e32 vcc_lo, v33, v33
	s_delay_alu instid0(VALU_DEP_2) | instskip(NEXT) | instid1(VALU_DEP_1)
	v_xor_b32_e32 v6, v6, v33
	v_cndmask_b32_e32 v6, -1, v6, vcc_lo
	s_delay_alu instid0(VALU_DEP_1) | instskip(NEXT) | instid1(VALU_DEP_1)
	v_and_b32_e32 v6, v6, v38
	v_cmp_eq_u32_e32 vcc_lo, v6, v34
	s_and_b32 exec_lo, exec_lo, vcc_lo
	s_cbranch_execz .LBB201_177
; %bb.182:                              ;   in Loop: Header=BB201_180 Depth=2
	ds_store_b64 v3, v[32:33] offset:3072
	s_branch .LBB201_177
.LBB201_183:                            ;   in Loop: Header=BB201_180 Depth=2
	s_mov_b32 s23, -1
	s_mov_b32 s22, -1
                                        ; implicit-def: $vgpr10_vgpr11
                                        ; implicit-def: $vgpr8_vgpr9
	s_branch .LBB201_179
.LBB201_184:                            ;   in Loop: Header=BB201_31 Depth=1
	s_or_b32 exec_lo, exec_lo, s20
	s_delay_alu instid0(SALU_CYCLE_1) | instskip(SKIP_1) | instid1(SALU_CYCLE_1)
	s_and_not1_b32 s4, s4, exec_lo
	s_and_b32 s10, s21, exec_lo
	s_or_b32 s4, s4, s10
.LBB201_185:                            ;   in Loop: Header=BB201_31 Depth=1
	s_or_b32 exec_lo, exec_lo, s7
	s_mov_b32 s49, 0
	s_mov_b32 s84, -1
.LBB201_186:                            ;   in Loop: Header=BB201_31 Depth=1
	s_or_not1_b32 s4, s4, exec_lo
.LBB201_187:                            ;   in Loop: Header=BB201_31 Depth=1
	s_or_b32 exec_lo, exec_lo, s85
	s_mov_b32 s7, 0
	s_and_saveexec_b32 s85, s4
	s_cbranch_execz .LBB201_300
; %bb.188:                              ;   in Loop: Header=BB201_31 Depth=1
	v_mov_b64_e32 v[8:9], 1
	v_mov_b32_e32 v2, 1
	s_xor_b32 s10, s86, -1
	s_delay_alu instid0(SALU_CYCLE_1)
	s_and_saveexec_b32 s4, s10
	s_cbranch_execz .LBB201_197
; %bb.189:                              ;   in Loop: Header=BB201_31 Depth=1
	s_mov_b32 s7, exec_lo
	v_cmpx_ge_u64_e64 s[14:15], v[4:5]
	s_xor_b32 s7, exec_lo, s7
	s_cbranch_execz .LBB201_194
; %bb.190:                              ;   in Loop: Header=BB201_31 Depth=1
	ds_load_b64 v[8:9], v3 offset:5120
	s_lshl_b32 s10, 1, s103
	v_or_b32_e32 v38, s24, v38
	v_and_or_b32 v34, v34, s25, s10
	s_wait_dscnt 0x0
	v_cmp_ne_u64_e32 vcc_lo, 0, v[8:9]
	s_cbranch_vccnz .LBB201_194
; %bb.191:                              ;   in Loop: Header=BB201_31 Depth=1
	s_and_saveexec_b32 s10, s5
; %bb.192:                              ;   in Loop: Header=BB201_31 Depth=1
	v_mov_b64_e32 v[8:9], s[14:15]
	ds_store_b64 v3, v[8:9] offset:5128
; %bb.193:                              ;   in Loop: Header=BB201_31 Depth=1
	s_or_b32 exec_lo, exec_lo, s10
	s_wait_dscnt 0x0
	s_barrier_signal -1
	s_barrier_wait -1
.LBB201_194:                            ;   in Loop: Header=BB201_31 Depth=1
	s_or_saveexec_b32 s7, s7
	v_mov_b32_e32 v2, 8
	s_mov_b32 s10, 0
	s_xor_b32 exec_lo, exec_lo, s7
; %bb.195:                              ;   in Loop: Header=BB201_31 Depth=1
	v_sub_nc_u64_e64 v[4:5], v[4:5], s[14:15]
	v_mov_b32_e32 v2, 0
	s_mov_b32 s10, exec_lo
; %bb.196:                              ;   in Loop: Header=BB201_31 Depth=1
	s_or_b32 exec_lo, exec_lo, s7
	s_delay_alu instid0(VALU_DEP_2)
	v_mov_b64_e32 v[8:9], v[4:5]
	s_and_b32 s7, s10, exec_lo
.LBB201_197:                            ;   in Loop: Header=BB201_31 Depth=1
	s_or_b32 exec_lo, exec_lo, s4
	s_mov_b32 s4, -1
                                        ; implicit-def: $sgpr87
                                        ; implicit-def: $sgpr88
	s_and_saveexec_b32 s86, s7
	s_cbranch_execz .LBB201_299
; %bb.198:                              ;   in Loop: Header=BB201_31 Depth=1
	s_delay_alu instid0(VALU_DEP_1) | instskip(SKIP_2) | instid1(SALU_CYCLE_1)
	v_cmp_eq_u64_e32 vcc_lo, 1, v[8:9]
	s_cmp_eq_u64 s[16:17], 1
                                        ; implicit-def: $sgpr88
                                        ; implicit-def: $sgpr87
	s_cselect_b32 s4, -1, 0
	s_and_b32 s90, s4, vcc_lo
	s_mov_b32 s4, -1
	s_and_saveexec_b32 s89, s90
	s_cbranch_execz .LBB201_234
; %bb.199:                              ;   in Loop: Header=BB201_31 Depth=1
	ds_load_b64 v[4:5], v3 offset:5120
	s_wait_dscnt 0x0
	s_barrier_signal -1
	s_barrier_wait -1
	v_readfirstlane_b32 s10, v4
	v_readfirstlane_b32 s11, v5
	s_and_saveexec_b32 s4, s6
; %bb.200:                              ;   in Loop: Header=BB201_31 Depth=1
	ds_store_b32 v50, v3
; %bb.201:                              ;   in Loop: Header=BB201_31 Depth=1
	s_or_b32 exec_lo, exec_lo, s4
	s_lshl_b32 s4, 2, s103
	v_or_b32_e32 v38, s24, v38
	v_and_or_b32 v34, v34, s25, s4
	s_mov_b32 s87, -1
	s_mov_b32 s88, 0
	s_cmp_eq_u64 s[10:11], 0
	s_mov_b32 s4, 0
	s_mov_b32 s7, -1
	s_wait_dscnt 0x0
	s_barrier_signal -1
	s_barrier_wait -1
                                        ; implicit-def: $vgpr7
	s_cbranch_scc1 .LBB201_218
; %bb.202:                              ;   in Loop: Header=BB201_31 Depth=1
	s_add_nc_u64 s[20:21], s[10:11], s[64:65]
	s_delay_alu instid0(SALU_CYCLE_1) | instskip(NEXT) | instid1(SALU_CYCLE_1)
	s_and_b64 s[22:23], s[20:21], 0xffffffff00000000
	s_cmp_lg_u64 s[22:23], 0
	s_cbranch_scc0 .LBB201_251
; %bb.203:                              ;   in Loop: Header=BB201_31 Depth=1
	s_cvt_f32_u32 s4, s40
	s_sub_nc_u64 s[70:71], 0, s[40:41]
	s_delay_alu instid0(SALU_CYCLE_2) | instskip(NEXT) | instid1(SALU_CYCLE_3)
	s_fmamk_f32 s4, s102, 0x0, s4
	v_s_rcp_f32 s4, s4
	s_delay_alu instid0(TRANS32_DEP_1) | instskip(NEXT) | instid1(SALU_CYCLE_3)
	s_mul_f32 s4, s4, 0x5f7ffffc
	s_mul_f32 s7, s4, 0x2f800000
	s_delay_alu instid0(SALU_CYCLE_3) | instskip(NEXT) | instid1(SALU_CYCLE_3)
	s_trunc_f32 s7, s7
	s_fmamk_f32 s4, s7, 0xcf800000, s4
	s_cvt_u32_f32 s23, s7
	s_delay_alu instid0(SALU_CYCLE_2) | instskip(NEXT) | instid1(SALU_CYCLE_3)
	s_cvt_u32_f32 s22, s4
	s_mul_u64 s[92:93], s[70:71], s[22:23]
	s_delay_alu instid0(SALU_CYCLE_1)
	s_mul_hi_u32 s73, s22, s93
	s_mul_i32 s72, s22, s93
	s_mul_hi_u32 s28, s22, s92
	s_mul_i32 s7, s23, s92
	s_add_nc_u64 s[72:73], s[28:29], s[72:73]
	s_mul_hi_u32 s4, s23, s92
	s_mul_hi_u32 s74, s23, s93
	s_add_co_u32 s7, s72, s7
	s_add_co_ci_u32 s28, s73, s4
	s_mul_i32 s92, s23, s93
	s_add_co_ci_u32 s93, s74, 0
	s_delay_alu instid0(SALU_CYCLE_1) | instskip(NEXT) | instid1(SALU_CYCLE_1)
	s_add_nc_u64 s[72:73], s[28:29], s[92:93]
	s_add_co_u32 s22, s22, s72
	s_cselect_b32 s4, -1, 0
	s_delay_alu instid0(SALU_CYCLE_1) | instskip(SKIP_1) | instid1(SALU_CYCLE_1)
	s_cmp_lg_u32 s4, 0
	s_add_co_ci_u32 s23, s23, s73
	s_mul_u64 s[70:71], s[70:71], s[22:23]
	s_delay_alu instid0(SALU_CYCLE_1)
	s_mul_hi_u32 s73, s22, s71
	s_mul_i32 s72, s22, s71
	s_mul_hi_u32 s28, s22, s70
	s_mul_i32 s7, s23, s70
	s_add_nc_u64 s[72:73], s[28:29], s[72:73]
	s_mul_hi_u32 s4, s23, s70
	s_mul_hi_u32 s74, s23, s71
	s_add_co_u32 s7, s72, s7
	s_add_co_ci_u32 s28, s73, s4
	s_mul_i32 s70, s23, s71
	s_add_co_ci_u32 s71, s74, 0
	s_delay_alu instid0(SALU_CYCLE_1) | instskip(NEXT) | instid1(SALU_CYCLE_1)
	s_add_nc_u64 s[70:71], s[28:29], s[70:71]
	s_add_co_u32 s4, s22, s70
	s_cselect_b32 s7, -1, 0
	s_mul_hi_u32 s28, s20, s4
	s_cmp_lg_u32 s7, 0
	s_mul_hi_u32 s7, s21, s4
	s_add_co_ci_u32 s70, s23, s71
	s_mul_i32 s4, s21, s4
	s_mul_hi_u32 s23, s20, s70
	s_mul_i32 s22, s20, s70
	s_mul_hi_u32 s71, s21, s70
	s_add_nc_u64 s[22:23], s[28:29], s[22:23]
	s_mul_i32 s70, s21, s70
	s_add_co_u32 s4, s22, s4
	s_add_co_ci_u32 s28, s23, s7
	s_add_co_ci_u32 s71, s71, 0
	s_delay_alu instid0(SALU_CYCLE_1) | instskip(NEXT) | instid1(SALU_CYCLE_1)
	s_add_nc_u64 s[22:23], s[28:29], s[70:71]
	s_and_b64 s[70:71], s[22:23], 0xffffffff00000000
	s_delay_alu instid0(SALU_CYCLE_1) | instskip(NEXT) | instid1(SALU_CYCLE_1)
	s_or_b32 s70, s70, s22
	s_mul_u64 s[22:23], s[40:41], s[70:71]
	s_delay_alu instid0(SALU_CYCLE_1) | instskip(SKIP_1) | instid1(SALU_CYCLE_1)
	s_sub_co_u32 s4, s20, s22
	s_cselect_b32 s7, -1, 0
	s_cmp_lg_u32 s7, 0
	s_sub_co_ci_u32 s7, s21, s23
	s_sub_co_u32 s22, s4, s40
	s_cselect_b32 s23, -1, 0
	s_delay_alu instid0(SALU_CYCLE_1) | instskip(SKIP_3) | instid1(SALU_CYCLE_1)
	s_cmp_lg_u32 s23, 0
	s_sub_co_ci_u32 s23, s7, 0
	s_sub_co_u32 s28, s22, s40
	s_cselect_b32 s70, -1, 0
	s_cmp_lg_u32 s70, 0
	s_sub_co_ci_u32 s70, s23, 0
	s_cmp_ge_u32 s22, s40
	s_cselect_b32 s71, -1, 0
	s_cmp_eq_u32 s23, 0
	s_cselect_b32 s71, s71, -1
	s_delay_alu instid0(SALU_CYCLE_1)
	s_cmp_lg_u32 s71, 0
	s_cselect_b32 s23, s70, s23
	s_cselect_b32 s22, s28, s22
	s_cmp_ge_u32 s4, s40
	s_cselect_b32 s28, -1, 0
	s_cmp_eq_u32 s7, 0
	s_cselect_b32 s28, s28, -1
	s_delay_alu instid0(SALU_CYCLE_1)
	s_cmp_lg_u32 s28, 0
	s_cselect_b32 s23, s23, s7
	s_cselect_b32 s22, s22, s4
	s_cbranch_execnz .LBB201_205
.LBB201_204:                            ;   in Loop: Header=BB201_31 Depth=1
	v_cvt_f32_u32_e32 v4, s40
	s_sub_co_i32 s7, 0, s40
	s_delay_alu instid0(VALU_DEP_1) | instskip(SKIP_1) | instid1(TRANS32_DEP_1)
	v_rcp_iflag_f32_e32 v4, v4
	v_nop
	v_mul_f32_e32 v4, 0x4f7ffffe, v4
	s_delay_alu instid0(VALU_DEP_1) | instskip(NEXT) | instid1(VALU_DEP_1)
	v_cvt_u32_f32_e32 v4, v4
	v_readfirstlane_b32 s4, v4
	s_mul_i32 s7, s7, s4
	s_delay_alu instid0(SALU_CYCLE_1) | instskip(NEXT) | instid1(SALU_CYCLE_1)
	s_mul_hi_u32 s7, s4, s7
	s_add_co_i32 s4, s4, s7
	s_delay_alu instid0(SALU_CYCLE_1) | instskip(NEXT) | instid1(SALU_CYCLE_1)
	s_mul_hi_u32 s4, s20, s4
	s_mul_i32 s4, s4, s40
	s_delay_alu instid0(SALU_CYCLE_1) | instskip(NEXT) | instid1(SALU_CYCLE_1)
	s_sub_co_i32 s4, s20, s4
	s_sub_co_i32 s7, s4, s40
	s_cmp_ge_u32 s4, s40
	s_cselect_b32 s4, s7, s4
	s_delay_alu instid0(SALU_CYCLE_1) | instskip(SKIP_2) | instid1(SALU_CYCLE_1)
	s_sub_co_i32 s7, s4, s40
	s_cmp_ge_u32 s4, s40
	s_cselect_b32 s28, s7, s4
	s_mov_b64 s[22:23], s[28:29]
.LBB201_205:                            ;   in Loop: Header=BB201_31 Depth=1
	s_delay_alu instid0(SALU_CYCLE_1)
	s_sub_nc_u64 s[20:21], s[20:21], s[22:23]
	s_mov_b32 s7, 0
	s_mov_b32 s4, 0
	s_mov_b32 s22, exec_lo
                                        ; implicit-def: $vgpr7
	v_cmpx_gt_u64_e64 s[20:21], v[0:1]
	s_cbranch_execz .LBB201_217
; %bb.206:                              ;   in Loop: Header=BB201_31 Depth=1
	v_mov_b64_e32 v[4:5], v[0:1]
	v_mov_b32_e32 v10, v16
                                        ; implicit-def: $sgpr23
	s_branch .LBB201_210
.LBB201_207:                            ;   in Loop: Header=BB201_210 Depth=2
	s_or_b32 exec_lo, exec_lo, s28
	s_wait_dscnt 0x0
	s_barrier_signal -1
	s_barrier_wait -1
	ds_load_b64 v[6:7], v3 offset:3072
	s_wait_dscnt 0x0
	s_barrier_signal -1
	s_barrier_wait -1
	v_cmp_neq_f32_e32 vcc_lo, 0, v6
	s_cbranch_vccnz .LBB201_213
; %bb.208:                              ;   in Loop: Header=BB201_210 Depth=2
	v_add_nc_u64_e32 v[4:5], s[40:41], v[4:5]
	v_add_nc_u32_e32 v10, s101, v10
	s_mov_b32 s28, 0
	s_delay_alu instid0(VALU_DEP_2)
	v_cmp_le_u64_e32 vcc_lo, s[20:21], v[4:5]
	s_or_not1_b32 s70, vcc_lo, exec_lo
.LBB201_209:                            ;   in Loop: Header=BB201_210 Depth=2
	s_delay_alu instid0(SALU_CYCLE_1) | instskip(NEXT) | instid1(SALU_CYCLE_1)
	s_and_b32 s70, exec_lo, s70
	s_or_b32 s4, s70, s4
	s_and_not1_b32 s23, s23, exec_lo
	s_and_b32 s28, s28, exec_lo
	s_delay_alu instid0(SALU_CYCLE_1)
	s_or_b32 s23, s23, s28
	s_and_not1_b32 exec_lo, exec_lo, s4
	s_cbranch_execz .LBB201_216
.LBB201_210:                            ;   Parent Loop BB201_31 Depth=1
                                        ; =>  This Inner Loop Header: Depth=2
	s_mov_b32 s28, exec_lo
	s_delay_alu instid0(VALU_DEP_2)
	v_cmpx_gt_u64_e64 s[10:11], v[4:5]
	s_cbranch_execz .LBB201_207
; %bb.211:                              ;   in Loop: Header=BB201_210 Depth=2
	ds_load_b32 v33, v10
	s_wait_dscnt 0x0
	v_cmp_lt_i32_e32 vcc_lo, -1, v33
	v_cndmask_b32_e64 v6, -1, 0x80000000, vcc_lo
	v_cmp_o_f32_e32 vcc_lo, v33, v33
	s_delay_alu instid0(VALU_DEP_2) | instskip(NEXT) | instid1(VALU_DEP_1)
	v_xor_b32_e32 v6, v6, v33
	v_cndmask_b32_e32 v6, -1, v6, vcc_lo
	s_delay_alu instid0(VALU_DEP_1) | instskip(NEXT) | instid1(VALU_DEP_1)
	v_and_b32_e32 v6, v6, v38
	v_cmp_eq_u32_e32 vcc_lo, v6, v34
	s_and_b32 exec_lo, exec_lo, vcc_lo
	s_cbranch_execz .LBB201_207
; %bb.212:                              ;   in Loop: Header=BB201_210 Depth=2
	ds_store_b64 v3, v[32:33] offset:3072
	s_branch .LBB201_207
.LBB201_213:                            ;   in Loop: Header=BB201_210 Depth=2
	s_mov_b32 s70, -1
	s_mov_b32 s28, -1
                                        ; implicit-def: $vgpr4_vgpr5
                                        ; implicit-def: $vgpr10
	s_branch .LBB201_209
.LBB201_214:                            ;   in Loop: Header=BB201_31 Depth=1
                                        ; implicit-def: $sgpr22_sgpr23
	s_branch .LBB201_157
.LBB201_215:                            ;   in Loop: Header=BB201_31 Depth=1
                                        ; implicit-def: $sgpr10_sgpr11
	s_branch .LBB201_174
.LBB201_216:                            ;   in Loop: Header=BB201_31 Depth=1
	s_or_b32 exec_lo, exec_lo, s4
	s_delay_alu instid0(SALU_CYCLE_1)
	s_and_b32 s4, s23, exec_lo
.LBB201_217:                            ;   in Loop: Header=BB201_31 Depth=1
	s_or_b32 exec_lo, exec_lo, s22
.LBB201_218:                            ;   in Loop: Header=BB201_31 Depth=1
	s_delay_alu instid0(SALU_CYCLE_1)
	s_and_b32 vcc_lo, exec_lo, s7
	s_cbranch_vccz .LBB201_233
; %bb.219:                              ;   in Loop: Header=BB201_31 Depth=1
	s_and_b64 s[10:11], s[66:67], 0xffffffff00000000
	s_delay_alu instid0(SALU_CYCLE_1)
	s_cmp_lg_u64 s[10:11], 0
	s_cbranch_scc0 .LBB201_252
; %bb.220:                              ;   in Loop: Header=BB201_31 Depth=1
	s_cvt_f32_u32 s7, s40
	s_sub_nc_u64 s[20:21], 0, s[40:41]
	s_delay_alu instid0(SALU_CYCLE_2) | instskip(NEXT) | instid1(SALU_CYCLE_3)
	s_fmamk_f32 s7, s102, 0x0, s7
	v_s_rcp_f32 s7, s7
	s_delay_alu instid0(TRANS32_DEP_1) | instskip(NEXT) | instid1(SALU_CYCLE_3)
	s_mul_f32 s7, s7, 0x5f7ffffc
	s_mul_f32 s10, s7, 0x2f800000
	s_delay_alu instid0(SALU_CYCLE_3) | instskip(NEXT) | instid1(SALU_CYCLE_3)
	s_trunc_f32 s10, s10
	s_fmamk_f32 s7, s10, 0xcf800000, s7
	s_cvt_u32_f32 s11, s10
	s_delay_alu instid0(SALU_CYCLE_2) | instskip(NEXT) | instid1(SALU_CYCLE_3)
	s_cvt_u32_f32 s10, s7
	s_mul_u64 s[22:23], s[20:21], s[10:11]
	s_delay_alu instid0(SALU_CYCLE_1)
	s_mul_hi_u32 s71, s10, s23
	s_mul_i32 s70, s10, s23
	s_mul_hi_u32 s28, s10, s22
	s_mul_i32 s72, s11, s22
	s_add_nc_u64 s[70:71], s[28:29], s[70:71]
	s_mul_hi_u32 s7, s11, s22
	s_mul_hi_u32 s73, s11, s23
	s_mul_i32 s22, s11, s23
	s_add_co_u32 s23, s70, s72
	s_add_co_ci_u32 s28, s71, s7
	s_add_co_ci_u32 s23, s73, 0
	s_delay_alu instid0(SALU_CYCLE_1) | instskip(NEXT) | instid1(SALU_CYCLE_1)
	s_add_nc_u64 s[22:23], s[28:29], s[22:23]
	s_add_co_u32 s10, s10, s22
	s_cselect_b32 s7, -1, 0
	s_delay_alu instid0(SALU_CYCLE_1) | instskip(SKIP_1) | instid1(SALU_CYCLE_1)
	s_cmp_lg_u32 s7, 0
	s_add_co_ci_u32 s11, s11, s23
	s_mul_u64 s[20:21], s[20:21], s[10:11]
	s_delay_alu instid0(SALU_CYCLE_1)
	s_mul_hi_u32 s23, s10, s21
	s_mul_i32 s22, s10, s21
	s_mul_hi_u32 s28, s10, s20
	s_mul_i32 s70, s11, s20
	s_add_nc_u64 s[22:23], s[28:29], s[22:23]
	s_mul_hi_u32 s7, s11, s20
	s_mul_hi_u32 s71, s11, s21
	s_mul_i32 s20, s11, s21
	s_add_co_u32 s21, s22, s70
	s_add_co_ci_u32 s28, s23, s7
	s_add_co_ci_u32 s21, s71, 0
	s_delay_alu instid0(SALU_CYCLE_1) | instskip(NEXT) | instid1(SALU_CYCLE_1)
	s_add_nc_u64 s[20:21], s[28:29], s[20:21]
	s_add_co_u32 s7, s10, s20
	s_cselect_b32 s10, -1, 0
	s_mul_hi_u32 s28, s66, s7
	s_cmp_lg_u32 s10, 0
	s_mul_hi_u32 s22, s67, s7
	s_add_co_ci_u32 s20, s11, s21
	s_mul_i32 s7, s67, s7
	s_mul_hi_u32 s11, s66, s20
	s_mul_i32 s10, s66, s20
	s_mul_hi_u32 s21, s67, s20
	s_add_nc_u64 s[10:11], s[28:29], s[10:11]
	s_mul_i32 s20, s67, s20
	s_add_co_u32 s7, s10, s7
	s_add_co_ci_u32 s28, s11, s22
	s_add_co_ci_u32 s21, s21, 0
	s_delay_alu instid0(SALU_CYCLE_1) | instskip(NEXT) | instid1(SALU_CYCLE_1)
	s_add_nc_u64 s[10:11], s[28:29], s[20:21]
	s_and_b64 s[20:21], s[10:11], 0xffffffff00000000
	s_delay_alu instid0(SALU_CYCLE_1) | instskip(NEXT) | instid1(SALU_CYCLE_1)
	s_or_b32 s20, s20, s10
	s_mul_u64 s[10:11], s[40:41], s[20:21]
	s_delay_alu instid0(SALU_CYCLE_1) | instskip(SKIP_1) | instid1(SALU_CYCLE_1)
	s_sub_co_u32 s7, s66, s10
	s_cselect_b32 s10, -1, 0
	s_cmp_lg_u32 s10, 0
	s_sub_co_ci_u32 s10, s67, s11
	s_sub_co_u32 s11, s7, s40
	s_cselect_b32 s20, -1, 0
	s_delay_alu instid0(SALU_CYCLE_1) | instskip(SKIP_3) | instid1(SALU_CYCLE_1)
	s_cmp_lg_u32 s20, 0
	s_sub_co_ci_u32 s20, s10, 0
	s_sub_co_u32 s21, s11, s40
	s_cselect_b32 s22, -1, 0
	s_cmp_lg_u32 s22, 0
	s_sub_co_ci_u32 s22, s20, 0
	s_cmp_ge_u32 s11, s40
	s_cselect_b32 s23, -1, 0
	s_cmp_eq_u32 s20, 0
	s_cselect_b32 s23, s23, -1
	s_delay_alu instid0(SALU_CYCLE_1)
	s_cmp_lg_u32 s23, 0
	s_cselect_b32 s20, s22, s20
	s_cselect_b32 s21, s21, s11
	s_cmp_ge_u32 s7, s40
	s_cselect_b32 s11, -1, 0
	s_cmp_eq_u32 s10, 0
	s_cselect_b32 s11, s11, -1
	s_delay_alu instid0(SALU_CYCLE_1)
	s_cmp_lg_u32 s11, 0
	s_cselect_b32 s11, s20, s10
	s_cselect_b32 s10, s21, s7
	s_cbranch_execnz .LBB201_222
.LBB201_221:                            ;   in Loop: Header=BB201_31 Depth=1
	v_cvt_f32_u32_e32 v4, s40
	s_sub_co_i32 s10, 0, s40
	s_delay_alu instid0(VALU_DEP_1) | instskip(SKIP_1) | instid1(TRANS32_DEP_1)
	v_rcp_iflag_f32_e32 v4, v4
	v_nop
	v_mul_f32_e32 v4, 0x4f7ffffe, v4
	s_delay_alu instid0(VALU_DEP_1) | instskip(NEXT) | instid1(VALU_DEP_1)
	v_cvt_u32_f32_e32 v4, v4
	v_readfirstlane_b32 s7, v4
	s_mul_i32 s10, s10, s7
	s_delay_alu instid0(SALU_CYCLE_1) | instskip(NEXT) | instid1(SALU_CYCLE_1)
	s_mul_hi_u32 s10, s7, s10
	s_add_co_i32 s7, s7, s10
	s_delay_alu instid0(SALU_CYCLE_1) | instskip(NEXT) | instid1(SALU_CYCLE_1)
	s_mul_hi_u32 s7, s66, s7
	s_mul_i32 s7, s7, s40
	s_delay_alu instid0(SALU_CYCLE_1) | instskip(NEXT) | instid1(SALU_CYCLE_1)
	s_sub_co_i32 s7, s66, s7
	s_sub_co_i32 s10, s7, s40
	s_cmp_ge_u32 s7, s40
	s_cselect_b32 s7, s10, s7
	s_delay_alu instid0(SALU_CYCLE_1) | instskip(SKIP_2) | instid1(SALU_CYCLE_1)
	s_sub_co_i32 s10, s7, s40
	s_cmp_ge_u32 s7, s40
	s_cselect_b32 s28, s10, s7
	s_mov_b64 s[10:11], s[28:29]
.LBB201_222:                            ;   in Loop: Header=BB201_31 Depth=1
	s_delay_alu instid0(SALU_CYCLE_1)
	s_sub_nc_u64 s[10:11], s[66:67], s[10:11]
	s_mov_b32 s7, exec_lo
                                        ; implicit-def: $vgpr7
	v_cmpx_gt_u64_e64 s[10:11], v[0:1]
	s_cbranch_execz .LBB201_232
; %bb.223:                              ;   in Loop: Header=BB201_31 Depth=1
	v_mov_b64_e32 v[4:5], v[30:31]
	v_mov_b64_e32 v[10:11], v[0:1]
	s_mov_b32 s20, 0
                                        ; implicit-def: $sgpr21
	s_branch .LBB201_227
.LBB201_224:                            ;   in Loop: Header=BB201_227 Depth=2
	s_or_b32 exec_lo, exec_lo, s22
	s_wait_dscnt 0x0
	s_barrier_signal -1
	s_barrier_wait -1
	ds_load_b64 v[6:7], v3 offset:3072
	s_wait_dscnt 0x0
	s_barrier_signal -1
	s_barrier_wait -1
	v_cmp_eq_f32_e32 vcc_lo, 0, v6
	s_cbranch_vccz .LBB201_230
; %bb.225:                              ;   in Loop: Header=BB201_227 Depth=2
	v_add_nc_u64_e32 v[10:11], s[40:41], v[10:11]
	v_add_nc_u64_e32 v[4:5], s[44:45], v[4:5]
	s_mov_b32 s22, 0
	s_delay_alu instid0(VALU_DEP_2)
	v_cmp_le_u64_e32 vcc_lo, s[10:11], v[10:11]
	s_or_not1_b32 s23, vcc_lo, exec_lo
.LBB201_226:                            ;   in Loop: Header=BB201_227 Depth=2
	s_delay_alu instid0(SALU_CYCLE_1) | instskip(NEXT) | instid1(SALU_CYCLE_1)
	s_and_b32 s23, exec_lo, s23
	s_or_b32 s20, s23, s20
	s_and_not1_b32 s21, s21, exec_lo
	s_and_b32 s22, s22, exec_lo
	s_delay_alu instid0(SALU_CYCLE_1)
	s_or_b32 s21, s21, s22
	s_and_not1_b32 exec_lo, exec_lo, s20
	s_cbranch_execz .LBB201_231
.LBB201_227:                            ;   Parent Loop BB201_31 Depth=1
                                        ; =>  This Inner Loop Header: Depth=2
	s_mov_b32 s22, exec_lo
	s_delay_alu instid0(VALU_DEP_1)
	v_cmpx_gt_u64_e64 s[36:37], v[10:11]
	s_cbranch_execz .LBB201_224
; %bb.228:                              ;   in Loop: Header=BB201_227 Depth=2
	global_load_b32 v33, v[4:5], off
	s_wait_loadcnt 0x0
	v_cmp_lt_i32_e32 vcc_lo, -1, v33
	v_cndmask_b32_e64 v6, -1, 0x80000000, vcc_lo
	v_cmp_o_f32_e32 vcc_lo, v33, v33
	s_delay_alu instid0(VALU_DEP_2) | instskip(NEXT) | instid1(VALU_DEP_1)
	v_xor_b32_e32 v6, v6, v33
	v_cndmask_b32_e32 v6, -1, v6, vcc_lo
	s_delay_alu instid0(VALU_DEP_1) | instskip(NEXT) | instid1(VALU_DEP_1)
	v_and_b32_e32 v6, v6, v38
	v_cmp_eq_u32_e32 vcc_lo, v6, v34
	s_and_b32 exec_lo, exec_lo, vcc_lo
	s_cbranch_execz .LBB201_224
; %bb.229:                              ;   in Loop: Header=BB201_227 Depth=2
	ds_store_b64 v3, v[32:33] offset:3072
	s_branch .LBB201_224
.LBB201_230:                            ;   in Loop: Header=BB201_227 Depth=2
	s_mov_b32 s23, -1
	s_mov_b32 s22, -1
                                        ; implicit-def: $vgpr10_vgpr11
                                        ; implicit-def: $vgpr4_vgpr5
	s_branch .LBB201_226
.LBB201_231:                            ;   in Loop: Header=BB201_31 Depth=1
	s_or_b32 exec_lo, exec_lo, s20
	s_delay_alu instid0(SALU_CYCLE_1) | instskip(SKIP_1) | instid1(SALU_CYCLE_1)
	s_and_not1_b32 s4, s4, exec_lo
	s_and_b32 s10, s21, exec_lo
	s_or_b32 s4, s4, s10
.LBB201_232:                            ;   in Loop: Header=BB201_31 Depth=1
	s_or_b32 exec_lo, exec_lo, s7
	s_mov_b32 s87, 0
	s_mov_b32 s88, -1
.LBB201_233:                            ;   in Loop: Header=BB201_31 Depth=1
	s_or_not1_b32 s4, s4, exec_lo
.LBB201_234:                            ;   in Loop: Header=BB201_31 Depth=1
	s_or_b32 exec_lo, exec_lo, s89
	s_mov_b32 s7, 0
	s_and_saveexec_b32 s89, s4
	s_cbranch_execz .LBB201_298
; %bb.235:                              ;   in Loop: Header=BB201_31 Depth=1
	v_mov_b64_e32 v[4:5], 1
	v_mov_b32_e32 v2, 1
	s_xor_b32 s7, s90, -1
	s_mov_b32 s10, 0
	s_and_saveexec_b32 s4, s7
	s_cbranch_execz .LBB201_244
; %bb.236:                              ;   in Loop: Header=BB201_31 Depth=1
	s_mov_b32 s7, exec_lo
	v_cmpx_ge_u64_e64 s[16:17], v[8:9]
	s_xor_b32 s7, exec_lo, s7
	s_cbranch_execz .LBB201_241
; %bb.237:                              ;   in Loop: Header=BB201_31 Depth=1
	ds_load_b64 v[4:5], v3 offset:5120
	s_lshl_b32 s10, 2, s103
	v_or_b32_e32 v38, s24, v38
	v_and_or_b32 v34, v34, s25, s10
	s_wait_dscnt 0x0
	v_cmp_ne_u64_e32 vcc_lo, 0, v[4:5]
	s_cbranch_vccnz .LBB201_241
; %bb.238:                              ;   in Loop: Header=BB201_31 Depth=1
	s_and_saveexec_b32 s10, s5
; %bb.239:                              ;   in Loop: Header=BB201_31 Depth=1
	v_mov_b64_e32 v[4:5], s[16:17]
	ds_store_b64 v3, v[4:5] offset:5128
; %bb.240:                              ;   in Loop: Header=BB201_31 Depth=1
	s_or_b32 exec_lo, exec_lo, s10
	s_wait_dscnt 0x0
	s_barrier_signal -1
	s_barrier_wait -1
.LBB201_241:                            ;   in Loop: Header=BB201_31 Depth=1
	s_or_saveexec_b32 s7, s7
	v_mov_b32_e32 v2, 8
	s_mov_b32 s10, 0
	s_xor_b32 exec_lo, exec_lo, s7
; %bb.242:                              ;   in Loop: Header=BB201_31 Depth=1
	v_sub_nc_u64_e64 v[8:9], v[8:9], s[16:17]
	v_mov_b32_e32 v2, 0
	s_mov_b32 s10, exec_lo
; %bb.243:                              ;   in Loop: Header=BB201_31 Depth=1
	s_or_b32 exec_lo, exec_lo, s7
	s_delay_alu instid0(VALU_DEP_2)
	v_mov_b64_e32 v[4:5], v[8:9]
	s_and_b32 s10, s10, exec_lo
.LBB201_244:                            ;   in Loop: Header=BB201_31 Depth=1
	s_or_b32 exec_lo, exec_lo, s4
	s_mov_b32 s7, -1
                                        ; implicit-def: $sgpr4
                                        ; implicit-def: $sgpr93
	s_and_saveexec_b32 s90, s10
	s_cbranch_execz .LBB201_297
; %bb.245:                              ;   in Loop: Header=BB201_31 Depth=1
	s_delay_alu instid0(VALU_DEP_1) | instskip(SKIP_3) | instid1(SALU_CYCLE_1)
	v_cmp_eq_u64_e32 vcc_lo, 1, v[4:5]
	s_cmp_eq_u64 s[18:19], 1
	s_mov_b32 s10, -1
	s_cselect_b32 s4, -1, 0
                                        ; implicit-def: $sgpr93
	s_and_b32 s91, s4, vcc_lo
                                        ; implicit-def: $sgpr4
	s_delay_alu instid0(SALU_CYCLE_1)
	s_and_saveexec_b32 s92, s91
	s_cbranch_execz .LBB201_285
; %bb.246:                              ;   in Loop: Header=BB201_31 Depth=1
	ds_load_b64 v[6:7], v3 offset:5120
	s_wait_dscnt 0x0
	s_barrier_signal -1
	s_barrier_wait -1
	v_readfirstlane_b32 s10, v6
	v_readfirstlane_b32 s11, v7
	s_and_saveexec_b32 s4, s6
; %bb.247:                              ;   in Loop: Header=BB201_31 Depth=1
	ds_store_b32 v50, v3
; %bb.248:                              ;   in Loop: Header=BB201_31 Depth=1
	s_or_b32 exec_lo, exec_lo, s4
	v_or_b32_e32 v34, s24, v34
	v_or_b32_e32 v38, s24, v38
	s_mov_b32 s93, -1
	s_mov_b32 s4, 0
	s_cmp_eq_u64 s[10:11], 0
	s_mov_b32 s22, 0
	s_wait_dscnt 0x0
	s_barrier_signal -1
	s_barrier_wait -1
                                        ; implicit-def: $vgpr7
	s_cbranch_scc1 .LBB201_267
; %bb.249:                              ;   in Loop: Header=BB201_31 Depth=1
	s_add_nc_u64 s[20:21], s[10:11], s[64:65]
	v_writelane_b32 v62, s97, 19
	s_and_b64 s[22:23], s[20:21], 0xffffffff00000000
	s_delay_alu instid0(SALU_CYCLE_1)
	s_cmp_lg_u64 s[22:23], 0
	s_cbranch_scc0 .LBB201_253
; %bb.250:                              ;   in Loop: Header=BB201_31 Depth=1
	s_cvt_f32_u32 s7, s40
	s_sub_nc_u64 s[70:71], 0, s[40:41]
	s_delay_alu instid0(SALU_CYCLE_2) | instskip(NEXT) | instid1(SALU_CYCLE_3)
	s_fmamk_f32 s7, s102, 0x0, s7
	v_s_rcp_f32 s7, s7
	s_delay_alu instid0(TRANS32_DEP_1) | instskip(NEXT) | instid1(SALU_CYCLE_3)
	s_mul_f32 s7, s7, 0x5f7ffffc
	s_mul_f32 s22, s7, 0x2f800000
	s_delay_alu instid0(SALU_CYCLE_3) | instskip(NEXT) | instid1(SALU_CYCLE_3)
	s_trunc_f32 s22, s22
	s_fmamk_f32 s7, s22, 0xcf800000, s7
	s_cvt_u32_f32 s23, s22
	s_delay_alu instid0(SALU_CYCLE_2) | instskip(NEXT) | instid1(SALU_CYCLE_3)
	s_cvt_u32_f32 s22, s7
	s_mul_u64 s[72:73], s[70:71], s[22:23]
	s_delay_alu instid0(SALU_CYCLE_1)
	s_mul_hi_u32 s75, s22, s73
	s_mul_i32 s74, s22, s73
	s_mul_hi_u32 s28, s22, s72
	s_mul_i32 vcc_lo, s23, s72
	s_add_nc_u64 s[74:75], s[28:29], s[74:75]
	s_mul_hi_u32 s7, s23, s72
	s_mul_hi_u32 s97, s23, s73
	s_add_co_u32 s28, s74, vcc_lo
	s_add_co_ci_u32 s28, s75, s7
	s_mul_i32 s72, s23, s73
	s_add_co_ci_u32 s73, s97, 0
	s_delay_alu instid0(SALU_CYCLE_1) | instskip(NEXT) | instid1(SALU_CYCLE_1)
	s_add_nc_u64 s[72:73], s[28:29], s[72:73]
	s_add_co_u32 s22, s22, s72
	s_cselect_b32 s7, -1, 0
	s_delay_alu instid0(SALU_CYCLE_1) | instskip(SKIP_1) | instid1(SALU_CYCLE_1)
	s_cmp_lg_u32 s7, 0
	s_add_co_ci_u32 s23, s23, s73
	s_mul_u64 s[70:71], s[70:71], s[22:23]
	s_delay_alu instid0(SALU_CYCLE_1)
	s_mul_hi_u32 s73, s22, s71
	s_mul_i32 s72, s22, s71
	s_mul_hi_u32 s28, s22, s70
	s_mul_i32 s74, s23, s70
	s_add_nc_u64 s[72:73], s[28:29], s[72:73]
	s_mul_hi_u32 s7, s23, s70
	s_mul_hi_u32 s75, s23, s71
	s_add_co_u32 s28, s72, s74
	s_add_co_ci_u32 s28, s73, s7
	s_mul_i32 s70, s23, s71
	s_add_co_ci_u32 s71, s75, 0
	s_delay_alu instid0(SALU_CYCLE_1) | instskip(NEXT) | instid1(SALU_CYCLE_1)
	s_add_nc_u64 s[70:71], s[28:29], s[70:71]
	s_add_co_u32 s7, s22, s70
	s_cselect_b32 s22, -1, 0
	s_mul_hi_u32 s28, s20, s7
	s_cmp_lg_u32 s22, 0
	s_mul_hi_u32 s72, s21, s7
	s_add_co_ci_u32 s70, s23, s71
	s_mul_i32 s7, s21, s7
	s_mul_hi_u32 s23, s20, s70
	s_mul_i32 s22, s20, s70
	s_mul_hi_u32 s71, s21, s70
	s_add_nc_u64 s[22:23], s[28:29], s[22:23]
	s_mul_i32 s70, s21, s70
	s_add_co_u32 s7, s22, s7
	s_add_co_ci_u32 s28, s23, s72
	s_add_co_ci_u32 s71, s71, 0
	s_delay_alu instid0(SALU_CYCLE_1) | instskip(NEXT) | instid1(SALU_CYCLE_1)
	s_add_nc_u64 s[22:23], s[28:29], s[70:71]
	s_and_b64 s[70:71], s[22:23], 0xffffffff00000000
	s_delay_alu instid0(SALU_CYCLE_1) | instskip(NEXT) | instid1(SALU_CYCLE_1)
	s_or_b32 s70, s70, s22
	s_mul_u64 s[22:23], s[40:41], s[70:71]
	s_delay_alu instid0(SALU_CYCLE_1) | instskip(SKIP_1) | instid1(SALU_CYCLE_1)
	s_sub_co_u32 s7, s20, s22
	s_cselect_b32 s22, -1, 0
	s_cmp_lg_u32 s22, 0
	s_sub_co_ci_u32 s22, s21, s23
	s_sub_co_u32 s23, s7, s40
	s_cselect_b32 s28, -1, 0
	s_delay_alu instid0(SALU_CYCLE_1) | instskip(SKIP_3) | instid1(SALU_CYCLE_1)
	s_cmp_lg_u32 s28, 0
	s_sub_co_ci_u32 s28, s22, 0
	s_sub_co_u32 s70, s23, s40
	s_cselect_b32 s71, -1, 0
	s_cmp_lg_u32 s71, 0
	s_sub_co_ci_u32 s71, s28, 0
	s_cmp_ge_u32 s23, s40
	s_cselect_b32 s72, -1, 0
	s_cmp_eq_u32 s28, 0
	s_cselect_b32 s72, s72, -1
	s_delay_alu instid0(SALU_CYCLE_1)
	s_cmp_lg_u32 s72, 0
	s_cselect_b32 s28, s71, s28
	s_cselect_b32 s70, s70, s23
	s_cmp_ge_u32 s7, s40
	s_cselect_b32 s23, -1, 0
	s_cmp_eq_u32 s22, 0
	s_cselect_b32 s23, s23, -1
	s_delay_alu instid0(SALU_CYCLE_1)
	s_cmp_lg_u32 s23, 0
	s_cselect_b32 s23, s28, s22
	s_cselect_b32 s22, s70, s7
	s_mov_b32 s7, 0
	s_branch .LBB201_254
.LBB201_251:                            ;   in Loop: Header=BB201_31 Depth=1
                                        ; implicit-def: $sgpr22_sgpr23
	s_branch .LBB201_204
.LBB201_252:                            ;   in Loop: Header=BB201_31 Depth=1
                                        ; implicit-def: $sgpr10_sgpr11
	s_branch .LBB201_221
.LBB201_253:                            ;   in Loop: Header=BB201_31 Depth=1
                                        ; implicit-def: $sgpr22_sgpr23
.LBB201_254:                            ;   in Loop: Header=BB201_31 Depth=1
	s_and_not1_b32 vcc_lo, exec_lo, s7
	s_cbranch_vccnz .LBB201_256
; %bb.255:                              ;   in Loop: Header=BB201_31 Depth=1
	v_cvt_f32_u32_e32 v6, s40
	s_sub_co_i32 s22, 0, s40
	s_delay_alu instid0(VALU_DEP_1) | instskip(SKIP_1) | instid1(TRANS32_DEP_1)
	v_rcp_iflag_f32_e32 v6, v6
	v_nop
	v_mul_f32_e32 v6, 0x4f7ffffe, v6
	s_delay_alu instid0(VALU_DEP_1) | instskip(NEXT) | instid1(VALU_DEP_1)
	v_cvt_u32_f32_e32 v6, v6
	v_readfirstlane_b32 s7, v6
	s_mul_i32 s22, s22, s7
	s_delay_alu instid0(SALU_CYCLE_1) | instskip(NEXT) | instid1(SALU_CYCLE_1)
	s_mul_hi_u32 s22, s7, s22
	s_add_co_i32 s7, s7, s22
	s_delay_alu instid0(SALU_CYCLE_1) | instskip(NEXT) | instid1(SALU_CYCLE_1)
	s_mul_hi_u32 s7, s20, s7
	s_mul_i32 s7, s7, s40
	s_delay_alu instid0(SALU_CYCLE_1) | instskip(NEXT) | instid1(SALU_CYCLE_1)
	s_sub_co_i32 s7, s20, s7
	s_sub_co_i32 s22, s7, s40
	s_cmp_ge_u32 s7, s40
	s_cselect_b32 s7, s22, s7
	s_delay_alu instid0(SALU_CYCLE_1) | instskip(SKIP_2) | instid1(SALU_CYCLE_1)
	s_sub_co_i32 s22, s7, s40
	s_cmp_ge_u32 s7, s40
	s_cselect_b32 s28, s22, s7
	s_mov_b64 s[22:23], s[28:29]
.LBB201_256:                            ;   in Loop: Header=BB201_31 Depth=1
	s_delay_alu instid0(SALU_CYCLE_1)
	s_sub_nc_u64 s[20:21], s[20:21], s[22:23]
	s_mov_b32 s7, 0
	s_mov_b32 s22, 0
	s_mov_b32 s23, exec_lo
                                        ; implicit-def: $vgpr7
	v_cmpx_gt_u64_e64 s[20:21], v[0:1]
	v_readlane_b32 s97, v62, 19
	s_cbranch_execz .LBB201_266
; %bb.257:                              ;   in Loop: Header=BB201_31 Depth=1
	v_mov_b64_e32 v[8:9], v[0:1]
	v_mov_b32_e32 v10, v16
                                        ; implicit-def: $sgpr28
	s_branch .LBB201_261
.LBB201_258:                            ;   in Loop: Header=BB201_261 Depth=2
	s_or_b32 exec_lo, exec_lo, s70
	s_wait_dscnt 0x0
	s_barrier_signal -1
	s_barrier_wait -1
	ds_load_b64 v[6:7], v3 offset:3072
	s_wait_dscnt 0x0
	s_barrier_signal -1
	s_barrier_wait -1
	v_cmp_neq_f32_e32 vcc_lo, 0, v6
	s_cbranch_vccnz .LBB201_264
; %bb.259:                              ;   in Loop: Header=BB201_261 Depth=2
	v_add_nc_u64_e32 v[8:9], s[40:41], v[8:9]
	v_add_nc_u32_e32 v10, s101, v10
	s_mov_b32 s70, 0
	s_delay_alu instid0(VALU_DEP_2)
	v_cmp_le_u64_e32 vcc_lo, s[20:21], v[8:9]
	s_or_not1_b32 s71, vcc_lo, exec_lo
.LBB201_260:                            ;   in Loop: Header=BB201_261 Depth=2
	s_delay_alu instid0(SALU_CYCLE_1) | instskip(NEXT) | instid1(SALU_CYCLE_1)
	s_and_b32 s71, exec_lo, s71
	s_or_b32 s22, s71, s22
	s_and_not1_b32 s28, s28, exec_lo
	s_and_b32 s70, s70, exec_lo
	s_delay_alu instid0(SALU_CYCLE_1)
	s_or_b32 s28, s28, s70
	s_and_not1_b32 exec_lo, exec_lo, s22
	s_cbranch_execz .LBB201_265
.LBB201_261:                            ;   Parent Loop BB201_31 Depth=1
                                        ; =>  This Inner Loop Header: Depth=2
	s_mov_b32 s70, exec_lo
	s_delay_alu instid0(VALU_DEP_2)
	v_cmpx_gt_u64_e64 s[10:11], v[8:9]
	s_cbranch_execz .LBB201_258
; %bb.262:                              ;   in Loop: Header=BB201_261 Depth=2
	ds_load_b32 v33, v10
	s_wait_dscnt 0x0
	v_cmp_lt_i32_e32 vcc_lo, -1, v33
	v_cndmask_b32_e64 v6, -1, 0x80000000, vcc_lo
	v_cmp_o_f32_e32 vcc_lo, v33, v33
	s_delay_alu instid0(VALU_DEP_2) | instskip(NEXT) | instid1(VALU_DEP_1)
	v_xor_b32_e32 v6, v6, v33
	v_cndmask_b32_e32 v6, -1, v6, vcc_lo
	s_delay_alu instid0(VALU_DEP_1) | instskip(NEXT) | instid1(VALU_DEP_1)
	v_and_b32_e32 v6, v6, v38
	v_cmp_eq_u32_e32 vcc_lo, v6, v34
	s_and_b32 exec_lo, exec_lo, vcc_lo
	s_cbranch_execz .LBB201_258
; %bb.263:                              ;   in Loop: Header=BB201_261 Depth=2
	ds_store_b64 v3, v[32:33] offset:3072
	s_branch .LBB201_258
.LBB201_264:                            ;   in Loop: Header=BB201_261 Depth=2
	s_mov_b32 s71, -1
	s_mov_b32 s70, -1
                                        ; implicit-def: $vgpr8_vgpr9
                                        ; implicit-def: $vgpr10
	s_branch .LBB201_260
.LBB201_265:                            ;   in Loop: Header=BB201_31 Depth=1
	s_or_b32 exec_lo, exec_lo, s22
	s_delay_alu instid0(SALU_CYCLE_1)
	s_and_b32 s22, s28, exec_lo
.LBB201_266:                            ;   in Loop: Header=BB201_31 Depth=1
	s_or_b32 exec_lo, exec_lo, s23
.LBB201_267:                            ;   in Loop: Header=BB201_31 Depth=1
	s_delay_alu instid0(SALU_CYCLE_1)
	s_and_b32 vcc_lo, exec_lo, s7
	s_cbranch_vccz .LBB201_284
; %bb.268:                              ;   in Loop: Header=BB201_31 Depth=1
	s_and_b64 s[10:11], s[66:67], 0xffffffff00000000
	s_delay_alu instid0(SALU_CYCLE_1)
	s_cmp_lg_u64 s[10:11], 0
	s_cbranch_scc0 .LBB201_270
; %bb.269:                              ;   in Loop: Header=BB201_31 Depth=1
	s_cvt_f32_u32 s4, s40
	s_sub_nc_u64 s[20:21], 0, s[40:41]
	s_delay_alu instid0(SALU_CYCLE_2) | instskip(NEXT) | instid1(SALU_CYCLE_3)
	s_fmamk_f32 s4, s102, 0x0, s4
	v_s_rcp_f32 s4, s4
	s_delay_alu instid0(TRANS32_DEP_1) | instskip(NEXT) | instid1(SALU_CYCLE_3)
	s_mul_f32 s4, s4, 0x5f7ffffc
	s_mul_f32 s7, s4, 0x2f800000
	s_delay_alu instid0(SALU_CYCLE_3) | instskip(NEXT) | instid1(SALU_CYCLE_3)
	s_trunc_f32 s7, s7
	s_fmamk_f32 s4, s7, 0xcf800000, s4
	s_cvt_u32_f32 s11, s7
	s_delay_alu instid0(SALU_CYCLE_2) | instskip(NEXT) | instid1(SALU_CYCLE_3)
	s_cvt_u32_f32 s10, s4
	s_mul_u64 s[70:71], s[20:21], s[10:11]
	s_delay_alu instid0(SALU_CYCLE_1)
	s_mul_hi_u32 s73, s10, s71
	s_mul_i32 s72, s10, s71
	s_mul_hi_u32 s28, s10, s70
	s_mul_i32 s7, s11, s70
	s_add_nc_u64 s[72:73], s[28:29], s[72:73]
	s_mul_hi_u32 s4, s11, s70
	s_mul_hi_u32 s23, s11, s71
	s_add_co_u32 s7, s72, s7
	s_add_co_ci_u32 s28, s73, s4
	s_mul_i32 s70, s11, s71
	s_add_co_ci_u32 s71, s23, 0
	s_delay_alu instid0(SALU_CYCLE_1) | instskip(NEXT) | instid1(SALU_CYCLE_1)
	s_add_nc_u64 s[70:71], s[28:29], s[70:71]
	s_add_co_u32 s10, s10, s70
	s_cselect_b32 s4, -1, 0
	s_delay_alu instid0(SALU_CYCLE_1) | instskip(SKIP_1) | instid1(SALU_CYCLE_1)
	s_cmp_lg_u32 s4, 0
	s_add_co_ci_u32 s11, s11, s71
	s_mul_u64 s[20:21], s[20:21], s[10:11]
	s_delay_alu instid0(SALU_CYCLE_1)
	s_mul_hi_u32 s71, s10, s21
	s_mul_i32 s70, s10, s21
	s_mul_hi_u32 s28, s10, s20
	s_mul_i32 s7, s11, s20
	s_add_nc_u64 s[70:71], s[28:29], s[70:71]
	s_mul_hi_u32 s4, s11, s20
	s_mul_hi_u32 s23, s11, s21
	s_add_co_u32 s7, s70, s7
	s_add_co_ci_u32 s28, s71, s4
	s_mul_i32 s20, s11, s21
	s_add_co_ci_u32 s21, s23, 0
	s_delay_alu instid0(SALU_CYCLE_1) | instskip(NEXT) | instid1(SALU_CYCLE_1)
	s_add_nc_u64 s[20:21], s[28:29], s[20:21]
	s_add_co_u32 s4, s10, s20
	s_cselect_b32 s7, -1, 0
	s_mul_hi_u32 s28, s66, s4
	s_cmp_lg_u32 s7, 0
	s_mul_hi_u32 s7, s67, s4
	s_add_co_ci_u32 s20, s11, s21
	s_mul_i32 s4, s67, s4
	s_mul_hi_u32 s11, s66, s20
	s_mul_i32 s10, s66, s20
	s_mul_hi_u32 s21, s67, s20
	s_add_nc_u64 s[10:11], s[28:29], s[10:11]
	s_mul_i32 s20, s67, s20
	s_add_co_u32 s4, s10, s4
	s_add_co_ci_u32 s28, s11, s7
	s_add_co_ci_u32 s21, s21, 0
	s_delay_alu instid0(SALU_CYCLE_1) | instskip(NEXT) | instid1(SALU_CYCLE_1)
	s_add_nc_u64 s[10:11], s[28:29], s[20:21]
	s_and_b64 s[20:21], s[10:11], 0xffffffff00000000
	s_delay_alu instid0(SALU_CYCLE_1) | instskip(NEXT) | instid1(SALU_CYCLE_1)
	s_or_b32 s20, s20, s10
	s_mul_u64 s[10:11], s[40:41], s[20:21]
	s_delay_alu instid0(SALU_CYCLE_1) | instskip(SKIP_1) | instid1(SALU_CYCLE_1)
	s_sub_co_u32 s4, s66, s10
	s_cselect_b32 s7, -1, 0
	s_cmp_lg_u32 s7, 0
	s_sub_co_ci_u32 s7, s67, s11
	s_sub_co_u32 s10, s4, s40
	s_cselect_b32 s11, -1, 0
	s_delay_alu instid0(SALU_CYCLE_1) | instskip(SKIP_3) | instid1(SALU_CYCLE_1)
	s_cmp_lg_u32 s11, 0
	s_sub_co_ci_u32 s11, s7, 0
	s_sub_co_u32 s20, s10, s40
	s_cselect_b32 s21, -1, 0
	s_cmp_lg_u32 s21, 0
	s_sub_co_ci_u32 s21, s11, 0
	s_cmp_ge_u32 s10, s40
	s_cselect_b32 s23, -1, 0
	s_cmp_eq_u32 s11, 0
	s_cselect_b32 s23, s23, -1
	s_delay_alu instid0(SALU_CYCLE_1)
	s_cmp_lg_u32 s23, 0
	s_cselect_b32 s11, s21, s11
	s_cselect_b32 s10, s20, s10
	s_cmp_ge_u32 s4, s40
	s_cselect_b32 s20, -1, 0
	s_cmp_eq_u32 s7, 0
	s_cselect_b32 s20, s20, -1
	s_delay_alu instid0(SALU_CYCLE_1)
	s_cmp_lg_u32 s20, 0
	s_cselect_b32 s11, s11, s7
	s_cselect_b32 s10, s10, s4
	s_mov_b32 s4, 0
	s_branch .LBB201_271
.LBB201_270:                            ;   in Loop: Header=BB201_31 Depth=1
	s_mov_b32 s4, -1
                                        ; implicit-def: $sgpr10_sgpr11
.LBB201_271:                            ;   in Loop: Header=BB201_31 Depth=1
	s_delay_alu instid0(SALU_CYCLE_1)
	s_and_not1_b32 vcc_lo, exec_lo, s4
	s_cbranch_vccnz .LBB201_273
; %bb.272:                              ;   in Loop: Header=BB201_31 Depth=1
	v_cvt_f32_u32_e32 v6, s40
	s_sub_co_i32 s7, 0, s40
	s_delay_alu instid0(VALU_DEP_1) | instskip(SKIP_1) | instid1(TRANS32_DEP_1)
	v_rcp_iflag_f32_e32 v6, v6
	v_nop
	v_mul_f32_e32 v6, 0x4f7ffffe, v6
	s_delay_alu instid0(VALU_DEP_1) | instskip(NEXT) | instid1(VALU_DEP_1)
	v_cvt_u32_f32_e32 v6, v6
	v_readfirstlane_b32 s4, v6
	s_mul_i32 s7, s7, s4
	s_delay_alu instid0(SALU_CYCLE_1) | instskip(NEXT) | instid1(SALU_CYCLE_1)
	s_mul_hi_u32 s7, s4, s7
	s_add_co_i32 s4, s4, s7
	s_delay_alu instid0(SALU_CYCLE_1) | instskip(NEXT) | instid1(SALU_CYCLE_1)
	s_mul_hi_u32 s4, s66, s4
	s_mul_i32 s4, s4, s40
	s_delay_alu instid0(SALU_CYCLE_1) | instskip(NEXT) | instid1(SALU_CYCLE_1)
	s_sub_co_i32 s4, s66, s4
	s_sub_co_i32 s7, s4, s40
	s_cmp_ge_u32 s4, s40
	s_cselect_b32 s4, s7, s4
	s_delay_alu instid0(SALU_CYCLE_1) | instskip(SKIP_2) | instid1(SALU_CYCLE_1)
	s_sub_co_i32 s7, s4, s40
	s_cmp_ge_u32 s4, s40
	s_cselect_b32 s28, s7, s4
	s_mov_b64 s[10:11], s[28:29]
.LBB201_273:                            ;   in Loop: Header=BB201_31 Depth=1
	s_delay_alu instid0(SALU_CYCLE_1)
	s_sub_nc_u64 s[10:11], s[66:67], s[10:11]
	s_mov_b32 s4, exec_lo
                                        ; implicit-def: $vgpr7
	v_cmpx_gt_u64_e64 s[10:11], v[0:1]
	s_cbranch_execz .LBB201_283
; %bb.274:                              ;   in Loop: Header=BB201_31 Depth=1
	v_mov_b64_e32 v[8:9], v[30:31]
	v_mov_b64_e32 v[10:11], v[0:1]
	s_mov_b32 s7, 0
                                        ; implicit-def: $sgpr20
	s_branch .LBB201_278
.LBB201_275:                            ;   in Loop: Header=BB201_278 Depth=2
	s_or_b32 exec_lo, exec_lo, s21
	s_wait_dscnt 0x0
	s_barrier_signal -1
	s_barrier_wait -1
	ds_load_b64 v[6:7], v3 offset:3072
	s_wait_dscnt 0x0
	s_barrier_signal -1
	s_barrier_wait -1
	v_cmp_eq_f32_e32 vcc_lo, 0, v6
	s_cbranch_vccz .LBB201_281
; %bb.276:                              ;   in Loop: Header=BB201_278 Depth=2
	v_add_nc_u64_e32 v[10:11], s[40:41], v[10:11]
	v_add_nc_u64_e32 v[8:9], s[44:45], v[8:9]
	s_mov_b32 s21, 0
	s_delay_alu instid0(VALU_DEP_2)
	v_cmp_le_u64_e32 vcc_lo, s[10:11], v[10:11]
	s_or_not1_b32 s23, vcc_lo, exec_lo
.LBB201_277:                            ;   in Loop: Header=BB201_278 Depth=2
	s_delay_alu instid0(SALU_CYCLE_1) | instskip(NEXT) | instid1(SALU_CYCLE_1)
	s_and_b32 s23, exec_lo, s23
	s_or_b32 s7, s23, s7
	s_and_not1_b32 s20, s20, exec_lo
	s_and_b32 s21, s21, exec_lo
	s_delay_alu instid0(SALU_CYCLE_1)
	s_or_b32 s20, s20, s21
	s_and_not1_b32 exec_lo, exec_lo, s7
	s_cbranch_execz .LBB201_282
.LBB201_278:                            ;   Parent Loop BB201_31 Depth=1
                                        ; =>  This Inner Loop Header: Depth=2
	s_mov_b32 s21, exec_lo
	s_delay_alu instid0(VALU_DEP_1)
	v_cmpx_gt_u64_e64 s[36:37], v[10:11]
	s_cbranch_execz .LBB201_275
; %bb.279:                              ;   in Loop: Header=BB201_278 Depth=2
	global_load_b32 v33, v[8:9], off
	s_wait_loadcnt 0x0
	v_cmp_lt_i32_e32 vcc_lo, -1, v33
	v_cndmask_b32_e64 v6, -1, 0x80000000, vcc_lo
	v_cmp_o_f32_e32 vcc_lo, v33, v33
	s_delay_alu instid0(VALU_DEP_2) | instskip(NEXT) | instid1(VALU_DEP_1)
	v_xor_b32_e32 v6, v6, v33
	v_cndmask_b32_e32 v6, -1, v6, vcc_lo
	s_delay_alu instid0(VALU_DEP_1) | instskip(NEXT) | instid1(VALU_DEP_1)
	v_and_b32_e32 v6, v6, v38
	v_cmp_eq_u32_e32 vcc_lo, v6, v34
	s_and_b32 exec_lo, exec_lo, vcc_lo
	s_cbranch_execz .LBB201_275
; %bb.280:                              ;   in Loop: Header=BB201_278 Depth=2
	ds_store_b64 v3, v[32:33] offset:3072
	s_branch .LBB201_275
.LBB201_281:                            ;   in Loop: Header=BB201_278 Depth=2
	s_mov_b32 s23, -1
	s_mov_b32 s21, -1
                                        ; implicit-def: $vgpr10_vgpr11
                                        ; implicit-def: $vgpr8_vgpr9
	s_branch .LBB201_277
.LBB201_282:                            ;   in Loop: Header=BB201_31 Depth=1
	s_or_b32 exec_lo, exec_lo, s7
	s_delay_alu instid0(SALU_CYCLE_1) | instskip(SKIP_1) | instid1(SALU_CYCLE_1)
	s_and_not1_b32 s7, s22, exec_lo
	s_and_b32 s10, s20, exec_lo
	s_or_b32 s22, s7, s10
.LBB201_283:                            ;   in Loop: Header=BB201_31 Depth=1
	s_or_b32 exec_lo, exec_lo, s4
	s_mov_b32 s93, 0
	s_mov_b32 s4, -1
.LBB201_284:                            ;   in Loop: Header=BB201_31 Depth=1
	s_or_not1_b32 s10, s22, exec_lo
.LBB201_285:                            ;   in Loop: Header=BB201_31 Depth=1
	s_or_b32 exec_lo, exec_lo, s92
	s_mov_b32 s11, 0
	s_and_saveexec_b32 s7, s10
	s_cbranch_execz .LBB201_296
; %bb.286:                              ;   in Loop: Header=BB201_31 Depth=1
	v_mov_b64_e32 v[8:9], 1
	v_mov_b32_e32 v2, 1
	s_xor_b32 s11, s91, -1
	s_delay_alu instid0(SALU_CYCLE_1)
	s_and_saveexec_b32 s10, s11
	s_cbranch_execz .LBB201_295
; %bb.287:                              ;   in Loop: Header=BB201_31 Depth=1
	s_mov_b32 s11, exec_lo
	v_cmpx_ge_u64_e64 s[18:19], v[4:5]
	s_xor_b32 s11, exec_lo, s11
	s_cbranch_execz .LBB201_292
; %bb.288:                              ;   in Loop: Header=BB201_31 Depth=1
	ds_load_b64 v[8:9], v3 offset:5120
	v_or_b32_e32 v34, s24, v34
	v_or_b32_e32 v38, s24, v38
	s_wait_dscnt 0x0
	v_cmp_ne_u64_e32 vcc_lo, 0, v[8:9]
	s_cbranch_vccnz .LBB201_292
; %bb.289:                              ;   in Loop: Header=BB201_31 Depth=1
	s_and_saveexec_b32 s20, s5
; %bb.290:                              ;   in Loop: Header=BB201_31 Depth=1
	v_mov_b64_e32 v[8:9], s[18:19]
	ds_store_b64 v3, v[8:9] offset:5128
; %bb.291:                              ;   in Loop: Header=BB201_31 Depth=1
	s_or_b32 exec_lo, exec_lo, s20
	s_wait_dscnt 0x0
	s_barrier_signal -1
	s_barrier_wait -1
.LBB201_292:                            ;   in Loop: Header=BB201_31 Depth=1
	s_and_not1_saveexec_b32 s11, s11
; %bb.293:                              ;   in Loop: Header=BB201_31 Depth=1
	v_sub_nc_u64_e64 v[4:5], v[4:5], s[18:19]
; %bb.294:                              ;   in Loop: Header=BB201_31 Depth=1
	s_or_b32 exec_lo, exec_lo, s11
	s_delay_alu instid0(VALU_DEP_1)
	v_mov_b64_e32 v[8:9], v[4:5]
	v_mov_b32_e32 v2, 8
.LBB201_295:                            ;   in Loop: Header=BB201_31 Depth=1
	s_or_b32 exec_lo, exec_lo, s10
	s_delay_alu instid0(VALU_DEP_2)
	v_mov_b64_e32 v[4:5], v[8:9]
	s_mov_b32 s11, exec_lo
.LBB201_296:                            ;   in Loop: Header=BB201_31 Depth=1
	s_or_b32 exec_lo, exec_lo, s7
	s_delay_alu instid0(SALU_CYCLE_1)
	s_or_not1_b32 s7, s11, exec_lo
.LBB201_297:                            ;   in Loop: Header=BB201_31 Depth=1
	s_or_b32 exec_lo, exec_lo, s90
	s_delay_alu instid0(VALU_DEP_1)
	v_mov_b64_e32 v[8:9], v[4:5]
	s_and_not1_b32 s10, s88, exec_lo
	s_and_b32 s4, s4, exec_lo
	s_and_not1_b32 s11, s87, exec_lo
	s_and_b32 s20, s93, exec_lo
	s_or_b32 s88, s10, s4
	s_or_b32 s87, s11, s20
	s_and_b32 s7, s7, exec_lo
.LBB201_298:                            ;   in Loop: Header=BB201_31 Depth=1
	s_or_b32 exec_lo, exec_lo, s89
	s_delay_alu instid0(SALU_CYCLE_1)
	s_or_not1_b32 s4, s7, exec_lo
.LBB201_299:                            ;   in Loop: Header=BB201_31 Depth=1
	s_or_b32 exec_lo, exec_lo, s86
	v_mov_b64_e32 v[4:5], v[8:9]
	s_and_not1_b32 s7, s84, exec_lo
	s_and_b32 s10, s88, exec_lo
	s_and_not1_b32 s11, s49, exec_lo
	s_and_b32 s20, s87, exec_lo
	s_or_b32 s84, s7, s10
	s_or_b32 s49, s11, s20
	s_and_b32 s7, s4, exec_lo
.LBB201_300:                            ;   in Loop: Header=BB201_31 Depth=1
	s_or_b32 exec_lo, exec_lo, s85
	s_delay_alu instid0(SALU_CYCLE_1)
	s_or_not1_b32 s4, s7, exec_lo
.LBB201_301:                            ;   in Loop: Header=BB201_31 Depth=1
	s_or_b32 exec_lo, exec_lo, s27
	s_mov_b32 s7, 0
	s_mov_b32 s11, 0
	s_and_saveexec_b32 s10, s4
	s_delay_alu instid0(SALU_CYCLE_1)
	s_xor_b32 s4, exec_lo, s10
; %bb.302:                              ;   in Loop: Header=BB201_31 Depth=1
	v_cmp_ne_u32_e32 vcc_lo, 8, v2
	v_cmp_eq_u32_e64 s10, 8, v2
	s_and_b32 s11, vcc_lo, exec_lo
	s_and_b32 s7, s10, exec_lo
; %bb.303:                              ;   in Loop: Header=BB201_31 Depth=1
	s_or_b32 exec_lo, exec_lo, s4
	s_delay_alu instid0(SALU_CYCLE_1)
	s_and_not1_b32 s4, s81, exec_lo
	s_and_b32 s10, s84, exec_lo
	s_and_not1_b32 s20, s80, exec_lo
	s_and_b32 s21, s49, exec_lo
	s_or_b32 s81, s4, s10
	s_or_b32 s80, s20, s21
	s_and_b32 s27, s11, exec_lo
	s_and_b32 s49, s7, exec_lo
.LBB201_304:                            ;   in Loop: Header=BB201_31 Depth=1
	s_or_b32 exec_lo, exec_lo, s83
.LBB201_305:                            ;   in Loop: Header=BB201_31 Depth=1
	s_delay_alu instid0(SALU_CYCLE_1)
	s_and_b32 vcc_lo, exec_lo, s82
	s_cbranch_vccz .LBB201_322
; %bb.306:                              ;   in Loop: Header=BB201_31 Depth=1
	s_cmp_eq_u64 s[18:19], 1
                                        ; implicit-def: $sgpr82
                                        ; implicit-def: $sgpr26
	s_cselect_b32 s4, -1, 0
	s_delay_alu instid0(SALU_CYCLE_1)
	s_and_b32 s9, s4, s9
	s_mov_b32 s4, -1
	s_and_saveexec_b32 s80, s9
	s_cbranch_execz .LBB201_341
; %bb.307:                              ;   in Loop: Header=BB201_31 Depth=1
	ds_load_b64 v[4:5], v3 offset:5120
	s_wait_dscnt 0x0
	s_barrier_signal -1
	s_barrier_wait -1
	v_readfirstlane_b32 s10, v4
	v_readfirstlane_b32 s11, v5
	s_and_saveexec_b32 s4, s6
; %bb.308:                              ;   in Loop: Header=BB201_31 Depth=1
	ds_store_b32 v50, v3
; %bb.309:                              ;   in Loop: Header=BB201_31 Depth=1
	s_or_b32 exec_lo, exec_lo, s4
	v_or_b32_e32 v53, s24, v53
	v_or_b32_e32 v55, s24, v55
	s_mov_b32 s26, -1
	s_mov_b32 s82, 0
	s_cmp_eq_u64 s[10:11], 0
	s_mov_b32 s4, 0
	s_mov_b32 s7, -1
	s_wait_dscnt 0x0
	s_barrier_signal -1
	s_barrier_wait -1
                                        ; implicit-def: $vgpr35
	s_cbranch_scc1 .LBB201_325
; %bb.310:                              ;   in Loop: Header=BB201_31 Depth=1
	s_add_nc_u64 s[20:21], s[10:11], s[64:65]
	s_delay_alu instid0(SALU_CYCLE_1) | instskip(NEXT) | instid1(SALU_CYCLE_1)
	s_and_b64 s[22:23], s[20:21], 0xffffffff00000000
	s_cmp_lg_u64 s[22:23], 0
	s_cbranch_scc0 .LBB201_368
; %bb.311:                              ;   in Loop: Header=BB201_31 Depth=1
	s_cvt_f32_u32 s4, s40
	s_sub_nc_u64 s[70:71], 0, s[40:41]
	s_delay_alu instid0(SALU_CYCLE_2) | instskip(NEXT) | instid1(SALU_CYCLE_3)
	s_fmamk_f32 s4, s102, 0x0, s4
	v_s_rcp_f32 s4, s4
	s_delay_alu instid0(TRANS32_DEP_1) | instskip(NEXT) | instid1(SALU_CYCLE_3)
	s_mul_f32 s4, s4, 0x5f7ffffc
	s_mul_f32 s7, s4, 0x2f800000
	s_delay_alu instid0(SALU_CYCLE_3) | instskip(NEXT) | instid1(SALU_CYCLE_3)
	s_trunc_f32 s7, s7
	s_fmamk_f32 s4, s7, 0xcf800000, s4
	s_cvt_u32_f32 s23, s7
	s_delay_alu instid0(SALU_CYCLE_2) | instskip(NEXT) | instid1(SALU_CYCLE_3)
	s_cvt_u32_f32 s22, s4
	s_mul_u64 s[84:85], s[70:71], s[22:23]
	s_delay_alu instid0(SALU_CYCLE_1)
	s_mul_hi_u32 s87, s22, s85
	s_mul_i32 s86, s22, s85
	s_mul_hi_u32 s28, s22, s84
	s_mul_i32 s7, s23, s84
	s_add_nc_u64 s[86:87], s[28:29], s[86:87]
	s_mul_hi_u32 s4, s23, s84
	s_mul_hi_u32 s72, s23, s85
	s_add_co_u32 s7, s86, s7
	s_add_co_ci_u32 s28, s87, s4
	s_mul_i32 s84, s23, s85
	s_add_co_ci_u32 s85, s72, 0
	s_delay_alu instid0(SALU_CYCLE_1) | instskip(NEXT) | instid1(SALU_CYCLE_1)
	s_add_nc_u64 s[84:85], s[28:29], s[84:85]
	s_add_co_u32 s22, s22, s84
	s_cselect_b32 s4, -1, 0
	s_delay_alu instid0(SALU_CYCLE_1) | instskip(SKIP_1) | instid1(SALU_CYCLE_1)
	s_cmp_lg_u32 s4, 0
	s_add_co_ci_u32 s23, s23, s85
	s_mul_u64 s[70:71], s[70:71], s[22:23]
	s_delay_alu instid0(SALU_CYCLE_1)
	s_mul_hi_u32 s85, s22, s71
	s_mul_i32 s84, s22, s71
	s_mul_hi_u32 s28, s22, s70
	s_mul_i32 s7, s23, s70
	s_add_nc_u64 s[84:85], s[28:29], s[84:85]
	s_mul_hi_u32 s4, s23, s70
	s_mul_hi_u32 s72, s23, s71
	s_add_co_u32 s7, s84, s7
	s_add_co_ci_u32 s28, s85, s4
	s_mul_i32 s70, s23, s71
	s_add_co_ci_u32 s71, s72, 0
	s_delay_alu instid0(SALU_CYCLE_1) | instskip(NEXT) | instid1(SALU_CYCLE_1)
	s_add_nc_u64 s[70:71], s[28:29], s[70:71]
	s_add_co_u32 s4, s22, s70
	s_cselect_b32 s7, -1, 0
	s_mul_hi_u32 s28, s20, s4
	s_cmp_lg_u32 s7, 0
	s_mul_hi_u32 s7, s21, s4
	s_add_co_ci_u32 s70, s23, s71
	s_mul_i32 s4, s21, s4
	s_mul_hi_u32 s23, s20, s70
	s_mul_i32 s22, s20, s70
	s_mul_hi_u32 s71, s21, s70
	s_add_nc_u64 s[22:23], s[28:29], s[22:23]
	s_mul_i32 s70, s21, s70
	s_add_co_u32 s4, s22, s4
	s_add_co_ci_u32 s28, s23, s7
	s_add_co_ci_u32 s71, s71, 0
	s_delay_alu instid0(SALU_CYCLE_1) | instskip(NEXT) | instid1(SALU_CYCLE_1)
	s_add_nc_u64 s[22:23], s[28:29], s[70:71]
	s_and_b64 s[70:71], s[22:23], 0xffffffff00000000
	s_delay_alu instid0(SALU_CYCLE_1) | instskip(NEXT) | instid1(SALU_CYCLE_1)
	s_or_b32 s70, s70, s22
	s_mul_u64 s[22:23], s[40:41], s[70:71]
	s_delay_alu instid0(SALU_CYCLE_1) | instskip(SKIP_1) | instid1(SALU_CYCLE_1)
	s_sub_co_u32 s4, s20, s22
	s_cselect_b32 s7, -1, 0
	s_cmp_lg_u32 s7, 0
	s_sub_co_ci_u32 s7, s21, s23
	s_sub_co_u32 s22, s4, s40
	s_cselect_b32 s23, -1, 0
	s_delay_alu instid0(SALU_CYCLE_1) | instskip(SKIP_3) | instid1(SALU_CYCLE_1)
	s_cmp_lg_u32 s23, 0
	s_sub_co_ci_u32 s23, s7, 0
	s_sub_co_u32 s28, s22, s40
	s_cselect_b32 s70, -1, 0
	s_cmp_lg_u32 s70, 0
	s_sub_co_ci_u32 s70, s23, 0
	s_cmp_ge_u32 s22, s40
	s_cselect_b32 s71, -1, 0
	s_cmp_eq_u32 s23, 0
	s_cselect_b32 s71, s71, -1
	s_delay_alu instid0(SALU_CYCLE_1)
	s_cmp_lg_u32 s71, 0
	s_cselect_b32 s23, s70, s23
	s_cselect_b32 s22, s28, s22
	s_cmp_ge_u32 s4, s40
	s_cselect_b32 s28, -1, 0
	s_cmp_eq_u32 s7, 0
	s_cselect_b32 s28, s28, -1
	s_delay_alu instid0(SALU_CYCLE_1)
	s_cmp_lg_u32 s28, 0
	s_cselect_b32 s23, s23, s7
	s_cselect_b32 s22, s22, s4
	s_cbranch_execnz .LBB201_313
.LBB201_312:                            ;   in Loop: Header=BB201_31 Depth=1
	v_cvt_f32_u32_e32 v2, s40
	s_sub_co_i32 s7, 0, s40
	s_delay_alu instid0(VALU_DEP_1) | instskip(SKIP_1) | instid1(TRANS32_DEP_1)
	v_rcp_iflag_f32_e32 v2, v2
	v_nop
	v_mul_f32_e32 v2, 0x4f7ffffe, v2
	s_delay_alu instid0(VALU_DEP_1) | instskip(NEXT) | instid1(VALU_DEP_1)
	v_cvt_u32_f32_e32 v2, v2
	v_readfirstlane_b32 s4, v2
	s_mul_i32 s7, s7, s4
	s_delay_alu instid0(SALU_CYCLE_1) | instskip(NEXT) | instid1(SALU_CYCLE_1)
	s_mul_hi_u32 s7, s4, s7
	s_add_co_i32 s4, s4, s7
	s_delay_alu instid0(SALU_CYCLE_1) | instskip(NEXT) | instid1(SALU_CYCLE_1)
	s_mul_hi_u32 s4, s20, s4
	s_mul_i32 s4, s4, s40
	s_delay_alu instid0(SALU_CYCLE_1) | instskip(NEXT) | instid1(SALU_CYCLE_1)
	s_sub_co_i32 s4, s20, s4
	s_sub_co_i32 s7, s4, s40
	s_cmp_ge_u32 s4, s40
	s_cselect_b32 s4, s7, s4
	s_delay_alu instid0(SALU_CYCLE_1) | instskip(SKIP_2) | instid1(SALU_CYCLE_1)
	s_sub_co_i32 s7, s4, s40
	s_cmp_ge_u32 s4, s40
	s_cselect_b32 s28, s7, s4
	s_mov_b64 s[22:23], s[28:29]
.LBB201_313:                            ;   in Loop: Header=BB201_31 Depth=1
	s_delay_alu instid0(SALU_CYCLE_1)
	s_sub_nc_u64 s[20:21], s[20:21], s[22:23]
	s_mov_b32 s7, 0
	s_mov_b32 s4, 0
	s_mov_b32 s22, exec_lo
                                        ; implicit-def: $vgpr35
	v_cmpx_gt_u64_e64 s[20:21], v[0:1]
	s_cbranch_execz .LBB201_324
; %bb.314:                              ;   in Loop: Header=BB201_31 Depth=1
	v_mov_b64_e32 v[4:5], v[0:1]
	v_mov_b32_e32 v2, v16
                                        ; implicit-def: $sgpr23
	s_branch .LBB201_318
.LBB201_315:                            ;   in Loop: Header=BB201_318 Depth=2
	s_or_b32 exec_lo, exec_lo, s28
	s_wait_dscnt 0x0
	s_barrier_signal -1
	s_barrier_wait -1
	ds_load_b64 v[34:35], v3 offset:3072
	s_wait_dscnt 0x0
	s_barrier_signal -1
	s_barrier_wait -1
	v_cmp_neq_f32_e32 vcc_lo, 0, v34
	s_cbranch_vccnz .LBB201_321
; %bb.316:                              ;   in Loop: Header=BB201_318 Depth=2
	v_add_nc_u64_e32 v[4:5], s[40:41], v[4:5]
	v_add_nc_u32_e32 v2, s101, v2
	s_mov_b32 s28, 0
	s_delay_alu instid0(VALU_DEP_2)
	v_cmp_le_u64_e32 vcc_lo, s[20:21], v[4:5]
	s_or_not1_b32 s70, vcc_lo, exec_lo
.LBB201_317:                            ;   in Loop: Header=BB201_318 Depth=2
	s_delay_alu instid0(SALU_CYCLE_1) | instskip(NEXT) | instid1(SALU_CYCLE_1)
	s_and_b32 s70, exec_lo, s70
	s_or_b32 s4, s70, s4
	s_and_not1_b32 s23, s23, exec_lo
	s_and_b32 s28, s28, exec_lo
	s_delay_alu instid0(SALU_CYCLE_1)
	s_or_b32 s23, s23, s28
	s_and_not1_b32 exec_lo, exec_lo, s4
	s_cbranch_execz .LBB201_323
.LBB201_318:                            ;   Parent Loop BB201_31 Depth=1
                                        ; =>  This Inner Loop Header: Depth=2
	s_mov_b32 s28, exec_lo
	s_delay_alu instid0(VALU_DEP_2)
	v_cmpx_gt_u64_e64 s[10:11], v[4:5]
	s_cbranch_execz .LBB201_315
; %bb.319:                              ;   in Loop: Header=BB201_318 Depth=2
	ds_load_b32 v33, v2
	s_wait_dscnt 0x0
	v_cmp_lt_i32_e32 vcc_lo, -1, v33
	v_cndmask_b32_e64 v6, -1, 0x80000000, vcc_lo
	v_cmp_o_f32_e32 vcc_lo, v33, v33
	s_delay_alu instid0(VALU_DEP_2) | instskip(NEXT) | instid1(VALU_DEP_1)
	v_xor_b32_e32 v6, v6, v33
	v_cndmask_b32_e32 v6, -1, v6, vcc_lo
	s_delay_alu instid0(VALU_DEP_1) | instskip(NEXT) | instid1(VALU_DEP_1)
	v_and_b32_e32 v6, v6, v55
	v_cmp_eq_u32_e32 vcc_lo, v6, v53
	s_and_b32 exec_lo, exec_lo, vcc_lo
	s_cbranch_execz .LBB201_315
; %bb.320:                              ;   in Loop: Header=BB201_318 Depth=2
	ds_store_b64 v3, v[32:33] offset:3072
	s_branch .LBB201_315
.LBB201_321:                            ;   in Loop: Header=BB201_318 Depth=2
	s_mov_b32 s70, -1
	s_mov_b32 s28, -1
                                        ; implicit-def: $vgpr4_vgpr5
                                        ; implicit-def: $vgpr2
	s_branch .LBB201_317
.LBB201_322:                            ;   in Loop: Header=BB201_31 Depth=1
	v_dual_mov_b32 v53, v34 :: v_dual_mov_b32 v55, v38
	v_mov_b32_e32 v35, v7
	s_mov_b32 s82, 0
	s_and_saveexec_b32 s4, s49
	s_cbranch_execnz .LBB201_506
	s_branch .LBB201_507
.LBB201_323:                            ;   in Loop: Header=BB201_31 Depth=1
	s_or_b32 exec_lo, exec_lo, s4
	s_delay_alu instid0(SALU_CYCLE_1)
	s_and_b32 s4, s23, exec_lo
.LBB201_324:                            ;   in Loop: Header=BB201_31 Depth=1
	s_or_b32 exec_lo, exec_lo, s22
.LBB201_325:                            ;   in Loop: Header=BB201_31 Depth=1
	s_delay_alu instid0(SALU_CYCLE_1)
	s_and_b32 vcc_lo, exec_lo, s7
	s_cbranch_vccz .LBB201_340
; %bb.326:                              ;   in Loop: Header=BB201_31 Depth=1
	s_and_b64 s[10:11], s[66:67], 0xffffffff00000000
	s_delay_alu instid0(SALU_CYCLE_1)
	s_cmp_lg_u64 s[10:11], 0
	s_cbranch_scc0 .LBB201_369
; %bb.327:                              ;   in Loop: Header=BB201_31 Depth=1
	s_cvt_f32_u32 s7, s40
	s_sub_nc_u64 s[20:21], 0, s[40:41]
	s_delay_alu instid0(SALU_CYCLE_2) | instskip(NEXT) | instid1(SALU_CYCLE_3)
	s_fmamk_f32 s7, s102, 0x0, s7
	v_s_rcp_f32 s7, s7
	s_delay_alu instid0(TRANS32_DEP_1) | instskip(NEXT) | instid1(SALU_CYCLE_3)
	s_mul_f32 s7, s7, 0x5f7ffffc
	s_mul_f32 s10, s7, 0x2f800000
	s_delay_alu instid0(SALU_CYCLE_3) | instskip(NEXT) | instid1(SALU_CYCLE_3)
	s_trunc_f32 s10, s10
	s_fmamk_f32 s7, s10, 0xcf800000, s7
	s_cvt_u32_f32 s11, s10
	s_delay_alu instid0(SALU_CYCLE_2) | instskip(NEXT) | instid1(SALU_CYCLE_3)
	s_cvt_u32_f32 s10, s7
	s_mul_u64 s[22:23], s[20:21], s[10:11]
	s_delay_alu instid0(SALU_CYCLE_1)
	s_mul_hi_u32 s71, s10, s23
	s_mul_i32 s70, s10, s23
	s_mul_hi_u32 s28, s10, s22
	s_mul_i32 s26, s11, s22
	s_add_nc_u64 s[70:71], s[28:29], s[70:71]
	s_mul_hi_u32 s7, s11, s22
	s_mul_hi_u32 s72, s11, s23
	s_mul_i32 s22, s11, s23
	s_add_co_u32 s23, s70, s26
	s_add_co_ci_u32 s28, s71, s7
	s_add_co_ci_u32 s23, s72, 0
	s_delay_alu instid0(SALU_CYCLE_1) | instskip(NEXT) | instid1(SALU_CYCLE_1)
	s_add_nc_u64 s[22:23], s[28:29], s[22:23]
	s_add_co_u32 s10, s10, s22
	s_cselect_b32 s7, -1, 0
	s_delay_alu instid0(SALU_CYCLE_1) | instskip(SKIP_1) | instid1(SALU_CYCLE_1)
	s_cmp_lg_u32 s7, 0
	s_add_co_ci_u32 s11, s11, s23
	s_mul_u64 s[20:21], s[20:21], s[10:11]
	s_delay_alu instid0(SALU_CYCLE_1)
	s_mul_hi_u32 s23, s10, s21
	s_mul_i32 s22, s10, s21
	s_mul_hi_u32 s28, s10, s20
	s_mul_i32 s26, s11, s20
	s_add_nc_u64 s[22:23], s[28:29], s[22:23]
	s_mul_hi_u32 s7, s11, s20
	s_mul_hi_u32 s70, s11, s21
	s_mul_i32 s20, s11, s21
	s_add_co_u32 s21, s22, s26
	s_add_co_ci_u32 s28, s23, s7
	s_add_co_ci_u32 s21, s70, 0
	s_delay_alu instid0(SALU_CYCLE_1) | instskip(NEXT) | instid1(SALU_CYCLE_1)
	s_add_nc_u64 s[20:21], s[28:29], s[20:21]
	s_add_co_u32 s7, s10, s20
	s_cselect_b32 s10, -1, 0
	s_mul_hi_u32 s28, s66, s7
	s_cmp_lg_u32 s10, 0
	s_mul_hi_u32 s22, s67, s7
	s_add_co_ci_u32 s20, s11, s21
	s_mul_i32 s7, s67, s7
	s_mul_hi_u32 s11, s66, s20
	s_mul_i32 s10, s66, s20
	s_mul_hi_u32 s21, s67, s20
	s_add_nc_u64 s[10:11], s[28:29], s[10:11]
	s_mul_i32 s20, s67, s20
	s_add_co_u32 s7, s10, s7
	s_add_co_ci_u32 s28, s11, s22
	s_add_co_ci_u32 s21, s21, 0
	s_delay_alu instid0(SALU_CYCLE_1) | instskip(NEXT) | instid1(SALU_CYCLE_1)
	s_add_nc_u64 s[10:11], s[28:29], s[20:21]
	s_and_b64 s[20:21], s[10:11], 0xffffffff00000000
	s_delay_alu instid0(SALU_CYCLE_1) | instskip(NEXT) | instid1(SALU_CYCLE_1)
	s_or_b32 s20, s20, s10
	s_mul_u64 s[10:11], s[40:41], s[20:21]
	s_delay_alu instid0(SALU_CYCLE_1) | instskip(SKIP_1) | instid1(SALU_CYCLE_1)
	s_sub_co_u32 s7, s66, s10
	s_cselect_b32 s10, -1, 0
	s_cmp_lg_u32 s10, 0
	s_sub_co_ci_u32 s10, s67, s11
	s_sub_co_u32 s11, s7, s40
	s_cselect_b32 s20, -1, 0
	s_delay_alu instid0(SALU_CYCLE_1) | instskip(SKIP_3) | instid1(SALU_CYCLE_1)
	s_cmp_lg_u32 s20, 0
	s_sub_co_ci_u32 s20, s10, 0
	s_sub_co_u32 s21, s11, s40
	s_cselect_b32 s22, -1, 0
	s_cmp_lg_u32 s22, 0
	s_sub_co_ci_u32 s22, s20, 0
	s_cmp_ge_u32 s11, s40
	s_cselect_b32 s23, -1, 0
	s_cmp_eq_u32 s20, 0
	s_cselect_b32 s23, s23, -1
	s_delay_alu instid0(SALU_CYCLE_1)
	s_cmp_lg_u32 s23, 0
	s_cselect_b32 s20, s22, s20
	s_cselect_b32 s21, s21, s11
	s_cmp_ge_u32 s7, s40
	s_cselect_b32 s11, -1, 0
	s_cmp_eq_u32 s10, 0
	s_cselect_b32 s11, s11, -1
	s_delay_alu instid0(SALU_CYCLE_1)
	s_cmp_lg_u32 s11, 0
	s_cselect_b32 s11, s20, s10
	s_cselect_b32 s10, s21, s7
	s_cbranch_execnz .LBB201_329
.LBB201_328:                            ;   in Loop: Header=BB201_31 Depth=1
	v_cvt_f32_u32_e32 v2, s40
	s_sub_co_i32 s10, 0, s40
	s_delay_alu instid0(VALU_DEP_1) | instskip(SKIP_1) | instid1(TRANS32_DEP_1)
	v_rcp_iflag_f32_e32 v2, v2
	v_nop
	v_mul_f32_e32 v2, 0x4f7ffffe, v2
	s_delay_alu instid0(VALU_DEP_1) | instskip(NEXT) | instid1(VALU_DEP_1)
	v_cvt_u32_f32_e32 v2, v2
	v_readfirstlane_b32 s7, v2
	s_mul_i32 s10, s10, s7
	s_delay_alu instid0(SALU_CYCLE_1) | instskip(NEXT) | instid1(SALU_CYCLE_1)
	s_mul_hi_u32 s10, s7, s10
	s_add_co_i32 s7, s7, s10
	s_delay_alu instid0(SALU_CYCLE_1) | instskip(NEXT) | instid1(SALU_CYCLE_1)
	s_mul_hi_u32 s7, s66, s7
	s_mul_i32 s7, s7, s40
	s_delay_alu instid0(SALU_CYCLE_1) | instskip(NEXT) | instid1(SALU_CYCLE_1)
	s_sub_co_i32 s7, s66, s7
	s_sub_co_i32 s10, s7, s40
	s_cmp_ge_u32 s7, s40
	s_cselect_b32 s7, s10, s7
	s_delay_alu instid0(SALU_CYCLE_1) | instskip(SKIP_2) | instid1(SALU_CYCLE_1)
	s_sub_co_i32 s10, s7, s40
	s_cmp_ge_u32 s7, s40
	s_cselect_b32 s28, s10, s7
	s_mov_b64 s[10:11], s[28:29]
.LBB201_329:                            ;   in Loop: Header=BB201_31 Depth=1
	s_delay_alu instid0(SALU_CYCLE_1)
	s_sub_nc_u64 s[10:11], s[66:67], s[10:11]
	s_mov_b32 s7, exec_lo
                                        ; implicit-def: $vgpr35
	v_cmpx_gt_u64_e64 s[10:11], v[0:1]
	s_cbranch_execz .LBB201_339
; %bb.330:                              ;   in Loop: Header=BB201_31 Depth=1
	v_mov_b64_e32 v[4:5], v[30:31]
	v_mov_b64_e32 v[6:7], v[0:1]
	s_mov_b32 s20, 0
                                        ; implicit-def: $sgpr21
	s_branch .LBB201_334
.LBB201_331:                            ;   in Loop: Header=BB201_334 Depth=2
	s_or_b32 exec_lo, exec_lo, s22
	s_wait_dscnt 0x0
	s_barrier_signal -1
	s_barrier_wait -1
	ds_load_b64 v[34:35], v3 offset:3072
	s_wait_dscnt 0x0
	s_barrier_signal -1
	s_barrier_wait -1
	v_cmp_neq_f32_e32 vcc_lo, 0, v34
	s_cbranch_vccnz .LBB201_337
; %bb.332:                              ;   in Loop: Header=BB201_334 Depth=2
	v_add_nc_u64_e32 v[6:7], s[40:41], v[6:7]
	v_add_nc_u64_e32 v[4:5], s[44:45], v[4:5]
	s_mov_b32 s22, 0
	s_delay_alu instid0(VALU_DEP_2)
	v_cmp_le_u64_e32 vcc_lo, s[10:11], v[6:7]
	s_or_not1_b32 s23, vcc_lo, exec_lo
.LBB201_333:                            ;   in Loop: Header=BB201_334 Depth=2
	s_delay_alu instid0(SALU_CYCLE_1) | instskip(NEXT) | instid1(SALU_CYCLE_1)
	s_and_b32 s23, exec_lo, s23
	s_or_b32 s20, s23, s20
	s_and_not1_b32 s21, s21, exec_lo
	s_and_b32 s22, s22, exec_lo
	s_delay_alu instid0(SALU_CYCLE_1)
	s_or_b32 s21, s21, s22
	s_and_not1_b32 exec_lo, exec_lo, s20
	s_cbranch_execz .LBB201_338
.LBB201_334:                            ;   Parent Loop BB201_31 Depth=1
                                        ; =>  This Inner Loop Header: Depth=2
	s_mov_b32 s22, exec_lo
	s_delay_alu instid0(VALU_DEP_1)
	v_cmpx_gt_u64_e64 s[36:37], v[6:7]
	s_cbranch_execz .LBB201_331
; %bb.335:                              ;   in Loop: Header=BB201_334 Depth=2
	global_load_b32 v33, v[4:5], off
	s_wait_loadcnt 0x0
	v_cmp_lt_i32_e32 vcc_lo, -1, v33
	v_cndmask_b32_e64 v2, -1, 0x80000000, vcc_lo
	v_cmp_o_f32_e32 vcc_lo, v33, v33
	s_delay_alu instid0(VALU_DEP_2) | instskip(NEXT) | instid1(VALU_DEP_1)
	v_xor_b32_e32 v2, v2, v33
	v_cndmask_b32_e32 v2, -1, v2, vcc_lo
	s_delay_alu instid0(VALU_DEP_1) | instskip(NEXT) | instid1(VALU_DEP_1)
	v_and_b32_e32 v2, v2, v55
	v_cmp_eq_u32_e32 vcc_lo, v2, v53
	s_and_b32 exec_lo, exec_lo, vcc_lo
	s_cbranch_execz .LBB201_331
; %bb.336:                              ;   in Loop: Header=BB201_334 Depth=2
	ds_store_b64 v3, v[32:33] offset:3072
	s_branch .LBB201_331
.LBB201_337:                            ;   in Loop: Header=BB201_334 Depth=2
	s_mov_b32 s23, -1
	s_mov_b32 s22, -1
                                        ; implicit-def: $vgpr6_vgpr7
                                        ; implicit-def: $vgpr4_vgpr5
	s_branch .LBB201_333
.LBB201_338:                            ;   in Loop: Header=BB201_31 Depth=1
	s_or_b32 exec_lo, exec_lo, s20
	s_delay_alu instid0(SALU_CYCLE_1) | instskip(SKIP_1) | instid1(SALU_CYCLE_1)
	s_and_not1_b32 s4, s4, exec_lo
	s_and_b32 s10, s21, exec_lo
	s_or_b32 s4, s4, s10
.LBB201_339:                            ;   in Loop: Header=BB201_31 Depth=1
	s_or_b32 exec_lo, exec_lo, s7
	s_mov_b32 s26, 0
	s_mov_b32 s82, -1
.LBB201_340:                            ;   in Loop: Header=BB201_31 Depth=1
	s_or_not1_b32 s4, s4, exec_lo
.LBB201_341:                            ;   in Loop: Header=BB201_31 Depth=1
	s_or_b32 exec_lo, exec_lo, s80
                                        ; implicit-def: $vgpr4_vgpr5
                                        ; implicit-def: $vgpr2
	s_and_saveexec_b32 s22, s4
	s_cbranch_execz .LBB201_505
; %bb.342:                              ;   in Loop: Header=BB201_31 Depth=1
	v_mov_b64_e32 v[4:5], 1
	v_mov_b32_e32 v2, 1
	s_xor_b32 s9, s9, -1
	s_mov_b32 s7, 0
	s_and_saveexec_b32 s4, s9
	s_cbranch_execz .LBB201_351
; %bb.343:                              ;   in Loop: Header=BB201_31 Depth=1
	s_mov_b32 s7, exec_lo
	v_cmpx_ge_u64_e64 s[18:19], v[36:37]
	s_xor_b32 s7, exec_lo, s7
	s_cbranch_execz .LBB201_348
; %bb.344:                              ;   in Loop: Header=BB201_31 Depth=1
	ds_load_b64 v[4:5], v3 offset:5120
	v_or_b32_e32 v53, s24, v53
	v_or_b32_e32 v55, s24, v55
	s_wait_dscnt 0x0
	v_cmp_ne_u64_e32 vcc_lo, 0, v[4:5]
	s_cbranch_vccnz .LBB201_348
; %bb.345:                              ;   in Loop: Header=BB201_31 Depth=1
	s_and_saveexec_b32 s9, s5
; %bb.346:                              ;   in Loop: Header=BB201_31 Depth=1
	v_mov_b64_e32 v[4:5], s[18:19]
	ds_store_b64 v3, v[4:5] offset:5128
; %bb.347:                              ;   in Loop: Header=BB201_31 Depth=1
	s_or_b32 exec_lo, exec_lo, s9
	s_wait_dscnt 0x0
	s_barrier_signal -1
	s_barrier_wait -1
.LBB201_348:                            ;   in Loop: Header=BB201_31 Depth=1
	s_or_saveexec_b32 s7, s7
	v_mov_b32_e32 v2, 5
	s_mov_b32 s9, 0
	s_xor_b32 exec_lo, exec_lo, s7
; %bb.349:                              ;   in Loop: Header=BB201_31 Depth=1
	v_sub_nc_u64_e64 v[36:37], v[36:37], s[18:19]
	v_mov_b32_e32 v2, 0
	s_mov_b32 s9, exec_lo
; %bb.350:                              ;   in Loop: Header=BB201_31 Depth=1
	s_or_b32 exec_lo, exec_lo, s7
	s_delay_alu instid0(VALU_DEP_2)
	v_mov_b64_e32 v[4:5], v[36:37]
	s_and_b32 s7, s9, exec_lo
.LBB201_351:                            ;   in Loop: Header=BB201_31 Depth=1
	s_or_b32 exec_lo, exec_lo, s4
	s_mov_b32 s4, -1
                                        ; implicit-def: $sgpr23
                                        ; implicit-def: $sgpr80
	s_and_saveexec_b32 s9, s7
	s_delay_alu instid0(SALU_CYCLE_1)
	s_xor_b32 s9, exec_lo, s9
	s_cbranch_execz .LBB201_502
; %bb.352:                              ;   in Loop: Header=BB201_31 Depth=1
	v_cmp_eq_u64_e32 vcc_lo, 1, v[4:5]
	s_cmp_eq_u64 s[16:17], 1
                                        ; implicit-def: $sgpr80
                                        ; implicit-def: $sgpr23
	s_cselect_b32 s4, -1, 0
	s_delay_alu instid0(SALU_CYCLE_1)
	s_and_b32 s81, s4, vcc_lo
	s_mov_b32 s4, -1
	s_and_saveexec_b32 s83, s81
	s_cbranch_execz .LBB201_388
; %bb.353:                              ;   in Loop: Header=BB201_31 Depth=1
	ds_load_b64 v[6:7], v3 offset:5120
	s_wait_dscnt 0x0
	s_barrier_signal -1
	s_barrier_wait -1
	v_readfirstlane_b32 s10, v6
	v_readfirstlane_b32 s11, v7
	s_and_saveexec_b32 s4, s6
; %bb.354:                              ;   in Loop: Header=BB201_31 Depth=1
	ds_store_b32 v50, v3
; %bb.355:                              ;   in Loop: Header=BB201_31 Depth=1
	s_or_b32 exec_lo, exec_lo, s4
	s_lshl_b32 s4, 2, s103
	v_or_b32_e32 v55, s24, v55
	v_and_or_b32 v53, v53, s25, s4
	s_mov_b32 s23, -1
	s_mov_b32 s80, 0
	s_cmp_eq_u64 s[10:11], 0
	s_mov_b32 s4, 0
	s_mov_b32 s7, -1
	s_wait_dscnt 0x0
	s_barrier_signal -1
	s_barrier_wait -1
                                        ; implicit-def: $vgpr35
	s_cbranch_scc1 .LBB201_372
; %bb.356:                              ;   in Loop: Header=BB201_31 Depth=1
	s_add_nc_u64 s[18:19], s[10:11], s[64:65]
	s_delay_alu instid0(SALU_CYCLE_1) | instskip(NEXT) | instid1(SALU_CYCLE_1)
	s_and_b64 s[20:21], s[18:19], 0xffffffff00000000
	s_cmp_lg_u64 s[20:21], 0
	s_cbranch_scc0 .LBB201_415
; %bb.357:                              ;   in Loop: Header=BB201_31 Depth=1
	s_cvt_f32_u32 s4, s40
	s_sub_nc_u64 s[70:71], 0, s[40:41]
	s_delay_alu instid0(SALU_CYCLE_2) | instskip(NEXT) | instid1(SALU_CYCLE_3)
	s_fmamk_f32 s4, s102, 0x0, s4
	v_s_rcp_f32 s4, s4
	s_delay_alu instid0(TRANS32_DEP_1) | instskip(NEXT) | instid1(SALU_CYCLE_3)
	s_mul_f32 s4, s4, 0x5f7ffffc
	s_mul_f32 s7, s4, 0x2f800000
	s_delay_alu instid0(SALU_CYCLE_3) | instskip(NEXT) | instid1(SALU_CYCLE_3)
	s_trunc_f32 s7, s7
	s_fmamk_f32 s4, s7, 0xcf800000, s4
	s_cvt_u32_f32 s21, s7
	s_delay_alu instid0(SALU_CYCLE_2) | instskip(NEXT) | instid1(SALU_CYCLE_3)
	s_cvt_u32_f32 s20, s4
	s_mul_u64 s[84:85], s[70:71], s[20:21]
	s_delay_alu instid0(SALU_CYCLE_1)
	s_mul_hi_u32 s87, s20, s85
	s_mul_i32 s86, s20, s85
	s_mul_hi_u32 s28, s20, s84
	s_mul_i32 s7, s21, s84
	s_add_nc_u64 s[86:87], s[28:29], s[86:87]
	s_mul_hi_u32 s4, s21, s84
	s_mul_hi_u32 s72, s21, s85
	s_add_co_u32 s7, s86, s7
	s_add_co_ci_u32 s28, s87, s4
	s_mul_i32 s84, s21, s85
	s_add_co_ci_u32 s85, s72, 0
	s_delay_alu instid0(SALU_CYCLE_1) | instskip(NEXT) | instid1(SALU_CYCLE_1)
	s_add_nc_u64 s[84:85], s[28:29], s[84:85]
	s_add_co_u32 s20, s20, s84
	s_cselect_b32 s4, -1, 0
	s_delay_alu instid0(SALU_CYCLE_1) | instskip(SKIP_1) | instid1(SALU_CYCLE_1)
	s_cmp_lg_u32 s4, 0
	s_add_co_ci_u32 s21, s21, s85
	s_mul_u64 s[70:71], s[70:71], s[20:21]
	s_delay_alu instid0(SALU_CYCLE_1)
	s_mul_hi_u32 s85, s20, s71
	s_mul_i32 s84, s20, s71
	s_mul_hi_u32 s28, s20, s70
	s_mul_i32 s7, s21, s70
	s_add_nc_u64 s[84:85], s[28:29], s[84:85]
	s_mul_hi_u32 s4, s21, s70
	s_mul_hi_u32 s72, s21, s71
	s_add_co_u32 s7, s84, s7
	s_add_co_ci_u32 s28, s85, s4
	s_mul_i32 s70, s21, s71
	s_add_co_ci_u32 s71, s72, 0
	s_delay_alu instid0(SALU_CYCLE_1) | instskip(NEXT) | instid1(SALU_CYCLE_1)
	s_add_nc_u64 s[70:71], s[28:29], s[70:71]
	s_add_co_u32 s4, s20, s70
	s_cselect_b32 s7, -1, 0
	s_mul_hi_u32 s28, s18, s4
	s_cmp_lg_u32 s7, 0
	s_mul_hi_u32 s7, s19, s4
	s_add_co_ci_u32 s70, s21, s71
	s_mul_i32 s4, s19, s4
	s_mul_hi_u32 s21, s18, s70
	s_mul_i32 s20, s18, s70
	s_mul_hi_u32 s71, s19, s70
	s_add_nc_u64 s[20:21], s[28:29], s[20:21]
	s_mul_i32 s70, s19, s70
	s_add_co_u32 s4, s20, s4
	s_add_co_ci_u32 s28, s21, s7
	s_add_co_ci_u32 s71, s71, 0
	s_delay_alu instid0(SALU_CYCLE_1) | instskip(NEXT) | instid1(SALU_CYCLE_1)
	s_add_nc_u64 s[20:21], s[28:29], s[70:71]
	s_and_b64 s[70:71], s[20:21], 0xffffffff00000000
	s_delay_alu instid0(SALU_CYCLE_1) | instskip(NEXT) | instid1(SALU_CYCLE_1)
	s_or_b32 s70, s70, s20
	s_mul_u64 s[20:21], s[40:41], s[70:71]
	s_delay_alu instid0(SALU_CYCLE_1) | instskip(SKIP_1) | instid1(SALU_CYCLE_1)
	s_sub_co_u32 s4, s18, s20
	s_cselect_b32 s7, -1, 0
	s_cmp_lg_u32 s7, 0
	s_sub_co_ci_u32 s7, s19, s21
	s_sub_co_u32 s20, s4, s40
	s_cselect_b32 s21, -1, 0
	s_delay_alu instid0(SALU_CYCLE_1) | instskip(SKIP_3) | instid1(SALU_CYCLE_1)
	s_cmp_lg_u32 s21, 0
	s_sub_co_ci_u32 s21, s7, 0
	s_sub_co_u32 s28, s20, s40
	s_cselect_b32 s70, -1, 0
	s_cmp_lg_u32 s70, 0
	s_sub_co_ci_u32 s70, s21, 0
	s_cmp_ge_u32 s20, s40
	s_cselect_b32 s71, -1, 0
	s_cmp_eq_u32 s21, 0
	s_cselect_b32 s71, s71, -1
	s_delay_alu instid0(SALU_CYCLE_1)
	s_cmp_lg_u32 s71, 0
	s_cselect_b32 s21, s70, s21
	s_cselect_b32 s20, s28, s20
	s_cmp_ge_u32 s4, s40
	s_cselect_b32 s28, -1, 0
	s_cmp_eq_u32 s7, 0
	s_cselect_b32 s28, s28, -1
	s_delay_alu instid0(SALU_CYCLE_1)
	s_cmp_lg_u32 s28, 0
	s_cselect_b32 s21, s21, s7
	s_cselect_b32 s20, s20, s4
	s_cbranch_execnz .LBB201_359
.LBB201_358:                            ;   in Loop: Header=BB201_31 Depth=1
	v_cvt_f32_u32_e32 v6, s40
	s_sub_co_i32 s7, 0, s40
	s_delay_alu instid0(VALU_DEP_1) | instskip(SKIP_1) | instid1(TRANS32_DEP_1)
	v_rcp_iflag_f32_e32 v6, v6
	v_nop
	v_mul_f32_e32 v6, 0x4f7ffffe, v6
	s_delay_alu instid0(VALU_DEP_1) | instskip(NEXT) | instid1(VALU_DEP_1)
	v_cvt_u32_f32_e32 v6, v6
	v_readfirstlane_b32 s4, v6
	s_mul_i32 s7, s7, s4
	s_delay_alu instid0(SALU_CYCLE_1) | instskip(NEXT) | instid1(SALU_CYCLE_1)
	s_mul_hi_u32 s7, s4, s7
	s_add_co_i32 s4, s4, s7
	s_delay_alu instid0(SALU_CYCLE_1) | instskip(NEXT) | instid1(SALU_CYCLE_1)
	s_mul_hi_u32 s4, s18, s4
	s_mul_i32 s4, s4, s40
	s_delay_alu instid0(SALU_CYCLE_1) | instskip(NEXT) | instid1(SALU_CYCLE_1)
	s_sub_co_i32 s4, s18, s4
	s_sub_co_i32 s7, s4, s40
	s_cmp_ge_u32 s4, s40
	s_cselect_b32 s4, s7, s4
	s_delay_alu instid0(SALU_CYCLE_1) | instskip(SKIP_2) | instid1(SALU_CYCLE_1)
	s_sub_co_i32 s7, s4, s40
	s_cmp_ge_u32 s4, s40
	s_cselect_b32 s28, s7, s4
	s_mov_b64 s[20:21], s[28:29]
.LBB201_359:                            ;   in Loop: Header=BB201_31 Depth=1
	s_delay_alu instid0(SALU_CYCLE_1)
	s_sub_nc_u64 s[18:19], s[18:19], s[20:21]
	s_mov_b32 s7, 0
	s_mov_b32 s4, 0
	s_mov_b32 s20, exec_lo
                                        ; implicit-def: $vgpr35
	v_cmpx_gt_u64_e64 s[18:19], v[0:1]
	s_cbranch_execz .LBB201_371
; %bb.360:                              ;   in Loop: Header=BB201_31 Depth=1
	v_mov_b64_e32 v[6:7], v[0:1]
	v_mov_b32_e32 v8, v16
                                        ; implicit-def: $sgpr21
	s_branch .LBB201_364
.LBB201_361:                            ;   in Loop: Header=BB201_364 Depth=2
	s_or_b32 exec_lo, exec_lo, s28
	s_wait_dscnt 0x0
	s_barrier_signal -1
	s_barrier_wait -1
	ds_load_b64 v[34:35], v3 offset:3072
	s_wait_dscnt 0x0
	s_barrier_signal -1
	s_barrier_wait -1
	v_cmp_neq_f32_e32 vcc_lo, 0, v34
	s_cbranch_vccnz .LBB201_367
; %bb.362:                              ;   in Loop: Header=BB201_364 Depth=2
	v_add_nc_u64_e32 v[6:7], s[40:41], v[6:7]
	v_add_nc_u32_e32 v8, s101, v8
	s_mov_b32 s28, 0
	s_delay_alu instid0(VALU_DEP_2)
	v_cmp_le_u64_e32 vcc_lo, s[18:19], v[6:7]
	s_or_not1_b32 s70, vcc_lo, exec_lo
.LBB201_363:                            ;   in Loop: Header=BB201_364 Depth=2
	s_delay_alu instid0(SALU_CYCLE_1) | instskip(NEXT) | instid1(SALU_CYCLE_1)
	s_and_b32 s70, exec_lo, s70
	s_or_b32 s4, s70, s4
	s_and_not1_b32 s21, s21, exec_lo
	s_and_b32 s28, s28, exec_lo
	s_delay_alu instid0(SALU_CYCLE_1)
	s_or_b32 s21, s21, s28
	s_and_not1_b32 exec_lo, exec_lo, s4
	s_cbranch_execz .LBB201_370
.LBB201_364:                            ;   Parent Loop BB201_31 Depth=1
                                        ; =>  This Inner Loop Header: Depth=2
	s_mov_b32 s28, exec_lo
	s_delay_alu instid0(VALU_DEP_2)
	v_cmpx_gt_u64_e64 s[10:11], v[6:7]
	s_cbranch_execz .LBB201_361
; %bb.365:                              ;   in Loop: Header=BB201_364 Depth=2
	ds_load_b32 v33, v8
	s_wait_dscnt 0x0
	v_cmp_lt_i32_e32 vcc_lo, -1, v33
	v_cndmask_b32_e64 v9, -1, 0x80000000, vcc_lo
	v_cmp_o_f32_e32 vcc_lo, v33, v33
	s_delay_alu instid0(VALU_DEP_2) | instskip(NEXT) | instid1(VALU_DEP_1)
	v_xor_b32_e32 v9, v9, v33
	v_cndmask_b32_e32 v9, -1, v9, vcc_lo
	s_delay_alu instid0(VALU_DEP_1) | instskip(NEXT) | instid1(VALU_DEP_1)
	v_and_b32_e32 v9, v9, v55
	v_cmp_eq_u32_e32 vcc_lo, v9, v53
	s_and_b32 exec_lo, exec_lo, vcc_lo
	s_cbranch_execz .LBB201_361
; %bb.366:                              ;   in Loop: Header=BB201_364 Depth=2
	ds_store_b64 v3, v[32:33] offset:3072
	s_branch .LBB201_361
.LBB201_367:                            ;   in Loop: Header=BB201_364 Depth=2
	s_mov_b32 s70, -1
	s_mov_b32 s28, -1
                                        ; implicit-def: $vgpr6_vgpr7
                                        ; implicit-def: $vgpr8
	s_branch .LBB201_363
.LBB201_368:                            ;   in Loop: Header=BB201_31 Depth=1
                                        ; implicit-def: $sgpr22_sgpr23
	s_branch .LBB201_312
.LBB201_369:                            ;   in Loop: Header=BB201_31 Depth=1
                                        ; implicit-def: $sgpr10_sgpr11
	s_branch .LBB201_328
.LBB201_370:                            ;   in Loop: Header=BB201_31 Depth=1
	s_or_b32 exec_lo, exec_lo, s4
	s_delay_alu instid0(SALU_CYCLE_1)
	s_and_b32 s4, s21, exec_lo
.LBB201_371:                            ;   in Loop: Header=BB201_31 Depth=1
	s_or_b32 exec_lo, exec_lo, s20
.LBB201_372:                            ;   in Loop: Header=BB201_31 Depth=1
	s_delay_alu instid0(SALU_CYCLE_1)
	s_and_b32 vcc_lo, exec_lo, s7
	s_cbranch_vccz .LBB201_387
; %bb.373:                              ;   in Loop: Header=BB201_31 Depth=1
	s_and_b64 s[10:11], s[66:67], 0xffffffff00000000
	s_delay_alu instid0(SALU_CYCLE_1)
	s_cmp_lg_u64 s[10:11], 0
	s_cbranch_scc0 .LBB201_416
; %bb.374:                              ;   in Loop: Header=BB201_31 Depth=1
	s_cvt_f32_u32 s7, s40
	s_sub_nc_u64 s[18:19], 0, s[40:41]
	s_delay_alu instid0(SALU_CYCLE_2) | instskip(NEXT) | instid1(SALU_CYCLE_3)
	s_fmamk_f32 s7, s102, 0x0, s7
	v_s_rcp_f32 s7, s7
	s_delay_alu instid0(TRANS32_DEP_1) | instskip(NEXT) | instid1(SALU_CYCLE_3)
	s_mul_f32 s7, s7, 0x5f7ffffc
	s_mul_f32 s10, s7, 0x2f800000
	s_delay_alu instid0(SALU_CYCLE_3) | instskip(NEXT) | instid1(SALU_CYCLE_3)
	s_trunc_f32 s10, s10
	s_fmamk_f32 s7, s10, 0xcf800000, s7
	s_cvt_u32_f32 s11, s10
	s_delay_alu instid0(SALU_CYCLE_2) | instskip(NEXT) | instid1(SALU_CYCLE_3)
	s_cvt_u32_f32 s10, s7
	s_mul_u64 s[20:21], s[18:19], s[10:11]
	s_delay_alu instid0(SALU_CYCLE_1)
	s_mul_hi_u32 s71, s10, s21
	s_mul_i32 s70, s10, s21
	s_mul_hi_u32 s28, s10, s20
	s_mul_i32 s23, s11, s20
	s_add_nc_u64 s[70:71], s[28:29], s[70:71]
	s_mul_hi_u32 s7, s11, s20
	s_mul_hi_u32 s72, s11, s21
	s_mul_i32 s20, s11, s21
	s_add_co_u32 s21, s70, s23
	s_add_co_ci_u32 s28, s71, s7
	s_add_co_ci_u32 s21, s72, 0
	s_delay_alu instid0(SALU_CYCLE_1) | instskip(NEXT) | instid1(SALU_CYCLE_1)
	s_add_nc_u64 s[20:21], s[28:29], s[20:21]
	s_add_co_u32 s10, s10, s20
	s_cselect_b32 s7, -1, 0
	s_delay_alu instid0(SALU_CYCLE_1) | instskip(SKIP_1) | instid1(SALU_CYCLE_1)
	s_cmp_lg_u32 s7, 0
	s_add_co_ci_u32 s11, s11, s21
	s_mul_u64 s[18:19], s[18:19], s[10:11]
	s_delay_alu instid0(SALU_CYCLE_1)
	s_mul_hi_u32 s21, s10, s19
	s_mul_i32 s20, s10, s19
	s_mul_hi_u32 s28, s10, s18
	s_mul_i32 s23, s11, s18
	s_add_nc_u64 s[20:21], s[28:29], s[20:21]
	s_mul_hi_u32 s7, s11, s18
	s_mul_hi_u32 s70, s11, s19
	s_mul_i32 s18, s11, s19
	s_add_co_u32 s19, s20, s23
	s_add_co_ci_u32 s28, s21, s7
	s_add_co_ci_u32 s19, s70, 0
	s_delay_alu instid0(SALU_CYCLE_1) | instskip(NEXT) | instid1(SALU_CYCLE_1)
	s_add_nc_u64 s[18:19], s[28:29], s[18:19]
	s_add_co_u32 s7, s10, s18
	s_cselect_b32 s10, -1, 0
	s_mul_hi_u32 s28, s66, s7
	s_cmp_lg_u32 s10, 0
	s_mul_hi_u32 s20, s67, s7
	s_add_co_ci_u32 s18, s11, s19
	s_mul_i32 s7, s67, s7
	s_mul_hi_u32 s11, s66, s18
	s_mul_i32 s10, s66, s18
	s_mul_hi_u32 s19, s67, s18
	s_add_nc_u64 s[10:11], s[28:29], s[10:11]
	s_mul_i32 s18, s67, s18
	s_add_co_u32 s7, s10, s7
	s_add_co_ci_u32 s28, s11, s20
	s_add_co_ci_u32 s19, s19, 0
	s_delay_alu instid0(SALU_CYCLE_1) | instskip(NEXT) | instid1(SALU_CYCLE_1)
	s_add_nc_u64 s[10:11], s[28:29], s[18:19]
	s_and_b64 s[18:19], s[10:11], 0xffffffff00000000
	s_delay_alu instid0(SALU_CYCLE_1) | instskip(NEXT) | instid1(SALU_CYCLE_1)
	s_or_b32 s18, s18, s10
	s_mul_u64 s[10:11], s[40:41], s[18:19]
	s_delay_alu instid0(SALU_CYCLE_1) | instskip(SKIP_1) | instid1(SALU_CYCLE_1)
	s_sub_co_u32 s7, s66, s10
	s_cselect_b32 s10, -1, 0
	s_cmp_lg_u32 s10, 0
	s_sub_co_ci_u32 s10, s67, s11
	s_sub_co_u32 s11, s7, s40
	s_cselect_b32 s18, -1, 0
	s_delay_alu instid0(SALU_CYCLE_1) | instskip(SKIP_3) | instid1(SALU_CYCLE_1)
	s_cmp_lg_u32 s18, 0
	s_sub_co_ci_u32 s18, s10, 0
	s_sub_co_u32 s19, s11, s40
	s_cselect_b32 s20, -1, 0
	s_cmp_lg_u32 s20, 0
	s_sub_co_ci_u32 s20, s18, 0
	s_cmp_ge_u32 s11, s40
	s_cselect_b32 s21, -1, 0
	s_cmp_eq_u32 s18, 0
	s_cselect_b32 s21, s21, -1
	s_delay_alu instid0(SALU_CYCLE_1)
	s_cmp_lg_u32 s21, 0
	s_cselect_b32 s18, s20, s18
	s_cselect_b32 s19, s19, s11
	s_cmp_ge_u32 s7, s40
	s_cselect_b32 s11, -1, 0
	s_cmp_eq_u32 s10, 0
	s_cselect_b32 s11, s11, -1
	s_delay_alu instid0(SALU_CYCLE_1)
	s_cmp_lg_u32 s11, 0
	s_cselect_b32 s11, s18, s10
	s_cselect_b32 s10, s19, s7
	s_cbranch_execnz .LBB201_376
.LBB201_375:                            ;   in Loop: Header=BB201_31 Depth=1
	v_cvt_f32_u32_e32 v6, s40
	s_sub_co_i32 s10, 0, s40
	s_delay_alu instid0(VALU_DEP_1) | instskip(SKIP_1) | instid1(TRANS32_DEP_1)
	v_rcp_iflag_f32_e32 v6, v6
	v_nop
	v_mul_f32_e32 v6, 0x4f7ffffe, v6
	s_delay_alu instid0(VALU_DEP_1) | instskip(NEXT) | instid1(VALU_DEP_1)
	v_cvt_u32_f32_e32 v6, v6
	v_readfirstlane_b32 s7, v6
	s_mul_i32 s10, s10, s7
	s_delay_alu instid0(SALU_CYCLE_1) | instskip(NEXT) | instid1(SALU_CYCLE_1)
	s_mul_hi_u32 s10, s7, s10
	s_add_co_i32 s7, s7, s10
	s_delay_alu instid0(SALU_CYCLE_1) | instskip(NEXT) | instid1(SALU_CYCLE_1)
	s_mul_hi_u32 s7, s66, s7
	s_mul_i32 s7, s7, s40
	s_delay_alu instid0(SALU_CYCLE_1) | instskip(NEXT) | instid1(SALU_CYCLE_1)
	s_sub_co_i32 s7, s66, s7
	s_sub_co_i32 s10, s7, s40
	s_cmp_ge_u32 s7, s40
	s_cselect_b32 s7, s10, s7
	s_delay_alu instid0(SALU_CYCLE_1) | instskip(SKIP_2) | instid1(SALU_CYCLE_1)
	s_sub_co_i32 s10, s7, s40
	s_cmp_ge_u32 s7, s40
	s_cselect_b32 s28, s10, s7
	s_mov_b64 s[10:11], s[28:29]
.LBB201_376:                            ;   in Loop: Header=BB201_31 Depth=1
	s_delay_alu instid0(SALU_CYCLE_1)
	s_sub_nc_u64 s[10:11], s[66:67], s[10:11]
	s_mov_b32 s7, exec_lo
                                        ; implicit-def: $vgpr35
	v_cmpx_gt_u64_e64 s[10:11], v[0:1]
	s_cbranch_execz .LBB201_386
; %bb.377:                              ;   in Loop: Header=BB201_31 Depth=1
	v_mov_b64_e32 v[6:7], v[30:31]
	v_mov_b64_e32 v[8:9], v[0:1]
	s_mov_b32 s18, 0
                                        ; implicit-def: $sgpr19
	s_branch .LBB201_381
.LBB201_378:                            ;   in Loop: Header=BB201_381 Depth=2
	s_or_b32 exec_lo, exec_lo, s20
	s_wait_dscnt 0x0
	s_barrier_signal -1
	s_barrier_wait -1
	ds_load_b64 v[34:35], v3 offset:3072
	s_wait_dscnt 0x0
	s_barrier_signal -1
	s_barrier_wait -1
	v_cmp_eq_f32_e32 vcc_lo, 0, v34
	s_cbranch_vccz .LBB201_384
; %bb.379:                              ;   in Loop: Header=BB201_381 Depth=2
	v_add_nc_u64_e32 v[8:9], s[40:41], v[8:9]
	v_add_nc_u64_e32 v[6:7], s[44:45], v[6:7]
	s_mov_b32 s20, 0
	s_delay_alu instid0(VALU_DEP_2)
	v_cmp_le_u64_e32 vcc_lo, s[10:11], v[8:9]
	s_or_not1_b32 s21, vcc_lo, exec_lo
.LBB201_380:                            ;   in Loop: Header=BB201_381 Depth=2
	s_delay_alu instid0(SALU_CYCLE_1) | instskip(NEXT) | instid1(SALU_CYCLE_1)
	s_and_b32 s21, exec_lo, s21
	s_or_b32 s18, s21, s18
	s_and_not1_b32 s19, s19, exec_lo
	s_and_b32 s20, s20, exec_lo
	s_delay_alu instid0(SALU_CYCLE_1)
	s_or_b32 s19, s19, s20
	s_and_not1_b32 exec_lo, exec_lo, s18
	s_cbranch_execz .LBB201_385
.LBB201_381:                            ;   Parent Loop BB201_31 Depth=1
                                        ; =>  This Inner Loop Header: Depth=2
	s_mov_b32 s20, exec_lo
	s_delay_alu instid0(VALU_DEP_1)
	v_cmpx_gt_u64_e64 s[36:37], v[8:9]
	s_cbranch_execz .LBB201_378
; %bb.382:                              ;   in Loop: Header=BB201_381 Depth=2
	global_load_b32 v33, v[6:7], off
	s_wait_loadcnt 0x0
	v_cmp_lt_i32_e32 vcc_lo, -1, v33
	v_cndmask_b32_e64 v10, -1, 0x80000000, vcc_lo
	v_cmp_o_f32_e32 vcc_lo, v33, v33
	s_delay_alu instid0(VALU_DEP_2) | instskip(NEXT) | instid1(VALU_DEP_1)
	v_xor_b32_e32 v10, v10, v33
	v_cndmask_b32_e32 v10, -1, v10, vcc_lo
	s_delay_alu instid0(VALU_DEP_1) | instskip(NEXT) | instid1(VALU_DEP_1)
	v_and_b32_e32 v10, v10, v55
	v_cmp_eq_u32_e32 vcc_lo, v10, v53
	s_and_b32 exec_lo, exec_lo, vcc_lo
	s_cbranch_execz .LBB201_378
; %bb.383:                              ;   in Loop: Header=BB201_381 Depth=2
	ds_store_b64 v3, v[32:33] offset:3072
	s_branch .LBB201_378
.LBB201_384:                            ;   in Loop: Header=BB201_381 Depth=2
	s_mov_b32 s21, -1
	s_mov_b32 s20, -1
                                        ; implicit-def: $vgpr8_vgpr9
                                        ; implicit-def: $vgpr6_vgpr7
	s_branch .LBB201_380
.LBB201_385:                            ;   in Loop: Header=BB201_31 Depth=1
	s_or_b32 exec_lo, exec_lo, s18
	s_delay_alu instid0(SALU_CYCLE_1) | instskip(SKIP_1) | instid1(SALU_CYCLE_1)
	s_and_not1_b32 s4, s4, exec_lo
	s_and_b32 s10, s19, exec_lo
	s_or_b32 s4, s4, s10
.LBB201_386:                            ;   in Loop: Header=BB201_31 Depth=1
	s_or_b32 exec_lo, exec_lo, s7
	s_mov_b32 s23, 0
	s_mov_b32 s80, -1
.LBB201_387:                            ;   in Loop: Header=BB201_31 Depth=1
	s_or_not1_b32 s4, s4, exec_lo
.LBB201_388:                            ;   in Loop: Header=BB201_31 Depth=1
	s_or_b32 exec_lo, exec_lo, s83
	s_mov_b32 s7, 0
	s_and_saveexec_b32 s20, s4
	s_cbranch_execz .LBB201_501
; %bb.389:                              ;   in Loop: Header=BB201_31 Depth=1
	v_mov_b64_e32 v[6:7], 1
	v_mov_b32_e32 v2, 1
	s_xor_b32 s10, s81, -1
	s_delay_alu instid0(SALU_CYCLE_1)
	s_and_saveexec_b32 s4, s10
	s_cbranch_execz .LBB201_398
; %bb.390:                              ;   in Loop: Header=BB201_31 Depth=1
	s_mov_b32 s7, exec_lo
	v_cmpx_ge_u64_e64 s[16:17], v[4:5]
	s_xor_b32 s7, exec_lo, s7
	s_cbranch_execz .LBB201_395
; %bb.391:                              ;   in Loop: Header=BB201_31 Depth=1
	ds_load_b64 v[6:7], v3 offset:5120
	s_lshl_b32 s10, 2, s103
	v_or_b32_e32 v55, s24, v55
	v_and_or_b32 v53, v53, s25, s10
	s_wait_dscnt 0x0
	v_cmp_ne_u64_e32 vcc_lo, 0, v[6:7]
	s_cbranch_vccnz .LBB201_395
; %bb.392:                              ;   in Loop: Header=BB201_31 Depth=1
	s_and_saveexec_b32 s10, s5
; %bb.393:                              ;   in Loop: Header=BB201_31 Depth=1
	v_mov_b64_e32 v[6:7], s[16:17]
	ds_store_b64 v3, v[6:7] offset:5128
; %bb.394:                              ;   in Loop: Header=BB201_31 Depth=1
	s_or_b32 exec_lo, exec_lo, s10
	s_wait_dscnt 0x0
	s_barrier_signal -1
	s_barrier_wait -1
.LBB201_395:                            ;   in Loop: Header=BB201_31 Depth=1
	s_or_saveexec_b32 s7, s7
	v_mov_b32_e32 v2, 5
	s_mov_b32 s10, 0
	s_xor_b32 exec_lo, exec_lo, s7
; %bb.396:                              ;   in Loop: Header=BB201_31 Depth=1
	v_sub_nc_u64_e64 v[4:5], v[4:5], s[16:17]
	v_mov_b32_e32 v2, 0
	s_mov_b32 s10, exec_lo
; %bb.397:                              ;   in Loop: Header=BB201_31 Depth=1
	s_or_b32 exec_lo, exec_lo, s7
	s_delay_alu instid0(VALU_DEP_2)
	v_mov_b64_e32 v[6:7], v[4:5]
	s_and_b32 s7, s10, exec_lo
.LBB201_398:                            ;   in Loop: Header=BB201_31 Depth=1
	s_or_b32 exec_lo, exec_lo, s4
	s_mov_b32 s4, -1
                                        ; implicit-def: $sgpr81
                                        ; implicit-def: $sgpr83
	s_and_saveexec_b32 s21, s7
	s_cbranch_execz .LBB201_500
; %bb.399:                              ;   in Loop: Header=BB201_31 Depth=1
	s_delay_alu instid0(VALU_DEP_1) | instskip(SKIP_2) | instid1(SALU_CYCLE_1)
	v_cmp_eq_u64_e32 vcc_lo, 1, v[6:7]
	s_cmp_eq_u64 s[14:15], 1
                                        ; implicit-def: $sgpr83
                                        ; implicit-def: $sgpr81
	s_cselect_b32 s4, -1, 0
	s_and_b32 s84, s4, vcc_lo
	s_mov_b32 s4, -1
	s_and_saveexec_b32 s85, s84
	s_cbranch_execz .LBB201_435
; %bb.400:                              ;   in Loop: Header=BB201_31 Depth=1
	ds_load_b64 v[4:5], v3 offset:5120
	s_wait_dscnt 0x0
	s_barrier_signal -1
	s_barrier_wait -1
	v_readfirstlane_b32 s10, v4
	v_readfirstlane_b32 s11, v5
	s_and_saveexec_b32 s4, s6
; %bb.401:                              ;   in Loop: Header=BB201_31 Depth=1
	ds_store_b32 v50, v3
; %bb.402:                              ;   in Loop: Header=BB201_31 Depth=1
	s_or_b32 exec_lo, exec_lo, s4
	s_lshl_b32 s4, 1, s103
	v_or_b32_e32 v55, s24, v55
	v_and_or_b32 v53, v53, s25, s4
	s_mov_b32 s81, -1
	s_mov_b32 s83, 0
	s_cmp_eq_u64 s[10:11], 0
	s_mov_b32 s4, 0
	s_mov_b32 s7, -1
	s_wait_dscnt 0x0
	s_barrier_signal -1
	s_barrier_wait -1
                                        ; implicit-def: $vgpr35
	s_cbranch_scc1 .LBB201_419
; %bb.403:                              ;   in Loop: Header=BB201_31 Depth=1
	s_add_nc_u64 s[16:17], s[10:11], s[64:65]
	s_delay_alu instid0(SALU_CYCLE_1) | instskip(NEXT) | instid1(SALU_CYCLE_1)
	s_and_b64 s[18:19], s[16:17], 0xffffffff00000000
	s_cmp_lg_u64 s[18:19], 0
	s_cbranch_scc0 .LBB201_452
; %bb.404:                              ;   in Loop: Header=BB201_31 Depth=1
	s_cvt_f32_u32 s4, s40
	s_sub_nc_u64 s[70:71], 0, s[40:41]
	s_delay_alu instid0(SALU_CYCLE_2) | instskip(NEXT) | instid1(SALU_CYCLE_3)
	s_fmamk_f32 s4, s102, 0x0, s4
	v_s_rcp_f32 s4, s4
	s_delay_alu instid0(TRANS32_DEP_1) | instskip(NEXT) | instid1(SALU_CYCLE_3)
	s_mul_f32 s4, s4, 0x5f7ffffc
	s_mul_f32 s7, s4, 0x2f800000
	s_delay_alu instid0(SALU_CYCLE_3) | instskip(NEXT) | instid1(SALU_CYCLE_3)
	s_trunc_f32 s7, s7
	s_fmamk_f32 s4, s7, 0xcf800000, s4
	s_cvt_u32_f32 s19, s7
	s_delay_alu instid0(SALU_CYCLE_2) | instskip(NEXT) | instid1(SALU_CYCLE_3)
	s_cvt_u32_f32 s18, s4
	s_mul_u64 s[86:87], s[70:71], s[18:19]
	s_delay_alu instid0(SALU_CYCLE_1)
	s_mul_hi_u32 s89, s18, s87
	s_mul_i32 s88, s18, s87
	s_mul_hi_u32 s28, s18, s86
	s_mul_i32 s7, s19, s86
	s_add_nc_u64 s[88:89], s[28:29], s[88:89]
	s_mul_hi_u32 s4, s19, s86
	s_mul_hi_u32 s72, s19, s87
	s_add_co_u32 s7, s88, s7
	s_add_co_ci_u32 s28, s89, s4
	s_mul_i32 s86, s19, s87
	s_add_co_ci_u32 s87, s72, 0
	s_delay_alu instid0(SALU_CYCLE_1) | instskip(NEXT) | instid1(SALU_CYCLE_1)
	s_add_nc_u64 s[86:87], s[28:29], s[86:87]
	s_add_co_u32 s18, s18, s86
	s_cselect_b32 s4, -1, 0
	s_delay_alu instid0(SALU_CYCLE_1) | instskip(SKIP_1) | instid1(SALU_CYCLE_1)
	s_cmp_lg_u32 s4, 0
	s_add_co_ci_u32 s19, s19, s87
	s_mul_u64 s[70:71], s[70:71], s[18:19]
	s_delay_alu instid0(SALU_CYCLE_1)
	s_mul_hi_u32 s87, s18, s71
	s_mul_i32 s86, s18, s71
	s_mul_hi_u32 s28, s18, s70
	s_mul_i32 s7, s19, s70
	s_add_nc_u64 s[86:87], s[28:29], s[86:87]
	s_mul_hi_u32 s4, s19, s70
	s_mul_hi_u32 s72, s19, s71
	s_add_co_u32 s7, s86, s7
	s_add_co_ci_u32 s28, s87, s4
	s_mul_i32 s70, s19, s71
	s_add_co_ci_u32 s71, s72, 0
	s_delay_alu instid0(SALU_CYCLE_1) | instskip(NEXT) | instid1(SALU_CYCLE_1)
	s_add_nc_u64 s[70:71], s[28:29], s[70:71]
	s_add_co_u32 s4, s18, s70
	s_cselect_b32 s7, -1, 0
	s_mul_hi_u32 s28, s16, s4
	s_cmp_lg_u32 s7, 0
	s_mul_hi_u32 s7, s17, s4
	s_add_co_ci_u32 s70, s19, s71
	s_mul_i32 s4, s17, s4
	s_mul_hi_u32 s19, s16, s70
	s_mul_i32 s18, s16, s70
	s_mul_hi_u32 s71, s17, s70
	s_add_nc_u64 s[18:19], s[28:29], s[18:19]
	s_mul_i32 s70, s17, s70
	s_add_co_u32 s4, s18, s4
	s_add_co_ci_u32 s28, s19, s7
	s_add_co_ci_u32 s71, s71, 0
	s_delay_alu instid0(SALU_CYCLE_1) | instskip(NEXT) | instid1(SALU_CYCLE_1)
	s_add_nc_u64 s[18:19], s[28:29], s[70:71]
	s_and_b64 s[70:71], s[18:19], 0xffffffff00000000
	s_delay_alu instid0(SALU_CYCLE_1) | instskip(NEXT) | instid1(SALU_CYCLE_1)
	s_or_b32 s70, s70, s18
	s_mul_u64 s[18:19], s[40:41], s[70:71]
	s_delay_alu instid0(SALU_CYCLE_1) | instskip(SKIP_1) | instid1(SALU_CYCLE_1)
	s_sub_co_u32 s4, s16, s18
	s_cselect_b32 s7, -1, 0
	s_cmp_lg_u32 s7, 0
	s_sub_co_ci_u32 s7, s17, s19
	s_sub_co_u32 s18, s4, s40
	s_cselect_b32 s19, -1, 0
	s_delay_alu instid0(SALU_CYCLE_1) | instskip(SKIP_3) | instid1(SALU_CYCLE_1)
	s_cmp_lg_u32 s19, 0
	s_sub_co_ci_u32 s19, s7, 0
	s_sub_co_u32 s28, s18, s40
	s_cselect_b32 s70, -1, 0
	s_cmp_lg_u32 s70, 0
	s_sub_co_ci_u32 s70, s19, 0
	s_cmp_ge_u32 s18, s40
	s_cselect_b32 s71, -1, 0
	s_cmp_eq_u32 s19, 0
	s_cselect_b32 s71, s71, -1
	s_delay_alu instid0(SALU_CYCLE_1)
	s_cmp_lg_u32 s71, 0
	s_cselect_b32 s19, s70, s19
	s_cselect_b32 s18, s28, s18
	s_cmp_ge_u32 s4, s40
	s_cselect_b32 s28, -1, 0
	s_cmp_eq_u32 s7, 0
	s_cselect_b32 s28, s28, -1
	s_delay_alu instid0(SALU_CYCLE_1)
	s_cmp_lg_u32 s28, 0
	s_cselect_b32 s19, s19, s7
	s_cselect_b32 s18, s18, s4
	s_cbranch_execnz .LBB201_406
.LBB201_405:                            ;   in Loop: Header=BB201_31 Depth=1
	v_cvt_f32_u32_e32 v4, s40
	s_sub_co_i32 s7, 0, s40
	s_delay_alu instid0(VALU_DEP_1) | instskip(SKIP_1) | instid1(TRANS32_DEP_1)
	v_rcp_iflag_f32_e32 v4, v4
	v_nop
	v_mul_f32_e32 v4, 0x4f7ffffe, v4
	s_delay_alu instid0(VALU_DEP_1) | instskip(NEXT) | instid1(VALU_DEP_1)
	v_cvt_u32_f32_e32 v4, v4
	v_readfirstlane_b32 s4, v4
	s_mul_i32 s7, s7, s4
	s_delay_alu instid0(SALU_CYCLE_1) | instskip(NEXT) | instid1(SALU_CYCLE_1)
	s_mul_hi_u32 s7, s4, s7
	s_add_co_i32 s4, s4, s7
	s_delay_alu instid0(SALU_CYCLE_1) | instskip(NEXT) | instid1(SALU_CYCLE_1)
	s_mul_hi_u32 s4, s16, s4
	s_mul_i32 s4, s4, s40
	s_delay_alu instid0(SALU_CYCLE_1) | instskip(NEXT) | instid1(SALU_CYCLE_1)
	s_sub_co_i32 s4, s16, s4
	s_sub_co_i32 s7, s4, s40
	s_cmp_ge_u32 s4, s40
	s_cselect_b32 s4, s7, s4
	s_delay_alu instid0(SALU_CYCLE_1) | instskip(SKIP_2) | instid1(SALU_CYCLE_1)
	s_sub_co_i32 s7, s4, s40
	s_cmp_ge_u32 s4, s40
	s_cselect_b32 s28, s7, s4
	s_mov_b64 s[18:19], s[28:29]
.LBB201_406:                            ;   in Loop: Header=BB201_31 Depth=1
	s_delay_alu instid0(SALU_CYCLE_1)
	s_sub_nc_u64 s[16:17], s[16:17], s[18:19]
	s_mov_b32 s7, 0
	s_mov_b32 s4, 0
	s_mov_b32 s18, exec_lo
                                        ; implicit-def: $vgpr35
	v_cmpx_gt_u64_e64 s[16:17], v[0:1]
	s_cbranch_execz .LBB201_418
; %bb.407:                              ;   in Loop: Header=BB201_31 Depth=1
	v_mov_b64_e32 v[4:5], v[0:1]
	v_mov_b32_e32 v8, v16
                                        ; implicit-def: $sgpr19
	s_branch .LBB201_411
.LBB201_408:                            ;   in Loop: Header=BB201_411 Depth=2
	s_or_b32 exec_lo, exec_lo, s28
	s_wait_dscnt 0x0
	s_barrier_signal -1
	s_barrier_wait -1
	ds_load_b64 v[34:35], v3 offset:3072
	s_wait_dscnt 0x0
	s_barrier_signal -1
	s_barrier_wait -1
	v_cmp_neq_f32_e32 vcc_lo, 0, v34
	s_cbranch_vccnz .LBB201_414
; %bb.409:                              ;   in Loop: Header=BB201_411 Depth=2
	v_add_nc_u64_e32 v[4:5], s[40:41], v[4:5]
	v_add_nc_u32_e32 v8, s101, v8
	s_mov_b32 s28, 0
	s_delay_alu instid0(VALU_DEP_2)
	v_cmp_le_u64_e32 vcc_lo, s[16:17], v[4:5]
	s_or_not1_b32 s70, vcc_lo, exec_lo
.LBB201_410:                            ;   in Loop: Header=BB201_411 Depth=2
	s_delay_alu instid0(SALU_CYCLE_1) | instskip(NEXT) | instid1(SALU_CYCLE_1)
	s_and_b32 s70, exec_lo, s70
	s_or_b32 s4, s70, s4
	s_and_not1_b32 s19, s19, exec_lo
	s_and_b32 s28, s28, exec_lo
	s_delay_alu instid0(SALU_CYCLE_1)
	s_or_b32 s19, s19, s28
	s_and_not1_b32 exec_lo, exec_lo, s4
	s_cbranch_execz .LBB201_417
.LBB201_411:                            ;   Parent Loop BB201_31 Depth=1
                                        ; =>  This Inner Loop Header: Depth=2
	s_mov_b32 s28, exec_lo
	s_delay_alu instid0(VALU_DEP_2)
	v_cmpx_gt_u64_e64 s[10:11], v[4:5]
	s_cbranch_execz .LBB201_408
; %bb.412:                              ;   in Loop: Header=BB201_411 Depth=2
	ds_load_b32 v33, v8
	s_wait_dscnt 0x0
	v_cmp_lt_i32_e32 vcc_lo, -1, v33
	v_cndmask_b32_e64 v9, -1, 0x80000000, vcc_lo
	v_cmp_o_f32_e32 vcc_lo, v33, v33
	s_delay_alu instid0(VALU_DEP_2) | instskip(NEXT) | instid1(VALU_DEP_1)
	v_xor_b32_e32 v9, v9, v33
	v_cndmask_b32_e32 v9, -1, v9, vcc_lo
	s_delay_alu instid0(VALU_DEP_1) | instskip(NEXT) | instid1(VALU_DEP_1)
	v_and_b32_e32 v9, v9, v55
	v_cmp_eq_u32_e32 vcc_lo, v9, v53
	s_and_b32 exec_lo, exec_lo, vcc_lo
	s_cbranch_execz .LBB201_408
; %bb.413:                              ;   in Loop: Header=BB201_411 Depth=2
	ds_store_b64 v3, v[32:33] offset:3072
	s_branch .LBB201_408
.LBB201_414:                            ;   in Loop: Header=BB201_411 Depth=2
	s_mov_b32 s70, -1
	s_mov_b32 s28, -1
                                        ; implicit-def: $vgpr4_vgpr5
                                        ; implicit-def: $vgpr8
	s_branch .LBB201_410
.LBB201_415:                            ;   in Loop: Header=BB201_31 Depth=1
                                        ; implicit-def: $sgpr20_sgpr21
	s_branch .LBB201_358
.LBB201_416:                            ;   in Loop: Header=BB201_31 Depth=1
                                        ; implicit-def: $sgpr10_sgpr11
	s_branch .LBB201_375
.LBB201_417:                            ;   in Loop: Header=BB201_31 Depth=1
	s_or_b32 exec_lo, exec_lo, s4
	s_delay_alu instid0(SALU_CYCLE_1)
	s_and_b32 s4, s19, exec_lo
.LBB201_418:                            ;   in Loop: Header=BB201_31 Depth=1
	s_or_b32 exec_lo, exec_lo, s18
.LBB201_419:                            ;   in Loop: Header=BB201_31 Depth=1
	s_delay_alu instid0(SALU_CYCLE_1)
	s_and_b32 vcc_lo, exec_lo, s7
	s_cbranch_vccz .LBB201_434
; %bb.420:                              ;   in Loop: Header=BB201_31 Depth=1
	s_and_b64 s[10:11], s[66:67], 0xffffffff00000000
	s_delay_alu instid0(SALU_CYCLE_1)
	s_cmp_lg_u64 s[10:11], 0
	s_cbranch_scc0 .LBB201_453
; %bb.421:                              ;   in Loop: Header=BB201_31 Depth=1
	s_cvt_f32_u32 s7, s40
	s_sub_nc_u64 s[16:17], 0, s[40:41]
	s_delay_alu instid0(SALU_CYCLE_2) | instskip(NEXT) | instid1(SALU_CYCLE_3)
	s_fmamk_f32 s7, s102, 0x0, s7
	v_s_rcp_f32 s7, s7
	s_delay_alu instid0(TRANS32_DEP_1) | instskip(NEXT) | instid1(SALU_CYCLE_3)
	s_mul_f32 s7, s7, 0x5f7ffffc
	s_mul_f32 s10, s7, 0x2f800000
	s_delay_alu instid0(SALU_CYCLE_3) | instskip(NEXT) | instid1(SALU_CYCLE_3)
	s_trunc_f32 s10, s10
	s_fmamk_f32 s7, s10, 0xcf800000, s7
	s_cvt_u32_f32 s11, s10
	s_delay_alu instid0(SALU_CYCLE_2) | instskip(NEXT) | instid1(SALU_CYCLE_3)
	s_cvt_u32_f32 s10, s7
	s_mul_u64 s[18:19], s[16:17], s[10:11]
	s_delay_alu instid0(SALU_CYCLE_1)
	s_mul_hi_u32 s71, s10, s19
	s_mul_i32 s70, s10, s19
	s_mul_hi_u32 s28, s10, s18
	s_mul_i32 s72, s11, s18
	s_add_nc_u64 s[70:71], s[28:29], s[70:71]
	s_mul_hi_u32 s7, s11, s18
	s_mul_hi_u32 s73, s11, s19
	s_mul_i32 s18, s11, s19
	s_add_co_u32 s19, s70, s72
	s_add_co_ci_u32 s28, s71, s7
	s_add_co_ci_u32 s19, s73, 0
	s_delay_alu instid0(SALU_CYCLE_1) | instskip(NEXT) | instid1(SALU_CYCLE_1)
	s_add_nc_u64 s[18:19], s[28:29], s[18:19]
	s_add_co_u32 s10, s10, s18
	s_cselect_b32 s7, -1, 0
	s_delay_alu instid0(SALU_CYCLE_1) | instskip(SKIP_1) | instid1(SALU_CYCLE_1)
	s_cmp_lg_u32 s7, 0
	s_add_co_ci_u32 s11, s11, s19
	s_mul_u64 s[16:17], s[16:17], s[10:11]
	s_delay_alu instid0(SALU_CYCLE_1)
	s_mul_hi_u32 s19, s10, s17
	s_mul_i32 s18, s10, s17
	s_mul_hi_u32 s28, s10, s16
	s_mul_i32 s70, s11, s16
	s_add_nc_u64 s[18:19], s[28:29], s[18:19]
	s_mul_hi_u32 s7, s11, s16
	s_mul_hi_u32 s71, s11, s17
	s_mul_i32 s16, s11, s17
	s_add_co_u32 s17, s18, s70
	s_add_co_ci_u32 s28, s19, s7
	s_add_co_ci_u32 s17, s71, 0
	s_delay_alu instid0(SALU_CYCLE_1) | instskip(NEXT) | instid1(SALU_CYCLE_1)
	s_add_nc_u64 s[16:17], s[28:29], s[16:17]
	s_add_co_u32 s7, s10, s16
	s_cselect_b32 s10, -1, 0
	s_mul_hi_u32 s28, s66, s7
	s_cmp_lg_u32 s10, 0
	s_mul_hi_u32 s18, s67, s7
	s_add_co_ci_u32 s16, s11, s17
	s_mul_i32 s7, s67, s7
	s_mul_hi_u32 s11, s66, s16
	s_mul_i32 s10, s66, s16
	s_mul_hi_u32 s17, s67, s16
	s_add_nc_u64 s[10:11], s[28:29], s[10:11]
	s_mul_i32 s16, s67, s16
	s_add_co_u32 s7, s10, s7
	s_add_co_ci_u32 s28, s11, s18
	s_add_co_ci_u32 s17, s17, 0
	s_delay_alu instid0(SALU_CYCLE_1) | instskip(NEXT) | instid1(SALU_CYCLE_1)
	s_add_nc_u64 s[10:11], s[28:29], s[16:17]
	s_and_b64 s[16:17], s[10:11], 0xffffffff00000000
	s_delay_alu instid0(SALU_CYCLE_1) | instskip(NEXT) | instid1(SALU_CYCLE_1)
	s_or_b32 s16, s16, s10
	s_mul_u64 s[10:11], s[40:41], s[16:17]
	s_delay_alu instid0(SALU_CYCLE_1) | instskip(SKIP_1) | instid1(SALU_CYCLE_1)
	s_sub_co_u32 s7, s66, s10
	s_cselect_b32 s10, -1, 0
	s_cmp_lg_u32 s10, 0
	s_sub_co_ci_u32 s10, s67, s11
	s_sub_co_u32 s11, s7, s40
	s_cselect_b32 s16, -1, 0
	s_delay_alu instid0(SALU_CYCLE_1) | instskip(SKIP_3) | instid1(SALU_CYCLE_1)
	s_cmp_lg_u32 s16, 0
	s_sub_co_ci_u32 s16, s10, 0
	s_sub_co_u32 s17, s11, s40
	s_cselect_b32 s18, -1, 0
	s_cmp_lg_u32 s18, 0
	s_sub_co_ci_u32 s18, s16, 0
	s_cmp_ge_u32 s11, s40
	s_cselect_b32 s19, -1, 0
	s_cmp_eq_u32 s16, 0
	s_cselect_b32 s19, s19, -1
	s_delay_alu instid0(SALU_CYCLE_1)
	s_cmp_lg_u32 s19, 0
	s_cselect_b32 s16, s18, s16
	s_cselect_b32 s17, s17, s11
	s_cmp_ge_u32 s7, s40
	s_cselect_b32 s11, -1, 0
	s_cmp_eq_u32 s10, 0
	s_cselect_b32 s11, s11, -1
	s_delay_alu instid0(SALU_CYCLE_1)
	s_cmp_lg_u32 s11, 0
	s_cselect_b32 s11, s16, s10
	s_cselect_b32 s10, s17, s7
	s_cbranch_execnz .LBB201_423
.LBB201_422:                            ;   in Loop: Header=BB201_31 Depth=1
	v_cvt_f32_u32_e32 v4, s40
	s_sub_co_i32 s10, 0, s40
	s_delay_alu instid0(VALU_DEP_1) | instskip(SKIP_1) | instid1(TRANS32_DEP_1)
	v_rcp_iflag_f32_e32 v4, v4
	v_nop
	v_mul_f32_e32 v4, 0x4f7ffffe, v4
	s_delay_alu instid0(VALU_DEP_1) | instskip(NEXT) | instid1(VALU_DEP_1)
	v_cvt_u32_f32_e32 v4, v4
	v_readfirstlane_b32 s7, v4
	s_mul_i32 s10, s10, s7
	s_delay_alu instid0(SALU_CYCLE_1) | instskip(NEXT) | instid1(SALU_CYCLE_1)
	s_mul_hi_u32 s10, s7, s10
	s_add_co_i32 s7, s7, s10
	s_delay_alu instid0(SALU_CYCLE_1) | instskip(NEXT) | instid1(SALU_CYCLE_1)
	s_mul_hi_u32 s7, s66, s7
	s_mul_i32 s7, s7, s40
	s_delay_alu instid0(SALU_CYCLE_1) | instskip(NEXT) | instid1(SALU_CYCLE_1)
	s_sub_co_i32 s7, s66, s7
	s_sub_co_i32 s10, s7, s40
	s_cmp_ge_u32 s7, s40
	s_cselect_b32 s7, s10, s7
	s_delay_alu instid0(SALU_CYCLE_1) | instskip(SKIP_2) | instid1(SALU_CYCLE_1)
	s_sub_co_i32 s10, s7, s40
	s_cmp_ge_u32 s7, s40
	s_cselect_b32 s28, s10, s7
	s_mov_b64 s[10:11], s[28:29]
.LBB201_423:                            ;   in Loop: Header=BB201_31 Depth=1
	s_delay_alu instid0(SALU_CYCLE_1)
	s_sub_nc_u64 s[10:11], s[66:67], s[10:11]
	s_mov_b32 s7, exec_lo
                                        ; implicit-def: $vgpr35
	v_cmpx_gt_u64_e64 s[10:11], v[0:1]
	s_cbranch_execz .LBB201_433
; %bb.424:                              ;   in Loop: Header=BB201_31 Depth=1
	v_mov_b64_e32 v[4:5], v[30:31]
	v_mov_b64_e32 v[8:9], v[0:1]
	s_mov_b32 s16, 0
                                        ; implicit-def: $sgpr17
	s_branch .LBB201_428
.LBB201_425:                            ;   in Loop: Header=BB201_428 Depth=2
	s_or_b32 exec_lo, exec_lo, s18
	s_wait_dscnt 0x0
	s_barrier_signal -1
	s_barrier_wait -1
	ds_load_b64 v[34:35], v3 offset:3072
	s_wait_dscnt 0x0
	s_barrier_signal -1
	s_barrier_wait -1
	v_cmp_eq_f32_e32 vcc_lo, 0, v34
	s_cbranch_vccz .LBB201_431
; %bb.426:                              ;   in Loop: Header=BB201_428 Depth=2
	v_add_nc_u64_e32 v[8:9], s[40:41], v[8:9]
	v_add_nc_u64_e32 v[4:5], s[44:45], v[4:5]
	s_mov_b32 s18, 0
	s_delay_alu instid0(VALU_DEP_2)
	v_cmp_le_u64_e32 vcc_lo, s[10:11], v[8:9]
	s_or_not1_b32 s19, vcc_lo, exec_lo
.LBB201_427:                            ;   in Loop: Header=BB201_428 Depth=2
	s_delay_alu instid0(SALU_CYCLE_1) | instskip(NEXT) | instid1(SALU_CYCLE_1)
	s_and_b32 s19, exec_lo, s19
	s_or_b32 s16, s19, s16
	s_and_not1_b32 s17, s17, exec_lo
	s_and_b32 s18, s18, exec_lo
	s_delay_alu instid0(SALU_CYCLE_1)
	s_or_b32 s17, s17, s18
	s_and_not1_b32 exec_lo, exec_lo, s16
	s_cbranch_execz .LBB201_432
.LBB201_428:                            ;   Parent Loop BB201_31 Depth=1
                                        ; =>  This Inner Loop Header: Depth=2
	s_mov_b32 s18, exec_lo
	s_delay_alu instid0(VALU_DEP_1)
	v_cmpx_gt_u64_e64 s[36:37], v[8:9]
	s_cbranch_execz .LBB201_425
; %bb.429:                              ;   in Loop: Header=BB201_428 Depth=2
	global_load_b32 v33, v[4:5], off
	s_wait_loadcnt 0x0
	v_cmp_lt_i32_e32 vcc_lo, -1, v33
	v_cndmask_b32_e64 v10, -1, 0x80000000, vcc_lo
	v_cmp_o_f32_e32 vcc_lo, v33, v33
	s_delay_alu instid0(VALU_DEP_2) | instskip(NEXT) | instid1(VALU_DEP_1)
	v_xor_b32_e32 v10, v10, v33
	v_cndmask_b32_e32 v10, -1, v10, vcc_lo
	s_delay_alu instid0(VALU_DEP_1) | instskip(NEXT) | instid1(VALU_DEP_1)
	v_and_b32_e32 v10, v10, v55
	v_cmp_eq_u32_e32 vcc_lo, v10, v53
	s_and_b32 exec_lo, exec_lo, vcc_lo
	s_cbranch_execz .LBB201_425
; %bb.430:                              ;   in Loop: Header=BB201_428 Depth=2
	ds_store_b64 v3, v[32:33] offset:3072
	s_branch .LBB201_425
.LBB201_431:                            ;   in Loop: Header=BB201_428 Depth=2
	s_mov_b32 s19, -1
	s_mov_b32 s18, -1
                                        ; implicit-def: $vgpr8_vgpr9
                                        ; implicit-def: $vgpr4_vgpr5
	s_branch .LBB201_427
.LBB201_432:                            ;   in Loop: Header=BB201_31 Depth=1
	s_or_b32 exec_lo, exec_lo, s16
	s_delay_alu instid0(SALU_CYCLE_1) | instskip(SKIP_1) | instid1(SALU_CYCLE_1)
	s_and_not1_b32 s4, s4, exec_lo
	s_and_b32 s10, s17, exec_lo
	s_or_b32 s4, s4, s10
.LBB201_433:                            ;   in Loop: Header=BB201_31 Depth=1
	s_or_b32 exec_lo, exec_lo, s7
	s_mov_b32 s81, 0
	s_mov_b32 s83, -1
.LBB201_434:                            ;   in Loop: Header=BB201_31 Depth=1
	s_or_not1_b32 s4, s4, exec_lo
.LBB201_435:                            ;   in Loop: Header=BB201_31 Depth=1
	s_or_b32 exec_lo, exec_lo, s85
	s_mov_b32 s7, 0
	s_and_saveexec_b32 s18, s4
	s_cbranch_execz .LBB201_499
; %bb.436:                              ;   in Loop: Header=BB201_31 Depth=1
	v_mov_b64_e32 v[4:5], 1
	v_mov_b32_e32 v2, 1
	s_xor_b32 s10, s84, -1
	s_delay_alu instid0(SALU_CYCLE_1)
	s_and_saveexec_b32 s4, s10
	s_cbranch_execz .LBB201_445
; %bb.437:                              ;   in Loop: Header=BB201_31 Depth=1
	s_mov_b32 s7, exec_lo
	v_cmpx_ge_u64_e64 s[14:15], v[6:7]
	s_xor_b32 s7, exec_lo, s7
	s_cbranch_execz .LBB201_442
; %bb.438:                              ;   in Loop: Header=BB201_31 Depth=1
	ds_load_b64 v[4:5], v3 offset:5120
	s_lshl_b32 s10, 1, s103
	v_or_b32_e32 v55, s24, v55
	v_and_or_b32 v53, v53, s25, s10
	s_wait_dscnt 0x0
	v_cmp_ne_u64_e32 vcc_lo, 0, v[4:5]
	s_cbranch_vccnz .LBB201_442
; %bb.439:                              ;   in Loop: Header=BB201_31 Depth=1
	s_and_saveexec_b32 s10, s5
; %bb.440:                              ;   in Loop: Header=BB201_31 Depth=1
	v_mov_b64_e32 v[4:5], s[14:15]
	ds_store_b64 v3, v[4:5] offset:5128
; %bb.441:                              ;   in Loop: Header=BB201_31 Depth=1
	s_or_b32 exec_lo, exec_lo, s10
	s_wait_dscnt 0x0
	s_barrier_signal -1
	s_barrier_wait -1
.LBB201_442:                            ;   in Loop: Header=BB201_31 Depth=1
	s_or_saveexec_b32 s7, s7
	v_mov_b32_e32 v2, 5
	s_mov_b32 s10, 0
	s_xor_b32 exec_lo, exec_lo, s7
; %bb.443:                              ;   in Loop: Header=BB201_31 Depth=1
	v_sub_nc_u64_e64 v[6:7], v[6:7], s[14:15]
	v_mov_b32_e32 v2, 0
	s_mov_b32 s10, exec_lo
; %bb.444:                              ;   in Loop: Header=BB201_31 Depth=1
	s_or_b32 exec_lo, exec_lo, s7
	s_delay_alu instid0(VALU_DEP_2)
	v_mov_b64_e32 v[4:5], v[6:7]
	s_and_b32 s7, s10, exec_lo
.LBB201_445:                            ;   in Loop: Header=BB201_31 Depth=1
	s_or_b32 exec_lo, exec_lo, s4
	s_mov_b32 s4, -1
                                        ; implicit-def: $sgpr87
                                        ; implicit-def: $sgpr86
	s_and_saveexec_b32 s19, s7
	s_cbranch_execz .LBB201_498
; %bb.446:                              ;   in Loop: Header=BB201_31 Depth=1
	s_delay_alu instid0(VALU_DEP_1) | instskip(SKIP_3) | instid1(SALU_CYCLE_1)
	v_cmp_eq_u64_e32 vcc_lo, 1, v[4:5]
	s_cmp_eq_u64 s[12:13], 1
	s_mov_b32 s7, -1
	s_cselect_b32 s4, -1, 0
                                        ; implicit-def: $sgpr87
                                        ; implicit-def: $sgpr86
	s_and_b32 s84, s4, vcc_lo
	s_delay_alu instid0(SALU_CYCLE_1)
	s_and_saveexec_b32 s85, s84
	s_cbranch_execz .LBB201_486
; %bb.447:                              ;   in Loop: Header=BB201_31 Depth=1
	ds_load_b64 v[6:7], v3 offset:5120
	s_wait_dscnt 0x0
	s_barrier_signal -1
	s_barrier_wait -1
	v_readfirstlane_b32 s10, v6
	v_readfirstlane_b32 s11, v7
	s_and_saveexec_b32 s4, s6
; %bb.448:                              ;   in Loop: Header=BB201_31 Depth=1
	ds_store_b32 v50, v3
; %bb.449:                              ;   in Loop: Header=BB201_31 Depth=1
	s_or_b32 exec_lo, exec_lo, s4
	v_and_b32_e32 v53, s25, v53
	v_or_b32_e32 v55, s24, v55
	s_mov_b32 s86, -1
	s_mov_b32 s87, 0
	s_cmp_eq_u64 s[10:11], 0
	s_mov_b32 s4, 0
	s_wait_dscnt 0x0
	s_barrier_signal -1
	s_barrier_wait -1
                                        ; implicit-def: $vgpr35
	s_cbranch_scc1 .LBB201_468
; %bb.450:                              ;   in Loop: Header=BB201_31 Depth=1
	s_add_nc_u64 s[14:15], s[10:11], s[64:65]
	s_delay_alu instid0(SALU_CYCLE_1) | instskip(NEXT) | instid1(SALU_CYCLE_1)
	s_and_b64 s[16:17], s[14:15], 0xffffffff00000000
	s_cmp_lg_u64 s[16:17], 0
	s_cbranch_scc0 .LBB201_454
; %bb.451:                              ;   in Loop: Header=BB201_31 Depth=1
	s_cvt_f32_u32 s4, s40
	s_sub_nc_u64 s[70:71], 0, s[40:41]
	s_delay_alu instid0(SALU_CYCLE_2) | instskip(NEXT) | instid1(SALU_CYCLE_3)
	s_fmamk_f32 s4, s102, 0x0, s4
	v_s_rcp_f32 s4, s4
	s_delay_alu instid0(TRANS32_DEP_1) | instskip(NEXT) | instid1(SALU_CYCLE_3)
	s_mul_f32 s4, s4, 0x5f7ffffc
	s_mul_f32 s7, s4, 0x2f800000
	s_delay_alu instid0(SALU_CYCLE_3) | instskip(NEXT) | instid1(SALU_CYCLE_3)
	s_trunc_f32 s7, s7
	s_fmamk_f32 s4, s7, 0xcf800000, s4
	s_cvt_u32_f32 s17, s7
	s_delay_alu instid0(SALU_CYCLE_2) | instskip(NEXT) | instid1(SALU_CYCLE_3)
	s_cvt_u32_f32 s16, s4
	s_mul_u64 s[88:89], s[70:71], s[16:17]
	s_delay_alu instid0(SALU_CYCLE_1)
	s_mul_hi_u32 s91, s16, s89
	s_mul_i32 s90, s16, s89
	s_mul_hi_u32 s28, s16, s88
	s_mul_i32 s7, s17, s88
	s_add_nc_u64 s[90:91], s[28:29], s[90:91]
	s_mul_hi_u32 s4, s17, s88
	s_mul_hi_u32 s72, s17, s89
	s_add_co_u32 s7, s90, s7
	s_add_co_ci_u32 s28, s91, s4
	s_mul_i32 s88, s17, s89
	s_add_co_ci_u32 s89, s72, 0
	s_delay_alu instid0(SALU_CYCLE_1) | instskip(NEXT) | instid1(SALU_CYCLE_1)
	s_add_nc_u64 s[88:89], s[28:29], s[88:89]
	s_add_co_u32 s16, s16, s88
	s_cselect_b32 s4, -1, 0
	s_delay_alu instid0(SALU_CYCLE_1) | instskip(SKIP_1) | instid1(SALU_CYCLE_1)
	s_cmp_lg_u32 s4, 0
	s_add_co_ci_u32 s17, s17, s89
	s_mul_u64 s[70:71], s[70:71], s[16:17]
	s_delay_alu instid0(SALU_CYCLE_1)
	s_mul_hi_u32 s89, s16, s71
	s_mul_i32 s88, s16, s71
	s_mul_hi_u32 s28, s16, s70
	s_mul_i32 s7, s17, s70
	s_add_nc_u64 s[88:89], s[28:29], s[88:89]
	s_mul_hi_u32 s4, s17, s70
	s_mul_hi_u32 s72, s17, s71
	s_add_co_u32 s7, s88, s7
	s_add_co_ci_u32 s28, s89, s4
	s_mul_i32 s70, s17, s71
	s_add_co_ci_u32 s71, s72, 0
	s_delay_alu instid0(SALU_CYCLE_1) | instskip(NEXT) | instid1(SALU_CYCLE_1)
	s_add_nc_u64 s[70:71], s[28:29], s[70:71]
	s_add_co_u32 s4, s16, s70
	s_cselect_b32 s7, -1, 0
	s_mul_hi_u32 s28, s14, s4
	s_cmp_lg_u32 s7, 0
	s_mul_hi_u32 s7, s15, s4
	s_add_co_ci_u32 s70, s17, s71
	s_mul_i32 s4, s15, s4
	s_mul_hi_u32 s17, s14, s70
	s_mul_i32 s16, s14, s70
	s_mul_hi_u32 s71, s15, s70
	s_add_nc_u64 s[16:17], s[28:29], s[16:17]
	s_mul_i32 s70, s15, s70
	s_add_co_u32 s4, s16, s4
	s_add_co_ci_u32 s28, s17, s7
	s_add_co_ci_u32 s71, s71, 0
	s_delay_alu instid0(SALU_CYCLE_1) | instskip(NEXT) | instid1(SALU_CYCLE_1)
	s_add_nc_u64 s[16:17], s[28:29], s[70:71]
	s_and_b64 s[70:71], s[16:17], 0xffffffff00000000
	s_delay_alu instid0(SALU_CYCLE_1) | instskip(NEXT) | instid1(SALU_CYCLE_1)
	s_or_b32 s70, s70, s16
	s_mul_u64 s[16:17], s[40:41], s[70:71]
	s_delay_alu instid0(SALU_CYCLE_1) | instskip(SKIP_1) | instid1(SALU_CYCLE_1)
	s_sub_co_u32 s4, s14, s16
	s_cselect_b32 s7, -1, 0
	s_cmp_lg_u32 s7, 0
	s_sub_co_ci_u32 s7, s15, s17
	s_sub_co_u32 s16, s4, s40
	s_cselect_b32 s17, -1, 0
	s_delay_alu instid0(SALU_CYCLE_1) | instskip(SKIP_3) | instid1(SALU_CYCLE_1)
	s_cmp_lg_u32 s17, 0
	s_sub_co_ci_u32 s17, s7, 0
	s_sub_co_u32 s28, s16, s40
	s_cselect_b32 s70, -1, 0
	s_cmp_lg_u32 s70, 0
	s_sub_co_ci_u32 s70, s17, 0
	s_cmp_ge_u32 s16, s40
	s_cselect_b32 s71, -1, 0
	s_cmp_eq_u32 s17, 0
	s_cselect_b32 s71, s71, -1
	s_delay_alu instid0(SALU_CYCLE_1)
	s_cmp_lg_u32 s71, 0
	s_cselect_b32 s17, s70, s17
	s_cselect_b32 s16, s28, s16
	s_cmp_ge_u32 s4, s40
	s_cselect_b32 s28, -1, 0
	s_cmp_eq_u32 s7, 0
	s_cselect_b32 s28, s28, -1
	s_delay_alu instid0(SALU_CYCLE_1)
	s_cmp_lg_u32 s28, 0
	s_cselect_b32 s17, s17, s7
	s_cselect_b32 s16, s16, s4
	s_mov_b32 s4, 0
	s_branch .LBB201_455
.LBB201_452:                            ;   in Loop: Header=BB201_31 Depth=1
                                        ; implicit-def: $sgpr18_sgpr19
	s_branch .LBB201_405
.LBB201_453:                            ;   in Loop: Header=BB201_31 Depth=1
                                        ; implicit-def: $sgpr10_sgpr11
	s_branch .LBB201_422
.LBB201_454:                            ;   in Loop: Header=BB201_31 Depth=1
	s_mov_b32 s4, -1
                                        ; implicit-def: $sgpr16_sgpr17
.LBB201_455:                            ;   in Loop: Header=BB201_31 Depth=1
	s_delay_alu instid0(SALU_CYCLE_1)
	s_and_not1_b32 vcc_lo, exec_lo, s4
	s_cbranch_vccnz .LBB201_457
; %bb.456:                              ;   in Loop: Header=BB201_31 Depth=1
	v_cvt_f32_u32_e32 v6, s40
	s_sub_co_i32 s7, 0, s40
	s_delay_alu instid0(VALU_DEP_1) | instskip(SKIP_1) | instid1(TRANS32_DEP_1)
	v_rcp_iflag_f32_e32 v6, v6
	v_nop
	v_mul_f32_e32 v6, 0x4f7ffffe, v6
	s_delay_alu instid0(VALU_DEP_1) | instskip(NEXT) | instid1(VALU_DEP_1)
	v_cvt_u32_f32_e32 v6, v6
	v_readfirstlane_b32 s4, v6
	s_mul_i32 s7, s7, s4
	s_delay_alu instid0(SALU_CYCLE_1) | instskip(NEXT) | instid1(SALU_CYCLE_1)
	s_mul_hi_u32 s7, s4, s7
	s_add_co_i32 s4, s4, s7
	s_delay_alu instid0(SALU_CYCLE_1) | instskip(NEXT) | instid1(SALU_CYCLE_1)
	s_mul_hi_u32 s4, s14, s4
	s_mul_i32 s4, s4, s40
	s_delay_alu instid0(SALU_CYCLE_1) | instskip(NEXT) | instid1(SALU_CYCLE_1)
	s_sub_co_i32 s4, s14, s4
	s_sub_co_i32 s7, s4, s40
	s_cmp_ge_u32 s4, s40
	s_cselect_b32 s4, s7, s4
	s_delay_alu instid0(SALU_CYCLE_1) | instskip(SKIP_2) | instid1(SALU_CYCLE_1)
	s_sub_co_i32 s7, s4, s40
	s_cmp_ge_u32 s4, s40
	s_cselect_b32 s28, s7, s4
	s_mov_b64 s[16:17], s[28:29]
.LBB201_457:                            ;   in Loop: Header=BB201_31 Depth=1
	s_delay_alu instid0(SALU_CYCLE_1)
	s_sub_nc_u64 s[14:15], s[14:15], s[16:17]
	s_mov_b32 s7, 0
	s_mov_b32 s4, 0
	s_mov_b32 s16, exec_lo
                                        ; implicit-def: $vgpr35
	v_cmpx_gt_u64_e64 s[14:15], v[0:1]
	s_cbranch_execz .LBB201_467
; %bb.458:                              ;   in Loop: Header=BB201_31 Depth=1
	v_mov_b64_e32 v[6:7], v[0:1]
	v_mov_b32_e32 v8, v16
                                        ; implicit-def: $sgpr17
	s_branch .LBB201_462
.LBB201_459:                            ;   in Loop: Header=BB201_462 Depth=2
	s_or_b32 exec_lo, exec_lo, s28
	s_wait_dscnt 0x0
	s_barrier_signal -1
	s_barrier_wait -1
	ds_load_b64 v[34:35], v3 offset:3072
	s_wait_dscnt 0x0
	s_barrier_signal -1
	s_barrier_wait -1
	v_cmp_neq_f32_e32 vcc_lo, 0, v34
	s_cbranch_vccnz .LBB201_465
; %bb.460:                              ;   in Loop: Header=BB201_462 Depth=2
	v_add_nc_u64_e32 v[6:7], s[40:41], v[6:7]
	v_add_nc_u32_e32 v8, s101, v8
	s_mov_b32 s28, 0
	s_delay_alu instid0(VALU_DEP_2)
	v_cmp_le_u64_e32 vcc_lo, s[14:15], v[6:7]
	s_or_not1_b32 s70, vcc_lo, exec_lo
.LBB201_461:                            ;   in Loop: Header=BB201_462 Depth=2
	s_delay_alu instid0(SALU_CYCLE_1) | instskip(NEXT) | instid1(SALU_CYCLE_1)
	s_and_b32 s70, exec_lo, s70
	s_or_b32 s4, s70, s4
	s_and_not1_b32 s17, s17, exec_lo
	s_and_b32 s28, s28, exec_lo
	s_delay_alu instid0(SALU_CYCLE_1)
	s_or_b32 s17, s17, s28
	s_and_not1_b32 exec_lo, exec_lo, s4
	s_cbranch_execz .LBB201_466
.LBB201_462:                            ;   Parent Loop BB201_31 Depth=1
                                        ; =>  This Inner Loop Header: Depth=2
	s_mov_b32 s28, exec_lo
	s_delay_alu instid0(VALU_DEP_2)
	v_cmpx_gt_u64_e64 s[10:11], v[6:7]
	s_cbranch_execz .LBB201_459
; %bb.463:                              ;   in Loop: Header=BB201_462 Depth=2
	ds_load_b32 v33, v8
	s_wait_dscnt 0x0
	v_cmp_lt_i32_e32 vcc_lo, -1, v33
	v_cndmask_b32_e64 v9, -1, 0x80000000, vcc_lo
	v_cmp_o_f32_e32 vcc_lo, v33, v33
	s_delay_alu instid0(VALU_DEP_2) | instskip(NEXT) | instid1(VALU_DEP_1)
	v_xor_b32_e32 v9, v9, v33
	v_cndmask_b32_e32 v9, -1, v9, vcc_lo
	s_delay_alu instid0(VALU_DEP_1) | instskip(NEXT) | instid1(VALU_DEP_1)
	v_and_b32_e32 v9, v9, v55
	v_cmp_eq_u32_e32 vcc_lo, v9, v53
	s_and_b32 exec_lo, exec_lo, vcc_lo
	s_cbranch_execz .LBB201_459
; %bb.464:                              ;   in Loop: Header=BB201_462 Depth=2
	ds_store_b64 v3, v[32:33] offset:3072
	s_branch .LBB201_459
.LBB201_465:                            ;   in Loop: Header=BB201_462 Depth=2
	s_mov_b32 s70, -1
	s_mov_b32 s28, -1
                                        ; implicit-def: $vgpr6_vgpr7
                                        ; implicit-def: $vgpr8
	s_branch .LBB201_461
.LBB201_466:                            ;   in Loop: Header=BB201_31 Depth=1
	s_or_b32 exec_lo, exec_lo, s4
	s_delay_alu instid0(SALU_CYCLE_1)
	s_and_b32 s4, s17, exec_lo
.LBB201_467:                            ;   in Loop: Header=BB201_31 Depth=1
	s_or_b32 exec_lo, exec_lo, s16
.LBB201_468:                            ;   in Loop: Header=BB201_31 Depth=1
	s_delay_alu instid0(SALU_CYCLE_1)
	s_and_b32 vcc_lo, exec_lo, s7
	s_cbranch_vccz .LBB201_485
; %bb.469:                              ;   in Loop: Header=BB201_31 Depth=1
	s_and_b64 s[10:11], s[66:67], 0xffffffff00000000
	s_delay_alu instid0(SALU_CYCLE_1)
	s_cmp_lg_u64 s[10:11], 0
	s_cbranch_scc0 .LBB201_471
; %bb.470:                              ;   in Loop: Header=BB201_31 Depth=1
	s_cvt_f32_u32 s7, s40
	s_sub_nc_u64 s[14:15], 0, s[40:41]
	s_delay_alu instid0(SALU_CYCLE_2) | instskip(NEXT) | instid1(SALU_CYCLE_3)
	s_fmamk_f32 s7, s102, 0x0, s7
	v_s_rcp_f32 s7, s7
	s_delay_alu instid0(TRANS32_DEP_1) | instskip(NEXT) | instid1(SALU_CYCLE_3)
	s_mul_f32 s7, s7, 0x5f7ffffc
	s_mul_f32 s10, s7, 0x2f800000
	s_delay_alu instid0(SALU_CYCLE_3) | instskip(NEXT) | instid1(SALU_CYCLE_3)
	s_trunc_f32 s10, s10
	s_fmamk_f32 s7, s10, 0xcf800000, s7
	s_cvt_u32_f32 s11, s10
	s_delay_alu instid0(SALU_CYCLE_2) | instskip(NEXT) | instid1(SALU_CYCLE_3)
	s_cvt_u32_f32 s10, s7
	s_mul_u64 s[16:17], s[14:15], s[10:11]
	s_delay_alu instid0(SALU_CYCLE_1)
	s_mul_hi_u32 s71, s10, s17
	s_mul_i32 s70, s10, s17
	s_mul_hi_u32 s28, s10, s16
	s_mul_i32 s72, s11, s16
	s_add_nc_u64 s[70:71], s[28:29], s[70:71]
	s_mul_hi_u32 s7, s11, s16
	s_mul_hi_u32 s73, s11, s17
	s_mul_i32 s16, s11, s17
	s_add_co_u32 s17, s70, s72
	s_add_co_ci_u32 s28, s71, s7
	s_add_co_ci_u32 s17, s73, 0
	s_delay_alu instid0(SALU_CYCLE_1) | instskip(NEXT) | instid1(SALU_CYCLE_1)
	s_add_nc_u64 s[16:17], s[28:29], s[16:17]
	s_add_co_u32 s10, s10, s16
	s_cselect_b32 s7, -1, 0
	s_delay_alu instid0(SALU_CYCLE_1) | instskip(SKIP_1) | instid1(SALU_CYCLE_1)
	s_cmp_lg_u32 s7, 0
	s_add_co_ci_u32 s11, s11, s17
	s_mul_u64 s[14:15], s[14:15], s[10:11]
	s_delay_alu instid0(SALU_CYCLE_1)
	s_mul_hi_u32 s17, s10, s15
	s_mul_i32 s16, s10, s15
	s_mul_hi_u32 s28, s10, s14
	s_mul_i32 s70, s11, s14
	s_add_nc_u64 s[16:17], s[28:29], s[16:17]
	s_mul_hi_u32 s7, s11, s14
	s_mul_hi_u32 s71, s11, s15
	s_mul_i32 s14, s11, s15
	s_add_co_u32 s15, s16, s70
	s_add_co_ci_u32 s28, s17, s7
	s_add_co_ci_u32 s15, s71, 0
	s_delay_alu instid0(SALU_CYCLE_1) | instskip(NEXT) | instid1(SALU_CYCLE_1)
	s_add_nc_u64 s[14:15], s[28:29], s[14:15]
	s_add_co_u32 s7, s10, s14
	s_cselect_b32 s10, -1, 0
	s_mul_hi_u32 s28, s66, s7
	s_cmp_lg_u32 s10, 0
	s_mul_hi_u32 s16, s67, s7
	s_add_co_ci_u32 s14, s11, s15
	s_mul_i32 s7, s67, s7
	s_mul_hi_u32 s11, s66, s14
	s_mul_i32 s10, s66, s14
	s_mul_hi_u32 s15, s67, s14
	s_add_nc_u64 s[10:11], s[28:29], s[10:11]
	s_mul_i32 s14, s67, s14
	s_add_co_u32 s7, s10, s7
	s_add_co_ci_u32 s28, s11, s16
	s_add_co_ci_u32 s15, s15, 0
	s_delay_alu instid0(SALU_CYCLE_1) | instskip(NEXT) | instid1(SALU_CYCLE_1)
	s_add_nc_u64 s[10:11], s[28:29], s[14:15]
	s_and_b64 s[14:15], s[10:11], 0xffffffff00000000
	s_delay_alu instid0(SALU_CYCLE_1) | instskip(NEXT) | instid1(SALU_CYCLE_1)
	s_or_b32 s14, s14, s10
	s_mul_u64 s[10:11], s[40:41], s[14:15]
	s_delay_alu instid0(SALU_CYCLE_1) | instskip(SKIP_1) | instid1(SALU_CYCLE_1)
	s_sub_co_u32 s7, s66, s10
	s_cselect_b32 s10, -1, 0
	s_cmp_lg_u32 s10, 0
	s_sub_co_ci_u32 s10, s67, s11
	s_sub_co_u32 s11, s7, s40
	s_cselect_b32 s14, -1, 0
	s_delay_alu instid0(SALU_CYCLE_1) | instskip(SKIP_3) | instid1(SALU_CYCLE_1)
	s_cmp_lg_u32 s14, 0
	s_sub_co_ci_u32 s14, s10, 0
	s_sub_co_u32 s15, s11, s40
	s_cselect_b32 s16, -1, 0
	s_cmp_lg_u32 s16, 0
	s_sub_co_ci_u32 s16, s14, 0
	s_cmp_ge_u32 s11, s40
	s_cselect_b32 s17, -1, 0
	s_cmp_eq_u32 s14, 0
	s_cselect_b32 s17, s17, -1
	s_delay_alu instid0(SALU_CYCLE_1)
	s_cmp_lg_u32 s17, 0
	s_cselect_b32 s14, s16, s14
	s_cselect_b32 s15, s15, s11
	s_cmp_ge_u32 s7, s40
	s_cselect_b32 s11, -1, 0
	s_cmp_eq_u32 s10, 0
	s_cselect_b32 s11, s11, -1
	s_delay_alu instid0(SALU_CYCLE_1)
	s_cmp_lg_u32 s11, 0
	s_cselect_b32 s11, s14, s10
	s_cselect_b32 s10, s15, s7
	s_mov_b32 s7, 0
	s_branch .LBB201_472
.LBB201_471:                            ;   in Loop: Header=BB201_31 Depth=1
	s_mov_b32 s7, -1
                                        ; implicit-def: $sgpr10_sgpr11
.LBB201_472:                            ;   in Loop: Header=BB201_31 Depth=1
	s_delay_alu instid0(SALU_CYCLE_1)
	s_and_not1_b32 vcc_lo, exec_lo, s7
	s_cbranch_vccnz .LBB201_474
; %bb.473:                              ;   in Loop: Header=BB201_31 Depth=1
	v_cvt_f32_u32_e32 v6, s40
	s_sub_co_i32 s10, 0, s40
	s_delay_alu instid0(VALU_DEP_1) | instskip(SKIP_1) | instid1(TRANS32_DEP_1)
	v_rcp_iflag_f32_e32 v6, v6
	v_nop
	v_mul_f32_e32 v6, 0x4f7ffffe, v6
	s_delay_alu instid0(VALU_DEP_1) | instskip(NEXT) | instid1(VALU_DEP_1)
	v_cvt_u32_f32_e32 v6, v6
	v_readfirstlane_b32 s7, v6
	s_mul_i32 s10, s10, s7
	s_delay_alu instid0(SALU_CYCLE_1) | instskip(NEXT) | instid1(SALU_CYCLE_1)
	s_mul_hi_u32 s10, s7, s10
	s_add_co_i32 s7, s7, s10
	s_delay_alu instid0(SALU_CYCLE_1) | instskip(NEXT) | instid1(SALU_CYCLE_1)
	s_mul_hi_u32 s7, s66, s7
	s_mul_i32 s7, s7, s40
	s_delay_alu instid0(SALU_CYCLE_1) | instskip(NEXT) | instid1(SALU_CYCLE_1)
	s_sub_co_i32 s7, s66, s7
	s_sub_co_i32 s10, s7, s40
	s_cmp_ge_u32 s7, s40
	s_cselect_b32 s7, s10, s7
	s_delay_alu instid0(SALU_CYCLE_1) | instskip(SKIP_2) | instid1(SALU_CYCLE_1)
	s_sub_co_i32 s10, s7, s40
	s_cmp_ge_u32 s7, s40
	s_cselect_b32 s28, s10, s7
	s_mov_b64 s[10:11], s[28:29]
.LBB201_474:                            ;   in Loop: Header=BB201_31 Depth=1
	s_delay_alu instid0(SALU_CYCLE_1)
	s_sub_nc_u64 s[10:11], s[66:67], s[10:11]
	s_mov_b32 s7, exec_lo
                                        ; implicit-def: $vgpr35
	v_cmpx_gt_u64_e64 s[10:11], v[0:1]
	s_cbranch_execz .LBB201_484
; %bb.475:                              ;   in Loop: Header=BB201_31 Depth=1
	v_mov_b64_e32 v[6:7], v[30:31]
	v_mov_b64_e32 v[8:9], v[0:1]
	s_mov_b32 s14, 0
                                        ; implicit-def: $sgpr15
	s_branch .LBB201_479
.LBB201_476:                            ;   in Loop: Header=BB201_479 Depth=2
	s_or_b32 exec_lo, exec_lo, s16
	s_wait_dscnt 0x0
	s_barrier_signal -1
	s_barrier_wait -1
	ds_load_b64 v[34:35], v3 offset:3072
	s_wait_dscnt 0x0
	s_barrier_signal -1
	s_barrier_wait -1
	v_cmp_eq_f32_e32 vcc_lo, 0, v34
	s_cbranch_vccz .LBB201_482
; %bb.477:                              ;   in Loop: Header=BB201_479 Depth=2
	v_add_nc_u64_e32 v[8:9], s[40:41], v[8:9]
	v_add_nc_u64_e32 v[6:7], s[44:45], v[6:7]
	s_mov_b32 s16, 0
	s_delay_alu instid0(VALU_DEP_2)
	v_cmp_le_u64_e32 vcc_lo, s[10:11], v[8:9]
	s_or_not1_b32 s17, vcc_lo, exec_lo
.LBB201_478:                            ;   in Loop: Header=BB201_479 Depth=2
	s_delay_alu instid0(SALU_CYCLE_1) | instskip(NEXT) | instid1(SALU_CYCLE_1)
	s_and_b32 s17, exec_lo, s17
	s_or_b32 s14, s17, s14
	s_and_not1_b32 s15, s15, exec_lo
	s_and_b32 s16, s16, exec_lo
	s_delay_alu instid0(SALU_CYCLE_1)
	s_or_b32 s15, s15, s16
	s_and_not1_b32 exec_lo, exec_lo, s14
	s_cbranch_execz .LBB201_483
.LBB201_479:                            ;   Parent Loop BB201_31 Depth=1
                                        ; =>  This Inner Loop Header: Depth=2
	s_mov_b32 s16, exec_lo
	s_delay_alu instid0(VALU_DEP_1)
	v_cmpx_gt_u64_e64 s[36:37], v[8:9]
	s_cbranch_execz .LBB201_476
; %bb.480:                              ;   in Loop: Header=BB201_479 Depth=2
	global_load_b32 v33, v[6:7], off
	s_wait_loadcnt 0x0
	v_cmp_lt_i32_e32 vcc_lo, -1, v33
	v_cndmask_b32_e64 v10, -1, 0x80000000, vcc_lo
	v_cmp_o_f32_e32 vcc_lo, v33, v33
	s_delay_alu instid0(VALU_DEP_2) | instskip(NEXT) | instid1(VALU_DEP_1)
	v_xor_b32_e32 v10, v10, v33
	v_cndmask_b32_e32 v10, -1, v10, vcc_lo
	s_delay_alu instid0(VALU_DEP_1) | instskip(NEXT) | instid1(VALU_DEP_1)
	v_and_b32_e32 v10, v10, v55
	v_cmp_eq_u32_e32 vcc_lo, v10, v53
	s_and_b32 exec_lo, exec_lo, vcc_lo
	s_cbranch_execz .LBB201_476
; %bb.481:                              ;   in Loop: Header=BB201_479 Depth=2
	ds_store_b64 v3, v[32:33] offset:3072
	s_branch .LBB201_476
.LBB201_482:                            ;   in Loop: Header=BB201_479 Depth=2
	s_mov_b32 s17, -1
	s_mov_b32 s16, -1
                                        ; implicit-def: $vgpr8_vgpr9
                                        ; implicit-def: $vgpr6_vgpr7
	s_branch .LBB201_478
.LBB201_483:                            ;   in Loop: Header=BB201_31 Depth=1
	s_or_b32 exec_lo, exec_lo, s14
	s_delay_alu instid0(SALU_CYCLE_1) | instskip(SKIP_1) | instid1(SALU_CYCLE_1)
	s_and_not1_b32 s4, s4, exec_lo
	s_and_b32 s10, s15, exec_lo
	s_or_b32 s4, s4, s10
.LBB201_484:                            ;   in Loop: Header=BB201_31 Depth=1
	s_or_b32 exec_lo, exec_lo, s7
	s_mov_b32 s86, 0
	s_mov_b32 s87, -1
.LBB201_485:                            ;   in Loop: Header=BB201_31 Depth=1
	s_or_not1_b32 s7, s4, exec_lo
.LBB201_486:                            ;   in Loop: Header=BB201_31 Depth=1
	s_or_b32 exec_lo, exec_lo, s85
	s_mov_b32 s10, 0
	s_and_saveexec_b32 s4, s7
	s_cbranch_execz .LBB201_497
; %bb.487:                              ;   in Loop: Header=BB201_31 Depth=1
	v_mov_b64_e32 v[6:7], 1
	v_mov_b32_e32 v2, 1
	s_xor_b32 s10, s84, -1
	s_delay_alu instid0(SALU_CYCLE_1)
	s_and_saveexec_b32 s7, s10
	s_cbranch_execz .LBB201_496
; %bb.488:                              ;   in Loop: Header=BB201_31 Depth=1
	s_mov_b32 s10, exec_lo
	v_cmpx_ge_u64_e64 s[12:13], v[4:5]
	s_xor_b32 s10, exec_lo, s10
	s_cbranch_execz .LBB201_493
; %bb.489:                              ;   in Loop: Header=BB201_31 Depth=1
	ds_load_b64 v[6:7], v3 offset:5120
	v_and_b32_e32 v53, s25, v53
	v_or_b32_e32 v55, s24, v55
	s_wait_dscnt 0x0
	v_cmp_ne_u64_e32 vcc_lo, 0, v[6:7]
	s_cbranch_vccnz .LBB201_493
; %bb.490:                              ;   in Loop: Header=BB201_31 Depth=1
	s_and_saveexec_b32 s11, s5
; %bb.491:                              ;   in Loop: Header=BB201_31 Depth=1
	v_mov_b64_e32 v[6:7], s[12:13]
	ds_store_b64 v3, v[6:7] offset:5128
; %bb.492:                              ;   in Loop: Header=BB201_31 Depth=1
	s_or_b32 exec_lo, exec_lo, s11
	s_wait_dscnt 0x0
	s_barrier_signal -1
	s_barrier_wait -1
.LBB201_493:                            ;   in Loop: Header=BB201_31 Depth=1
	s_and_not1_saveexec_b32 s10, s10
; %bb.494:                              ;   in Loop: Header=BB201_31 Depth=1
	v_sub_nc_u64_e64 v[4:5], v[4:5], s[12:13]
; %bb.495:                              ;   in Loop: Header=BB201_31 Depth=1
	s_or_b32 exec_lo, exec_lo, s10
	s_delay_alu instid0(VALU_DEP_1)
	v_mov_b64_e32 v[6:7], v[4:5]
	v_mov_b32_e32 v2, 5
.LBB201_496:                            ;   in Loop: Header=BB201_31 Depth=1
	s_or_b32 exec_lo, exec_lo, s7
	s_delay_alu instid0(VALU_DEP_2)
	v_mov_b64_e32 v[4:5], v[6:7]
	s_mov_b32 s10, exec_lo
.LBB201_497:                            ;   in Loop: Header=BB201_31 Depth=1
	s_or_b32 exec_lo, exec_lo, s4
	s_delay_alu instid0(SALU_CYCLE_1)
	s_or_not1_b32 s4, s10, exec_lo
.LBB201_498:                            ;   in Loop: Header=BB201_31 Depth=1
	s_or_b32 exec_lo, exec_lo, s19
	s_delay_alu instid0(SALU_CYCLE_1)
	s_and_not1_b32 s7, s83, exec_lo
	s_and_b32 s10, s87, exec_lo
	s_and_not1_b32 s11, s81, exec_lo
	s_and_b32 s12, s86, exec_lo
	v_mov_b64_e32 v[6:7], v[4:5]
	s_or_b32 s83, s7, s10
	s_or_b32 s81, s11, s12
	s_and_b32 s7, s4, exec_lo
.LBB201_499:                            ;   in Loop: Header=BB201_31 Depth=1
	s_or_b32 exec_lo, exec_lo, s18
	s_delay_alu instid0(SALU_CYCLE_1)
	s_or_not1_b32 s4, s7, exec_lo
.LBB201_500:                            ;   in Loop: Header=BB201_31 Depth=1
	s_or_b32 exec_lo, exec_lo, s21
	s_delay_alu instid0(SALU_CYCLE_1)
	s_and_not1_b32 s7, s80, exec_lo
	s_and_b32 s10, s83, exec_lo
	s_and_not1_b32 s11, s23, exec_lo
	s_and_b32 s12, s81, exec_lo
	v_mov_b64_e32 v[4:5], v[6:7]
	s_or_b32 s80, s7, s10
	s_or_b32 s23, s11, s12
	s_and_b32 s7, s4, exec_lo
.LBB201_501:                            ;   in Loop: Header=BB201_31 Depth=1
	s_or_b32 exec_lo, exec_lo, s20
	s_delay_alu instid0(SALU_CYCLE_1)
	s_or_not1_b32 s4, s7, exec_lo
.LBB201_502:                            ;   in Loop: Header=BB201_31 Depth=1
	s_or_b32 exec_lo, exec_lo, s9
	s_mov_b32 s7, s49
	s_mov_b32 s9, s27
	s_and_saveexec_b32 s10, s4
; %bb.503:                              ;   in Loop: Header=BB201_31 Depth=1
	v_cmp_ne_u32_e32 vcc_lo, 5, v2
	v_cmp_eq_u32_e64 s9, 5, v2
	s_and_not1_b32 s4, s27, exec_lo
	s_and_not1_b32 s7, s49, exec_lo
	s_and_b32 s11, vcc_lo, exec_lo
	s_and_b32 s12, s9, exec_lo
	s_or_b32 s9, s4, s11
	s_or_b32 s7, s7, s12
; %bb.504:                              ;   in Loop: Header=BB201_31 Depth=1
	s_or_b32 exec_lo, exec_lo, s10
	s_delay_alu instid0(SALU_CYCLE_1)
	s_and_not1_b32 s4, s82, exec_lo
	s_and_b32 s10, s80, exec_lo
	s_and_not1_b32 s11, s26, exec_lo
	s_and_b32 s12, s23, exec_lo
	s_or_b32 s82, s4, s10
	s_and_not1_b32 s4, s27, exec_lo
	s_and_b32 s9, s9, exec_lo
	s_and_not1_b32 s10, s49, exec_lo
	s_and_b32 s7, s7, exec_lo
	s_or_b32 s26, s11, s12
	s_or_b32 s27, s4, s9
	s_or_b32 s49, s10, s7
.LBB201_505:                            ;   in Loop: Header=BB201_31 Depth=1
	s_or_b32 exec_lo, exec_lo, s22
	s_mov_b32 s80, 0
	s_mov_b32 s81, 0
	s_and_saveexec_b32 s4, s49
.LBB201_506:                            ;   in Loop: Header=BB201_31 Depth=1
	v_mov_b32_e32 v2, 0
	s_or_b32 s27, s27, exec_lo
.LBB201_507:                            ;   in Loop: Header=BB201_31 Depth=1
	s_or_b32 exec_lo, exec_lo, s4
	v_mov_b64_e32 v[36:37], v[4:5]
	s_and_not1_b32 s4, s59, exec_lo
	s_and_b32 s9, s82, exec_lo
	s_and_not1_b32 s10, s57, exec_lo
	s_and_b32 s11, s26, exec_lo
	s_or_b32 s59, s4, s9
	s_or_b32 s57, s10, s11
	s_and_not1_b32 s4, s48, exec_lo
	s_and_b32 s9, s81, exec_lo
	s_and_not1_b32 s8, s8, exec_lo
	s_and_b32 s10, s80, exec_lo
	s_mov_b32 s7, -1
	s_and_not1_b32 s58, s58, exec_lo
	s_or_b32 s48, s4, s9
	s_or_b32 s8, s8, s10
	s_and_saveexec_b32 s4, s27
	s_delay_alu instid0(SALU_CYCLE_1)
	s_xor_b32 s4, exec_lo, s4
	s_cbranch_execz .LBB201_30
; %bb.508:                              ;   in Loop: Header=BB201_31 Depth=1
	s_mov_b32 s9, -1
	s_mov_b32 s10, exec_lo
	v_cmpx_eq_u32_e32 0, v2
	s_cbranch_execz .LBB201_29
; %bb.509:                              ;   in Loop: Header=BB201_31 Depth=1
	s_xor_b32 s52, s52, 1
	s_add_co_i32 s11, s103, -2
	s_cmp_eq_u32 s103, 0
	s_mov_b32 s103, s11
	s_cselect_b32 s7, -1, 0
	s_xor_b32 s9, exec_lo, -1
	s_or_not1_b32 s7, s7, exec_lo
	s_branch .LBB201_29
.LBB201_510:
	s_or_b32 exec_lo, exec_lo, s104
	s_xor_b32 s6, s56, -1
	s_xor_b32 s8, s54, -1
	;; [unrolled: 1-line block ×3, first 2 shown]
	s_xor_b32 s10, vcc_hi, -1
	s_xor_b32 s4, s53, -1
	s_mov_b32 s7, 0
	s_and_saveexec_b32 s11, s10
	s_delay_alu instid0(SALU_CYCLE_1)
	s_xor_b32 s16, exec_lo, s11
	s_cbranch_execnz .LBB201_515
; %bb.511:
	s_and_not1_saveexec_b32 s0, s16
	s_cbranch_execnz .LBB201_534
.LBB201_512:
	s_or_b32 exec_lo, exec_lo, s0
	s_and_saveexec_b32 s0, s7
.LBB201_513:
	; divergent unreachable
.LBB201_514:
	s_endpgm
.LBB201_515:
	s_and_saveexec_b32 s10, s9
	s_delay_alu instid0(SALU_CYCLE_1)
	s_xor_b32 s17, exec_lo, s10
	s_cbranch_execz .LBB201_532
; %bb.516:
	s_and_saveexec_b32 s9, s8
	s_delay_alu instid0(SALU_CYCLE_1)
	s_xor_b32 s18, exec_lo, s9
	s_cbranch_execz .LBB201_530
; %bb.517:
	;; [unrolled: 5-line block ×3, first 2 shown]
	s_and_saveexec_b32 s6, s4
	s_delay_alu instid0(SALU_CYCLE_1)
	s_xor_b32 s4, exec_lo, s6
; %bb.519:
	v_cmp_lt_i32_e32 vcc_lo, -1, v53
	v_cndmask_b32_e64 v2, 0x80000000, -1, vcc_lo
	s_delay_alu instid0(VALU_DEP_1)
	v_xor_b32_e32 v35, v2, v53
; %bb.520:
	s_or_b32 exec_lo, exec_lo, s4
	s_and_saveexec_b32 s4, s5
; %bb.521:
	v_mov_b64_e32 v[2:3], 0
	v_mov_b32_e32 v4, 0
	ds_store_b64 v4, v[2:3] offset:5136
; %bb.522:
	s_or_b32 exec_lo, exec_lo, s4
	v_mov_b32_e32 v18, 0
	s_wait_dscnt 0x0
	s_barrier_signal -1
	s_barrier_wait -1
	s_and_saveexec_b32 s4, s3
	s_cbranch_execz .LBB201_524
; %bb.523:
	global_load_b32 v18, v[14:15], off
.LBB201_524:
	s_wait_xcnt 0x0
	s_or_b32 exec_lo, exec_lo, s4
	v_cmp_lt_i32_e32 vcc_lo, -1, v35
	s_clause 0x1
	s_load_b64 s[6:7], s[0:1], 0x368
	s_load_b64 s[8:9], s[0:1], 0x510
	s_add_nc_u64 s[4:5], s[36:37], 31
	s_mov_b64 s[10:11], 0xffffffffffffffe0
	v_readlane_b32 s12, v62, 2
	v_cndmask_b32_e64 v2, -1, 0x80000000, vcc_lo
	s_and_b64 s[10:11], s[4:5], s[10:11]
	v_readlane_b32 s4, v62, 0
	v_readlane_b32 s5, v62, 1
	;; [unrolled: 1-line block ×3, first 2 shown]
	v_xor_b32_e32 v2, v2, v35
	v_cmp_o_f32_e32 vcc_lo, v35, v35
	v_readlane_b32 s14, v62, 4
	v_readlane_b32 s20, v62, 6
	;; [unrolled: 1-line block ×4, first 2 shown]
	s_mul_u64 s[4:5], s[4:5], s[42:43]
	s_mul_u64 s[12:13], s[12:13], s[50:51]
	v_cndmask_b32_e32 v13, -1, v2, vcc_lo
	v_cmp_gt_u64_e32 vcc_lo, s[10:11], v[0:1]
	s_lshl_b64 s[4:5], s[4:5], 2
	s_lshl_b64 s[12:13], s[12:13], 3
	s_add_nc_u64 s[4:5], s[14:15], s[4:5]
	s_lshl_b64 s[14:15], s[34:35], 2
	s_add_nc_u64 s[20:21], s[20:21], s[12:13]
	s_lshl_b64 s[22:23], s[46:47], 3
	s_wait_xcnt 0x0
	s_mov_b32 s0, -1
	s_add_nc_u64 s[12:13], s[4:5], s[14:15]
	s_add_nc_u64 s[14:15], s[20:21], s[22:23]
	s_mov_b32 s5, 0
	s_mov_b32 s1, 0
	s_and_saveexec_b32 s4, vcc_lo
	s_cbranch_execnz .LBB201_535
; %bb.525:
	s_or_b32 exec_lo, exec_lo, s4
	s_and_saveexec_b32 s4, s0
	s_cbranch_execnz .LBB201_552
.LBB201_526:
	s_or_b32 exec_lo, exec_lo, s4
	s_and_saveexec_b32 s0, s1
	s_delay_alu instid0(SALU_CYCLE_1)
	s_xor_b32 s0, exec_lo, s0
	s_cbranch_execnz .LBB201_575
.LBB201_527:
	s_or_b32 exec_lo, exec_lo, s0
	s_wait_kmcnt 0x0
	s_and_b32 s7, s5, exec_lo
.LBB201_528:
	s_and_not1_saveexec_b32 s0, s19
	s_cbranch_execnz .LBB201_577
.LBB201_529:
	s_or_b32 exec_lo, exec_lo, s0
	s_delay_alu instid0(SALU_CYCLE_1)
	s_and_b32 s7, s7, exec_lo
.LBB201_530:
	s_and_not1_saveexec_b32 s0, s18
	s_cbranch_execnz .LBB201_576
.LBB201_531:
	s_or_b32 exec_lo, exec_lo, s0
	s_delay_alu instid0(SALU_CYCLE_1)
	s_and_b32 s7, s7, exec_lo
.LBB201_532:
	s_and_not1_saveexec_b32 s0, s17
	s_cbranch_execnz .LBB201_571
.LBB201_533:
	s_or_b32 exec_lo, exec_lo, s0
	s_delay_alu instid0(SALU_CYCLE_1)
	s_and_b32 s7, s7, exec_lo
	s_and_not1_saveexec_b32 s0, s16
	s_cbranch_execz .LBB201_512
.LBB201_534:
	s_or_b32 s7, s7, exec_lo
	s_trap 2
	s_or_b32 exec_lo, exec_lo, s0
	s_and_saveexec_b32 s0, s7
	s_cbranch_execnz .LBB201_513
	s_branch .LBB201_514
.LBB201_535:
	v_add_nc_u64_e32 v[2:3], s[40:41], v[0:1]
	v_readlane_b32 s0, v62, 17
	v_readlane_b32 s1, v62, 18
	v_mov_b64_e32 v[10:11], v[0:1]
	s_mov_b32 s20, 0
                                        ; implicit-def: $sgpr21
                                        ; implicit-def: $vgpr8_vgpr9
	v_mul_u64_e32 v[4:5], s[30:31], v[2:3]
	v_mov_b32_e32 v3, 0
	s_delay_alu instid0(VALU_DEP_2)
	v_lshl_add_u64 v[4:5], v[4:5], 2, s[0:1]
	s_branch .LBB201_537
.LBB201_536:                            ;   in Loop: Header=BB201_537 Depth=1
	s_or_b32 exec_lo, exec_lo, s23
	s_xor_b32 s0, s22, -1
	s_and_b32 s1, exec_lo, s1
	v_mov_b64_e32 v[10:11], v[6:7]
	s_wait_loadcnt 0x0
	v_mov_b32_e32 v18, v19
	s_or_b32 s20, s1, s20
	s_and_not1_b32 s1, s21, exec_lo
	s_and_b32 s0, s0, exec_lo
	s_delay_alu instid0(SALU_CYCLE_1)
	s_or_b32 s21, s1, s0
	s_and_not1_b32 exec_lo, exec_lo, s20
	s_cbranch_execz .LBB201_551
.LBB201_537:                            ; =>This Inner Loop Header: Depth=1
	s_delay_alu instid0(VALU_DEP_4) | instskip(SKIP_2) | instid1(VALU_DEP_2)
	v_add_nc_u64_e32 v[6:7], s[40:41], v[10:11]
	v_mov_b32_e32 v19, 0
	s_mov_b32 s1, exec_lo
	v_cmpx_gt_u64_e64 s[36:37], v[6:7]
	s_cbranch_execz .LBB201_539
; %bb.538:                              ;   in Loop: Header=BB201_537 Depth=1
	global_load_b32 v19, v[4:5], off
.LBB201_539:                            ;   in Loop: Header=BB201_537 Depth=1
	s_wait_xcnt 0x0
	s_or_b32 exec_lo, exec_lo, s1
	s_mov_b32 s22, 0
	s_mov_b32 s1, exec_lo
	v_cmpx_gt_u64_e64 s[36:37], v[10:11]
	s_cbranch_execz .LBB201_541
; %bb.540:                              ;   in Loop: Header=BB201_537 Depth=1
	s_wait_loadcnt 0x0
	v_cmp_lt_i32_e64 s0, -1, v18
	s_delay_alu instid0(VALU_DEP_1) | instskip(SKIP_1) | instid1(VALU_DEP_2)
	v_cndmask_b32_e64 v2, -1, 0x80000000, s0
	v_cmp_o_f32_e64 s0, v18, v18
	v_xor_b32_e32 v2, v2, v18
	s_delay_alu instid0(VALU_DEP_1) | instskip(NEXT) | instid1(VALU_DEP_1)
	v_cndmask_b32_e64 v2, -1, v2, s0
	v_cmp_gt_u32_e64 s0, v2, v13
	s_delay_alu instid0(VALU_DEP_1) | instskip(SKIP_1) | instid1(VALU_DEP_1)
	v_cndmask_b32_e64 v16, 0, 1, s0
	v_cmp_lt_u32_e64 s0, v2, v13
	v_cndmask_b32_e64 v2, 0, 1, s0
	s_delay_alu instid0(VALU_DEP_1) | instskip(NEXT) | instid1(VALU_DEP_1)
	v_cndmask_b32_e64 v2, v2, v16, s97
	v_and_b32_e32 v2, 1, v2
	s_delay_alu instid0(VALU_DEP_1)
	v_cmp_eq_u32_e64 s0, 1, v2
	s_and_b32 s22, s0, exec_lo
.LBB201_541:                            ;   in Loop: Header=BB201_537 Depth=1
	s_or_b32 exec_lo, exec_lo, s1
	v_cndmask_b32_e64 v2, 0, 1, s22
	s_delay_alu instid0(VALU_DEP_1) | instskip(SKIP_2) | instid1(SALU_CYCLE_1)
	v_cmp_ne_u32_e64 s0, 0, v2
	s_cmp_lg_u32 s0, 0
	s_cselect_b32 s1, -1, 0
	s_and_b32 s1, s2, s1
	s_delay_alu instid0(SALU_CYCLE_1)
	s_and_saveexec_b32 s23, s1
	s_cbranch_execz .LBB201_545
; %bb.542:                              ;   in Loop: Header=BB201_537 Depth=1
	s_mov_b32 s26, exec_lo
	s_bcnt1_i32_b32 s24, s0
	v_mbcnt_lo_u32_b32 v16, s26, 0
	s_mov_b32 s25, exec_lo
                                        ; implicit-def: $vgpr8_vgpr9
	s_delay_alu instid0(VALU_DEP_1)
	v_cmpx_eq_u32_e32 0, v16
	s_cbranch_execz .LBB201_544
; %bb.543:                              ;   in Loop: Header=BB201_537 Depth=1
	s_bcnt1_i32_b32 s1, s26
	s_delay_alu instid0(SALU_CYCLE_1) | instskip(NEXT) | instid1(SALU_CYCLE_1)
	s_mul_i32 s1, s24, s1
	v_mov_b32_e32 v2, s1
	s_wait_dscnt 0x0
	ds_add_rtn_u64 v[8:9], v3, v[2:3] offset:5136
.LBB201_544:                            ;   in Loop: Header=BB201_537 Depth=1
	s_or_b32 exec_lo, exec_lo, s25
	s_wait_dscnt 0x0
	v_readfirstlane_b32 s27, v9
	v_readfirstlane_b32 s26, v8
	s_delay_alu instid0(VALU_DEP_1)
	v_mad_nc_u64_u32 v[8:9], s24, v16, s[26:27]
.LBB201_545:                            ;   in Loop: Header=BB201_537 Depth=1
	s_or_b32 exec_lo, exec_lo, s23
	s_wait_dscnt 0x1
	ds_bpermute_b32 v8, v3, v8
	s_wait_dscnt 0x1
	ds_bpermute_b32 v9, v3, v9
	s_mov_b32 s1, -1
	s_mov_b32 s24, -1
	s_and_saveexec_b32 s23, s22
	s_cbranch_execz .LBB201_549
; %bb.546:                              ;   in Loop: Header=BB201_537 Depth=1
	v_and_b32_e32 v2, s0, v12
	s_mov_b32 s22, 0
	s_mov_b32 s24, exec_lo
	s_delay_alu instid0(VALU_DEP_1) | instskip(SKIP_1) | instid1(VALU_DEP_1)
	v_bcnt_u32_b32 v2, v2, 0
	s_wait_dscnt 0x0
	v_add_nc_u64_e32 v[16:17], v[8:9], v[2:3]
	s_delay_alu instid0(VALU_DEP_1)
	v_cmpx_gt_u64_e64 s[38:39], v[16:17]
	s_cbranch_execz .LBB201_548
; %bb.547:                              ;   in Loop: Header=BB201_537 Depth=1
	s_wait_kmcnt 0x0
	v_mul_u64_e32 v[20:21], s[6:7], v[16:17]
	v_mul_u64_e32 v[16:17], s[8:9], v[16:17]
	s_mov_b32 s22, exec_lo
	s_delay_alu instid0(VALU_DEP_2) | instskip(NEXT) | instid1(VALU_DEP_2)
	v_lshl_add_u64 v[20:21], v[20:21], 2, s[12:13]
	v_lshl_add_u64 v[16:17], v[16:17], 3, s[14:15]
	s_wait_loadcnt 0x0
	global_store_b32 v[20:21], v18, off
	global_store_b64 v[16:17], v[10:11], off
.LBB201_548:                            ;   in Loop: Header=BB201_537 Depth=1
	s_wait_xcnt 0x0
	s_or_b32 exec_lo, exec_lo, s24
	s_delay_alu instid0(SALU_CYCLE_1)
	s_or_not1_b32 s24, s22, exec_lo
.LBB201_549:                            ;   in Loop: Header=BB201_537 Depth=1
	s_or_b32 exec_lo, exec_lo, s23
	s_mov_b32 s22, -1
	s_and_saveexec_b32 s23, s24
	s_cbranch_execz .LBB201_536
; %bb.550:                              ;   in Loop: Header=BB201_537 Depth=1
	v_cmp_le_u64_e64 s0, s[10:11], v[6:7]
	v_add_nc_u64_e32 v[4:5], s[44:45], v[4:5]
	s_xor_b32 s22, exec_lo, -1
	s_or_not1_b32 s1, s0, exec_lo
	s_branch .LBB201_536
.LBB201_551:
	s_or_b32 exec_lo, exec_lo, s20
	s_delay_alu instid0(SALU_CYCLE_1)
	s_mov_b32 s1, exec_lo
	s_or_not1_b32 s0, s21, exec_lo
	s_or_b32 exec_lo, exec_lo, s4
	s_and_saveexec_b32 s4, s0
	s_cbranch_execz .LBB201_526
.LBB201_552:
	v_mov_b32_e32 v16, 0
	s_wait_storecnt 0x0
	s_wait_loadcnt_dscnt 0x0
	s_barrier_signal -1
	s_barrier_wait -1
	s_and_saveexec_b32 s0, s3
	s_cbranch_execz .LBB201_554
; %bb.553:
	global_load_b32 v16, v[14:15], off
.LBB201_554:
	s_wait_xcnt 0x0
	s_or_b32 exec_lo, exec_lo, s0
	s_mov_b32 s0, 0
	s_and_saveexec_b32 s3, vcc_lo
	s_cbranch_execz .LBB201_574
; %bb.555:
	v_add_nc_u64_e32 v[2:3], s[40:41], v[0:1]
	v_readlane_b32 s20, v62, 17
	v_readlane_b32 s21, v62, 18
	v_mov_b32_e32 v5, 0
	s_mov_b32 s5, 0
                                        ; implicit-def: $vgpr8_vgpr9
	v_mul_u64_e32 v[2:3], s[30:31], v[2:3]
	s_delay_alu instid0(VALU_DEP_1)
	v_lshl_add_u64 v[2:3], v[2:3], 2, s[20:21]
                                        ; implicit-def: $sgpr20
	s_branch .LBB201_558
.LBB201_556:                            ;   in Loop: Header=BB201_558 Depth=1
	s_or_b32 exec_lo, exec_lo, s23
	s_delay_alu instid0(SALU_CYCLE_1)
	s_or_not1_b32 s23, s21, exec_lo
	s_or_not1_b32 s22, s22, exec_lo
.LBB201_557:                            ;   in Loop: Header=BB201_558 Depth=1
	s_or_b32 exec_lo, exec_lo, s0
	s_xor_b32 s0, s23, -1
	s_and_b32 s21, exec_lo, s22
	v_mov_b64_e32 v[0:1], v[6:7]
	s_or_b32 s5, s21, s5
	v_mov_b32_e32 v16, v14
	s_and_not1_b32 s20, s20, exec_lo
	s_and_b32 s0, s0, exec_lo
	s_delay_alu instid0(SALU_CYCLE_1)
	s_or_b32 s20, s20, s0
	s_and_not1_b32 exec_lo, exec_lo, s5
	s_cbranch_execz .LBB201_572
.LBB201_558:                            ; =>This Inner Loop Header: Depth=1
	v_add_nc_u64_e32 v[6:7], s[40:41], v[0:1]
	v_mov_b32_e32 v14, 0
	s_mov_b32 s0, exec_lo
	s_delay_alu instid0(VALU_DEP_2)
	v_cmpx_gt_u64_e64 s[36:37], v[6:7]
	s_cbranch_execz .LBB201_560
; %bb.559:                              ;   in Loop: Header=BB201_558 Depth=1
	global_load_b32 v14, v[2:3], off
.LBB201_560:                            ;   in Loop: Header=BB201_558 Depth=1
	s_wait_xcnt 0x0
	s_or_b32 exec_lo, exec_lo, s0
	s_wait_loadcnt 0x0
	v_cmp_lt_i32_e32 vcc_lo, -1, v16
	v_cndmask_b32_e64 v4, -1, 0x80000000, vcc_lo
	v_cmp_o_f32_e32 vcc_lo, v16, v16
	s_delay_alu instid0(VALU_DEP_2) | instskip(NEXT) | instid1(VALU_DEP_1)
	v_xor_b32_e32 v4, v4, v16
	v_cndmask_b32_e32 v4, -1, v4, vcc_lo
	v_cmp_gt_u64_e32 vcc_lo, s[36:37], v[0:1]
	s_delay_alu instid0(VALU_DEP_2) | instskip(SKIP_1) | instid1(SALU_CYCLE_1)
	v_cmp_eq_u32_e64 s0, v4, v13
	s_and_b32 s21, vcc_lo, s0
	v_cndmask_b32_e64 v4, 0, 1, s21
	s_delay_alu instid0(VALU_DEP_1) | instskip(SKIP_2) | instid1(SALU_CYCLE_1)
	v_cmp_ne_u32_e32 vcc_lo, 0, v4
	s_cmp_lg_u32 vcc_lo, 0
	s_cselect_b32 s0, -1, 0
	s_and_b32 s0, s2, s0
	s_delay_alu instid0(SALU_CYCLE_1)
	s_and_saveexec_b32 s22, s0
	s_cbranch_execz .LBB201_564
; %bb.561:                              ;   in Loop: Header=BB201_558 Depth=1
	s_mov_b32 s25, exec_lo
	s_bcnt1_i32_b32 s23, vcc_lo
	v_mbcnt_lo_u32_b32 v10, s25, 0
	s_mov_b32 s24, exec_lo
                                        ; implicit-def: $vgpr8_vgpr9
	s_delay_alu instid0(VALU_DEP_1)
	v_cmpx_eq_u32_e32 0, v10
; %bb.562:                              ;   in Loop: Header=BB201_558 Depth=1
	s_bcnt1_i32_b32 s0, s25
	s_delay_alu instid0(SALU_CYCLE_1) | instskip(NEXT) | instid1(SALU_CYCLE_1)
	s_mul_i32 s0, s23, s0
	v_mov_b32_e32 v4, s0
	ds_add_rtn_u64 v[8:9], v5, v[4:5] offset:5136
; %bb.563:                              ;   in Loop: Header=BB201_558 Depth=1
	s_or_b32 exec_lo, exec_lo, s24
	s_wait_dscnt 0x0
	v_readfirstlane_b32 s25, v9
	v_readfirstlane_b32 s24, v8
	s_delay_alu instid0(VALU_DEP_1)
	v_mad_nc_u64_u32 v[8:9], s23, v10, s[24:25]
.LBB201_564:                            ;   in Loop: Header=BB201_558 Depth=1
	s_or_b32 exec_lo, exec_lo, s22
	ds_bpermute_b32 v8, v5, v8
	ds_bpermute_b32 v9, v5, v9
	s_cmp_eq_u32 vcc_lo, 0
	s_mov_b32 s22, -1
	s_cselect_b32 s23, -1, 0
	s_wait_dscnt 0x0
	v_cmp_gt_u64_e64 s0, s[38:39], v[8:9]
	s_or_b32 s24, s23, s0
	s_mov_b32 s23, -1
	s_and_saveexec_b32 s0, s24
	s_cbranch_execz .LBB201_557
; %bb.565:                              ;   in Loop: Header=BB201_558 Depth=1
	v_and_b32_e32 v4, vcc_lo, v12
	v_sub_nc_u64_e32 v[10:11], s[38:39], v[8:9]
	s_mov_b32 s24, -1
	s_delay_alu instid0(VALU_DEP_2) | instskip(NEXT) | instid1(VALU_DEP_1)
	v_bcnt_u32_b32 v4, v4, 0
	v_bcnt_u32_b32 v4, 0, v4
	s_delay_alu instid0(VALU_DEP_1)
	v_cmp_gt_u64_e32 vcc_lo, v[10:11], v[4:5]
	s_and_b32 s25, s21, vcc_lo
	s_mov_b32 s21, -1
	s_and_saveexec_b32 s23, s25
	s_cbranch_execz .LBB201_569
; %bb.566:                              ;   in Loop: Header=BB201_558 Depth=1
	v_add_nc_u64_e32 v[10:11], v[8:9], v[4:5]
	s_mov_b32 s24, 0
	s_mov_b32 s21, exec_lo
	s_delay_alu instid0(VALU_DEP_1)
	v_cmpx_gt_u64_e64 s[38:39], v[10:11]
	s_cbranch_execz .LBB201_568
; %bb.567:                              ;   in Loop: Header=BB201_558 Depth=1
	s_wait_kmcnt 0x0
	v_mul_u64_e32 v[18:19], s[6:7], v[10:11]
	v_mul_u64_e32 v[10:11], s[8:9], v[10:11]
	s_mov_b32 s24, exec_lo
	s_delay_alu instid0(VALU_DEP_2) | instskip(NEXT) | instid1(VALU_DEP_2)
	v_lshl_add_u64 v[18:19], v[18:19], 2, s[12:13]
	v_lshl_add_u64 v[10:11], v[10:11], 3, s[14:15]
	global_store_b32 v[18:19], v16, off
	global_store_b64 v[10:11], v[0:1], off
.LBB201_568:                            ;   in Loop: Header=BB201_558 Depth=1
	s_wait_xcnt 0x0
	s_or_b32 exec_lo, exec_lo, s21
	s_delay_alu instid0(SALU_CYCLE_1)
	s_xor_b32 s21, exec_lo, -1
	s_or_not1_b32 s24, s24, exec_lo
.LBB201_569:                            ;   in Loop: Header=BB201_558 Depth=1
	s_or_b32 exec_lo, exec_lo, s23
	s_and_saveexec_b32 s23, s24
	s_cbranch_execz .LBB201_556
; %bb.570:                              ;   in Loop: Header=BB201_558 Depth=1
	v_cmp_le_u64_e32 vcc_lo, s[10:11], v[6:7]
	v_add_nc_u64_e32 v[2:3], s[44:45], v[2:3]
	s_or_b32 s21, s21, exec_lo
	s_or_not1_b32 s22, vcc_lo, exec_lo
	s_branch .LBB201_556
.LBB201_571:
	s_or_b32 s7, s7, exec_lo
	s_trap 2
	s_branch .LBB201_533
.LBB201_572:
	s_or_b32 exec_lo, exec_lo, s5
	s_mov_b32 s0, 0
	s_and_saveexec_b32 s2, s20
	s_delay_alu instid0(SALU_CYCLE_1)
	s_xor_b32 s2, exec_lo, s2
	s_cbranch_execnz .LBB201_578
.LBB201_573:
	s_or_b32 exec_lo, exec_lo, s2
	s_delay_alu instid0(SALU_CYCLE_1)
	s_and_b32 s0, s0, exec_lo
.LBB201_574:
	s_or_b32 exec_lo, exec_lo, s3
	s_delay_alu instid0(SALU_CYCLE_1) | instskip(SKIP_3) | instid1(SALU_CYCLE_1)
	s_and_b32 s5, s0, exec_lo
	s_and_not1_b32 s1, s1, exec_lo
	s_or_b32 exec_lo, exec_lo, s4
	s_and_saveexec_b32 s0, s1
	s_xor_b32 s0, exec_lo, s0
	s_cbranch_execz .LBB201_527
.LBB201_575:
	s_or_b32 s5, s5, exec_lo
	s_trap 2
	s_branch .LBB201_527
.LBB201_576:
	s_or_b32 s7, s7, exec_lo
	s_trap 2
	s_branch .LBB201_531
.LBB201_577:
	s_or_b32 s7, s7, exec_lo
	s_trap 2
	s_branch .LBB201_529
.LBB201_578:
	s_mov_b32 s0, exec_lo
	s_trap 2
	s_branch .LBB201_573
	.section	.rodata,"a",@progbits
	.p2align	6, 0x0
	.amdhsa_kernel _ZN2at6native6sbtopk10gatherTopKIfmLin1ELb0EEEvNS_4cuda6detail10TensorInfoIKT_T0_EES8_S8_bS8_S8_NS5_IS6_S8_EES8_NS5_IlS8_EES8_PS6_
		.amdhsa_group_segment_fixed_size 5152
		.amdhsa_private_segment_fixed_size 0
		.amdhsa_kernarg_size 1568
		.amdhsa_user_sgpr_count 2
		.amdhsa_user_sgpr_dispatch_ptr 0
		.amdhsa_user_sgpr_queue_ptr 0
		.amdhsa_user_sgpr_kernarg_segment_ptr 1
		.amdhsa_user_sgpr_dispatch_id 0
		.amdhsa_user_sgpr_kernarg_preload_length 0
		.amdhsa_user_sgpr_kernarg_preload_offset 0
		.amdhsa_user_sgpr_private_segment_size 0
		.amdhsa_wavefront_size32 1
		.amdhsa_uses_dynamic_stack 0
		.amdhsa_enable_private_segment 0
		.amdhsa_system_sgpr_workgroup_id_x 1
		.amdhsa_system_sgpr_workgroup_id_y 1
		.amdhsa_system_sgpr_workgroup_id_z 1
		.amdhsa_system_sgpr_workgroup_info 0
		.amdhsa_system_vgpr_workitem_id 0
		.amdhsa_next_free_vgpr 63
		.amdhsa_next_free_sgpr 105
		.amdhsa_named_barrier_count 0
		.amdhsa_reserve_vcc 1
		.amdhsa_float_round_mode_32 0
		.amdhsa_float_round_mode_16_64 0
		.amdhsa_float_denorm_mode_32 3
		.amdhsa_float_denorm_mode_16_64 3
		.amdhsa_fp16_overflow 0
		.amdhsa_memory_ordered 1
		.amdhsa_forward_progress 1
		.amdhsa_inst_pref_size 216
		.amdhsa_round_robin_scheduling 0
		.amdhsa_exception_fp_ieee_invalid_op 0
		.amdhsa_exception_fp_denorm_src 0
		.amdhsa_exception_fp_ieee_div_zero 0
		.amdhsa_exception_fp_ieee_overflow 0
		.amdhsa_exception_fp_ieee_underflow 0
		.amdhsa_exception_fp_ieee_inexact 0
		.amdhsa_exception_int_div_zero 0
	.end_amdhsa_kernel
	.section	.text._ZN2at6native6sbtopk10gatherTopKIfmLin1ELb0EEEvNS_4cuda6detail10TensorInfoIKT_T0_EES8_S8_bS8_S8_NS5_IS6_S8_EES8_NS5_IlS8_EES8_PS6_,"axG",@progbits,_ZN2at6native6sbtopk10gatherTopKIfmLin1ELb0EEEvNS_4cuda6detail10TensorInfoIKT_T0_EES8_S8_bS8_S8_NS5_IS6_S8_EES8_NS5_IlS8_EES8_PS6_,comdat
.Lfunc_end201:
	.size	_ZN2at6native6sbtopk10gatherTopKIfmLin1ELb0EEEvNS_4cuda6detail10TensorInfoIKT_T0_EES8_S8_bS8_S8_NS5_IS6_S8_EES8_NS5_IlS8_EES8_PS6_, .Lfunc_end201-_ZN2at6native6sbtopk10gatherTopKIfmLin1ELb0EEEvNS_4cuda6detail10TensorInfoIKT_T0_EES8_S8_bS8_S8_NS5_IS6_S8_EES8_NS5_IlS8_EES8_PS6_
                                        ; -- End function
	.set _ZN2at6native6sbtopk10gatherTopKIfmLin1ELb0EEEvNS_4cuda6detail10TensorInfoIKT_T0_EES8_S8_bS8_S8_NS5_IS6_S8_EES8_NS5_IlS8_EES8_PS6_.num_vgpr, 63
	.set _ZN2at6native6sbtopk10gatherTopKIfmLin1ELb0EEEvNS_4cuda6detail10TensorInfoIKT_T0_EES8_S8_bS8_S8_NS5_IS6_S8_EES8_NS5_IlS8_EES8_PS6_.num_agpr, 0
	.set _ZN2at6native6sbtopk10gatherTopKIfmLin1ELb0EEEvNS_4cuda6detail10TensorInfoIKT_T0_EES8_S8_bS8_S8_NS5_IS6_S8_EES8_NS5_IlS8_EES8_PS6_.numbered_sgpr, 105
	.set _ZN2at6native6sbtopk10gatherTopKIfmLin1ELb0EEEvNS_4cuda6detail10TensorInfoIKT_T0_EES8_S8_bS8_S8_NS5_IS6_S8_EES8_NS5_IlS8_EES8_PS6_.num_named_barrier, 0
	.set _ZN2at6native6sbtopk10gatherTopKIfmLin1ELb0EEEvNS_4cuda6detail10TensorInfoIKT_T0_EES8_S8_bS8_S8_NS5_IS6_S8_EES8_NS5_IlS8_EES8_PS6_.private_seg_size, 0
	.set _ZN2at6native6sbtopk10gatherTopKIfmLin1ELb0EEEvNS_4cuda6detail10TensorInfoIKT_T0_EES8_S8_bS8_S8_NS5_IS6_S8_EES8_NS5_IlS8_EES8_PS6_.uses_vcc, 1
	.set _ZN2at6native6sbtopk10gatherTopKIfmLin1ELb0EEEvNS_4cuda6detail10TensorInfoIKT_T0_EES8_S8_bS8_S8_NS5_IS6_S8_EES8_NS5_IlS8_EES8_PS6_.uses_flat_scratch, 0
	.set _ZN2at6native6sbtopk10gatherTopKIfmLin1ELb0EEEvNS_4cuda6detail10TensorInfoIKT_T0_EES8_S8_bS8_S8_NS5_IS6_S8_EES8_NS5_IlS8_EES8_PS6_.has_dyn_sized_stack, 0
	.set _ZN2at6native6sbtopk10gatherTopKIfmLin1ELb0EEEvNS_4cuda6detail10TensorInfoIKT_T0_EES8_S8_bS8_S8_NS5_IS6_S8_EES8_NS5_IlS8_EES8_PS6_.has_recursion, 0
	.set _ZN2at6native6sbtopk10gatherTopKIfmLin1ELb0EEEvNS_4cuda6detail10TensorInfoIKT_T0_EES8_S8_bS8_S8_NS5_IS6_S8_EES8_NS5_IlS8_EES8_PS6_.has_indirect_call, 0
	.section	.AMDGPU.csdata,"",@progbits
; Kernel info:
; codeLenInByte = 27544
; TotalNumSgprs: 107
; NumVgprs: 63
; ScratchSize: 0
; MemoryBound: 0
; FloatMode: 240
; IeeeMode: 1
; LDSByteSize: 5152 bytes/workgroup (compile time only)
; SGPRBlocks: 0
; VGPRBlocks: 3
; NumSGPRsForWavesPerEU: 107
; NumVGPRsForWavesPerEU: 63
; NamedBarCnt: 0
; Occupancy: 16
; WaveLimiterHint : 1
; COMPUTE_PGM_RSRC2:SCRATCH_EN: 0
; COMPUTE_PGM_RSRC2:USER_SGPR: 2
; COMPUTE_PGM_RSRC2:TRAP_HANDLER: 0
; COMPUTE_PGM_RSRC2:TGID_X_EN: 1
; COMPUTE_PGM_RSRC2:TGID_Y_EN: 1
; COMPUTE_PGM_RSRC2:TGID_Z_EN: 1
; COMPUTE_PGM_RSRC2:TIDIG_COMP_CNT: 0
	.section	.text._ZN2at6native6mbtopk23computeBlockDigitCountsIN3c104HalfEmjLi1EEEvNS_4cuda6detail10TensorInfoIKT_T0_EEjPjjSA_iijT1_PSD_Ps,"axG",@progbits,_ZN2at6native6mbtopk23computeBlockDigitCountsIN3c104HalfEmjLi1EEEvNS_4cuda6detail10TensorInfoIKT_T0_EEjPjjSA_iijT1_PSD_Ps,comdat
	.protected	_ZN2at6native6mbtopk23computeBlockDigitCountsIN3c104HalfEmjLi1EEEvNS_4cuda6detail10TensorInfoIKT_T0_EEjPjjSA_iijT1_PSD_Ps ; -- Begin function _ZN2at6native6mbtopk23computeBlockDigitCountsIN3c104HalfEmjLi1EEEvNS_4cuda6detail10TensorInfoIKT_T0_EEjPjjSA_iijT1_PSD_Ps
	.globl	_ZN2at6native6mbtopk23computeBlockDigitCountsIN3c104HalfEmjLi1EEEvNS_4cuda6detail10TensorInfoIKT_T0_EEjPjjSA_iijT1_PSD_Ps
	.p2align	8
	.type	_ZN2at6native6mbtopk23computeBlockDigitCountsIN3c104HalfEmjLi1EEEvNS_4cuda6detail10TensorInfoIKT_T0_EEjPjjSA_iijT1_PSD_Ps,@function
_ZN2at6native6mbtopk23computeBlockDigitCountsIN3c104HalfEmjLi1EEEvNS_4cuda6detail10TensorInfoIKT_T0_EEjPjjSA_iijT1_PSD_Ps: ; @_ZN2at6native6mbtopk23computeBlockDigitCountsIN3c104HalfEmjLi1EEEvNS_4cuda6detail10TensorInfoIKT_T0_EEjPjjSA_iijT1_PSD_Ps
; %bb.0:
	s_load_b128 s[4:7], s[0:1], 0x1c0
	s_bfe_u32 s2, ttmp6, 0x40010
	s_and_b32 s8, ttmp7, 0xffff
	s_add_co_i32 s9, s2, 1
	s_bfe_u32 s10, ttmp6, 0x40004
	s_mul_i32 s9, s8, s9
	s_load_b64 s[2:3], s[0:1], 0x1e0
	s_add_co_i32 s10, s10, s9
	s_bfe_u32 s11, ttmp6, 0x4000c
	s_bfe_u32 s13, ttmp6, 0x40014
	s_add_co_i32 s11, s11, 1
	s_and_b32 s12, ttmp6, 15
	s_mul_i32 s11, ttmp9, s11
	s_add_co_i32 s13, s13, 1
	s_add_co_i32 s12, s12, s11
	s_getreg_b32 s14, hwreg(HW_REG_IB_STS2, 6, 4)
	s_wait_kmcnt 0x0
	s_cvt_f32_u32 s9, s6
	s_delay_alu instid0(SALU_CYCLE_3) | instskip(SKIP_1) | instid1(SALU_CYCLE_1)
	v_rcp_iflag_f32_e32 v1, s9
	s_lshr_b32 s9, ttmp7, 16
	s_mul_i32 s11, s9, s13
	s_bfe_u32 s13, ttmp6, 0x40008
	s_delay_alu instid0(SALU_CYCLE_1) | instskip(SKIP_1) | instid1(TRANS32_DEP_1)
	s_add_co_i32 s13, s13, s11
	v_nop
	v_readfirstlane_b32 s15, v1
	s_cmp_eq_u32 s14, 0
	s_cselect_b32 s9, s9, s13
	s_load_b32 s13, s[0:1], 0x1b0
	s_mul_f32 s11, s15, 0x4f7ffffe
	s_mul_i32 s3, s3, s9
	s_cselect_b32 s9, ttmp9, s12
	s_cselect_b32 s8, s8, s10
	s_cvt_u32_f32 s11, s11
	s_sub_co_i32 s10, 0, s6
	s_add_co_i32 s3, s3, s8
	s_delay_alu instid0(SALU_CYCLE_1) | instskip(SKIP_3) | instid1(SALU_CYCLE_1)
	s_mul_i32 s16, s3, s2
	s_mul_i32 s10, s10, s11
	s_add_co_i32 s16, s16, s9
	s_mul_hi_u32 s2, s11, s10
	s_add_co_i32 s11, s11, s2
	s_delay_alu instid0(SALU_CYCLE_1) | instskip(NEXT) | instid1(SALU_CYCLE_1)
	s_mul_hi_u32 s2, s16, s11
	s_mul_i32 s3, s2, s6
	s_add_co_i32 s8, s2, 1
	s_sub_co_i32 s3, s16, s3
	s_delay_alu instid0(SALU_CYCLE_1)
	s_sub_co_i32 s9, s3, s6
	s_cmp_ge_u32 s3, s6
	s_cselect_b32 s2, s8, s2
	s_cselect_b32 s3, s9, s3
	s_add_co_i32 s8, s2, 1
	s_cmp_ge_u32 s3, s6
	s_cselect_b32 s12, s8, s2
	s_wait_kmcnt 0x0
	s_cmp_ge_u32 s12, s13
	s_mov_b32 s13, 0
	s_cbranch_scc1 .LBB202_21
; %bb.1:
	v_cmp_gt_u32_e32 vcc_lo, 0x100, v0
	v_lshlrev_b32_e32 v1, 2, v0
	s_and_saveexec_b32 s2, vcc_lo
; %bb.2:
	v_mov_b32_e32 v2, 0
	ds_store_b32 v1, v2
; %bb.3:
	s_or_b32 exec_lo, exec_lo, s2
	s_clause 0x1
	s_load_b32 s17, s[0:1], 0x1a0
	s_load_b128 s[8:11], s[0:1], 0x1d0
	s_mul_i32 s2, s12, s6
	s_mov_b32 s15, 0
	s_sub_co_i32 s19, s16, s2
	s_wait_dscnt 0x0
	s_mul_i32 s2, s5, s19
	s_add_co_i32 s19, s19, 1
	s_lshl_b32 s18, s2, 8
	s_barrier_signal -1
	s_barrier_wait -1
	s_wait_kmcnt 0x0
	s_sub_co_i32 s14, s17, s18
	s_delay_alu instid0(SALU_CYCLE_1) | instskip(NEXT) | instid1(SALU_CYCLE_1)
	s_add_nc_u64 s[2:3], s[14:15], 0xff
	s_lshr_b64 s[2:3], s[2:3], 8
	s_cmp_lt_u32 s19, s6
	s_cselect_b32 s14, s5, s2
	s_delay_alu instid0(SALU_CYCLE_1)
	s_cmp_lt_i32 s14, 1
	s_cbranch_scc1 .LBB202_19
; %bb.4:
	s_clause 0x2
	s_load_b64 s[20:21], s[0:1], 0xd0
	s_load_b64 s[2:3], s[0:1], 0x1b8
	;; [unrolled: 1-line block ×3, first 2 shown]
	s_load_b32 s6, s[8:9], s12 offset:0x0 scale_offset
	v_add_nc_u32_e32 v6, s18, v0
	s_wait_kmcnt 0x0
	s_mul_u64 s[0:1], s[20:21], s[12:13]
	s_delay_alu instid0(SALU_CYCLE_1)
	s_lshl_b64 s[8:9], s[0:1], 1
	s_and_b32 s1, s4, 0xff
	s_cmp_eq_u32 s14, 1
	s_add_nc_u64 s[4:5], s[22:23], s[8:9]
	s_cbranch_scc1 .LBB202_14
; %bb.5:
	v_dual_mov_b32 v3, 0 :: v_dual_mov_b32 v7, 1
	v_mov_b32_e32 v8, 0x8000
	v_mov_b32_e32 v2, v6
	s_and_b32 s8, s14, 0x7ffffffe
	s_mov_b32 s9, 0
	s_branch .LBB202_7
.LBB202_6:                              ;   in Loop: Header=BB202_7 Depth=1
	s_or_b32 exec_lo, exec_lo, s12
	v_add_nc_u32_e32 v2, 0x200, v2
	s_add_co_i32 s9, s9, 2
	s_delay_alu instid0(SALU_CYCLE_1)
	s_cmp_eq_u32 s8, s9
	s_cbranch_scc1 .LBB202_13
.LBB202_7:                              ; =>This Inner Loop Header: Depth=1
	s_mov_b32 s12, exec_lo
	v_cmpx_gt_u32_e64 s17, v2
	s_cbranch_execz .LBB202_10
; %bb.8:                                ;   in Loop: Header=BB202_7 Depth=1
	v_mul_u64_e32 v[4:5], s[2:3], v[2:3]
	s_delay_alu instid0(VALU_DEP_1)
	v_lshl_add_u64 v[4:5], v[4:5], 1, s[4:5]
	global_load_u16 v4, v[4:5], off
	s_wait_loadcnt 0x0
	v_cmp_lt_i16_e64 s0, -1, v4
	s_wait_xcnt 0x0
	v_and_b32_e32 v5, 0xffff, v4
	s_delay_alu instid0(VALU_DEP_2) | instskip(SKIP_1) | instid1(VALU_DEP_2)
	v_cndmask_b32_e64 v9, 0xffff, v8, s0
	v_cmp_o_f16_e64 s0, v4, v4
	v_xor_b32_e32 v5, v9, v5
	s_delay_alu instid0(VALU_DEP_1) | instskip(NEXT) | instid1(VALU_DEP_1)
	v_cndmask_b32_e64 v4, 0xffff, v5, s0
	v_bitop3_b32 v5, v4, s7, s6 bitop3:0x48
	s_delay_alu instid0(VALU_DEP_1)
	v_cmp_eq_u32_e64 s0, 0, v5
	s_and_b32 exec_lo, exec_lo, s0
; %bb.9:                                ;   in Loop: Header=BB202_7 Depth=1
	v_bfe_u32 v4, v4, s1, 8
	s_delay_alu instid0(VALU_DEP_1)
	v_lshlrev_b32_e32 v4, 2, v4
	ds_add_u32 v4, v7
.LBB202_10:                             ;   in Loop: Header=BB202_7 Depth=1
	s_or_b32 exec_lo, exec_lo, s12
	v_add_nc_u32_e32 v4, 0x100, v2
	s_mov_b32 s12, exec_lo
	s_delay_alu instid0(VALU_DEP_1)
	v_cmpx_gt_u32_e64 s17, v4
	s_cbranch_execz .LBB202_6
; %bb.11:                               ;   in Loop: Header=BB202_7 Depth=1
	v_mov_b32_e32 v5, v3
	s_delay_alu instid0(VALU_DEP_1) | instskip(NEXT) | instid1(VALU_DEP_1)
	v_mul_u64_e32 v[4:5], s[2:3], v[4:5]
	v_lshl_add_u64 v[4:5], v[4:5], 1, s[4:5]
	global_load_u16 v4, v[4:5], off
	s_wait_loadcnt 0x0
	v_cmp_lt_i16_e64 s0, -1, v4
	v_and_b32_e32 v5, 0xffff, v4
	s_delay_alu instid0(VALU_DEP_2) | instskip(SKIP_1) | instid1(VALU_DEP_2)
	v_cndmask_b32_e64 v9, 0xffff, v8, s0
	v_cmp_o_f16_e64 s0, v4, v4
	v_xor_b32_e32 v5, v9, v5
	s_delay_alu instid0(VALU_DEP_1) | instskip(NEXT) | instid1(VALU_DEP_1)
	v_cndmask_b32_e64 v4, 0xffff, v5, s0
	v_bitop3_b32 v5, v4, s7, s6 bitop3:0x48
	s_delay_alu instid0(VALU_DEP_1)
	v_cmp_eq_u32_e64 s0, 0, v5
	s_and_b32 exec_lo, exec_lo, s0
	s_cbranch_execz .LBB202_6
; %bb.12:                               ;   in Loop: Header=BB202_7 Depth=1
	v_bfe_u32 v4, v4, s1, 8
	s_delay_alu instid0(VALU_DEP_1)
	v_lshlrev_b32_e32 v4, 2, v4
	ds_add_u32 v4, v7
	s_branch .LBB202_6
.LBB202_13:
	s_lshl_b32 s15, s8, 8
.LBB202_14:
	s_bitcmp0_b32 s14, 0
	s_cbranch_scc1 .LBB202_19
; %bb.15:
	v_add_nc_u32_e32 v2, s15, v6
	s_mov_b32 s8, exec_lo
	s_delay_alu instid0(VALU_DEP_1)
	v_cmpx_gt_u32_e64 s17, v2
	s_cbranch_execz .LBB202_18
; %bb.16:
	v_mov_b32_e32 v3, 0
	s_delay_alu instid0(VALU_DEP_1) | instskip(NEXT) | instid1(VALU_DEP_1)
	v_mul_u64_e32 v[2:3], s[2:3], v[2:3]
	v_lshl_add_u64 v[2:3], v[2:3], 1, s[4:5]
	global_load_u16 v2, v[2:3], off
	s_wait_xcnt 0x0
	v_mov_b32_e32 v3, 0x8000
	s_wait_loadcnt 0x0
	v_cmp_lt_i16_e64 s0, -1, v2
	v_and_b32_e32 v4, 0xffff, v2
	s_delay_alu instid0(VALU_DEP_2) | instskip(SKIP_1) | instid1(VALU_DEP_2)
	v_cndmask_b32_e64 v3, 0xffff, v3, s0
	v_cmp_o_f16_e64 s0, v2, v2
	v_xor_b32_e32 v3, v3, v4
	s_delay_alu instid0(VALU_DEP_1) | instskip(NEXT) | instid1(VALU_DEP_1)
	v_cndmask_b32_e64 v2, 0xffff, v3, s0
	v_bitop3_b32 v3, v2, s7, s6 bitop3:0x48
	s_delay_alu instid0(VALU_DEP_1)
	v_cmp_eq_u32_e64 s0, 0, v3
	s_and_b32 exec_lo, exec_lo, s0
; %bb.17:
	v_bfe_u32 v2, v2, s1, 8
	s_delay_alu instid0(VALU_DEP_1)
	v_dual_mov_b32 v3, 1 :: v_dual_lshlrev_b32 v2, 2, v2
	ds_add_u32 v2, v3
.LBB202_18:
	s_or_b32 exec_lo, exec_lo, s8
.LBB202_19:
	s_wait_dscnt 0x0
	s_barrier_signal -1
	s_barrier_wait -1
	s_and_saveexec_b32 s0, vcc_lo
	s_cbranch_execz .LBB202_21
; %bb.20:
	ds_load_b32 v1, v1
	v_lshl_or_b32 v0, s16, 8, v0
	s_wait_dscnt 0x0
	global_store_b16 v0, v1, s[10:11] scale_offset
.LBB202_21:
	s_endpgm
	.section	.rodata,"a",@progbits
	.p2align	6, 0x0
	.amdhsa_kernel _ZN2at6native6mbtopk23computeBlockDigitCountsIN3c104HalfEmjLi1EEEvNS_4cuda6detail10TensorInfoIKT_T0_EEjPjjSA_iijT1_PSD_Ps
		.amdhsa_group_segment_fixed_size 1024
		.amdhsa_private_segment_fixed_size 0
		.amdhsa_kernarg_size 736
		.amdhsa_user_sgpr_count 2
		.amdhsa_user_sgpr_dispatch_ptr 0
		.amdhsa_user_sgpr_queue_ptr 0
		.amdhsa_user_sgpr_kernarg_segment_ptr 1
		.amdhsa_user_sgpr_dispatch_id 0
		.amdhsa_user_sgpr_kernarg_preload_length 0
		.amdhsa_user_sgpr_kernarg_preload_offset 0
		.amdhsa_user_sgpr_private_segment_size 0
		.amdhsa_wavefront_size32 1
		.amdhsa_uses_dynamic_stack 0
		.amdhsa_enable_private_segment 0
		.amdhsa_system_sgpr_workgroup_id_x 1
		.amdhsa_system_sgpr_workgroup_id_y 1
		.amdhsa_system_sgpr_workgroup_id_z 1
		.amdhsa_system_sgpr_workgroup_info 0
		.amdhsa_system_vgpr_workitem_id 0
		.amdhsa_next_free_vgpr 10
		.amdhsa_next_free_sgpr 24
		.amdhsa_named_barrier_count 0
		.amdhsa_reserve_vcc 1
		.amdhsa_float_round_mode_32 0
		.amdhsa_float_round_mode_16_64 0
		.amdhsa_float_denorm_mode_32 3
		.amdhsa_float_denorm_mode_16_64 3
		.amdhsa_fp16_overflow 0
		.amdhsa_memory_ordered 1
		.amdhsa_forward_progress 1
		.amdhsa_inst_pref_size 10
		.amdhsa_round_robin_scheduling 0
		.amdhsa_exception_fp_ieee_invalid_op 0
		.amdhsa_exception_fp_denorm_src 0
		.amdhsa_exception_fp_ieee_div_zero 0
		.amdhsa_exception_fp_ieee_overflow 0
		.amdhsa_exception_fp_ieee_underflow 0
		.amdhsa_exception_fp_ieee_inexact 0
		.amdhsa_exception_int_div_zero 0
	.end_amdhsa_kernel
	.section	.text._ZN2at6native6mbtopk23computeBlockDigitCountsIN3c104HalfEmjLi1EEEvNS_4cuda6detail10TensorInfoIKT_T0_EEjPjjSA_iijT1_PSD_Ps,"axG",@progbits,_ZN2at6native6mbtopk23computeBlockDigitCountsIN3c104HalfEmjLi1EEEvNS_4cuda6detail10TensorInfoIKT_T0_EEjPjjSA_iijT1_PSD_Ps,comdat
.Lfunc_end202:
	.size	_ZN2at6native6mbtopk23computeBlockDigitCountsIN3c104HalfEmjLi1EEEvNS_4cuda6detail10TensorInfoIKT_T0_EEjPjjSA_iijT1_PSD_Ps, .Lfunc_end202-_ZN2at6native6mbtopk23computeBlockDigitCountsIN3c104HalfEmjLi1EEEvNS_4cuda6detail10TensorInfoIKT_T0_EEjPjjSA_iijT1_PSD_Ps
                                        ; -- End function
	.set _ZN2at6native6mbtopk23computeBlockDigitCountsIN3c104HalfEmjLi1EEEvNS_4cuda6detail10TensorInfoIKT_T0_EEjPjjSA_iijT1_PSD_Ps.num_vgpr, 10
	.set _ZN2at6native6mbtopk23computeBlockDigitCountsIN3c104HalfEmjLi1EEEvNS_4cuda6detail10TensorInfoIKT_T0_EEjPjjSA_iijT1_PSD_Ps.num_agpr, 0
	.set _ZN2at6native6mbtopk23computeBlockDigitCountsIN3c104HalfEmjLi1EEEvNS_4cuda6detail10TensorInfoIKT_T0_EEjPjjSA_iijT1_PSD_Ps.numbered_sgpr, 24
	.set _ZN2at6native6mbtopk23computeBlockDigitCountsIN3c104HalfEmjLi1EEEvNS_4cuda6detail10TensorInfoIKT_T0_EEjPjjSA_iijT1_PSD_Ps.num_named_barrier, 0
	.set _ZN2at6native6mbtopk23computeBlockDigitCountsIN3c104HalfEmjLi1EEEvNS_4cuda6detail10TensorInfoIKT_T0_EEjPjjSA_iijT1_PSD_Ps.private_seg_size, 0
	.set _ZN2at6native6mbtopk23computeBlockDigitCountsIN3c104HalfEmjLi1EEEvNS_4cuda6detail10TensorInfoIKT_T0_EEjPjjSA_iijT1_PSD_Ps.uses_vcc, 1
	.set _ZN2at6native6mbtopk23computeBlockDigitCountsIN3c104HalfEmjLi1EEEvNS_4cuda6detail10TensorInfoIKT_T0_EEjPjjSA_iijT1_PSD_Ps.uses_flat_scratch, 0
	.set _ZN2at6native6mbtopk23computeBlockDigitCountsIN3c104HalfEmjLi1EEEvNS_4cuda6detail10TensorInfoIKT_T0_EEjPjjSA_iijT1_PSD_Ps.has_dyn_sized_stack, 0
	.set _ZN2at6native6mbtopk23computeBlockDigitCountsIN3c104HalfEmjLi1EEEvNS_4cuda6detail10TensorInfoIKT_T0_EEjPjjSA_iijT1_PSD_Ps.has_recursion, 0
	.set _ZN2at6native6mbtopk23computeBlockDigitCountsIN3c104HalfEmjLi1EEEvNS_4cuda6detail10TensorInfoIKT_T0_EEjPjjSA_iijT1_PSD_Ps.has_indirect_call, 0
	.section	.AMDGPU.csdata,"",@progbits
; Kernel info:
; codeLenInByte = 1156
; TotalNumSgprs: 26
; NumVgprs: 10
; ScratchSize: 0
; MemoryBound: 0
; FloatMode: 240
; IeeeMode: 1
; LDSByteSize: 1024 bytes/workgroup (compile time only)
; SGPRBlocks: 0
; VGPRBlocks: 0
; NumSGPRsForWavesPerEU: 26
; NumVGPRsForWavesPerEU: 10
; NamedBarCnt: 0
; Occupancy: 16
; WaveLimiterHint : 1
; COMPUTE_PGM_RSRC2:SCRATCH_EN: 0
; COMPUTE_PGM_RSRC2:USER_SGPR: 2
; COMPUTE_PGM_RSRC2:TRAP_HANDLER: 0
; COMPUTE_PGM_RSRC2:TGID_X_EN: 1
; COMPUTE_PGM_RSRC2:TGID_Y_EN: 1
; COMPUTE_PGM_RSRC2:TGID_Z_EN: 1
; COMPUTE_PGM_RSRC2:TIDIG_COMP_CNT: 0
	.section	.text._ZN2at6native6mbtopk10gatherTopKIN3c104HalfEmLi1EEEvNS_4cuda6detail10TensorInfoIKT_T0_EESA_SA_bjSA_NS7_IS8_SA_EESA_NS7_IlSA_EESA_jjPS8_PjSF_j,"axG",@progbits,_ZN2at6native6mbtopk10gatherTopKIN3c104HalfEmLi1EEEvNS_4cuda6detail10TensorInfoIKT_T0_EESA_SA_bjSA_NS7_IS8_SA_EESA_NS7_IlSA_EESA_jjPS8_PjSF_j,comdat
	.protected	_ZN2at6native6mbtopk10gatherTopKIN3c104HalfEmLi1EEEvNS_4cuda6detail10TensorInfoIKT_T0_EESA_SA_bjSA_NS7_IS8_SA_EESA_NS7_IlSA_EESA_jjPS8_PjSF_j ; -- Begin function _ZN2at6native6mbtopk10gatherTopKIN3c104HalfEmLi1EEEvNS_4cuda6detail10TensorInfoIKT_T0_EESA_SA_bjSA_NS7_IS8_SA_EESA_NS7_IlSA_EESA_jjPS8_PjSF_j
	.globl	_ZN2at6native6mbtopk10gatherTopKIN3c104HalfEmLi1EEEvNS_4cuda6detail10TensorInfoIKT_T0_EESA_SA_bjSA_NS7_IS8_SA_EESA_NS7_IlSA_EESA_jjPS8_PjSF_j
	.p2align	8
	.type	_ZN2at6native6mbtopk10gatherTopKIN3c104HalfEmLi1EEEvNS_4cuda6detail10TensorInfoIKT_T0_EESA_SA_bjSA_NS7_IS8_SA_EESA_NS7_IlSA_EESA_jjPS8_PjSF_j,@function
_ZN2at6native6mbtopk10gatherTopKIN3c104HalfEmLi1EEEvNS_4cuda6detail10TensorInfoIKT_T0_EESA_SA_bjSA_NS7_IS8_SA_EESA_NS7_IlSA_EESA_jjPS8_PjSF_j: ; @_ZN2at6native6mbtopk10gatherTopKIN3c104HalfEmLi1EEEvNS_4cuda6detail10TensorInfoIKT_T0_EESA_SA_bjSA_NS7_IS8_SA_EESA_NS7_IlSA_EESA_jjPS8_PjSF_j
; %bb.0:
	s_bfe_u32 s2, ttmp6, 0x40010
	s_and_b32 s4, ttmp7, 0xffff
	s_add_co_i32 s5, s2, 1
	s_clause 0x1
	s_load_b32 s6, s[0:1], 0x530
	s_load_b64 s[2:3], s[0:1], 0x538
	s_bfe_u32 s8, ttmp6, 0x4000c
	s_mul_i32 s5, s4, s5
	s_bfe_u32 s7, ttmp6, 0x40004
	s_add_co_i32 s8, s8, 1
	s_bfe_u32 s9, ttmp6, 0x40014
	s_add_co_i32 s7, s7, s5
	s_and_b32 s5, ttmp6, 15
	s_mul_i32 s8, ttmp9, s8
	s_lshr_b32 s10, ttmp7, 16
	s_add_co_i32 s9, s9, 1
	s_add_co_i32 s5, s5, s8
	s_mul_i32 s8, s10, s9
	s_bfe_u32 s9, ttmp6, 0x40008
	s_getreg_b32 s11, hwreg(HW_REG_IB_STS2, 6, 4)
	s_add_co_i32 s9, s9, s8
	s_cmp_eq_u32 s11, 0
	s_cselect_b32 s8, s10, s9
	s_cselect_b32 s4, s4, s7
	s_wait_kmcnt 0x0
	s_mul_i32 s3, s3, s8
	s_cselect_b32 s5, ttmp9, s5
	s_add_co_i32 s3, s3, s4
	s_delay_alu instid0(SALU_CYCLE_1) | instskip(NEXT) | instid1(SALU_CYCLE_1)
	s_mul_i32 s2, s3, s2
	s_add_co_i32 s2, s2, s5
	s_delay_alu instid0(SALU_CYCLE_1)
	s_cmp_ge_u32 s2, s6
	s_cbranch_scc1 .LBB203_42
; %bb.1:
	s_load_b64 s[16:17], s[0:1], 0x510
	s_wait_kmcnt 0x0
	s_cvt_f32_u32 s3, s17
	s_sub_co_i32 s4, 0, s17
	s_lshl_b32 s28, s16, 8
	s_delay_alu instid0(SALU_CYCLE_1) | instskip(SKIP_1) | instid1(TRANS32_DEP_1)
	v_rcp_iflag_f32_e32 v1, s3
	v_nop
	v_readfirstlane_b32 s3, v1
	s_mul_f32 s3, s3, 0x4f7ffffe
	s_delay_alu instid0(SALU_CYCLE_3) | instskip(NEXT) | instid1(SALU_CYCLE_3)
	s_cvt_u32_f32 s3, s3
	s_mul_i32 s4, s4, s3
	s_delay_alu instid0(SALU_CYCLE_1) | instskip(NEXT) | instid1(SALU_CYCLE_1)
	s_mul_hi_u32 s4, s3, s4
	s_add_co_i32 s3, s3, s4
	s_load_b128 s[4:7], s[0:1], 0x1a0
	s_mul_hi_u32 s3, s2, s3
	s_delay_alu instid0(SALU_CYCLE_1) | instskip(SKIP_2) | instid1(SALU_CYCLE_1)
	s_mul_i32 s8, s3, s17
	s_add_co_i32 s9, s3, 1
	s_sub_co_i32 s8, s2, s8
	s_sub_co_i32 s10, s8, s17
	s_cmp_ge_u32 s8, s17
	s_cselect_b32 s3, s9, s3
	s_cselect_b32 s8, s10, s8
	s_add_co_i32 s9, s3, 1
	s_cmp_ge_u32 s8, s17
	s_cselect_b32 s18, s9, s3
	s_delay_alu instid0(SALU_CYCLE_1) | instskip(NEXT) | instid1(SALU_CYCLE_1)
	s_mul_i32 s12, s18, s17
	s_sub_co_i32 s29, s2, s12
	s_delay_alu instid0(SALU_CYCLE_1) | instskip(NEXT) | instid1(SALU_CYCLE_1)
	s_add_co_i32 s2, s29, 1
	s_cmp_lt_u32 s2, s17
	s_cbranch_scc1 .LBB203_3
; %bb.2:
	s_mul_i32 s2, s29, s28
	s_mov_b32 s3, 0
	s_wait_kmcnt 0x0
	s_sub_nc_u64 s[8:9], s[4:5], s[2:3]
	s_delay_alu instid0(SALU_CYCLE_1) | instskip(NEXT) | instid1(SALU_CYCLE_1)
	s_add_nc_u64 s[8:9], s[8:9], 0xff
	s_ashr_i32 s2, s9, 31
	s_delay_alu instid0(SALU_CYCLE_1) | instskip(NEXT) | instid1(SALU_CYCLE_1)
	s_lshr_b32 s2, s2, 24
	s_add_nc_u64 s[2:3], s[8:9], s[2:3]
	s_delay_alu instid0(SALU_CYCLE_1) | instskip(NEXT) | instid1(SALU_CYCLE_1)
	s_lshr_b64 s[2:3], s[2:3], 8
	s_mov_b32 s16, s2
.LBB203_3:
	s_load_b128 s[8:11], s[0:1], 0x518
	v_mov_b32_e32 v1, s18
	v_cmp_ne_u32_e64 s2, 0, v0
	v_cmp_eq_u32_e64 s3, 0, v0
	s_mov_b32 s19, 0
	s_wait_kmcnt 0x0
	global_load_u16 v1, v1, s[8:9] scale_offset
	s_wait_loadcnt 0x0
	v_readfirstlane_b32 s30, v1
	s_and_saveexec_b32 s26, s3
	s_cbranch_execz .LBB203_19
; %bb.4:
	s_load_b64 s[20:21], s[0:1], 0x528
	s_mov_b32 s13, s19
	s_delay_alu instid0(SALU_CYCLE_1)
	s_lshl_b64 s[22:23], s[12:13], 2
	s_cmp_lt_u32 s17, 4
	s_cbranch_scc1 .LBB203_16
; %bb.5:
	s_mov_b32 s27, 0
	s_mov_b64 s[8:9], 0
	s_mov_b32 s31, 0
.LBB203_6:                              ; =>This Inner Loop Header: Depth=1
	s_add_nc_u64 s[24:25], s[10:11], s[22:23]
	s_cmp_ge_u32 s31, s29
	s_load_b128 s[12:15], s[24:25], 0x0
	s_wait_kmcnt 0x0
	s_add_nc_u64 s[24:25], s[20:21], s[22:23]
	s_cbranch_scc0 .LBB203_13
; %bb.7:                                ;   in Loop: Header=BB203_6 Depth=1
	s_add_co_i32 s33, s31, 1
	s_delay_alu instid0(SALU_CYCLE_1)
	s_cmp_ge_u32 s33, s29
	s_cbranch_scc0 .LBB203_14
.LBB203_8:                              ;   in Loop: Header=BB203_6 Depth=1
	s_add_co_i32 s33, s33, 1
	s_delay_alu instid0(SALU_CYCLE_1)
	s_cmp_ge_u32 s33, s29
	s_cbranch_scc0 .LBB203_15
.LBB203_9:                              ;   in Loop: Header=BB203_6 Depth=1
	s_add_co_i32 s33, s33, 1
	s_delay_alu instid0(SALU_CYCLE_1)
	s_cmp_ge_u32 s33, s29
	s_cbranch_scc1 .LBB203_11
.LBB203_10:                             ;   in Loop: Header=BB203_6 Depth=1
	s_load_b32 s24, s[24:25], 0xc
	s_add_co_i32 s9, s15, s9
	s_wait_kmcnt 0x0
	s_add_co_i32 s8, s24, s8
.LBB203_11:                             ;   in Loop: Header=BB203_6 Depth=1
	s_add_co_i32 s12, s12, s27
	s_add_nc_u64 s[10:11], s[10:11], 16
	s_add_co_i32 s12, s12, s13
	s_add_co_i32 s13, s33, 4
	;; [unrolled: 1-line block ×3, first 2 shown]
	s_add_nc_u64 s[20:21], s[20:21], 16
	s_add_co_i32 s27, s12, s15
	s_add_co_i32 s12, s33, 1
	s_cmp_ge_u32 s13, s17
	s_cbranch_scc1 .LBB203_17
; %bb.12:                               ;   in Loop: Header=BB203_6 Depth=1
	s_mov_b32 s31, s12
	s_branch .LBB203_6
.LBB203_13:                             ;   in Loop: Header=BB203_6 Depth=1
	s_load_b32 s33, s[24:25], 0x0
	s_add_co_i32 s9, s12, s9
	s_wait_kmcnt 0x0
	s_add_co_i32 s8, s33, s8
	s_add_co_i32 s33, s31, 1
	s_delay_alu instid0(SALU_CYCLE_1)
	s_cmp_ge_u32 s33, s29
	s_cbranch_scc1 .LBB203_8
.LBB203_14:                             ;   in Loop: Header=BB203_6 Depth=1
	s_load_b32 s34, s[24:25], 0x4
	s_add_co_i32 s9, s13, s9
	s_wait_kmcnt 0x0
	s_add_co_i32 s8, s34, s8
	s_add_co_i32 s33, s33, 1
	s_delay_alu instid0(SALU_CYCLE_1)
	s_cmp_ge_u32 s33, s29
	s_cbranch_scc1 .LBB203_9
.LBB203_15:                             ;   in Loop: Header=BB203_6 Depth=1
	s_load_b32 s34, s[24:25], 0x8
	s_add_co_i32 s9, s14, s9
	s_wait_kmcnt 0x0
	s_add_co_i32 s8, s34, s8
	s_add_co_i32 s33, s33, 1
	s_delay_alu instid0(SALU_CYCLE_1)
	s_cmp_ge_u32 s33, s29
	s_cbranch_scc0 .LBB203_10
	s_branch .LBB203_11
.LBB203_16:
	s_mov_b64 s[8:9], 0
	s_add_nc_u64 s[10:11], s[10:11], s[22:23]
	s_wait_kmcnt 0x0
	s_add_nc_u64 s[12:13], s[20:21], s[22:23]
	s_mov_b32 s27, s19
	s_mov_b32 s14, s19
	s_delay_alu instid0(SALU_CYCLE_1)
	s_cmp_ge_u32 s14, s17
	s_cbranch_scc0 .LBB203_40
	s_branch .LBB203_18
.LBB203_17:
	s_add_co_i32 s14, s31, 4
	s_add_nc_u64 s[12:13], s[20:21], s[22:23]
	s_add_nc_u64 s[10:11], s[10:11], s[22:23]
	s_cmp_ge_u32 s14, s17
	s_cbranch_scc0 .LBB203_40
.LBB203_18:
	v_dual_mov_b32 v2, s8 :: v_dual_mov_b32 v3, s27
	v_dual_mov_b32 v4, s9 :: v_dual_mov_b32 v1, 0
	ds_store_b96 v1, v[2:4] offset:1056
.LBB203_19:
	s_or_b32 exec_lo, exec_lo, s26
	s_clause 0x5
	s_load_b64 s[20:21], s[0:1], 0x0
	s_load_b64 s[22:23], s[0:1], 0xd0
	s_load_b128 s[8:11], s[0:1], 0x1b8
	s_load_b64 s[24:25], s[0:1], 0x290
	s_load_b128 s[12:15], s[0:1], 0x360
	s_load_b64 s[26:27], s[0:1], 0x438
	s_cmp_eq_u32 s16, 0
	s_wait_dscnt 0x0
	s_barrier_signal -1
	s_barrier_wait -1
	s_cbranch_scc1 .LBB203_42
; %bb.20:
	v_dual_mov_b32 v1, 0 :: v_dual_lshrrev_b32 v5, 3, v0
	s_wait_kmcnt 0x0
	s_mul_u64 s[22:23], s[22:23], s[18:19]
	s_mul_u64 s[24:25], s[24:25], s[18:19]
	;; [unrolled: 1-line block ×3, first 2 shown]
	ds_load_b96 v[2:4], v1 offset:1056
	s_clause 0x1
	s_load_b32 s34, s[0:1], 0x1b0
	s_load_b64 s[18:19], s[0:1], 0x508
	s_sext_i32_i16 s31, s30
	s_and_b32 s17, 0xffff, s30
	s_wait_xcnt 0x0
	s_lshl_b64 s[0:1], s[22:23], 1
	s_lshl_b64 s[22:23], s[24:25], 1
	;; [unrolled: 1-line block ×3, first 2 shown]
	s_mov_b32 s33, 0x8000
	v_dual_add_nc_u32 v6, -1, v0 :: v_dual_bitop2_b32 v5, 28, v5 bitop3:0x40
	s_cmp_gt_i32 s31, -1
	s_add_nc_u64 s[20:21], s[20:21], s[0:1]
	s_cselect_b32 s0, s33, 0xffff
	s_delay_alu instid0(VALU_DEP_1)
	v_lshrrev_b32_e32 v7, 3, v6
	s_xor_b32 s0, s0, s17
	s_cmp_o_f16 s30, s30
	v_lshl_add_u32 v5, v0, 2, v5
	v_lshlrev_b32_e32 v10, 5, v0
	v_mbcnt_lo_u32_b32 v8, -1, 0
	s_cselect_b32 s17, s0, 0xffff
	s_wait_dscnt 0x0
	v_add_nc_u32_e32 v2, v2, v3
	v_and_b32_e32 v3, 0xfc, v0
	v_cmp_gt_u32_e64 s0, 32, v0
	v_mad_u32 v0, s29, s28, v0
	v_and_b32_e32 v7, 0x1ffffffc, v7
	s_delay_alu instid0(VALU_DEP_4) | instskip(SKIP_2) | instid1(VALU_DEP_4)
	v_dual_add_nc_u32 v10, v3, v10 :: v_dual_bitop2_b32 v11, 15, v8 bitop3:0x40
	v_bfe_i32 v12, v8, 4, 1
	v_dual_mov_b32 v14, 0x8000 :: v_dual_add_nc_u32 v13, -1, v8
	v_lshl_add_u32 v9, v6, 2, v7
	s_wait_kmcnt 0x0
	s_bitcmp1_b32 s34, 0
	s_add_nc_u64 s[10:11], s[10:11], s[22:23]
	s_add_nc_u64 s[14:15], s[14:15], s[24:25]
	s_cselect_b32 s1, -1, 0
                                        ; implicit-def: $vgpr15
	s_branch .LBB203_23
.LBB203_21:                             ;   in Loop: Header=BB203_23 Depth=1
	s_wait_xcnt 0x0
	s_or_b32 exec_lo, exec_lo, s22
	v_add_nc_u32_e32 v2, v3, v2
.LBB203_22:                             ;   in Loop: Header=BB203_23 Depth=1
	v_add_nc_u32_e32 v4, v16, v4
	v_add_nc_u32_e32 v0, 0x100, v0
	s_add_co_i32 s16, s16, -1
	s_delay_alu instid0(SALU_CYCLE_1)
	s_cmp_lg_u32 s16, 0
	s_cbranch_scc0 .LBB203_42
.LBB203_23:                             ; =>This Inner Loop Header: Depth=1
	v_dual_mov_b32 v3, v1 :: v_dual_mov_b32 v6, v1
	s_mov_b32 s22, exec_lo
	v_cmpx_gt_u64_e64 s[4:5], v[0:1]
	s_cbranch_execz .LBB203_25
; %bb.24:                               ;   in Loop: Header=BB203_23 Depth=1
	v_mul_u64_e32 v[6:7], s[8:9], v[0:1]
	s_delay_alu instid0(VALU_DEP_1)
	v_lshl_add_u64 v[6:7], v[6:7], 1, s[20:21]
	global_load_u16 v15, v[6:7], off
	s_wait_loadcnt 0x0
	v_cmp_lt_i16_e32 vcc_lo, -1, v15
	v_and_b32_e32 v3, 0xffff, v15
	s_wait_xcnt 0x0
	v_cndmask_b32_e32 v6, 0xffff, v14, vcc_lo
	v_cmp_o_f16_e32 vcc_lo, v15, v15
	s_delay_alu instid0(VALU_DEP_2) | instskip(NEXT) | instid1(VALU_DEP_1)
	v_xor_b32_e32 v3, v6, v3
	v_cndmask_b32_e32 v6, 0xffff, v3, vcc_lo
	s_delay_alu instid0(VALU_DEP_1) | instskip(SKIP_4) | instid1(VALU_DEP_2)
	v_cmp_lt_u32_e32 vcc_lo, s17, v6
	v_cndmask_b32_e64 v3, 0, 1, vcc_lo
	v_cmp_gt_u32_e32 vcc_lo, s17, v6
	v_cndmask_b32_e64 v7, 0, 1, vcc_lo
	v_cmp_eq_u32_e32 vcc_lo, s17, v6
	v_cndmask_b32_e64 v3, v7, v3, s1
	v_cndmask_b32_e64 v6, 0, 1, vcc_lo
	s_delay_alu instid0(VALU_DEP_2)
	v_and_b32_e32 v3, 1, v3
.LBB203_25:                             ;   in Loop: Header=BB203_23 Depth=1
	s_or_b32 exec_lo, exec_lo, s22
	ds_store_b32 v5, v3
	s_wait_dscnt 0x0
	s_barrier_signal -1
	s_barrier_wait -1
	s_and_saveexec_b32 s22, s0
	s_cbranch_execz .LBB203_27
; %bb.26:                               ;   in Loop: Header=BB203_23 Depth=1
	ds_load_2addr_b32 v[16:17], v10 offset1:1
	ds_load_2addr_b32 v[18:19], v10 offset0:2 offset1:3
	ds_load_2addr_b32 v[20:21], v10 offset0:4 offset1:5
	;; [unrolled: 1-line block ×3, first 2 shown]
	v_cmp_ne_u32_e32 vcc_lo, 0, v11
	; wave barrier
	s_wait_dscnt 0x3
	v_add_nc_u32_e32 v7, v17, v16
	s_wait_dscnt 0x2
	s_delay_alu instid0(VALU_DEP_1) | instskip(SKIP_1) | instid1(VALU_DEP_1)
	v_add3_u32 v7, v7, v18, v19
	s_wait_dscnt 0x1
	v_add3_u32 v7, v7, v20, v21
	s_wait_dscnt 0x0
	s_delay_alu instid0(VALU_DEP_1) | instskip(NEXT) | instid1(VALU_DEP_1)
	v_add3_u32 v7, v7, v22, v23
	v_mov_b32_dpp v17, v7 row_shr:1 row_mask:0xf bank_mask:0xf
	s_delay_alu instid0(VALU_DEP_1) | instskip(SKIP_1) | instid1(VALU_DEP_2)
	v_cndmask_b32_e32 v17, 0, v17, vcc_lo
	v_cmp_lt_u32_e32 vcc_lo, 1, v11
	v_add_nc_u32_e32 v7, v17, v7
	s_delay_alu instid0(VALU_DEP_1) | instskip(NEXT) | instid1(VALU_DEP_1)
	v_mov_b32_dpp v17, v7 row_shr:2 row_mask:0xf bank_mask:0xf
	v_cndmask_b32_e32 v17, 0, v17, vcc_lo
	v_cmp_lt_u32_e32 vcc_lo, 3, v11
	s_delay_alu instid0(VALU_DEP_2) | instskip(NEXT) | instid1(VALU_DEP_1)
	v_add_nc_u32_e32 v7, v7, v17
	v_mov_b32_dpp v17, v7 row_shr:4 row_mask:0xf bank_mask:0xf
	s_delay_alu instid0(VALU_DEP_1) | instskip(SKIP_1) | instid1(VALU_DEP_2)
	v_cndmask_b32_e32 v17, 0, v17, vcc_lo
	v_cmp_lt_u32_e32 vcc_lo, 7, v11
	v_add_nc_u32_e32 v7, v7, v17
	s_delay_alu instid0(VALU_DEP_1) | instskip(NEXT) | instid1(VALU_DEP_1)
	v_mov_b32_dpp v17, v7 row_shr:8 row_mask:0xf bank_mask:0xf
	v_cndmask_b32_e32 v17, 0, v17, vcc_lo
	v_cmp_gt_i32_e32 vcc_lo, 0, v13
	s_delay_alu instid0(VALU_DEP_2) | instskip(SKIP_3) | instid1(VALU_DEP_1)
	v_dual_cndmask_b32 v18, v13, v8 :: v_dual_add_nc_u32 v7, v7, v17
	ds_swizzle_b32 v17, v7 offset:swizzle(BROADCAST,32,15)
	s_wait_dscnt 0x0
	v_dual_lshlrev_b32 v18, 2, v18 :: v_dual_bitop2_b32 v17, v12, v17 bitop3:0x40
	v_add_nc_u32_e32 v7, v7, v17
	ds_bpermute_b32 v7, v18, v7
	s_wait_dscnt 0x0
	v_add_nc_u32_e32 v7, v7, v16
	s_delay_alu instid0(VALU_DEP_1)
	v_cndmask_b32_e64 v7, v7, v3, s3
	ds_store_b32 v10, v7
	; wave barrier
	ds_load_2addr_b32 v[16:17], v10 offset0:1 offset1:2
	ds_load_2addr_b32 v[18:19], v10 offset0:3 offset1:4
	;; [unrolled: 1-line block ×3, first 2 shown]
	ds_load_b32 v22, v10 offset:28
	s_wait_dscnt 0x3
	v_add_nc_u32_e32 v7, v16, v7
	s_delay_alu instid0(VALU_DEP_1) | instskip(SKIP_1) | instid1(VALU_DEP_1)
	v_add_nc_u32_e32 v16, v17, v7
	s_wait_dscnt 0x2
	v_add_nc_u32_e32 v17, v18, v16
	s_delay_alu instid0(VALU_DEP_1) | instskip(SKIP_1) | instid1(VALU_DEP_1)
	v_add_nc_u32_e32 v18, v19, v17
	;; [unrolled: 4-line block ×3, first 2 shown]
	s_wait_dscnt 0x0
	v_add_nc_u32_e32 v21, v22, v20
	ds_store_2addr_b32 v10, v7, v16 offset0:1 offset1:2
	ds_store_2addr_b32 v10, v17, v18 offset0:3 offset1:4
	ds_store_2addr_b32 v10, v19, v20 offset0:5 offset1:6
	ds_store_b32 v10, v21 offset:28
.LBB203_27:                             ;   in Loop: Header=BB203_23 Depth=1
	s_or_b32 exec_lo, exec_lo, s22
	v_mov_b32_e32 v7, 0
	s_wait_dscnt 0x0
	s_barrier_signal -1
	s_barrier_wait -1
	s_and_saveexec_b32 s22, s2
; %bb.28:                               ;   in Loop: Header=BB203_23 Depth=1
	ds_load_b32 v7, v9
; %bb.29:                               ;   in Loop: Header=BB203_23 Depth=1
	s_or_b32 exec_lo, exec_lo, s22
	ds_load_b32 v16, v1 offset:1048
	s_mov_b32 s22, exec_lo
	s_wait_dscnt 0x0
	s_barrier_signal -1
	s_barrier_wait -1
	v_cmpx_ne_u32_e32 0, v3
	s_cbranch_execz .LBB203_31
; %bb.30:                               ;   in Loop: Header=BB203_23 Depth=1
	v_dual_mov_b32 v19, v1 :: v_dual_add_nc_u32 v18, v7, v4
	s_delay_alu instid0(VALU_DEP_1) | instskip(SKIP_1) | instid1(VALU_DEP_2)
	v_mul_u64_e32 v[20:21], s[12:13], v[18:19]
	v_mul_u64_e32 v[18:19], s[18:19], v[18:19]
	v_lshl_add_u64 v[20:21], v[20:21], 1, s[10:11]
	s_delay_alu instid0(VALU_DEP_2)
	v_lshl_add_u64 v[18:19], v[18:19], 3, s[14:15]
	global_store_b16 v[20:21], v15, off
	global_store_b64 v[18:19], v[0:1], off
.LBB203_31:                             ;   in Loop: Header=BB203_23 Depth=1
	s_wait_xcnt 0x0
	s_or_b32 exec_lo, exec_lo, s22
	v_mov_b32_e32 v3, v1
	s_delay_alu instid0(VALU_DEP_1)
	v_cmp_le_u64_e32 vcc_lo, s[6:7], v[2:3]
	s_cbranch_vccnz .LBB203_22
; %bb.32:                               ;   in Loop: Header=BB203_23 Depth=1
	ds_store_b32 v5, v6
	s_wait_storecnt_dscnt 0x0
	s_barrier_signal -1
	s_barrier_wait -1
	s_and_saveexec_b32 s22, s0
	s_cbranch_execz .LBB203_34
; %bb.33:                               ;   in Loop: Header=BB203_23 Depth=1
	ds_load_2addr_b32 v[18:19], v10 offset1:1
	ds_load_2addr_b32 v[20:21], v10 offset0:2 offset1:3
	ds_load_2addr_b32 v[22:23], v10 offset0:4 offset1:5
	;; [unrolled: 1-line block ×3, first 2 shown]
	v_cmp_ne_u32_e32 vcc_lo, 0, v11
	; wave barrier
	s_wait_dscnt 0x3
	v_add_nc_u32_e32 v3, v19, v18
	s_wait_dscnt 0x2
	s_delay_alu instid0(VALU_DEP_1) | instskip(SKIP_1) | instid1(VALU_DEP_1)
	v_add3_u32 v3, v3, v20, v21
	s_wait_dscnt 0x1
	v_add3_u32 v3, v3, v22, v23
	s_wait_dscnt 0x0
	s_delay_alu instid0(VALU_DEP_1) | instskip(NEXT) | instid1(VALU_DEP_1)
	v_add3_u32 v3, v3, v24, v25
	v_mov_b32_dpp v7, v3 row_shr:1 row_mask:0xf bank_mask:0xf
	s_delay_alu instid0(VALU_DEP_1) | instskip(SKIP_1) | instid1(VALU_DEP_2)
	v_cndmask_b32_e32 v7, 0, v7, vcc_lo
	v_cmp_lt_u32_e32 vcc_lo, 1, v11
	v_add_nc_u32_e32 v3, v7, v3
	s_delay_alu instid0(VALU_DEP_1) | instskip(NEXT) | instid1(VALU_DEP_1)
	v_mov_b32_dpp v7, v3 row_shr:2 row_mask:0xf bank_mask:0xf
	v_cndmask_b32_e32 v7, 0, v7, vcc_lo
	v_cmp_lt_u32_e32 vcc_lo, 3, v11
	s_delay_alu instid0(VALU_DEP_2) | instskip(NEXT) | instid1(VALU_DEP_1)
	v_add_nc_u32_e32 v3, v3, v7
	v_mov_b32_dpp v7, v3 row_shr:4 row_mask:0xf bank_mask:0xf
	s_delay_alu instid0(VALU_DEP_1) | instskip(SKIP_1) | instid1(VALU_DEP_2)
	v_cndmask_b32_e32 v7, 0, v7, vcc_lo
	v_cmp_lt_u32_e32 vcc_lo, 7, v11
	v_add_nc_u32_e32 v3, v3, v7
	s_delay_alu instid0(VALU_DEP_1) | instskip(NEXT) | instid1(VALU_DEP_1)
	v_mov_b32_dpp v7, v3 row_shr:8 row_mask:0xf bank_mask:0xf
	v_cndmask_b32_e32 v7, 0, v7, vcc_lo
	v_cmp_gt_i32_e32 vcc_lo, 0, v13
	s_delay_alu instid0(VALU_DEP_2) | instskip(SKIP_3) | instid1(VALU_DEP_1)
	v_dual_add_nc_u32 v3, v3, v7 :: v_dual_cndmask_b32 v17, v13, v8, vcc_lo
	ds_swizzle_b32 v7, v3 offset:swizzle(BROADCAST,32,15)
	s_wait_dscnt 0x0
	v_dual_lshlrev_b32 v17, 2, v17 :: v_dual_bitop2_b32 v7, v12, v7 bitop3:0x40
	v_add_nc_u32_e32 v3, v3, v7
	ds_bpermute_b32 v3, v17, v3
	s_wait_dscnt 0x0
	v_add_nc_u32_e32 v3, v3, v18
	s_delay_alu instid0(VALU_DEP_1)
	v_cndmask_b32_e64 v3, v3, v6, s3
	ds_store_b32 v10, v3
	; wave barrier
	ds_load_2addr_b32 v[18:19], v10 offset0:1 offset1:2
	ds_load_2addr_b32 v[20:21], v10 offset0:3 offset1:4
	;; [unrolled: 1-line block ×3, first 2 shown]
	ds_load_b32 v7, v10 offset:28
	s_wait_dscnt 0x3
	v_add_nc_u32_e32 v3, v18, v3
	s_delay_alu instid0(VALU_DEP_1) | instskip(SKIP_1) | instid1(VALU_DEP_1)
	v_add_nc_u32_e32 v17, v19, v3
	s_wait_dscnt 0x2
	v_add_nc_u32_e32 v18, v20, v17
	s_delay_alu instid0(VALU_DEP_1) | instskip(SKIP_1) | instid1(VALU_DEP_1)
	v_add_nc_u32_e32 v19, v21, v18
	;; [unrolled: 4-line block ×3, first 2 shown]
	s_wait_dscnt 0x0
	v_add_nc_u32_e32 v7, v7, v21
	ds_store_2addr_b32 v10, v3, v17 offset0:1 offset1:2
	ds_store_2addr_b32 v10, v18, v19 offset0:3 offset1:4
	;; [unrolled: 1-line block ×3, first 2 shown]
	ds_store_b32 v10, v7 offset:28
.LBB203_34:                             ;   in Loop: Header=BB203_23 Depth=1
	s_or_b32 exec_lo, exec_lo, s22
	v_mov_b32_e32 v7, 0
	s_wait_dscnt 0x0
	s_barrier_signal -1
	s_barrier_wait -1
	s_and_saveexec_b32 s22, s2
; %bb.35:                               ;   in Loop: Header=BB203_23 Depth=1
	ds_load_b32 v7, v9
; %bb.36:                               ;   in Loop: Header=BB203_23 Depth=1
	s_or_b32 exec_lo, exec_lo, s22
	ds_load_b32 v3, v1 offset:1048
	s_mov_b32 s22, exec_lo
	s_wait_dscnt 0x0
	s_barrier_signal -1
	s_barrier_wait -1
	v_cmpx_ne_u32_e32 0, v6
	s_cbranch_execz .LBB203_21
; %bb.37:                               ;   in Loop: Header=BB203_23 Depth=1
	v_dual_mov_b32 v7, v1 :: v_dual_add_nc_u32 v6, v7, v2
	s_delay_alu instid0(VALU_DEP_1)
	v_cmp_gt_u64_e32 vcc_lo, s[6:7], v[6:7]
	s_and_b32 exec_lo, exec_lo, vcc_lo
	s_cbranch_execz .LBB203_21
; %bb.38:                               ;   in Loop: Header=BB203_23 Depth=1
	v_mul_u64_e32 v[18:19], s[12:13], v[6:7]
	v_mul_u64_e32 v[6:7], s[18:19], v[6:7]
	s_delay_alu instid0(VALU_DEP_2) | instskip(NEXT) | instid1(VALU_DEP_2)
	v_lshl_add_u64 v[18:19], v[18:19], 1, s[10:11]
	v_lshl_add_u64 v[6:7], v[6:7], 3, s[14:15]
	global_store_b16 v[18:19], v15, off
	global_store_b64 v[6:7], v[0:1], off
	s_branch .LBB203_21
.LBB203_39:                             ;   in Loop: Header=BB203_40 Depth=1
	s_add_co_i32 s14, s14, 1
	s_wait_kmcnt 0x0
	s_add_co_i32 s27, s15, s27
	s_add_nc_u64 s[10:11], s[10:11], 4
	s_cmp_lt_u32 s14, s17
	s_add_nc_u64 s[12:13], s[12:13], 4
	s_cbranch_scc0 .LBB203_18
.LBB203_40:                             ; =>This Inner Loop Header: Depth=1
	s_load_b32 s15, s[10:11], 0x0
	s_cmp_ge_u32 s14, s29
	s_cbranch_scc1 .LBB203_39
; %bb.41:                               ;   in Loop: Header=BB203_40 Depth=1
	s_load_b32 s20, s[12:13], 0x0
	s_wait_kmcnt 0x0
	s_add_co_i32 s9, s15, s9
	s_add_co_i32 s8, s20, s8
	s_branch .LBB203_39
.LBB203_42:
	s_endpgm
	.section	.rodata,"a",@progbits
	.p2align	6, 0x0
	.amdhsa_kernel _ZN2at6native6mbtopk10gatherTopKIN3c104HalfEmLi1EEEvNS_4cuda6detail10TensorInfoIKT_T0_EESA_SA_bjSA_NS7_IS8_SA_EESA_NS7_IlSA_EESA_jjPS8_PjSF_j
		.amdhsa_group_segment_fixed_size 1068
		.amdhsa_private_segment_fixed_size 0
		.amdhsa_kernarg_size 1592
		.amdhsa_user_sgpr_count 2
		.amdhsa_user_sgpr_dispatch_ptr 0
		.amdhsa_user_sgpr_queue_ptr 0
		.amdhsa_user_sgpr_kernarg_segment_ptr 1
		.amdhsa_user_sgpr_dispatch_id 0
		.amdhsa_user_sgpr_kernarg_preload_length 0
		.amdhsa_user_sgpr_kernarg_preload_offset 0
		.amdhsa_user_sgpr_private_segment_size 0
		.amdhsa_wavefront_size32 1
		.amdhsa_uses_dynamic_stack 0
		.amdhsa_enable_private_segment 0
		.amdhsa_system_sgpr_workgroup_id_x 1
		.amdhsa_system_sgpr_workgroup_id_y 1
		.amdhsa_system_sgpr_workgroup_id_z 1
		.amdhsa_system_sgpr_workgroup_info 0
		.amdhsa_system_vgpr_workitem_id 0
		.amdhsa_next_free_vgpr 26
		.amdhsa_next_free_sgpr 35
		.amdhsa_named_barrier_count 0
		.amdhsa_reserve_vcc 1
		.amdhsa_float_round_mode_32 0
		.amdhsa_float_round_mode_16_64 0
		.amdhsa_float_denorm_mode_32 3
		.amdhsa_float_denorm_mode_16_64 3
		.amdhsa_fp16_overflow 0
		.amdhsa_memory_ordered 1
		.amdhsa_forward_progress 1
		.amdhsa_inst_pref_size 21
		.amdhsa_round_robin_scheduling 0
		.amdhsa_exception_fp_ieee_invalid_op 0
		.amdhsa_exception_fp_denorm_src 0
		.amdhsa_exception_fp_ieee_div_zero 0
		.amdhsa_exception_fp_ieee_overflow 0
		.amdhsa_exception_fp_ieee_underflow 0
		.amdhsa_exception_fp_ieee_inexact 0
		.amdhsa_exception_int_div_zero 0
	.end_amdhsa_kernel
	.section	.text._ZN2at6native6mbtopk10gatherTopKIN3c104HalfEmLi1EEEvNS_4cuda6detail10TensorInfoIKT_T0_EESA_SA_bjSA_NS7_IS8_SA_EESA_NS7_IlSA_EESA_jjPS8_PjSF_j,"axG",@progbits,_ZN2at6native6mbtopk10gatherTopKIN3c104HalfEmLi1EEEvNS_4cuda6detail10TensorInfoIKT_T0_EESA_SA_bjSA_NS7_IS8_SA_EESA_NS7_IlSA_EESA_jjPS8_PjSF_j,comdat
.Lfunc_end203:
	.size	_ZN2at6native6mbtopk10gatherTopKIN3c104HalfEmLi1EEEvNS_4cuda6detail10TensorInfoIKT_T0_EESA_SA_bjSA_NS7_IS8_SA_EESA_NS7_IlSA_EESA_jjPS8_PjSF_j, .Lfunc_end203-_ZN2at6native6mbtopk10gatherTopKIN3c104HalfEmLi1EEEvNS_4cuda6detail10TensorInfoIKT_T0_EESA_SA_bjSA_NS7_IS8_SA_EESA_NS7_IlSA_EESA_jjPS8_PjSF_j
                                        ; -- End function
	.set _ZN2at6native6mbtopk10gatherTopKIN3c104HalfEmLi1EEEvNS_4cuda6detail10TensorInfoIKT_T0_EESA_SA_bjSA_NS7_IS8_SA_EESA_NS7_IlSA_EESA_jjPS8_PjSF_j.num_vgpr, 26
	.set _ZN2at6native6mbtopk10gatherTopKIN3c104HalfEmLi1EEEvNS_4cuda6detail10TensorInfoIKT_T0_EESA_SA_bjSA_NS7_IS8_SA_EESA_NS7_IlSA_EESA_jjPS8_PjSF_j.num_agpr, 0
	.set _ZN2at6native6mbtopk10gatherTopKIN3c104HalfEmLi1EEEvNS_4cuda6detail10TensorInfoIKT_T0_EESA_SA_bjSA_NS7_IS8_SA_EESA_NS7_IlSA_EESA_jjPS8_PjSF_j.numbered_sgpr, 35
	.set _ZN2at6native6mbtopk10gatherTopKIN3c104HalfEmLi1EEEvNS_4cuda6detail10TensorInfoIKT_T0_EESA_SA_bjSA_NS7_IS8_SA_EESA_NS7_IlSA_EESA_jjPS8_PjSF_j.num_named_barrier, 0
	.set _ZN2at6native6mbtopk10gatherTopKIN3c104HalfEmLi1EEEvNS_4cuda6detail10TensorInfoIKT_T0_EESA_SA_bjSA_NS7_IS8_SA_EESA_NS7_IlSA_EESA_jjPS8_PjSF_j.private_seg_size, 0
	.set _ZN2at6native6mbtopk10gatherTopKIN3c104HalfEmLi1EEEvNS_4cuda6detail10TensorInfoIKT_T0_EESA_SA_bjSA_NS7_IS8_SA_EESA_NS7_IlSA_EESA_jjPS8_PjSF_j.uses_vcc, 1
	.set _ZN2at6native6mbtopk10gatherTopKIN3c104HalfEmLi1EEEvNS_4cuda6detail10TensorInfoIKT_T0_EESA_SA_bjSA_NS7_IS8_SA_EESA_NS7_IlSA_EESA_jjPS8_PjSF_j.uses_flat_scratch, 0
	.set _ZN2at6native6mbtopk10gatherTopKIN3c104HalfEmLi1EEEvNS_4cuda6detail10TensorInfoIKT_T0_EESA_SA_bjSA_NS7_IS8_SA_EESA_NS7_IlSA_EESA_jjPS8_PjSF_j.has_dyn_sized_stack, 0
	.set _ZN2at6native6mbtopk10gatherTopKIN3c104HalfEmLi1EEEvNS_4cuda6detail10TensorInfoIKT_T0_EESA_SA_bjSA_NS7_IS8_SA_EESA_NS7_IlSA_EESA_jjPS8_PjSF_j.has_recursion, 0
	.set _ZN2at6native6mbtopk10gatherTopKIN3c104HalfEmLi1EEEvNS_4cuda6detail10TensorInfoIKT_T0_EESA_SA_bjSA_NS7_IS8_SA_EESA_NS7_IlSA_EESA_jjPS8_PjSF_j.has_indirect_call, 0
	.section	.AMDGPU.csdata,"",@progbits
; Kernel info:
; codeLenInByte = 2568
; TotalNumSgprs: 37
; NumVgprs: 26
; ScratchSize: 0
; MemoryBound: 0
; FloatMode: 240
; IeeeMode: 1
; LDSByteSize: 1068 bytes/workgroup (compile time only)
; SGPRBlocks: 0
; VGPRBlocks: 1
; NumSGPRsForWavesPerEU: 37
; NumVGPRsForWavesPerEU: 26
; NamedBarCnt: 0
; Occupancy: 16
; WaveLimiterHint : 1
; COMPUTE_PGM_RSRC2:SCRATCH_EN: 0
; COMPUTE_PGM_RSRC2:USER_SGPR: 2
; COMPUTE_PGM_RSRC2:TRAP_HANDLER: 0
; COMPUTE_PGM_RSRC2:TGID_X_EN: 1
; COMPUTE_PGM_RSRC2:TGID_Y_EN: 1
; COMPUTE_PGM_RSRC2:TGID_Z_EN: 1
; COMPUTE_PGM_RSRC2:TIDIG_COMP_CNT: 0
	.section	.text._ZN2at6native6sbtopk10gatherTopKIN3c104HalfEmLi1ELb0EEEvNS_4cuda6detail10TensorInfoIKT_T0_EESA_SA_bSA_SA_NS7_IS8_SA_EESA_NS7_IlSA_EESA_PS8_,"axG",@progbits,_ZN2at6native6sbtopk10gatherTopKIN3c104HalfEmLi1ELb0EEEvNS_4cuda6detail10TensorInfoIKT_T0_EESA_SA_bSA_SA_NS7_IS8_SA_EESA_NS7_IlSA_EESA_PS8_,comdat
	.protected	_ZN2at6native6sbtopk10gatherTopKIN3c104HalfEmLi1ELb0EEEvNS_4cuda6detail10TensorInfoIKT_T0_EESA_SA_bSA_SA_NS7_IS8_SA_EESA_NS7_IlSA_EESA_PS8_ ; -- Begin function _ZN2at6native6sbtopk10gatherTopKIN3c104HalfEmLi1ELb0EEEvNS_4cuda6detail10TensorInfoIKT_T0_EESA_SA_bSA_SA_NS7_IS8_SA_EESA_NS7_IlSA_EESA_PS8_
	.globl	_ZN2at6native6sbtopk10gatherTopKIN3c104HalfEmLi1ELb0EEEvNS_4cuda6detail10TensorInfoIKT_T0_EESA_SA_bSA_SA_NS7_IS8_SA_EESA_NS7_IlSA_EESA_PS8_
	.p2align	8
	.type	_ZN2at6native6sbtopk10gatherTopKIN3c104HalfEmLi1ELb0EEEvNS_4cuda6detail10TensorInfoIKT_T0_EESA_SA_bSA_SA_NS7_IS8_SA_EESA_NS7_IlSA_EESA_PS8_,@function
_ZN2at6native6sbtopk10gatherTopKIN3c104HalfEmLi1ELb0EEEvNS_4cuda6detail10TensorInfoIKT_T0_EESA_SA_bSA_SA_NS7_IS8_SA_EESA_NS7_IlSA_EESA_PS8_: ; @_ZN2at6native6sbtopk10gatherTopKIN3c104HalfEmLi1ELb0EEEvNS_4cuda6detail10TensorInfoIKT_T0_EESA_SA_bSA_SA_NS7_IS8_SA_EESA_NS7_IlSA_EESA_PS8_
; %bb.0:
	s_clause 0x1
	s_load_b128 s[28:31], s[0:1], 0x1b8
	s_load_b64 s[8:9], s[0:1], 0x520
	s_bfe_u32 s2, ttmp6, 0x40010
	s_and_b32 s3, ttmp7, 0xffff
	s_add_co_i32 s2, s2, 1
	s_bfe_u32 s5, ttmp6, 0x4000c
	s_mul_i32 s2, s3, s2
	s_bfe_u32 s4, ttmp6, 0x40004
	s_add_co_i32 s5, s5, 1
	s_bfe_u32 s6, ttmp6, 0x40014
	s_add_co_i32 s4, s4, s2
	s_and_b32 s2, ttmp6, 15
	s_mul_i32 s5, ttmp9, s5
	s_lshr_b32 s7, ttmp7, 16
	s_add_co_i32 s6, s6, 1
	s_add_co_i32 s2, s2, s5
	s_mul_i32 s5, s7, s6
	s_bfe_u32 s6, ttmp6, 0x40008
	s_getreg_b32 s10, hwreg(HW_REG_IB_STS2, 6, 4)
	s_add_co_i32 s6, s6, s5
	s_cmp_eq_u32 s10, 0
	s_mov_b32 s15, 0
	s_cselect_b32 s5, s7, s6
	s_cselect_b32 s3, s3, s4
	s_wait_kmcnt 0x0
	s_mul_i32 s5, s9, s5
	s_cselect_b32 s9, ttmp9, s2
	s_add_co_i32 s2, s5, s3
	s_delay_alu instid0(SALU_CYCLE_1) | instskip(NEXT) | instid1(SALU_CYCLE_1)
	s_mul_i32 s2, s2, s8
	s_add_co_i32 s14, s2, s9
	s_delay_alu instid0(SALU_CYCLE_1)
	v_cmp_le_u64_e64 s2, s[28:29], s[14:15]
	s_and_b32 vcc_lo, exec_lo, s2
	s_cbranch_vccnz .LBB204_488
; %bb.1:
	s_clause 0x2
	s_load_b128 s[36:39], s[0:1], 0x1a0
	s_load_b64 s[6:7], s[0:1], 0xd0
	s_load_b64 s[2:3], s[0:1], 0x0
	v_cmp_eq_u32_e64 s5, 0, v0
	s_add_nc_u64 s[10:11], s[0:1], 0x520
	s_and_saveexec_b32 s4, s5
	s_cbranch_execz .LBB204_3
; %bb.2:
	s_wait_kmcnt 0x0
	v_dual_mov_b32 v2, 0 :: v_dual_mov_b32 v4, s36
	s_delay_alu instid0(VALU_DEP_1)
	v_dual_mov_b32 v5, s37 :: v_dual_mov_b32 v3, v2
	ds_store_b32 v2, v2 offset:5144
	ds_store_b128 v2, v[2:5] offset:5120
.LBB204_3:
	s_or_b32 exec_lo, exec_lo, s4
	s_load_b64 s[12:13], s[0:1], 0x440
                                        ; implicit-def: $vgpr56 : SGPR spill to VGPR lane
	v_dual_mov_b32 v3, 0 :: v_dual_add_nc_u32 v2, 2, v0
	v_dual_mov_b32 v9, -1 :: v_dual_lshlrev_b32 v38, 1, v0
	v_not_b32_e32 v8, v0
	s_delay_alu instid0(VALU_DEP_3)
	v_dual_mov_b32 v17, v3 :: v_dual_lshlrev_b32 v40, 3, v0
	s_wait_kmcnt 0x0
	v_max_u64 v[6:7], s[36:37], v[2:3]
	v_dual_mov_b32 v1, v3 :: v_dual_lshlrev_b32 v16, 2, v0
	s_wait_dscnt 0x0
	s_barrier_signal -1
	s_barrier_wait -1
	s_delay_alu instid0(VALU_DEP_1)
	v_mul_u64_e32 v[4:5], s[30:31], v[0:1]
	v_mbcnt_lo_u32_b32 v13, -1, 0
	v_cmp_gt_u32_e32 vcc_lo, 32, v0
	s_mov_b32 s29, 0
	v_cmp_lt_u64_e64 s33, 0x600, s[36:37]
	v_writelane_b32 v56, s12, 0
	v_lshlrev_b64_e64 v[10:11], v13, -1
	v_mov_b64_e32 v[30:31], s[38:39]
	s_mov_b32 s35, s29
	v_dual_mov_b32 v46, 0 :: v_dual_add_nc_u32 v39, 0xc00, v38
	v_writelane_b32 v56, s13, 1
	v_lshl_or_b32 v43, v13, 3, 0xc00
	v_not_b32_e32 v12, v10
	v_mov_b32_e32 v44, 0x8000
	s_mov_b32 s58, s30
	v_writelane_b32 v56, s14, 2
	s_mul_u64 s[12:13], s[6:7], s[14:15]
	s_load_b64 s[6:7], s[0:1], 0x370
	s_lshl_b64 s[12:13], s[12:13], 1
	s_mov_b32 s59, s31
	v_writelane_b32 v56, s15, 3
	s_load_b32 s14, s[10:11], 0xc
	s_add_nc_u64 s[42:43], s[2:3], s[12:13]
	v_cmp_gt_u64_e64 s3, s[36:37], v[0:1]
	v_add_nc_u64_e32 v[6:7], v[6:7], v[8:9]
	v_or_b32_e32 v2, 6, v40
	v_cmp_eq_u32_e64 s2, 0, v13
	s_mov_b32 s60, s30
	v_dual_mov_b32 v45, 0 :: v_dual_mov_b32 v42, 0
	s_mov_b32 s61, s31
	v_mov_b32_e32 v19, v7
	v_mul_u64_e32 v[20:21], s[30:31], v[2:3]
	v_or_b32_e32 v2, 4, v40
	v_and_b32_e32 v18, -4, v6
	v_lshlrev_b64_e32 v[28:29], 3, v[4:5]
	v_lshl_add_u64 v[14:15], v[4:5], 1, s[42:43]
	s_wait_kmcnt 0x0
	v_writelane_b32 v56, s6, 4
	v_mul_u64_e32 v[24:25], s[30:31], v[2:3]
	v_or_b32_e32 v2, 2, v40
	v_add_nc_u64_e32 v[22:23], v[18:19], v[0:1]
	v_cmp_ne_u64_e64 s67, v[6:7], v[18:19]
	v_writelane_b32 v56, s7, 5
	s_load_b64 s[6:7], s[0:1], 0x298
	v_mul_u64_e32 v[26:27], s[30:31], v[2:3]
	s_mov_b32 s62, s30
	s_mov_b32 s63, s31
	;; [unrolled: 1-line block ×4, first 2 shown]
	s_movk_i32 s95, 0x3c00
	s_mov_b32 s97, 0
	s_mov_b32 s99, 0
                                        ; implicit-def: $sgpr98
                                        ; implicit-def: $sgpr102
                                        ; implicit-def: $sgpr101
                                        ; implicit-def: $sgpr103
                                        ; implicit-def: $sgpr100
                                        ; implicit-def: $sgpr47
                                        ; implicit-def: $sgpr48
                                        ; implicit-def: $sgpr104
                                        ; implicit-def: $sgpr46
                                        ; implicit-def: $vcc_hi
	s_load_b32 s4, s[0:1], 0x1b0
	s_wait_kmcnt 0x0
	v_writelane_b32 v56, s6, 6
	v_writelane_b32 v56, s7, 7
	s_load_b64 s[6:7], s[0:1], 0x1c8
	s_bitcmp1_b32 s4, 0
	s_cselect_b32 s4, -1, 0
	s_and_b32 s34, s14, 0xffff
	s_bfe_u32 s12, s14, 0xb0005
	s_xor_b32 s87, s4, -1
	s_add_nc_u64 s[54:55], s[34:35], -1
	s_delay_alu instid0(SALU_CYCLE_1)
	s_add_nc_u64 s[56:57], s[54:55], s[36:37]
	s_wait_kmcnt 0x0
	v_writelane_b32 v56, s6, 8
	v_writelane_b32 v56, s7, 9
	v_cmp_gt_i32_e64 s7, 4, v13
	v_cmp_gt_u32_e64 s6, 2, v0
	s_and_b32 s86, vcc_lo, s7
	s_cmp_gt_u32 s34, 31
	s_movk_i32 s7, 0x3e0
	s_cselect_b32 s88, -1, 0
	s_cmp_lt_u32 s9, s8
	v_and_or_b32 v41, v0, s7, 0xc00
	s_cselect_b32 s28, 12, 18
	s_add_co_i32 s8, s12, -1
	s_bfe_u32 s89, s34, 0x30005
	s_and_b32 s8, s8, 0xffff
	v_cmp_lt_u64_e64 s7, 3, v[6:7]
	s_cmp_gt_u32 s8, 6
	s_add_nc_u64 s[70:71], s[10:11], s[28:29]
	s_cselect_b32 s90, -1, 0
	s_and_b32 s91, s12, 0x7f8
	s_cmp_lg_u32 s89, 0
	s_mul_u64 s[12:13], s[30:31], s[34:35]
	s_cselect_b32 s92, -1, 0
	s_lshl_b64 s[8:9], s[30:31], 3
	s_lshl_b64 s[64:65], s[30:31], 1
	v_writelane_b32 v56, s8, 10
	s_lshl_b32 s93, s34, 1
	s_lshl_b64 s[40:41], s[12:13], 1
	s_and_b64 s[68:69], s[36:37], 0xffffffff00000000
	v_writelane_b32 v56, s9, 11
	s_branch .LBB204_6
.LBB204_4:                              ;   in Loop: Header=BB204_6 Depth=1
	s_or_b32 exec_lo, exec_lo, s12
	v_mov_b64_e32 v[30:31], v[4:5]
	s_and_not1_b32 s8, vcc_hi, exec_lo
	s_and_b32 s11, s11, exec_lo
	s_and_not1_b32 s46, s46, exec_lo
	s_or_b32 vcc_hi, s8, s11
	s_and_not1_b32 s104, s104, exec_lo
	s_and_not1_b32 s48, s48, exec_lo
	;; [unrolled: 1-line block ×3, first 2 shown]
	s_or_not1_b32 s10, s10, exec_lo
.LBB204_5:                              ;   in Loop: Header=BB204_6 Depth=1
	s_or_b32 exec_lo, exec_lo, s9
	s_delay_alu instid0(SALU_CYCLE_1) | instskip(NEXT) | instid1(SALU_CYCLE_1)
	s_and_b32 s9, exec_lo, s10
	s_or_b32 s97, s9, s97
	s_and_not1_b32 s9, s100, exec_lo
	s_and_b32 s10, vcc_hi, exec_lo
	s_and_not1_b32 s11, s103, exec_lo
	s_or_b32 s100, s9, s10
	s_and_b32 s9, s46, exec_lo
	s_and_not1_b32 s10, s101, exec_lo
	s_and_b32 s12, s104, exec_lo
	s_or_b32 s103, s11, s9
	s_or_b32 s101, s10, s12
	s_and_not1_b32 s9, s102, exec_lo
	s_and_b32 s10, s48, exec_lo
	s_and_not1_b32 s11, s98, exec_lo
	s_and_b32 s12, s47, exec_lo
	s_or_b32 s102, s9, s10
	s_or_b32 s98, s11, s12
	s_and_not1_b32 exec_lo, exec_lo, s97
	s_cbranch_execz .LBB204_484
.LBB204_6:                              ; =>This Loop Header: Depth=1
                                        ;     Child Loop BB204_11 Depth 2
                                        ;     Child Loop BB204_25 Depth 2
	;; [unrolled: 1-line block ×25, first 2 shown]
	ds_load_b128 v[4:7], v3 offset:5120
	s_wait_dscnt 0x0
	v_readfirstlane_b32 s73, v5
	v_readfirstlane_b32 s72, v4
	s_cmp_lg_u64 s[72:73], 0
	s_cbranch_scc1 .LBB204_38
; %bb.7:                                ;   in Loop: Header=BB204_6 Depth=1
	s_and_b32 vcc_lo, exec_lo, s33
	s_cbranch_vccz .LBB204_19
; %bb.8:                                ;   in Loop: Header=BB204_6 Depth=1
	v_cmp_gt_u64_e32 vcc_lo, 0x601, v[6:7]
	s_mov_b32 s11, 0
	s_mov_b32 s9, 0
	s_cbranch_vccz .LBB204_20
; %bb.9:                                ;   in Loop: Header=BB204_6 Depth=1
	global_load_u16 v2, v3, s[70:71]
	global_load_u16 v10, v[14:15], off
	s_mov_b32 s12, 0
	s_wait_loadcnt 0x1
	v_and_b32_e32 v2, 0xffff, v2
	s_delay_alu instid0(VALU_DEP_1) | instskip(SKIP_1) | instid1(VALU_DEP_1)
	v_mul_u64_e32 v[4:5], s[64:65], v[2:3]
	v_add_nc_u32_e32 v8, v0, v2
	v_mad_nc_u64_u32 v[6:7], s64, v8, s[42:43]
	s_delay_alu instid0(VALU_DEP_1)
	v_mad_u32 v7, s65, v8, v7
	v_mov_b64_e32 v[8:9], v[0:1]
	s_branch .LBB204_11
.LBB204_10:                             ;   in Loop: Header=BB204_11 Depth=2
	s_or_b32 exec_lo, exec_lo, s10
	v_add_nc_u64_e32 v[6:7], v[6:7], v[4:5]
	v_mov_b32_e32 v10, v11
	s_and_not1_b32 exec_lo, exec_lo, s12
	s_cbranch_execz .LBB204_93
.LBB204_11:                             ;   Parent Loop BB204_6 Depth=1
                                        ; =>  This Inner Loop Header: Depth=2
	s_delay_alu instid0(VALU_DEP_1) | instskip(SKIP_3) | instid1(VALU_DEP_2)
	v_add_nc_u64_e32 v[8:9], v[8:9], v[2:3]
	s_wait_dscnt 0x0
	v_dual_mov_b32 v32, 0 :: v_dual_mov_b32 v11, 0
	s_mov_b32 s10, exec_lo
	v_cmp_le_u64_e32 vcc_lo, s[36:37], v[8:9]
	s_wait_xcnt 0x0
	v_cmpx_gt_u64_e64 s[36:37], v[8:9]
	s_cbranch_execz .LBB204_13
; %bb.12:                               ;   in Loop: Header=BB204_11 Depth=2
	global_load_u16 v11, v[6:7], off
.LBB204_13:                             ;   in Loop: Header=BB204_11 Depth=2
	s_wait_xcnt 0x0
	s_or_b32 exec_lo, exec_lo, s10
	s_wait_loadcnt 0x0
	v_cmp_lt_i16_e64 s9, -1, v10
	v_and_b32_e32 v33, 0xffff, v10
	s_delay_alu instid0(VALU_DEP_2) | instskip(SKIP_1) | instid1(VALU_DEP_2)
	v_cndmask_b32_e64 v34, 0xffff, v44, s9
	v_cmp_o_f16_e64 s9, v10, v10
	v_xor_b32_e32 v33, v34, v33
	s_delay_alu instid0(VALU_DEP_1) | instskip(NEXT) | instid1(VALU_DEP_1)
	v_cndmask_b32_e64 v33, 0xffff, v33, s9
	v_and_b32_e32 v33, v33, v45
	s_delay_alu instid0(VALU_DEP_1) | instskip(SKIP_2) | instid1(SALU_CYCLE_1)
	v_cmp_eq_u32_e64 s9, v33, v42
	s_cmp_lg_u32 s9, 0
	s_cselect_b32 s10, -1, 0
	s_and_b32 s10, s2, s10
	s_delay_alu instid0(SALU_CYCLE_1)
	s_and_saveexec_b32 s13, s10
	s_cbranch_execz .LBB204_17
; %bb.14:                               ;   in Loop: Header=BB204_11 Depth=2
	s_mov_b32 s16, exec_lo
	s_bcnt1_i32_b32 s14, s9
	v_mbcnt_lo_u32_b32 v32, s16, 0
	s_mov_b32 s15, exec_lo
                                        ; implicit-def: $vgpr33
	s_delay_alu instid0(VALU_DEP_1)
	v_cmpx_eq_u32_e32 0, v32
; %bb.15:                               ;   in Loop: Header=BB204_11 Depth=2
	s_bcnt1_i32_b32 s10, s16
	s_delay_alu instid0(SALU_CYCLE_1) | instskip(NEXT) | instid1(SALU_CYCLE_1)
	s_mul_i32 s10, s14, s10
	v_mov_b32_e32 v33, s10
	ds_add_rtn_u32 v33, v3, v33 offset:5144
; %bb.16:                               ;   in Loop: Header=BB204_11 Depth=2
	s_or_b32 exec_lo, exec_lo, s15
	s_wait_dscnt 0x0
	v_readfirstlane_b32 s10, v33
	s_delay_alu instid0(VALU_DEP_1)
	v_mad_u32_u24 v32, s14, v32, s10
.LBB204_17:                             ;   in Loop: Header=BB204_11 Depth=2
	s_or_b32 exec_lo, exec_lo, s13
	ds_bpermute_b32 v32, v3, v32
	s_and_b32 s10, exec_lo, vcc_lo
	s_delay_alu instid0(SALU_CYCLE_1)
	s_or_b32 s12, s10, s12
	s_and_saveexec_b32 s10, s9
	s_cbranch_execz .LBB204_10
; %bb.18:                               ;   in Loop: Header=BB204_11 Depth=2
	v_and_b32_e32 v33, s9, v12
	s_delay_alu instid0(VALU_DEP_1) | instskip(NEXT) | instid1(VALU_DEP_1)
	v_bcnt_u32_b32 v33, v33, 0
	v_lshlrev_b32_e32 v33, 1, v33
	s_wait_dscnt 0x0
	s_delay_alu instid0(VALU_DEP_1)
	v_lshl_add_u32 v32, v32, 1, v33
	ds_store_b16 v32, v10
	s_branch .LBB204_10
.LBB204_19:                             ;   in Loop: Header=BB204_6 Depth=1
	s_mov_b32 s11, -1
	s_mov_b32 s9, 0
.LBB204_20:                             ;   in Loop: Header=BB204_6 Depth=1
	s_and_b32 vcc_lo, exec_lo, s11
	s_cbranch_vccz .LBB204_36
.LBB204_21:                             ;   in Loop: Header=BB204_6 Depth=1
	s_and_saveexec_b32 s9, s3
	s_cbranch_execz .LBB204_33
; %bb.22:                               ;   in Loop: Header=BB204_6 Depth=1
	global_load_u16 v4, v3, s[70:71]
	global_load_u16 v34, v[14:15], off
	s_mov_b32 s14, exec_lo
	v_mov_b32_e32 v8, v0
	s_wait_loadcnt 0x1
	v_and_b32_e32 v2, 0xffff, v4
	v_readfirstlane_b32 s10, v4
	s_delay_alu instid0(VALU_DEP_2) | instskip(SKIP_1) | instid1(VALU_DEP_1)
	v_add_nc_u32_e32 v2, v2, v0
	s_wait_xcnt 0x0
	v_cmpx_gt_u64_e64 s[36:37], v[2:3]
	s_cbranch_execz .LBB204_32
; %bb.23:                               ;   in Loop: Header=BB204_6 Depth=1
	s_and_b32 s28, s10, 0xffff
	v_mov_b64_e32 v[6:7], v[0:1]
	v_mov_b64_e32 v[4:5], v[2:3]
	s_cmp_eq_u32 s28, 1
	s_mov_b32 s11, -1
	s_cselect_b32 s10, -1, 0
                                        ; implicit-def: $vgpr8_vgpr9
	s_delay_alu instid0(SALU_CYCLE_1) | instskip(NEXT) | instid1(SALU_CYCLE_1)
	s_and_b32 s12, s7, s10
	s_and_saveexec_b32 s10, s12
	s_cbranch_execz .LBB204_27
; %bb.24:                               ;   in Loop: Header=BB204_6 Depth=1
	v_add_nc_u64_e32 v[8:9], 3, v[2:3]
	v_add_nc_u64_e32 v[6:7], 2, v[2:3]
	;; [unrolled: 1-line block ×3, first 2 shown]
	v_mov_b64_e32 v[32:33], v[18:19]
	s_wait_loadcnt 0x0
	v_dual_mov_b32 v35, v38 :: v_dual_lshlrev_b32 v36, 16, v34
	s_mov_b32 s11, 0
	v_mov_b64_e32 v[10:11], v[8:9]
	v_mov_b64_e32 v[8:9], v[6:7]
	;; [unrolled: 1-line block ×4, first 2 shown]
.LBB204_25:                             ;   Parent Loop BB204_6 Depth=1
                                        ; =>  This Inner Loop Header: Depth=2
	s_delay_alu instid0(VALU_DEP_2) | instskip(NEXT) | instid1(VALU_DEP_4)
	v_mul_u64_e32 v[48:49], s[30:31], v[6:7]
	v_mul_u64_e32 v[50:51], s[60:61], v[8:9]
	s_delay_alu instid0(VALU_DEP_3)
	v_mul_u64_e32 v[52:53], s[58:59], v[4:5]
	v_mul_u64_e32 v[54:55], s[62:63], v[10:11]
	v_add_nc_u64_e32 v[32:33], -4, v[32:33]
	v_add_nc_u64_e32 v[10:11], 4, v[10:11]
	v_add_nc_u64_e32 v[8:9], 4, v[8:9]
	;; [unrolled: 1-line block ×4, first 2 shown]
	v_cmp_eq_u64_e32 vcc_lo, 0, v[32:33]
	s_or_b32 s11, vcc_lo, s11
	v_lshl_add_u64 v[48:49], v[48:49], 1, s[42:43]
	v_lshl_add_u64 v[50:51], v[50:51], 1, s[42:43]
	;; [unrolled: 1-line block ×4, first 2 shown]
	s_clause 0x3
	global_load_u16 v37, v[48:49], off
	global_load_u16 v47, v[50:51], off
	global_load_u16 v48, v[52:53], off
	global_load_u16 v34, v[54:55], off
	s_wait_loadcnt 0x2
	v_perm_b32 v37, v47, v37, 0x5040100
	s_wait_loadcnt 0x1
	v_alignbit_b32 v36, v48, v36, 16
	s_wait_loadcnt 0x0
	v_perm_b32 v47, v34, v47, 0x5040100
	ds_store_b64 v35, v[36:37]
	v_dual_mov_b32 v36, v47 :: v_dual_add_nc_u32 v35, 8, v35
	s_wait_xcnt 0x0
	s_and_not1_b32 exec_lo, exec_lo, s11
	s_cbranch_execnz .LBB204_25
; %bb.26:                               ;   in Loop: Header=BB204_6 Depth=1
	s_or_b32 exec_lo, exec_lo, s11
	v_add_nc_u64_e32 v[4:5], v[2:3], v[18:19]
	v_mov_b64_e32 v[6:7], v[22:23]
	s_or_not1_b32 s11, s67, exec_lo
	s_delay_alu instid0(VALU_DEP_2)
	v_add_nc_u64_e32 v[8:9], -1, v[4:5]
.LBB204_27:                             ;   in Loop: Header=BB204_6 Depth=1
	s_or_b32 exec_lo, exec_lo, s10
	s_and_saveexec_b32 s15, s11
	s_cbranch_execz .LBB204_31
; %bb.28:                               ;   in Loop: Header=BB204_6 Depth=1
	v_mad_nc_u64_u32 v[8:9], s64, v4, s[42:43]
	s_sub_nc_u64 s[10:11], 0, s[28:29]
	s_mul_u64 s[12:13], s[64:65], s[28:29]
	s_mov_b32 s16, 0
	s_delay_alu instid0(VALU_DEP_1) | instskip(NEXT) | instid1(VALU_DEP_1)
	v_mad_u32 v2, s65, v4, v9
	v_mad_u32 v9, s64, v5, v2
.LBB204_29:                             ;   Parent Loop BB204_6 Depth=1
                                        ; =>  This Inner Loop Header: Depth=2
	s_wait_loadcnt 0x0
	s_delay_alu instid0(VALU_DEP_2)
	v_dual_mov_b32 v2, v34 :: v_dual_lshlrev_b32 v32, 1, v6
	global_load_u16 v34, v[8:9], off
	v_mov_b64_e32 v[10:11], v[4:5]
	s_wait_xcnt 0x0
	v_add_nc_u64_e32 v[8:9], s[12:13], v[8:9]
	ds_store_b16 v32, v2
	v_add_nc_u64_e32 v[4:5], s[28:29], v[10:11]
	v_mov_b64_e32 v[6:7], v[10:11]
	s_delay_alu instid0(VALU_DEP_2) | instskip(SKIP_1) | instid1(SALU_CYCLE_1)
	v_cmp_le_u64_e32 vcc_lo, s[36:37], v[4:5]
	s_or_b32 s16, vcc_lo, s16
	s_and_not1_b32 exec_lo, exec_lo, s16
	s_cbranch_execnz .LBB204_29
; %bb.30:                               ;   in Loop: Header=BB204_6 Depth=1
	s_or_b32 exec_lo, exec_lo, s16
	v_add_nc_u64_e32 v[8:9], s[10:11], v[4:5]
.LBB204_31:                             ;   in Loop: Header=BB204_6 Depth=1
	s_or_b32 exec_lo, exec_lo, s15
.LBB204_32:                             ;   in Loop: Header=BB204_6 Depth=1
	s_delay_alu instid0(SALU_CYCLE_1) | instskip(NEXT) | instid1(VALU_DEP_1)
	s_or_b32 exec_lo, exec_lo, s14
	v_lshlrev_b32_e32 v2, 1, v8
	s_wait_loadcnt 0x0
	ds_store_b16 v2, v34
.LBB204_33:                             ;   in Loop: Header=BB204_6 Depth=1
	s_or_b32 exec_lo, exec_lo, s9
	s_wait_dscnt 0x0
	s_barrier_signal -1
	s_barrier_wait -1
	s_and_saveexec_b32 s9, s5
; %bb.34:                               ;   in Loop: Header=BB204_6 Depth=1
	v_mov_b64_e32 v[4:5], s[36:37]
	ds_store_b64 v3, v[4:5] offset:5120
; %bb.35:                               ;   in Loop: Header=BB204_6 Depth=1
	s_or_b32 exec_lo, exec_lo, s9
	s_mov_b32 s9, -1
	s_wait_dscnt 0x0
	s_barrier_signal -1
	s_barrier_wait -1
.LBB204_36:                             ;   in Loop: Header=BB204_6 Depth=1
	s_and_b32 vcc_lo, exec_lo, s9
	s_mov_b64 s[72:73], 0
	s_cbranch_vccz .LBB204_38
; %bb.37:                               ;   in Loop: Header=BB204_6 Depth=1
	ds_load_b64 v[4:5], v3 offset:5120
	s_wait_dscnt 0x0
	v_readfirstlane_b32 s72, v4
	v_readfirstlane_b32 s73, v5
.LBB204_38:                             ;   in Loop: Header=BB204_6 Depth=1
	s_delay_alu instid0(VALU_DEP_2)
	s_cmp_lt_i32 s72, 1
	s_mov_b32 s9, -1
                                        ; implicit-def: $vgpr4_vgpr5
                                        ; implicit-def: $vgpr8_vgpr9
	s_cbranch_scc1 .LBB204_48
; %bb.39:                               ;   in Loop: Header=BB204_6 Depth=1
	s_and_b32 vcc_lo, exec_lo, s9
	s_cbranch_vccnz .LBB204_62
.LBB204_40:                             ;   in Loop: Header=BB204_6 Depth=1
	s_lshl_b32 s9, s99, 7
	s_and_saveexec_b32 s10, s2
	s_cbranch_execz .LBB204_42
.LBB204_41:                             ;   in Loop: Header=BB204_6 Depth=1
	v_lshl_add_u32 v2, s9, 3, v41
	ds_store_b128 v2, v[4:7]
	ds_store_b128 v2, v[8:11] offset:16
.LBB204_42:                             ;   in Loop: Header=BB204_6 Depth=1
	s_or_b32 exec_lo, exec_lo, s10
	s_wait_dscnt 0x0
	s_barrier_signal -1
	s_barrier_wait -1
	s_and_saveexec_b32 s10, s86
	s_cbranch_execz .LBB204_76
; %bb.43:                               ;   in Loop: Header=BB204_6 Depth=1
	v_mov_b64_e32 v[4:5], 0
	s_and_not1_b32 vcc_lo, exec_lo, s88
	s_cbranch_vccnz .LBB204_75
; %bb.44:                               ;   in Loop: Header=BB204_6 Depth=1
	v_mov_b64_e32 v[4:5], 0
	s_and_not1_b32 vcc_lo, exec_lo, s90
	s_cbranch_vccnz .LBB204_72
; %bb.45:                               ;   in Loop: Header=BB204_6 Depth=1
	v_lshl_add_u32 v2, s99, 10, v43
	s_mov_b32 s11, 0
.LBB204_46:                             ;   Parent Loop BB204_6 Depth=1
                                        ; =>  This Inner Loop Header: Depth=2
	ds_load_2addr_b64 v[6:9], v2 offset1:4
	ds_load_2addr_b64 v[32:35], v2 offset0:8 offset1:12
	s_add_co_i32 s11, s11, 8
	s_delay_alu instid0(SALU_CYCLE_1) | instskip(SKIP_2) | instid1(VALU_DEP_1)
	s_cmp_eq_u32 s91, s11
	s_wait_dscnt 0x1
	v_add_nc_u64_e32 v[4:5], v[6:7], v[4:5]
	v_add_nc_u64_e32 v[8:9], v[8:9], v[4:5]
	ds_load_2addr_b64 v[4:7], v2 offset0:16 offset1:20
	s_wait_dscnt 0x1
	v_add_nc_u64_e32 v[8:9], v[32:33], v[8:9]
	s_delay_alu instid0(VALU_DEP_1) | instskip(SKIP_4) | instid1(VALU_DEP_1)
	v_add_nc_u64_e32 v[32:33], v[34:35], v[8:9]
	ds_load_2addr_b64 v[8:11], v2 offset0:24 offset1:28
	v_add_nc_u32_e32 v2, 0x100, v2
	s_wait_dscnt 0x1
	v_add_nc_u64_e32 v[4:5], v[4:5], v[32:33]
	v_add_nc_u64_e32 v[4:5], v[6:7], v[4:5]
	s_wait_dscnt 0x0
	s_delay_alu instid0(VALU_DEP_1) | instskip(NEXT) | instid1(VALU_DEP_1)
	v_add_nc_u64_e32 v[4:5], v[8:9], v[4:5]
	v_add_nc_u64_e32 v[4:5], v[10:11], v[4:5]
	s_cbranch_scc0 .LBB204_46
; %bb.47:                               ;   in Loop: Header=BB204_6 Depth=1
	s_mov_b32 s11, s91
	s_and_not1_b32 vcc_lo, exec_lo, s92
	s_cbranch_vccz .LBB204_73
	s_branch .LBB204_75
.LBB204_48:                             ;   in Loop: Header=BB204_6 Depth=1
	global_load_u16 v2, v3, s[70:71]
	s_mov_b32 s75, s29
	s_wait_loadcnt 0x0
	v_readfirstlane_b32 s9, v2
	s_and_b32 s9, 0xffff, s9
	s_delay_alu instid0(SALU_CYCLE_1)
	s_lshl_b32 s74, s9, 2
	s_cmp_lg_u64 s[68:69], 0
	s_cbranch_scc0 .LBB204_71
; %bb.49:                               ;   in Loop: Header=BB204_6 Depth=1
	s_cvt_f32_u32 s9, s74
	s_sub_nc_u64 s[12:13], 0, s[74:75]
	s_delay_alu instid0(SALU_CYCLE_2) | instskip(NEXT) | instid1(SALU_CYCLE_3)
	s_fmamk_f32 s9, s94, 0x0, s9
	v_s_rcp_f32 s9, s9
	s_delay_alu instid0(TRANS32_DEP_1) | instskip(NEXT) | instid1(SALU_CYCLE_3)
	s_mul_f32 s9, s9, 0x5f7ffffc
	s_mul_f32 s10, s9, 0x2f800000
	s_delay_alu instid0(SALU_CYCLE_3) | instskip(NEXT) | instid1(SALU_CYCLE_3)
	s_trunc_f32 s10, s10
	s_fmamk_f32 s9, s10, 0xcf800000, s9
	s_cvt_u32_f32 s11, s10
	s_delay_alu instid0(SALU_CYCLE_2) | instskip(NEXT) | instid1(SALU_CYCLE_3)
	s_cvt_u32_f32 s10, s9
	s_mul_u64 s[14:15], s[12:13], s[10:11]
	s_delay_alu instid0(SALU_CYCLE_1)
	s_mul_hi_u32 s17, s10, s15
	s_mul_i32 s16, s10, s15
	s_mul_hi_u32 s28, s10, s14
	s_mul_i32 s18, s11, s14
	s_add_nc_u64 s[16:17], s[28:29], s[16:17]
	s_mul_hi_u32 s9, s11, s14
	s_mul_hi_u32 s19, s11, s15
	s_mul_i32 s14, s11, s15
	s_add_co_u32 s15, s16, s18
	s_add_co_ci_u32 s28, s17, s9
	s_add_co_ci_u32 s15, s19, 0
	s_delay_alu instid0(SALU_CYCLE_1) | instskip(NEXT) | instid1(SALU_CYCLE_1)
	s_add_nc_u64 s[14:15], s[28:29], s[14:15]
	s_add_co_u32 s10, s10, s14
	s_cselect_b32 s9, -1, 0
	s_delay_alu instid0(SALU_CYCLE_1) | instskip(SKIP_1) | instid1(SALU_CYCLE_1)
	s_cmp_lg_u32 s9, 0
	s_add_co_ci_u32 s11, s11, s15
	s_mul_u64 s[12:13], s[12:13], s[10:11]
	s_delay_alu instid0(SALU_CYCLE_1)
	s_mul_hi_u32 s15, s10, s13
	s_mul_i32 s14, s10, s13
	s_mul_hi_u32 s28, s10, s12
	s_mul_i32 s16, s11, s12
	s_add_nc_u64 s[14:15], s[28:29], s[14:15]
	s_mul_hi_u32 s9, s11, s12
	s_mul_hi_u32 s17, s11, s13
	s_mul_i32 s12, s11, s13
	s_add_co_u32 s13, s14, s16
	s_add_co_ci_u32 s28, s15, s9
	s_add_co_ci_u32 s13, s17, 0
	s_delay_alu instid0(SALU_CYCLE_1) | instskip(NEXT) | instid1(SALU_CYCLE_1)
	s_add_nc_u64 s[12:13], s[28:29], s[12:13]
	s_add_co_u32 s9, s10, s12
	s_cselect_b32 s10, -1, 0
	s_mul_hi_u32 s28, s36, s9
	s_cmp_lg_u32 s10, 0
	s_mul_hi_u32 s14, s37, s9
	s_add_co_ci_u32 s12, s11, s13
	s_mul_i32 s9, s37, s9
	s_mul_hi_u32 s11, s36, s12
	s_mul_i32 s10, s36, s12
	s_mul_hi_u32 s13, s37, s12
	s_add_nc_u64 s[10:11], s[28:29], s[10:11]
	s_mul_i32 s12, s37, s12
	s_add_co_u32 s9, s10, s9
	s_add_co_ci_u32 s28, s11, s14
	s_add_co_ci_u32 s13, s13, 0
	s_delay_alu instid0(SALU_CYCLE_1) | instskip(NEXT) | instid1(SALU_CYCLE_1)
	s_add_nc_u64 s[10:11], s[28:29], s[12:13]
	s_and_b64 s[12:13], s[10:11], 0xffffffff00000000
	s_delay_alu instid0(SALU_CYCLE_1) | instskip(NEXT) | instid1(SALU_CYCLE_1)
	s_or_b32 s12, s12, s10
	s_mul_u64 s[10:11], s[74:75], s[12:13]
	s_delay_alu instid0(SALU_CYCLE_1) | instskip(SKIP_1) | instid1(SALU_CYCLE_1)
	s_sub_co_u32 s9, s36, s10
	s_cselect_b32 s10, -1, 0
	s_cmp_lg_u32 s10, 0
	s_sub_co_ci_u32 s10, s37, s11
	s_sub_co_u32 s11, s9, s74
	s_cselect_b32 s12, -1, 0
	s_delay_alu instid0(SALU_CYCLE_1) | instskip(SKIP_3) | instid1(SALU_CYCLE_1)
	s_cmp_lg_u32 s12, 0
	s_sub_co_ci_u32 s12, s10, 0
	s_sub_co_u32 s13, s11, s74
	s_cselect_b32 s14, -1, 0
	s_cmp_lg_u32 s14, 0
	s_sub_co_ci_u32 s14, s12, 0
	s_cmp_ge_u32 s11, s74
	s_cselect_b32 s15, -1, 0
	s_cmp_eq_u32 s12, 0
	s_cselect_b32 s15, s15, -1
	s_delay_alu instid0(SALU_CYCLE_1)
	s_cmp_lg_u32 s15, 0
	s_cselect_b32 s12, s14, s12
	s_cselect_b32 s13, s13, s11
	s_cmp_ge_u32 s9, s74
	s_cselect_b32 s11, -1, 0
	s_cmp_eq_u32 s10, 0
	s_cselect_b32 s11, s11, -1
	s_delay_alu instid0(SALU_CYCLE_1)
	s_cmp_lg_u32 s11, 0
	s_cselect_b32 s11, s12, s10
	s_cselect_b32 s10, s13, s9
	s_cbranch_execnz .LBB204_51
.LBB204_50:                             ;   in Loop: Header=BB204_6 Depth=1
	v_cvt_f32_u32_e32 v4, s74
	s_sub_co_i32 s10, 0, s74
	s_delay_alu instid0(VALU_DEP_1) | instskip(SKIP_1) | instid1(TRANS32_DEP_1)
	v_rcp_iflag_f32_e32 v4, v4
	v_nop
	v_mul_f32_e32 v4, 0x4f7ffffe, v4
	s_delay_alu instid0(VALU_DEP_1) | instskip(NEXT) | instid1(VALU_DEP_1)
	v_cvt_u32_f32_e32 v4, v4
	v_readfirstlane_b32 s9, v4
	s_mul_i32 s10, s10, s9
	s_delay_alu instid0(SALU_CYCLE_1) | instskip(NEXT) | instid1(SALU_CYCLE_1)
	s_mul_hi_u32 s10, s9, s10
	s_add_co_i32 s9, s9, s10
	s_delay_alu instid0(SALU_CYCLE_1) | instskip(NEXT) | instid1(SALU_CYCLE_1)
	s_mul_hi_u32 s9, s36, s9
	s_mul_i32 s9, s9, s74
	s_delay_alu instid0(SALU_CYCLE_1) | instskip(NEXT) | instid1(SALU_CYCLE_1)
	s_sub_co_i32 s9, s36, s9
	s_sub_co_i32 s10, s9, s74
	s_cmp_ge_u32 s9, s74
	s_cselect_b32 s9, s10, s9
	s_delay_alu instid0(SALU_CYCLE_1) | instskip(SKIP_2) | instid1(SALU_CYCLE_1)
	s_sub_co_i32 s10, s9, s74
	s_cmp_ge_u32 s9, s74
	s_cselect_b32 s28, s10, s9
	s_mov_b64 s[10:11], s[28:29]
.LBB204_51:                             ;   in Loop: Header=BB204_6 Depth=1
	v_mov_b64_e32 v[4:5], 0
	v_mov_b64_e32 v[6:7], 0
	;; [unrolled: 1-line block ×4, first 2 shown]
	v_and_b32_e32 v2, 0xffff, v2
	s_sub_nc_u64 s[76:77], s[36:37], s[10:11]
	s_mov_b32 s49, exec_lo
	v_cmpx_gt_u64_e64 s[76:77], v[16:17]
	s_cbranch_execz .LBB204_55
; %bb.52:                               ;   in Loop: Header=BB204_6 Depth=1
	v_readlane_b32 s8, v56, 10
	v_readlane_b32 s9, v56, 11
	v_mov_b64_e32 v[34:35], s[42:43]
	v_mov_b64_e32 v[36:37], v[16:17]
	s_mov_b64 s[78:79], 0
	s_mov_b32 s50, 0
	v_mul_u64_e32 v[32:33], s[8:9], v[2:3]
	s_mov_b64 s[80:81], 0
	s_mov_b64 s[82:83], 0
	;; [unrolled: 1-line block ×3, first 2 shown]
.LBB204_53:                             ;   Parent Loop BB204_6 Depth=1
                                        ; =>  This Inner Loop Header: Depth=2
	v_add_nc_u64_e32 v[4:5], v[34:35], v[28:29]
	v_add_nc_u64_e32 v[6:7], v[34:35], v[26:27]
	;; [unrolled: 1-line block ×6, first 2 shown]
	s_clause 0x3
	global_load_u16 v4, v[4:5], off
	global_load_u16 v5, v[6:7], off
	;; [unrolled: 1-line block ×4, first 2 shown]
	v_cmp_le_u64_e32 vcc_lo, s[76:77], v[36:37]
	s_wait_loadcnt 0x3
	v_cmp_lt_i16_e64 s9, -1, v4
	s_wait_loadcnt 0x2
	v_cmp_lt_i16_e64 s10, -1, v5
	;; [unrolled: 2-line block ×4, first 2 shown]
	v_and_b32_e32 v8, 0xffff, v4
	v_and_b32_e32 v9, 0xffff, v5
	v_cmp_o_f16_e64 s13, v5, v5
	v_cmp_o_f16_e64 s16, v4, v4
	v_cndmask_b32_e64 v4, 0xffff, v44, s9
	v_cndmask_b32_e64 v5, 0xffff, v44, s10
	v_and_b32_e32 v10, 0xffff, v6
	v_cmp_o_f16_e64 s14, v6, v6
	v_cndmask_b32_e64 v6, 0xffff, v44, s11
	v_and_b32_e32 v11, 0xffff, v7
	v_cmp_o_f16_e64 s15, v7, v7
	v_cndmask_b32_e64 v7, 0xffff, v44, s12
	v_xor_b32_e32 v4, v4, v8
	v_xor_b32_e32 v5, v5, v9
	;; [unrolled: 1-line block ×3, first 2 shown]
	s_delay_alu instid0(VALU_DEP_4) | instskip(NEXT) | instid1(VALU_DEP_4)
	v_xor_b32_e32 v7, v7, v11
	v_cndmask_b32_e64 v4, 0xffff, v4, s16
	s_delay_alu instid0(VALU_DEP_4) | instskip(NEXT) | instid1(VALU_DEP_4)
	v_cndmask_b32_e64 v5, 0xffff, v5, s13
	v_cndmask_b32_e64 v6, 0xffff, v6, s14
	s_delay_alu instid0(VALU_DEP_4) | instskip(NEXT) | instid1(VALU_DEP_4)
	v_cndmask_b32_e64 v7, 0xffff, v7, s15
	v_and_b32_e32 v8, v4, v45
	s_delay_alu instid0(VALU_DEP_4)
	v_and_b32_e32 v9, v5, v45
	v_bfe_u32 v4, v4, s96, 2
	v_bfe_u32 v5, v5, s96, 2
	v_and_b32_e32 v10, v6, v45
	v_bfe_u32 v6, v6, s96, 2
	v_and_b32_e32 v11, v7, v45
	v_bfe_u32 v7, v7, s96, 2
	v_cmp_eq_u32_e64 s9, v8, v42
	v_cmp_eq_u32_e64 s10, v9, v42
	;; [unrolled: 1-line block ×15, first 2 shown]
	s_and_b32 s13, s9, s13
	s_and_b32 s14, s10, s14
	v_cmp_eq_u32_e64 s20, 1, v7
	v_cmp_eq_u32_e64 s23, 2, v6
	;; [unrolled: 1-line block ×3, first 2 shown]
	s_and_b32 s15, s11, s15
	s_and_b32 s17, s9, s17
	s_and_b32 s18, s10, s18
	v_cndmask_b32_e64 v4, 0, 1, s13
	v_cndmask_b32_e64 v5, 0, 1, s14
	v_cmp_eq_u32_e64 s24, 2, v7
	v_cmp_eq_u32_e64 s28, 3, v7
	s_and_b32 s16, s12, s16
	s_and_b32 s19, s11, s19
	;; [unrolled: 1-line block ×4, first 2 shown]
	v_cndmask_b32_e64 v6, 0, 1, s15
	v_cndmask_b32_e64 v8, 0, 1, s17
	;; [unrolled: 1-line block ×3, first 2 shown]
	s_and_b32 s9, s9, s25
	s_and_b32 s10, s10, s26
	;; [unrolled: 1-line block ×4, first 2 shown]
	v_cndmask_b32_e64 v7, 0, 1, s16
	v_cndmask_b32_e64 v10, 0, 1, s19
	;; [unrolled: 1-line block ×4, first 2 shown]
	s_and_b32 s11, s11, s27
	v_cndmask_b32_e64 v51, 0, 1, s9
	v_cndmask_b32_e64 v52, 0, 1, s10
	v_cmp_ne_u32_e64 s9, 0, v4
	v_cmp_ne_u32_e64 s10, 0, v5
	s_and_b32 s24, s12, s24
	v_cndmask_b32_e64 v11, 0, 1, s20
	v_cndmask_b32_e64 v49, 0, 1, s23
	s_and_b32 s12, s12, s28
	v_cndmask_b32_e64 v53, 0, 1, s11
	v_cmp_ne_u32_e64 s11, 0, v6
	v_cmp_ne_u32_e64 s13, 0, v8
	;; [unrolled: 1-line block ×3, first 2 shown]
	v_cndmask_b32_e64 v50, 0, 1, s24
	v_cndmask_b32_e64 v54, 0, 1, s12
	v_cmp_ne_u32_e64 s12, 0, v7
	v_cmp_ne_u32_e64 s15, 0, v10
	;; [unrolled: 1-line block ×4, first 2 shown]
	s_bcnt1_i32_b32 s9, s9
	s_bcnt1_i32_b32 s10, s10
	v_cmp_ne_u32_e64 s16, 0, v11
	v_cmp_ne_u32_e64 s19, 0, v49
	;; [unrolled: 1-line block ×4, first 2 shown]
	s_bcnt1_i32_b32 s11, s11
	s_bcnt1_i32_b32 s13, s13
	;; [unrolled: 1-line block ×3, first 2 shown]
	s_add_co_i32 s9, s10, s9
	v_cmp_ne_u32_e64 s20, 0, v50
	v_cmp_ne_u32_e64 s23, 0, v53
	s_bcnt1_i32_b32 s12, s12
	s_bcnt1_i32_b32 s15, s15
	;; [unrolled: 1-line block ×4, first 2 shown]
	s_add_co_i32 s10, s14, s13
	s_add_co_i32 s9, s9, s11
	v_cmp_ne_u32_e64 s24, 0, v54
	s_bcnt1_i32_b32 s16, s16
	s_bcnt1_i32_b32 s19, s19
	s_bcnt1_i32_b32 s21, s21
	s_bcnt1_i32_b32 s22, s22
	s_add_co_i32 s13, s18, s17
	s_add_co_i32 s10, s10, s15
	;; [unrolled: 1-line block ×3, first 2 shown]
	s_bcnt1_i32_b32 s20, s20
	s_bcnt1_i32_b32 s23, s23
	s_add_co_i32 s14, s22, s21
	s_add_co_i32 s11, s13, s19
	s_add_nc_u64 s[84:85], s[84:85], s[28:29]
	s_add_co_i32 s28, s10, s16
	s_bcnt1_i32_b32 s24, s24
	s_add_co_i32 s13, s14, s23
	s_add_nc_u64 s[82:83], s[82:83], s[28:29]
	s_add_co_i32 s28, s11, s20
	v_mov_b64_e32 v[4:5], s[84:85]
	s_add_nc_u64 s[80:81], s[80:81], s[28:29]
	s_add_co_i32 s28, s13, s24
	v_mov_b64_e32 v[6:7], s[82:83]
	s_add_nc_u64 s[78:79], s[78:79], s[28:29]
	v_mov_b64_e32 v[8:9], s[80:81]
	v_mov_b64_e32 v[10:11], s[78:79]
	s_or_b32 s50, vcc_lo, s50
	s_delay_alu instid0(SALU_CYCLE_1)
	s_and_not1_b32 exec_lo, exec_lo, s50
	s_cbranch_execnz .LBB204_53
; %bb.54:                               ;   in Loop: Header=BB204_6 Depth=1
	s_or_b32 exec_lo, exec_lo, s50
.LBB204_55:                             ;   in Loop: Header=BB204_6 Depth=1
	s_delay_alu instid0(SALU_CYCLE_1) | instskip(SKIP_2) | instid1(VALU_DEP_1)
	s_or_b32 exec_lo, exec_lo, s49
	v_add_nc_u64_e32 v[32:33], s[76:77], v[0:1]
	s_mov_b32 s12, exec_lo
	v_cmpx_gt_u64_e64 s[36:37], v[32:33]
	s_cbranch_execz .LBB204_61
; %bb.56:                               ;   in Loop: Header=BB204_6 Depth=1
	v_mul_u64_e32 v[34:35], s[30:31], v[32:33]
	s_mov_b32 s13, 0
	s_delay_alu instid0(VALU_DEP_1)
	v_lshl_add_u64 v[34:35], v[34:35], 1, s[42:43]
	global_load_u16 v35, v[34:35], off
	s_branch .LBB204_58
.LBB204_57:                             ;   in Loop: Header=BB204_58 Depth=2
	s_wait_xcnt 0x0
	s_or_b32 exec_lo, exec_lo, s10
	s_wait_loadcnt 0x0
	v_cmp_lt_i16_e64 s9, -1, v35
	v_and_b32_e32 v36, 0xffff, v35
	s_and_b32 s11, exec_lo, vcc_lo
	s_delay_alu instid0(SALU_CYCLE_1) | instskip(SKIP_2) | instid1(VALU_DEP_2)
	s_or_b32 s13, s11, s13
	v_cndmask_b32_e64 v37, 0xffff, v44, s9
	v_cmp_o_f16_e64 s9, v35, v35
	v_xor_b32_e32 v36, v37, v36
	s_delay_alu instid0(VALU_DEP_1) | instskip(NEXT) | instid1(VALU_DEP_1)
	v_cndmask_b32_e64 v35, 0xffff, v36, s9
	v_and_b32_e32 v36, v35, v45
	v_bfe_u32 v35, v35, s96, 2
	s_delay_alu instid0(VALU_DEP_2) | instskip(NEXT) | instid1(VALU_DEP_2)
	v_cmp_eq_u32_e64 s9, v36, v42
	v_cmp_eq_u32_e64 s10, 0, v35
	v_cmp_eq_u32_e32 vcc_lo, 1, v35
	s_and_b32 s10, s9, s10
	s_and_b32 s11, s9, vcc_lo
	v_cndmask_b32_e64 v36, 0, 1, s10
	v_cmp_eq_u32_e64 s10, 2, v35
	v_cmp_eq_u32_e32 vcc_lo, 3, v35
	v_cndmask_b32_e64 v37, 0, 1, s11
	s_delay_alu instid0(VALU_DEP_4)
	v_cmp_ne_u32_e64 s11, 0, v36
	s_and_b32 s10, s9, s10
	s_and_b32 s9, s9, vcc_lo
	v_cndmask_b32_e64 v35, 0, 1, s10
	v_cndmask_b32_e64 v36, 0, 1, s9
	v_cmp_ne_u32_e64 s10, 0, v37
	s_bcnt1_i32_b32 s28, s11
	v_cmp_ne_u32_e32 vcc_lo, 0, v35
	v_cmp_ne_u32_e64 s9, 0, v36
	v_add_nc_u64_e32 v[4:5], s[28:29], v[4:5]
	s_bcnt1_i32_b32 s28, s10
	v_mov_b32_e32 v35, v34
	v_add_nc_u64_e32 v[6:7], s[28:29], v[6:7]
	s_bcnt1_i32_b32 s28, vcc_lo
	s_delay_alu instid0(SALU_CYCLE_1) | instskip(SKIP_1) | instid1(SALU_CYCLE_1)
	v_add_nc_u64_e32 v[8:9], s[28:29], v[8:9]
	s_bcnt1_i32_b32 s28, s9
	v_add_nc_u64_e32 v[10:11], s[28:29], v[10:11]
	s_and_not1_b32 exec_lo, exec_lo, s13
	s_cbranch_execz .LBB204_60
.LBB204_58:                             ;   Parent Loop BB204_6 Depth=1
                                        ; =>  This Inner Loop Header: Depth=2
	v_add_nc_u64_e32 v[32:33], v[32:33], v[2:3]
	s_wait_xcnt 0x0
	v_mov_b32_e32 v34, 0
	s_mov_b32 s10, exec_lo
	s_delay_alu instid0(VALU_DEP_2)
	v_cmp_le_u64_e32 vcc_lo, s[36:37], v[32:33]
	v_cmpx_gt_u64_e64 s[36:37], v[32:33]
	s_cbranch_execz .LBB204_57
; %bb.59:                               ;   in Loop: Header=BB204_58 Depth=2
	v_mul_u64_e32 v[36:37], s[30:31], v[32:33]
	s_delay_alu instid0(VALU_DEP_1)
	v_lshl_add_u64 v[36:37], v[36:37], 1, s[42:43]
	global_load_u16 v34, v[36:37], off
	s_branch .LBB204_57
.LBB204_60:                             ;   in Loop: Header=BB204_6 Depth=1
	s_or_b32 exec_lo, exec_lo, s13
.LBB204_61:                             ;   in Loop: Header=BB204_6 Depth=1
	s_delay_alu instid0(SALU_CYCLE_1)
	s_or_b32 exec_lo, exec_lo, s12
	s_branch .LBB204_40
.LBB204_62:                             ;   in Loop: Header=BB204_6 Depth=1
	global_load_u16 v2, v3, s[70:71]
	s_mov_b32 s25, s29
	v_mov_b64_e32 v[6:7], 0
	v_mov_b64_e32 v[8:9], 0
	;; [unrolled: 1-line block ×3, first 2 shown]
	s_wait_loadcnt 0x0
	v_readfirstlane_b32 s9, v2
	v_and_b32_e32 v2, 0xffff, v2
	s_and_b32 s23, 0xffff, s9
	s_delay_alu instid0(SALU_CYCLE_1) | instskip(NEXT) | instid1(SALU_CYCLE_1)
	s_lshl_b32 s26, s23, 2
	s_cvt_f32_u32 s9, s26
	s_sub_co_i32 s10, 0, s26
	s_delay_alu instid0(SALU_CYCLE_2) | instskip(SKIP_1) | instid1(TRANS32_DEP_1)
	v_rcp_iflag_f32_e32 v4, s9
	v_nop
	v_readfirstlane_b32 s9, v4
	s_mul_f32 s9, s9, 0x4f7ffffe
	s_delay_alu instid0(SALU_CYCLE_3) | instskip(NEXT) | instid1(SALU_CYCLE_3)
	s_cvt_u32_f32 s9, s9
	s_mul_i32 s10, s10, s9
	s_delay_alu instid0(SALU_CYCLE_1) | instskip(NEXT) | instid1(SALU_CYCLE_1)
	s_mul_hi_u32 s10, s9, s10
	s_add_co_i32 s9, s9, s10
	s_delay_alu instid0(SALU_CYCLE_1) | instskip(NEXT) | instid1(SALU_CYCLE_1)
	s_mul_hi_u32 s9, s72, s9
	s_mul_i32 s10, s9, s26
	s_add_co_i32 s11, s9, 1
	s_sub_co_i32 s10, s72, s10
	s_delay_alu instid0(SALU_CYCLE_1)
	s_sub_co_i32 s12, s10, s26
	s_cmp_ge_u32 s10, s26
	s_cselect_b32 s9, s11, s9
	s_cselect_b32 s10, s12, s10
	s_add_co_i32 s11, s9, 1
	s_cmp_ge_u32 s10, s26
	s_cselect_b32 s24, s11, s9
	s_delay_alu instid0(SALU_CYCLE_1) | instskip(SKIP_1) | instid1(VALU_DEP_1)
	v_mul_u64_e32 v[4:5], s[24:25], v[2:3]
	s_mov_b32 s25, exec_lo
	v_lshlrev_b64_e32 v[32:33], 2, v[4:5]
	v_mov_b64_e32 v[4:5], 0
	s_delay_alu instid0(VALU_DEP_2)
	v_cmpx_gt_u64_e64 v[32:33], v[16:17]
	s_cbranch_execz .LBB204_66
; %bb.63:                               ;   in Loop: Header=BB204_6 Depth=1
	v_mov_b64_e32 v[34:35], v[16:17]
	v_mov_b32_e32 v36, v40
	s_mov_b32 s27, s29
	s_lshl_b32 s49, s23, 3
	s_mov_b64 s[74:75], 0
	s_mov_b32 s50, 0
	s_mov_b64 s[76:77], 0
	s_mov_b64 s[78:79], 0
	;; [unrolled: 1-line block ×3, first 2 shown]
.LBB204_64:                             ;   Parent Loop BB204_6 Depth=1
                                        ; =>  This Inner Loop Header: Depth=2
	ds_load_b64 v[4:5], v36
	v_add_nc_u32_e32 v36, s49, v36
	v_add_nc_u64_e32 v[34:35], s[26:27], v[34:35]
	s_delay_alu instid0(VALU_DEP_1)
	v_cmp_ge_u64_e32 vcc_lo, v[34:35], v[32:33]
	s_wait_dscnt 0x0
	v_cmp_lt_i16_e64 s9, -1, v4
	v_cmp_lt_i16_e64 s10, -1, v5
	v_dual_lshrrev_b32 v7, 16, v5 :: v_dual_lshrrev_b32 v6, 16, v4
	v_cmp_o_f16_e64 s12, v4, v4
	s_delay_alu instid0(VALU_DEP_4) | instskip(NEXT) | instid1(VALU_DEP_4)
	v_cndmask_b32_e64 v8, 0xffff, v44, s9
	v_cndmask_b32_e64 v9, 0xffff, v44, s10
	s_delay_alu instid0(VALU_DEP_4)
	v_cmp_lt_i16_e64 s10, -1, v7
	v_cmp_o_f16_e64 s13, v7, v7
	v_cmp_o_f16_e64 s11, v5, v5
	v_bitop3_b32 v4, v8, v4, 0xffff bitop3:0x78
	v_bitop3_b32 v5, v9, v5, 0xffff bitop3:0x78
	v_cndmask_b32_e64 v8, 0xffff, v44, s10
	s_delay_alu instid0(VALU_DEP_3) | instskip(NEXT) | instid1(VALU_DEP_3)
	v_cndmask_b32_e64 v4, 0xffff, v4, s12
	v_cndmask_b32_e64 v5, 0xffff, v5, s11
	s_delay_alu instid0(VALU_DEP_3)
	v_xor_b32_e32 v7, v8, v7
	v_cmp_lt_i16_e64 s9, -1, v6
	v_cmp_o_f16_e64 s14, v6, v6
	v_and_b32_e32 v8, v4, v45
	v_bfe_u32 v4, v4, s96, 2
	v_and_b32_e32 v9, v5, v45
	v_cndmask_b32_e64 v10, 0xffff, v44, s9
	v_bfe_u32 v5, v5, s96, 2
	v_cndmask_b32_e64 v7, 0xffff, v7, s13
	v_cmp_eq_u32_e64 s9, v8, v42
	v_cmp_eq_u32_e64 s11, 0, v4
	v_xor_b32_e32 v6, v10, v6
	v_cmp_eq_u32_e64 s13, 1, v4
	v_cmp_eq_u32_e64 s10, v9, v42
	;; [unrolled: 1-line block ×4, first 2 shown]
	v_cndmask_b32_e64 v6, 0xffff, v6, s14
	v_cmp_eq_u32_e64 s14, 1, v5
	v_cmp_eq_u32_e64 s18, 3, v5
	v_and_b32_e32 v9, v7, v45
	v_bfe_u32 v7, v7, s96, 2
	v_and_b32_e32 v8, v6, v45
	v_bfe_u32 v6, v6, s96, 2
	v_cmp_eq_u32_e64 s15, 2, v4
	v_cmp_eq_u32_e64 s17, 3, v4
	s_and_b32 s28, s9, s11
	v_cmp_eq_u32_e64 s19, v8, v42
	v_cmp_eq_u32_e64 s21, 0, v6
	v_cmp_eq_u32_e64 s11, 1, v6
	s_and_b32 s45, s9, s13
	v_cndmask_b32_e64 v4, 0, 1, s28
	s_and_b32 s44, s10, s12
	s_and_b32 s51, s10, s14
	;; [unrolled: 1-line block ×4, first 2 shown]
	v_cmp_eq_u32_e64 s20, v9, v42
	v_cmp_eq_u32_e64 s22, 0, v7
	;; [unrolled: 1-line block ×3, first 2 shown]
	s_and_b32 s52, s9, s15
	v_cmp_eq_u32_e64 s15, 3, v6
	s_and_b32 s9, s9, s17
	v_cndmask_b32_e64 v6, 0, 1, s45
	v_cndmask_b32_e64 v11, 0, 1, s10
	s_and_b32 s10, s19, s21
	v_cmp_eq_u32_e64 s12, 1, v7
	v_cndmask_b32_e64 v5, 0, 1, s44
	v_cndmask_b32_e64 v8, 0, 1, s52
	;; [unrolled: 1-line block ×3, first 2 shown]
	s_and_b32 s18, s19, s11
	v_cmp_ne_u32_e64 s9, 0, v4
	v_cndmask_b32_e64 v4, 0, 1, s10
	v_cmp_eq_u32_e64 s14, 2, v7
	v_cmp_eq_u32_e64 s16, 3, v7
	v_cndmask_b32_e64 v7, 0, 1, s51
	s_and_b32 s17, s20, s22
	s_and_b32 s22, s19, s13
	;; [unrolled: 1-line block ×3, first 2 shown]
	v_cmp_ne_u32_e64 s11, 0, v6
	v_cndmask_b32_e64 v6, 0, 1, s18
	v_cndmask_b32_e64 v9, 0, 1, s53
	s_and_b32 s21, s20, s12
	v_cmp_ne_u32_e64 s10, 0, v5
	v_cndmask_b32_e64 v5, 0, 1, s17
	v_cmp_ne_u32_e64 s13, 0, v8
	v_cndmask_b32_e64 v8, 0, 1, s22
	;; [unrolled: 2-line block ×3, first 2 shown]
	s_bcnt1_i32_b32 s17, s9
	v_cmp_ne_u32_e64 s9, 0, v4
	s_and_b32 s28, s20, s14
	v_cmp_ne_u32_e64 s12, 0, v7
	v_cndmask_b32_e64 v7, 0, 1, s21
	s_bcnt1_i32_b32 s19, s11
	v_cmp_ne_u32_e64 s11, 0, v6
	s_and_b32 s20, s20, s16
	v_cmp_ne_u32_e64 s14, 0, v9
	v_cndmask_b32_e64 v9, 0, 1, s28
	s_bcnt1_i32_b32 s18, s10
	v_cmp_ne_u32_e64 s10, 0, v5
	s_bcnt1_i32_b32 s21, s13
	v_cmp_ne_u32_e64 s13, 0, v8
	;; [unrolled: 2-line block ×3, first 2 shown]
	v_cmp_ne_u32_e64 s16, 0, v11
	v_cndmask_b32_e64 v11, 0, 1, s20
	s_bcnt1_i32_b32 s9, s9
	s_bcnt1_i32_b32 s20, s12
	v_cmp_ne_u32_e64 s12, 0, v7
	s_bcnt1_i32_b32 s11, s11
	s_add_co_i32 s9, s9, s17
	s_bcnt1_i32_b32 s22, s14
	v_cmp_ne_u32_e64 s14, 0, v9
	s_bcnt1_i32_b32 s10, s10
	s_bcnt1_i32_b32 s13, s13
	;; [unrolled: 1-line block ×3, first 2 shown]
	s_add_co_i32 s11, s11, s19
	s_add_co_i32 s9, s9, s18
	s_bcnt1_i32_b32 s44, s16
	v_cmp_ne_u32_e64 s16, 0, v11
	s_bcnt1_i32_b32 s12, s12
	s_add_co_i32 s13, s13, s21
	s_add_co_i32 s15, s15, s28
	;; [unrolled: 1-line block ×4, first 2 shown]
	s_bcnt1_i32_b32 s14, s14
	s_add_co_i32 s13, s13, s22
	s_add_nc_u64 s[80:81], s[80:81], s[28:29]
	s_add_co_i32 s28, s11, s12
	s_bcnt1_i32_b32 s16, s16
	s_add_co_i32 s15, s15, s44
	s_add_nc_u64 s[78:79], s[78:79], s[28:29]
	s_add_co_i32 s28, s13, s14
	v_mov_b64_e32 v[4:5], s[80:81]
	s_add_nc_u64 s[76:77], s[76:77], s[28:29]
	s_add_co_i32 s28, s15, s16
	v_mov_b64_e32 v[6:7], s[78:79]
	s_add_nc_u64 s[74:75], s[74:75], s[28:29]
	v_mov_b64_e32 v[8:9], s[76:77]
	v_mov_b64_e32 v[10:11], s[74:75]
	s_or_b32 s50, vcc_lo, s50
	s_delay_alu instid0(SALU_CYCLE_1)
	s_and_not1_b32 exec_lo, exec_lo, s50
	s_cbranch_execnz .LBB204_64
; %bb.65:                               ;   in Loop: Header=BB204_6 Depth=1
	s_or_b32 exec_lo, exec_lo, s50
.LBB204_66:                             ;   in Loop: Header=BB204_6 Depth=1
	s_delay_alu instid0(SALU_CYCLE_1) | instskip(SKIP_3) | instid1(VALU_DEP_1)
	s_or_b32 exec_lo, exec_lo, s25
	v_add_nc_u64_e32 v[32:33], v[32:33], v[0:1]
	s_and_b64 s[14:15], s[72:73], 0x7fffffff
	s_mov_b32 s16, exec_lo
	v_cmpx_gt_u64_e64 s[14:15], v[32:33]
	s_cbranch_execz .LBB204_70
; %bb.67:                               ;   in Loop: Header=BB204_6 Depth=1
	s_mul_i32 s9, s24, s23
	s_lshl_b32 s18, s23, 1
	v_lshl_add_u32 v34, s9, 3, v38
	s_mov_b32 s17, 0
.LBB204_68:                             ;   Parent Loop BB204_6 Depth=1
                                        ; =>  This Inner Loop Header: Depth=2
	ds_load_u16 v35, v34
	v_add_nc_u64_e32 v[32:33], v[32:33], v[2:3]
	v_add_nc_u32_e32 v34, s18, v34
	s_delay_alu instid0(VALU_DEP_2) | instskip(SKIP_3) | instid1(VALU_DEP_2)
	v_cmp_le_u64_e32 vcc_lo, s[14:15], v[32:33]
	s_wait_dscnt 0x0
	v_cmp_lt_i16_e64 s9, -1, v35
	v_and_b32_e32 v36, 0xffff, v35
	v_cndmask_b32_e64 v37, 0xffff, v44, s9
	v_cmp_o_f16_e64 s9, v35, v35
	s_delay_alu instid0(VALU_DEP_2) | instskip(NEXT) | instid1(VALU_DEP_1)
	v_xor_b32_e32 v36, v37, v36
	v_cndmask_b32_e64 v35, 0xffff, v36, s9
	s_delay_alu instid0(VALU_DEP_1) | instskip(SKIP_1) | instid1(VALU_DEP_2)
	v_and_b32_e32 v36, v35, v45
	v_bfe_u32 v35, v35, s96, 2
	v_cmp_eq_u32_e64 s9, v36, v42
	s_delay_alu instid0(VALU_DEP_2) | instskip(SKIP_4) | instid1(SALU_CYCLE_1)
	v_cmp_eq_u32_e64 s10, 0, v35
	v_cmp_eq_u32_e64 s11, 1, v35
	;; [unrolled: 1-line block ×4, first 2 shown]
	s_and_b32 s10, s9, s10
	v_cndmask_b32_e64 v35, 0, 1, s10
	s_and_b32 s10, s9, s11
	s_delay_alu instid0(SALU_CYCLE_1)
	v_cndmask_b32_e64 v36, 0, 1, s10
	s_and_b32 s10, s9, s12
	s_and_b32 s9, s9, s13
	v_cndmask_b32_e64 v37, 0, 1, s10
	v_cndmask_b32_e64 v47, 0, 1, s9
	v_cmp_ne_u32_e64 s9, 0, v35
	v_cmp_ne_u32_e64 s10, 0, v36
	s_delay_alu instid0(VALU_DEP_4) | instskip(NEXT) | instid1(VALU_DEP_4)
	v_cmp_ne_u32_e64 s11, 0, v37
	v_cmp_ne_u32_e64 s12, 0, v47
	s_bcnt1_i32_b32 s28, s9
	s_delay_alu instid0(SALU_CYCLE_1) | instskip(SKIP_1) | instid1(SALU_CYCLE_1)
	v_add_nc_u64_e32 v[4:5], s[28:29], v[4:5]
	s_bcnt1_i32_b32 s28, s10
	v_add_nc_u64_e32 v[6:7], s[28:29], v[6:7]
	s_bcnt1_i32_b32 s28, s11
	s_delay_alu instid0(SALU_CYCLE_1)
	v_add_nc_u64_e32 v[8:9], s[28:29], v[8:9]
	s_bcnt1_i32_b32 s28, s12
	s_or_b32 s17, vcc_lo, s17
	v_add_nc_u64_e32 v[10:11], s[28:29], v[10:11]
	s_and_not1_b32 exec_lo, exec_lo, s17
	s_cbranch_execnz .LBB204_68
; %bb.69:                               ;   in Loop: Header=BB204_6 Depth=1
	s_or_b32 exec_lo, exec_lo, s17
.LBB204_70:                             ;   in Loop: Header=BB204_6 Depth=1
	s_delay_alu instid0(SALU_CYCLE_1)
	s_or_b32 exec_lo, exec_lo, s16
	s_lshl_b32 s9, s99, 7
	s_and_saveexec_b32 s10, s2
	s_cbranch_execnz .LBB204_41
	s_branch .LBB204_42
.LBB204_71:                             ;   in Loop: Header=BB204_6 Depth=1
                                        ; implicit-def: $sgpr10_sgpr11
	s_branch .LBB204_50
.LBB204_72:                             ;   in Loop: Header=BB204_6 Depth=1
	s_mov_b32 s11, 0
	s_and_not1_b32 vcc_lo, exec_lo, s92
	s_cbranch_vccnz .LBB204_75
.LBB204_73:                             ;   in Loop: Header=BB204_6 Depth=1
	s_lshl_b32 s12, s99, 10
	s_lshl_b32 s11, s11, 5
	s_delay_alu instid0(SALU_CYCLE_1)
	v_add3_u32 v2, s12, s11, v43
	s_mov_b32 s11, s89
.LBB204_74:                             ;   Parent Loop BB204_6 Depth=1
                                        ; =>  This Inner Loop Header: Depth=2
	ds_load_b64 v[6:7], v2
	v_add_nc_u32_e32 v2, 32, v2
	s_add_co_i32 s11, s11, -1
	s_delay_alu instid0(SALU_CYCLE_1)
	s_cmp_lg_u32 s11, 0
	s_wait_dscnt 0x0
	v_add_nc_u64_e32 v[4:5], v[6:7], v[4:5]
	s_cbranch_scc1 .LBB204_74
.LBB204_75:                             ;   in Loop: Header=BB204_6 Depth=1
	v_add_lshl_u32 v2, s9, v13, 3
	ds_store_b64 v2, v[4:5] offset:3072
.LBB204_76:                             ;   in Loop: Header=BB204_6 Depth=1
	s_or_b32 exec_lo, exec_lo, s10
	s_lshl_b32 s9, s9, 3
	s_wait_dscnt 0x0
	v_mov_b32_e32 v2, s9
	s_barrier_signal -1
	s_barrier_wait -1
	v_cmp_eq_u64_e64 s9, 1, v[30:31]
	ds_load_b128 v[4:7], v2 offset:3072
	ds_load_b128 v[8:11], v2 offset:3088
	s_lshl_b32 s24, 3, s96
	s_mov_b32 s74, -1
	s_not_b32 s25, s24
	s_mov_b32 s26, 0
	s_and_not1_b32 vcc_lo, exec_lo, s87
	s_mov_b32 s49, 0
	s_mov_b32 s27, 0
                                        ; implicit-def: $sgpr72
                                        ; implicit-def: $sgpr73
                                        ; implicit-def: $vgpr2
	s_wait_dscnt 0x1
	v_readfirstlane_b32 s13, v5
	v_readfirstlane_b32 s12, v4
	v_readfirstlane_b32 s15, v7
	v_readfirstlane_b32 s14, v6
	s_wait_dscnt 0x0
	v_readfirstlane_b32 s17, v9
	v_readfirstlane_b32 s16, v8
	;; [unrolled: 1-line block ×4, first 2 shown]
                                        ; implicit-def: $vgpr4_vgpr5
                                        ; implicit-def: $vgpr10
                                        ; implicit-def: $vgpr11
                                        ; implicit-def: $vgpr8
	s_cbranch_vccnz .LBB204_279
; %bb.77:                               ;   in Loop: Header=BB204_6 Depth=1
	s_cmp_eq_u64 s[12:13], 1
	v_dual_mov_b32 v10, v42 :: v_dual_mov_b32 v11, v45
	v_mov_b32_e32 v8, v46
	s_cselect_b32 s10, -1, 0
                                        ; implicit-def: $sgpr73
                                        ; implicit-def: $sgpr72
	s_delay_alu instid0(SALU_CYCLE_1)
	s_and_b32 s76, s10, s9
	s_mov_b32 s10, -1
	s_and_saveexec_b32 s27, s76
	s_cbranch_execz .LBB204_114
; %bb.78:                               ;   in Loop: Header=BB204_6 Depth=1
	ds_load_b64 v[4:5], v3 offset:5120
	s_wait_dscnt 0x0
	s_barrier_signal -1
	s_barrier_wait -1
	v_readfirstlane_b32 s10, v4
	v_readfirstlane_b32 s11, v5
	s_and_saveexec_b32 s20, s6
; %bb.79:                               ;   in Loop: Header=BB204_6 Depth=1
	ds_store_b16 v39, v3
; %bb.80:                               ;   in Loop: Header=BB204_6 Depth=1
	s_or_b32 exec_lo, exec_lo, s20
	v_and_b32_e32 v10, s25, v42
	v_or_b32_e32 v11, s24, v45
	s_mov_b32 s72, -1
	s_mov_b32 s73, 0
	s_cmp_eq_u64 s[10:11], 0
	s_mov_b32 s22, 0
	s_mov_b32 s23, -1
	s_wait_dscnt 0x0
	s_barrier_signal -1
	s_barrier_wait -1
                                        ; implicit-def: $vgpr8
	s_cbranch_scc1 .LBB204_98
; %bb.81:                               ;   in Loop: Header=BB204_6 Depth=1
	s_add_nc_u64 s[20:21], s[10:11], s[54:55]
	s_delay_alu instid0(SALU_CYCLE_1) | instskip(NEXT) | instid1(SALU_CYCLE_1)
	s_and_b64 s[22:23], s[20:21], 0xffffffff00000000
	s_cmp_lg_u64 s[22:23], 0
	s_cbranch_scc0 .LBB204_141
; %bb.82:                               ;   in Loop: Header=BB204_6 Depth=1
	s_cvt_f32_u32 s8, s34
	s_sub_nc_u64 s[44:45], 0, s[34:35]
	s_delay_alu instid0(SALU_CYCLE_2) | instskip(NEXT) | instid1(SALU_CYCLE_3)
	s_fmamk_f32 s8, s94, 0x0, s8
	v_s_rcp_f32 s8, s8
	s_delay_alu instid0(TRANS32_DEP_1) | instskip(NEXT) | instid1(SALU_CYCLE_3)
	s_mul_f32 s8, s8, 0x5f7ffffc
	s_mul_f32 s22, s8, 0x2f800000
	s_delay_alu instid0(SALU_CYCLE_3) | instskip(NEXT) | instid1(SALU_CYCLE_3)
	s_trunc_f32 s22, s22
	s_fmamk_f32 s8, s22, 0xcf800000, s8
	s_cvt_u32_f32 s23, s22
	s_delay_alu instid0(SALU_CYCLE_2) | instskip(NEXT) | instid1(SALU_CYCLE_3)
	s_cvt_u32_f32 s22, s8
	s_mul_u64 s[50:51], s[44:45], s[22:23]
	s_delay_alu instid0(SALU_CYCLE_1)
	s_mul_hi_u32 s53, s22, s51
	s_mul_i32 s52, s22, s51
	s_mul_hi_u32 s28, s22, s50
	s_mul_i32 s49, s23, s50
	s_add_nc_u64 s[52:53], s[28:29], s[52:53]
	s_mul_hi_u32 s8, s23, s50
	s_mul_hi_u32 s66, s23, s51
	s_add_co_u32 s28, s52, s49
	s_add_co_ci_u32 s28, s53, s8
	s_mul_i32 s50, s23, s51
	s_add_co_ci_u32 s51, s66, 0
	s_delay_alu instid0(SALU_CYCLE_1) | instskip(NEXT) | instid1(SALU_CYCLE_1)
	s_add_nc_u64 s[50:51], s[28:29], s[50:51]
	s_add_co_u32 s22, s22, s50
	s_cselect_b32 s8, -1, 0
	s_delay_alu instid0(SALU_CYCLE_1) | instskip(SKIP_1) | instid1(SALU_CYCLE_1)
	s_cmp_lg_u32 s8, 0
	s_add_co_ci_u32 s23, s23, s51
	s_mul_u64 s[44:45], s[44:45], s[22:23]
	s_delay_alu instid0(SALU_CYCLE_1)
	s_mul_hi_u32 s51, s22, s45
	s_mul_i32 s50, s22, s45
	s_mul_hi_u32 s28, s22, s44
	s_mul_i32 s49, s23, s44
	s_add_nc_u64 s[50:51], s[28:29], s[50:51]
	s_mul_hi_u32 s8, s23, s44
	s_mul_hi_u32 s52, s23, s45
	s_add_co_u32 s28, s50, s49
	s_add_co_ci_u32 s28, s51, s8
	s_mul_i32 s44, s23, s45
	s_add_co_ci_u32 s45, s52, 0
	s_delay_alu instid0(SALU_CYCLE_1) | instskip(NEXT) | instid1(SALU_CYCLE_1)
	s_add_nc_u64 s[44:45], s[28:29], s[44:45]
	s_add_co_u32 s8, s22, s44
	s_cselect_b32 s22, -1, 0
	s_mul_hi_u32 s28, s20, s8
	s_cmp_lg_u32 s22, 0
	s_mul_hi_u32 s49, s21, s8
	s_add_co_ci_u32 s44, s23, s45
	s_mul_i32 s8, s21, s8
	s_mul_hi_u32 s23, s20, s44
	s_mul_i32 s22, s20, s44
	s_mul_hi_u32 s45, s21, s44
	s_add_nc_u64 s[22:23], s[28:29], s[22:23]
	s_mul_i32 s44, s21, s44
	s_add_co_u32 s8, s22, s8
	s_add_co_ci_u32 s28, s23, s49
	s_add_co_ci_u32 s45, s45, 0
	s_delay_alu instid0(SALU_CYCLE_1) | instskip(NEXT) | instid1(SALU_CYCLE_1)
	s_add_nc_u64 s[22:23], s[28:29], s[44:45]
	s_and_b64 s[44:45], s[22:23], 0xffffffff00000000
	s_delay_alu instid0(SALU_CYCLE_1) | instskip(NEXT) | instid1(SALU_CYCLE_1)
	s_or_b32 s44, s44, s22
	s_mul_u64 s[22:23], s[34:35], s[44:45]
	s_delay_alu instid0(SALU_CYCLE_1) | instskip(SKIP_1) | instid1(SALU_CYCLE_1)
	s_sub_co_u32 s8, s20, s22
	s_cselect_b32 s22, -1, 0
	s_cmp_lg_u32 s22, 0
	s_sub_co_ci_u32 s22, s21, s23
	s_sub_co_u32 s23, s8, s34
	s_cselect_b32 s28, -1, 0
	s_delay_alu instid0(SALU_CYCLE_1) | instskip(SKIP_3) | instid1(SALU_CYCLE_1)
	s_cmp_lg_u32 s28, 0
	s_sub_co_ci_u32 s28, s22, 0
	s_sub_co_u32 s44, s23, s34
	s_cselect_b32 s45, -1, 0
	s_cmp_lg_u32 s45, 0
	s_sub_co_ci_u32 s45, s28, 0
	s_cmp_ge_u32 s23, s34
	s_cselect_b32 s49, -1, 0
	s_cmp_eq_u32 s28, 0
	s_cselect_b32 s49, s49, -1
	s_delay_alu instid0(SALU_CYCLE_1)
	s_cmp_lg_u32 s49, 0
	s_cselect_b32 s28, s45, s28
	s_cselect_b32 s44, s44, s23
	s_cmp_ge_u32 s8, s34
	s_cselect_b32 s23, -1, 0
	s_cmp_eq_u32 s22, 0
	s_cselect_b32 s23, s23, -1
	s_delay_alu instid0(SALU_CYCLE_1)
	s_cmp_lg_u32 s23, 0
	s_cselect_b32 s23, s28, s22
	s_cselect_b32 s22, s44, s8
	s_cbranch_execnz .LBB204_84
.LBB204_83:                             ;   in Loop: Header=BB204_6 Depth=1
	v_cvt_f32_u32_e32 v2, s34
	s_sub_co_i32 s22, 0, s34
	s_delay_alu instid0(VALU_DEP_1) | instskip(SKIP_1) | instid1(TRANS32_DEP_1)
	v_rcp_iflag_f32_e32 v2, v2
	v_nop
	v_mul_f32_e32 v2, 0x4f7ffffe, v2
	s_delay_alu instid0(VALU_DEP_1) | instskip(NEXT) | instid1(VALU_DEP_1)
	v_cvt_u32_f32_e32 v2, v2
	v_readfirstlane_b32 s8, v2
	s_mul_i32 s22, s22, s8
	s_delay_alu instid0(SALU_CYCLE_1) | instskip(NEXT) | instid1(SALU_CYCLE_1)
	s_mul_hi_u32 s22, s8, s22
	s_add_co_i32 s8, s8, s22
	s_delay_alu instid0(SALU_CYCLE_1) | instskip(NEXT) | instid1(SALU_CYCLE_1)
	s_mul_hi_u32 s8, s20, s8
	s_mul_i32 s8, s8, s34
	s_delay_alu instid0(SALU_CYCLE_1) | instskip(NEXT) | instid1(SALU_CYCLE_1)
	s_sub_co_i32 s8, s20, s8
	s_sub_co_i32 s22, s8, s34
	s_cmp_ge_u32 s8, s34
	s_cselect_b32 s8, s22, s8
	s_delay_alu instid0(SALU_CYCLE_1) | instskip(SKIP_2) | instid1(SALU_CYCLE_1)
	s_sub_co_i32 s22, s8, s34
	s_cmp_ge_u32 s8, s34
	s_cselect_b32 s28, s22, s8
	s_mov_b64 s[22:23], s[28:29]
.LBB204_84:                             ;   in Loop: Header=BB204_6 Depth=1
	s_delay_alu instid0(SALU_CYCLE_1)
	s_sub_nc_u64 s[20:21], s[20:21], s[22:23]
	s_mov_b32 s23, 0
	s_mov_b32 s22, 0
	s_mov_b32 s28, exec_lo
                                        ; implicit-def: $vgpr8
	v_cmpx_gt_u64_e64 s[20:21], v[0:1]
	s_cbranch_execz .LBB204_97
; %bb.85:                               ;   in Loop: Header=BB204_6 Depth=1
	v_mov_b64_e32 v[4:5], v[0:1]
	v_mov_b32_e32 v2, v38
                                        ; implicit-def: $sgpr49
	s_branch .LBB204_89
.LBB204_86:                             ;   in Loop: Header=BB204_89 Depth=2
	s_or_b32 exec_lo, exec_lo, s50
	s_wait_dscnt 0x0
	s_barrier_signal -1
	s_barrier_wait -1
	ds_load_b32 v6, v3 offset:3072
	s_wait_dscnt 0x0
	s_barrier_signal -1
	s_barrier_wait -1
	v_cmp_neq_f16_e32 vcc_lo, 0, v6
	s_cbranch_vccnz .LBB204_92
; %bb.87:                               ;   in Loop: Header=BB204_89 Depth=2
	v_add_nc_u64_e32 v[4:5], s[34:35], v[4:5]
	v_add_nc_u32_e32 v2, s93, v2
	s_mov_b32 s50, 0
	s_delay_alu instid0(VALU_DEP_2)
	v_cmp_le_u64_e32 vcc_lo, s[20:21], v[4:5]
	s_or_not1_b32 s51, vcc_lo, exec_lo
.LBB204_88:                             ;   in Loop: Header=BB204_89 Depth=2
	s_delay_alu instid0(SALU_CYCLE_1) | instskip(NEXT) | instid1(SALU_CYCLE_1)
	s_and_b32 s8, exec_lo, s51
	s_or_b32 s22, s8, s22
	s_and_not1_b32 s8, s49, exec_lo
	s_and_b32 s44, s50, exec_lo
	s_delay_alu instid0(SALU_CYCLE_1)
	s_or_b32 s49, s8, s44
	s_and_not1_b32 exec_lo, exec_lo, s22
	s_cbranch_execz .LBB204_96
.LBB204_89:                             ;   Parent Loop BB204_6 Depth=1
                                        ; =>  This Inner Loop Header: Depth=2
	s_mov_b32 s50, exec_lo
	s_delay_alu instid0(VALU_DEP_2)
	v_cmpx_gt_u64_e64 s[10:11], v[4:5]
	s_cbranch_execz .LBB204_86
; %bb.90:                               ;   in Loop: Header=BB204_89 Depth=2
	ds_load_u16 v6, v2
	s_wait_dscnt 0x0
	v_cmp_lt_i16_e32 vcc_lo, -1, v6
	v_and_b32_e32 v7, 0xffff, v6
	v_cndmask_b32_e32 v8, 0xffff, v44, vcc_lo
	v_cmp_o_f16_e32 vcc_lo, v6, v6
	s_delay_alu instid0(VALU_DEP_2) | instskip(NEXT) | instid1(VALU_DEP_1)
	v_xor_b32_e32 v7, v8, v7
	v_cndmask_b32_e32 v7, 0xffff, v7, vcc_lo
	s_delay_alu instid0(VALU_DEP_1) | instskip(NEXT) | instid1(VALU_DEP_1)
	v_and_b32_e32 v7, v7, v11
	v_cmp_eq_u32_e32 vcc_lo, v7, v10
	s_and_b32 exec_lo, exec_lo, vcc_lo
	s_cbranch_execz .LBB204_86
; %bb.91:                               ;   in Loop: Header=BB204_89 Depth=2
	v_perm_b32 v6, v6, s95, 0x5040100
	ds_store_b32 v3, v6 offset:3072
	s_branch .LBB204_86
.LBB204_92:                             ;   in Loop: Header=BB204_89 Depth=2
	s_mov_b32 s51, -1
	s_mov_b32 s50, -1
                                        ; implicit-def: $vgpr4_vgpr5
                                        ; implicit-def: $vgpr2
	s_branch .LBB204_88
.LBB204_93:                             ;   in Loop: Header=BB204_6 Depth=1
	s_or_b32 exec_lo, exec_lo, s12
	s_wait_dscnt 0x0
	s_barrier_signal -1
	s_barrier_wait -1
	s_and_saveexec_b32 s9, s5
	s_cbranch_execz .LBB204_95
; %bb.94:                               ;   in Loop: Header=BB204_6 Depth=1
	ds_load_b32 v4, v3 offset:5144
	s_wait_dscnt 0x0
	v_ashrrev_i32_e32 v5, 31, v4
	ds_store_b64 v3, v[4:5] offset:5120
.LBB204_95:                             ;   in Loop: Header=BB204_6 Depth=1
	s_or_b32 exec_lo, exec_lo, s9
	s_wait_dscnt 0x0
	s_barrier_signal -1
	s_mov_b32 s9, -1
	s_barrier_wait -1
	s_and_b32 vcc_lo, exec_lo, s11
	s_cbranch_vccnz .LBB204_21
	s_branch .LBB204_36
.LBB204_96:                             ;   in Loop: Header=BB204_6 Depth=1
	s_or_b32 exec_lo, exec_lo, s22
	v_lshrrev_b32_e32 v8, 16, v6
	s_and_b32 s22, s49, exec_lo
.LBB204_97:                             ;   in Loop: Header=BB204_6 Depth=1
	s_or_b32 exec_lo, exec_lo, s28
.LBB204_98:                             ;   in Loop: Header=BB204_6 Depth=1
	s_delay_alu instid0(SALU_CYCLE_1)
	s_and_b32 vcc_lo, exec_lo, s23
	s_cbranch_vccz .LBB204_113
; %bb.99:                               ;   in Loop: Header=BB204_6 Depth=1
	s_and_b64 s[10:11], s[56:57], 0xffffffff00000000
	s_delay_alu instid0(SALU_CYCLE_1)
	s_cmp_lg_u64 s[10:11], 0
	s_cbranch_scc0 .LBB204_142
; %bb.100:                              ;   in Loop: Header=BB204_6 Depth=1
	s_cvt_f32_u32 s8, s34
	s_sub_nc_u64 s[20:21], 0, s[34:35]
	s_delay_alu instid0(SALU_CYCLE_2) | instskip(NEXT) | instid1(SALU_CYCLE_3)
	s_fmamk_f32 s8, s94, 0x0, s8
	v_s_rcp_f32 s8, s8
	s_delay_alu instid0(TRANS32_DEP_1) | instskip(NEXT) | instid1(SALU_CYCLE_3)
	s_mul_f32 s8, s8, 0x5f7ffffc
	s_mul_f32 s10, s8, 0x2f800000
	s_delay_alu instid0(SALU_CYCLE_3) | instskip(NEXT) | instid1(SALU_CYCLE_3)
	s_trunc_f32 s10, s10
	s_fmamk_f32 s8, s10, 0xcf800000, s8
	s_cvt_u32_f32 s11, s10
	s_delay_alu instid0(SALU_CYCLE_2) | instskip(NEXT) | instid1(SALU_CYCLE_3)
	s_cvt_u32_f32 s10, s8
	s_mul_u64 s[44:45], s[20:21], s[10:11]
	s_delay_alu instid0(SALU_CYCLE_1)
	s_mul_hi_u32 s51, s10, s45
	s_mul_i32 s50, s10, s45
	s_mul_hi_u32 s28, s10, s44
	s_mul_i32 s23, s11, s44
	s_add_nc_u64 s[50:51], s[28:29], s[50:51]
	s_mul_hi_u32 s8, s11, s44
	s_mul_hi_u32 s49, s11, s45
	s_add_co_u32 s23, s50, s23
	s_add_co_ci_u32 s28, s51, s8
	s_mul_i32 s44, s11, s45
	s_add_co_ci_u32 s45, s49, 0
	s_delay_alu instid0(SALU_CYCLE_1) | instskip(NEXT) | instid1(SALU_CYCLE_1)
	s_add_nc_u64 s[44:45], s[28:29], s[44:45]
	s_add_co_u32 s10, s10, s44
	s_cselect_b32 s8, -1, 0
	s_delay_alu instid0(SALU_CYCLE_1) | instskip(SKIP_1) | instid1(SALU_CYCLE_1)
	s_cmp_lg_u32 s8, 0
	s_add_co_ci_u32 s11, s11, s45
	s_mul_u64 s[20:21], s[20:21], s[10:11]
	s_delay_alu instid0(SALU_CYCLE_1)
	s_mul_hi_u32 s45, s10, s21
	s_mul_i32 s44, s10, s21
	s_mul_hi_u32 s28, s10, s20
	s_mul_i32 s23, s11, s20
	s_add_nc_u64 s[44:45], s[28:29], s[44:45]
	s_mul_hi_u32 s8, s11, s20
	s_mul_hi_u32 s49, s11, s21
	s_mul_i32 s20, s11, s21
	s_add_co_u32 s21, s44, s23
	s_add_co_ci_u32 s28, s45, s8
	s_add_co_ci_u32 s21, s49, 0
	s_delay_alu instid0(SALU_CYCLE_1) | instskip(NEXT) | instid1(SALU_CYCLE_1)
	s_add_nc_u64 s[20:21], s[28:29], s[20:21]
	s_add_co_u32 s8, s10, s20
	s_cselect_b32 s10, -1, 0
	s_mul_hi_u32 s28, s56, s8
	s_cmp_lg_u32 s10, 0
	s_mul_hi_u32 s23, s57, s8
	s_add_co_ci_u32 s20, s11, s21
	s_mul_i32 s8, s57, s8
	s_mul_hi_u32 s11, s56, s20
	s_mul_i32 s10, s56, s20
	s_mul_hi_u32 s21, s57, s20
	s_add_nc_u64 s[10:11], s[28:29], s[10:11]
	s_mul_i32 s20, s57, s20
	s_add_co_u32 s8, s10, s8
	s_add_co_ci_u32 s28, s11, s23
	s_add_co_ci_u32 s21, s21, 0
	s_delay_alu instid0(SALU_CYCLE_1) | instskip(NEXT) | instid1(SALU_CYCLE_1)
	s_add_nc_u64 s[10:11], s[28:29], s[20:21]
	s_and_b64 s[20:21], s[10:11], 0xffffffff00000000
	s_delay_alu instid0(SALU_CYCLE_1) | instskip(NEXT) | instid1(SALU_CYCLE_1)
	s_or_b32 s20, s20, s10
	s_mul_u64 s[10:11], s[34:35], s[20:21]
	s_delay_alu instid0(SALU_CYCLE_1) | instskip(SKIP_1) | instid1(SALU_CYCLE_1)
	s_sub_co_u32 s8, s56, s10
	s_cselect_b32 s10, -1, 0
	s_cmp_lg_u32 s10, 0
	s_sub_co_ci_u32 s10, s57, s11
	s_sub_co_u32 s11, s8, s34
	s_cselect_b32 s20, -1, 0
	s_delay_alu instid0(SALU_CYCLE_1) | instskip(SKIP_3) | instid1(SALU_CYCLE_1)
	s_cmp_lg_u32 s20, 0
	s_sub_co_ci_u32 s20, s10, 0
	s_sub_co_u32 s21, s11, s34
	s_cselect_b32 s23, -1, 0
	s_cmp_lg_u32 s23, 0
	s_sub_co_ci_u32 s23, s20, 0
	s_cmp_ge_u32 s11, s34
	s_cselect_b32 s28, -1, 0
	s_cmp_eq_u32 s20, 0
	s_cselect_b32 s28, s28, -1
	s_delay_alu instid0(SALU_CYCLE_1)
	s_cmp_lg_u32 s28, 0
	s_cselect_b32 s20, s23, s20
	s_cselect_b32 s21, s21, s11
	s_cmp_ge_u32 s8, s34
	s_cselect_b32 s11, -1, 0
	s_cmp_eq_u32 s10, 0
	s_cselect_b32 s11, s11, -1
	s_delay_alu instid0(SALU_CYCLE_1)
	s_cmp_lg_u32 s11, 0
	s_cselect_b32 s11, s20, s10
	s_cselect_b32 s10, s21, s8
	s_cbranch_execnz .LBB204_102
.LBB204_101:                            ;   in Loop: Header=BB204_6 Depth=1
	v_cvt_f32_u32_e32 v2, s34
	s_sub_co_i32 s10, 0, s34
	s_delay_alu instid0(VALU_DEP_1) | instskip(SKIP_1) | instid1(TRANS32_DEP_1)
	v_rcp_iflag_f32_e32 v2, v2
	v_nop
	v_mul_f32_e32 v2, 0x4f7ffffe, v2
	s_delay_alu instid0(VALU_DEP_1) | instskip(NEXT) | instid1(VALU_DEP_1)
	v_cvt_u32_f32_e32 v2, v2
	v_readfirstlane_b32 s8, v2
	s_mul_i32 s10, s10, s8
	s_delay_alu instid0(SALU_CYCLE_1) | instskip(NEXT) | instid1(SALU_CYCLE_1)
	s_mul_hi_u32 s10, s8, s10
	s_add_co_i32 s8, s8, s10
	s_delay_alu instid0(SALU_CYCLE_1) | instskip(NEXT) | instid1(SALU_CYCLE_1)
	s_mul_hi_u32 s8, s56, s8
	s_mul_i32 s8, s8, s34
	s_delay_alu instid0(SALU_CYCLE_1) | instskip(NEXT) | instid1(SALU_CYCLE_1)
	s_sub_co_i32 s8, s56, s8
	s_sub_co_i32 s10, s8, s34
	s_cmp_ge_u32 s8, s34
	s_cselect_b32 s8, s10, s8
	s_delay_alu instid0(SALU_CYCLE_1) | instskip(SKIP_2) | instid1(SALU_CYCLE_1)
	s_sub_co_i32 s10, s8, s34
	s_cmp_ge_u32 s8, s34
	s_cselect_b32 s28, s10, s8
	s_mov_b64 s[10:11], s[28:29]
.LBB204_102:                            ;   in Loop: Header=BB204_6 Depth=1
	s_delay_alu instid0(SALU_CYCLE_1)
	s_sub_nc_u64 s[10:11], s[56:57], s[10:11]
	s_mov_b32 s20, exec_lo
                                        ; implicit-def: $vgpr8
	v_cmpx_gt_u64_e64 s[10:11], v[0:1]
	s_cbranch_execz .LBB204_112
; %bb.103:                              ;   in Loop: Header=BB204_6 Depth=1
	v_mov_b64_e32 v[4:5], v[14:15]
	v_mov_b64_e32 v[6:7], v[0:1]
	s_mov_b32 s21, 0
                                        ; implicit-def: $sgpr23
	s_branch .LBB204_107
.LBB204_104:                            ;   in Loop: Header=BB204_107 Depth=2
	s_or_b32 exec_lo, exec_lo, s28
	s_wait_dscnt 0x0
	s_barrier_signal -1
	s_barrier_wait -1
	ds_load_b32 v2, v3 offset:3072
	s_wait_dscnt 0x0
	s_barrier_signal -1
	s_barrier_wait -1
	v_cmp_neq_f16_e32 vcc_lo, 0, v2
	s_cbranch_vccnz .LBB204_110
; %bb.105:                              ;   in Loop: Header=BB204_107 Depth=2
	v_add_nc_u64_e32 v[6:7], s[34:35], v[6:7]
	v_add_nc_u64_e32 v[4:5], s[40:41], v[4:5]
	s_mov_b32 s28, 0
	s_delay_alu instid0(VALU_DEP_2)
	v_cmp_le_u64_e32 vcc_lo, s[10:11], v[6:7]
	s_or_not1_b32 s49, vcc_lo, exec_lo
.LBB204_106:                            ;   in Loop: Header=BB204_107 Depth=2
	s_delay_alu instid0(SALU_CYCLE_1) | instskip(NEXT) | instid1(SALU_CYCLE_1)
	s_and_b32 s8, exec_lo, s49
	s_or_b32 s21, s8, s21
	s_and_not1_b32 s8, s23, exec_lo
	s_and_b32 s23, s28, exec_lo
	s_delay_alu instid0(SALU_CYCLE_1)
	s_or_b32 s23, s8, s23
	s_and_not1_b32 exec_lo, exec_lo, s21
	s_cbranch_execz .LBB204_111
.LBB204_107:                            ;   Parent Loop BB204_6 Depth=1
                                        ; =>  This Inner Loop Header: Depth=2
	s_mov_b32 s28, exec_lo
	s_delay_alu instid0(VALU_DEP_1)
	v_cmpx_gt_u64_e64 s[36:37], v[6:7]
	s_cbranch_execz .LBB204_104
; %bb.108:                              ;   in Loop: Header=BB204_107 Depth=2
	global_load_u16 v2, v[4:5], off
	s_wait_loadcnt 0x0
	v_cmp_lt_i16_e32 vcc_lo, -1, v2
	v_and_b32_e32 v8, 0xffff, v2
	v_cndmask_b32_e32 v9, 0xffff, v44, vcc_lo
	v_cmp_o_f16_e32 vcc_lo, v2, v2
	s_delay_alu instid0(VALU_DEP_2) | instskip(NEXT) | instid1(VALU_DEP_1)
	v_xor_b32_e32 v8, v9, v8
	v_cndmask_b32_e32 v8, 0xffff, v8, vcc_lo
	s_delay_alu instid0(VALU_DEP_1) | instskip(NEXT) | instid1(VALU_DEP_1)
	v_and_b32_e32 v8, v8, v11
	v_cmp_eq_u32_e32 vcc_lo, v8, v10
	s_and_b32 exec_lo, exec_lo, vcc_lo
	s_cbranch_execz .LBB204_104
; %bb.109:                              ;   in Loop: Header=BB204_107 Depth=2
	v_perm_b32 v2, v2, s95, 0x5040100
	ds_store_b32 v3, v2 offset:3072
	s_branch .LBB204_104
.LBB204_110:                            ;   in Loop: Header=BB204_107 Depth=2
	s_mov_b32 s49, -1
	s_mov_b32 s28, -1
                                        ; implicit-def: $vgpr6_vgpr7
                                        ; implicit-def: $vgpr4_vgpr5
	s_branch .LBB204_106
.LBB204_111:                            ;   in Loop: Header=BB204_6 Depth=1
	s_or_b32 exec_lo, exec_lo, s21
	v_lshrrev_b32_e32 v8, 16, v2
	s_and_not1_b32 s8, s22, exec_lo
	s_and_b32 s10, s23, exec_lo
	s_delay_alu instid0(SALU_CYCLE_1)
	s_or_b32 s22, s8, s10
.LBB204_112:                            ;   in Loop: Header=BB204_6 Depth=1
	s_or_b32 exec_lo, exec_lo, s20
	s_mov_b32 s72, 0
	s_mov_b32 s73, -1
.LBB204_113:                            ;   in Loop: Header=BB204_6 Depth=1
	s_or_not1_b32 s10, s22, exec_lo
.LBB204_114:                            ;   in Loop: Header=BB204_6 Depth=1
	s_or_b32 exec_lo, exec_lo, s27
	s_mov_b32 s74, 0
	s_mov_b32 s49, 0
	s_mov_b32 s27, 0
                                        ; implicit-def: $vgpr4_vgpr5
                                        ; implicit-def: $vgpr2
	s_and_saveexec_b32 s75, s10
	s_cbranch_execz .LBB204_278
; %bb.115:                              ;   in Loop: Header=BB204_6 Depth=1
	v_mov_b64_e32 v[4:5], 1
	v_mov_b32_e32 v2, 1
	s_xor_b32 s8, s76, -1
	s_mov_b32 s11, 0
	s_and_saveexec_b32 s10, s8
	s_cbranch_execz .LBB204_124
; %bb.116:                              ;   in Loop: Header=BB204_6 Depth=1
	s_mov_b32 s8, exec_lo
	v_cmpx_ge_u64_e64 s[12:13], v[30:31]
	s_xor_b32 s11, exec_lo, s8
	s_cbranch_execz .LBB204_121
; %bb.117:                              ;   in Loop: Header=BB204_6 Depth=1
	ds_load_b64 v[4:5], v3 offset:5120
	v_and_b32_e32 v10, s25, v10
	v_or_b32_e32 v11, s24, v11
	s_wait_dscnt 0x0
	v_cmp_ne_u64_e32 vcc_lo, 0, v[4:5]
	s_cbranch_vccnz .LBB204_121
; %bb.118:                              ;   in Loop: Header=BB204_6 Depth=1
	s_and_saveexec_b32 s20, s5
; %bb.119:                              ;   in Loop: Header=BB204_6 Depth=1
	v_mov_b64_e32 v[4:5], s[12:13]
	ds_store_b64 v3, v[4:5] offset:5128
; %bb.120:                              ;   in Loop: Header=BB204_6 Depth=1
	s_or_b32 exec_lo, exec_lo, s20
	s_wait_dscnt 0x0
	s_barrier_signal -1
	s_barrier_wait -1
.LBB204_121:                            ;   in Loop: Header=BB204_6 Depth=1
	s_or_saveexec_b32 s11, s11
	v_mov_b64_e32 v[4:5], v[30:31]
	v_mov_b32_e32 v2, 8
	s_mov_b32 s20, 0
	s_xor_b32 exec_lo, exec_lo, s11
; %bb.122:                              ;   in Loop: Header=BB204_6 Depth=1
	v_sub_nc_u64_e64 v[4:5], v[30:31], s[12:13]
	v_mov_b32_e32 v2, 0
	s_mov_b32 s20, exec_lo
; %bb.123:                              ;   in Loop: Header=BB204_6 Depth=1
	s_or_b32 exec_lo, exec_lo, s11
	s_delay_alu instid0(SALU_CYCLE_1)
	s_and_b32 s11, s20, exec_lo
.LBB204_124:                            ;   in Loop: Header=BB204_6 Depth=1
	s_or_b32 exec_lo, exec_lo, s10
	s_mov_b32 s10, -1
                                        ; implicit-def: $sgpr49
                                        ; implicit-def: $sgpr76
	s_and_saveexec_b32 s8, s11
	s_delay_alu instid0(SALU_CYCLE_1)
	s_xor_b32 s27, exec_lo, s8
	s_cbranch_execz .LBB204_275
; %bb.125:                              ;   in Loop: Header=BB204_6 Depth=1
	v_cmp_eq_u64_e32 vcc_lo, 1, v[4:5]
	s_cmp_eq_u64 s[14:15], 1
                                        ; implicit-def: $sgpr76
                                        ; implicit-def: $sgpr49
	s_cselect_b32 s10, -1, 0
	s_delay_alu instid0(SALU_CYCLE_1)
	s_and_b32 s78, s10, vcc_lo
	s_mov_b32 s10, -1
	s_and_saveexec_b32 s77, s78
	s_cbranch_execz .LBB204_161
; %bb.126:                              ;   in Loop: Header=BB204_6 Depth=1
	ds_load_b64 v[6:7], v3 offset:5120
	s_wait_dscnt 0x0
	s_barrier_signal -1
	s_barrier_wait -1
	v_readfirstlane_b32 s10, v6
	v_readfirstlane_b32 s11, v7
	s_and_saveexec_b32 s20, s6
; %bb.127:                              ;   in Loop: Header=BB204_6 Depth=1
	ds_store_b16 v39, v3
; %bb.128:                              ;   in Loop: Header=BB204_6 Depth=1
	s_or_b32 exec_lo, exec_lo, s20
	s_lshl_b32 s20, 1, s96
	v_or_b32_e32 v11, s24, v11
	v_and_or_b32 v10, v10, s25, s20
	s_mov_b32 s49, -1
	s_mov_b32 s76, 0
	s_cmp_eq_u64 s[10:11], 0
	s_mov_b32 s22, 0
	s_mov_b32 s23, -1
	s_wait_dscnt 0x0
	s_barrier_signal -1
	s_barrier_wait -1
                                        ; implicit-def: $vgpr8
	s_cbranch_scc1 .LBB204_145
; %bb.129:                              ;   in Loop: Header=BB204_6 Depth=1
	s_add_nc_u64 s[20:21], s[10:11], s[54:55]
	s_delay_alu instid0(SALU_CYCLE_1) | instskip(NEXT) | instid1(SALU_CYCLE_1)
	s_and_b64 s[22:23], s[20:21], 0xffffffff00000000
	s_cmp_lg_u64 s[22:23], 0
	s_cbranch_scc0 .LBB204_188
; %bb.130:                              ;   in Loop: Header=BB204_6 Depth=1
	s_cvt_f32_u32 s22, s34
	s_sub_nc_u64 s[50:51], 0, s[34:35]
	s_delay_alu instid0(SALU_CYCLE_2) | instskip(NEXT) | instid1(SALU_CYCLE_3)
	s_fmamk_f32 s22, s94, 0x0, s22
	v_s_rcp_f32 s22, s22
	s_delay_alu instid0(TRANS32_DEP_1) | instskip(NEXT) | instid1(SALU_CYCLE_3)
	s_mul_f32 s22, s22, 0x5f7ffffc
	s_mul_f32 s23, s22, 0x2f800000
	s_delay_alu instid0(SALU_CYCLE_3) | instskip(NEXT) | instid1(SALU_CYCLE_3)
	s_trunc_f32 s23, s23
	s_fmamk_f32 s22, s23, 0xcf800000, s22
	s_cvt_u32_f32 s23, s23
	s_delay_alu instid0(SALU_CYCLE_2) | instskip(NEXT) | instid1(SALU_CYCLE_3)
	s_cvt_u32_f32 s22, s22
	s_mul_u64 s[52:53], s[50:51], s[22:23]
	s_delay_alu instid0(SALU_CYCLE_1)
	s_mul_hi_u32 s81, s22, s53
	s_mul_i32 s80, s22, s53
	s_mul_hi_u32 s28, s22, s52
	s_mul_i32 s45, s23, s52
	s_add_nc_u64 s[80:81], s[28:29], s[80:81]
	s_mul_hi_u32 s44, s23, s52
	s_mul_hi_u32 s66, s23, s53
	s_add_co_u32 s28, s80, s45
	s_add_co_ci_u32 s28, s81, s44
	s_mul_i32 s52, s23, s53
	s_add_co_ci_u32 s53, s66, 0
	s_delay_alu instid0(SALU_CYCLE_1) | instskip(NEXT) | instid1(SALU_CYCLE_1)
	s_add_nc_u64 s[52:53], s[28:29], s[52:53]
	s_add_co_u32 s22, s22, s52
	s_cselect_b32 s28, -1, 0
	s_delay_alu instid0(SALU_CYCLE_1) | instskip(SKIP_1) | instid1(SALU_CYCLE_1)
	s_cmp_lg_u32 s28, 0
	s_add_co_ci_u32 s23, s23, s53
	s_mul_u64 s[50:51], s[50:51], s[22:23]
	s_delay_alu instid0(SALU_CYCLE_1)
	s_mul_hi_u32 s53, s22, s51
	s_mul_i32 s52, s22, s51
	s_mul_hi_u32 s28, s22, s50
	s_mul_i32 s45, s23, s50
	s_add_nc_u64 s[52:53], s[28:29], s[52:53]
	s_mul_hi_u32 s44, s23, s50
	s_mul_hi_u32 s66, s23, s51
	s_add_co_u32 s28, s52, s45
	s_add_co_ci_u32 s28, s53, s44
	s_mul_i32 s50, s23, s51
	s_add_co_ci_u32 s51, s66, 0
	s_delay_alu instid0(SALU_CYCLE_1) | instskip(NEXT) | instid1(SALU_CYCLE_1)
	s_add_nc_u64 s[50:51], s[28:29], s[50:51]
	s_add_co_u32 s22, s22, s50
	s_cselect_b32 s44, -1, 0
	s_mul_hi_u32 s28, s20, s22
	s_cmp_lg_u32 s44, 0
	s_mul_hi_u32 s44, s21, s22
	s_add_co_ci_u32 s45, s23, s51
	s_mul_i32 s51, s21, s22
	s_mul_hi_u32 s23, s20, s45
	s_mul_i32 s22, s20, s45
	s_mul_hi_u32 s52, s21, s45
	s_add_nc_u64 s[22:23], s[28:29], s[22:23]
	s_mul_i32 s50, s21, s45
	s_add_co_u32 s22, s22, s51
	s_add_co_ci_u32 s28, s23, s44
	s_add_co_ci_u32 s51, s52, 0
	s_delay_alu instid0(SALU_CYCLE_1) | instskip(NEXT) | instid1(SALU_CYCLE_1)
	s_add_nc_u64 s[22:23], s[28:29], s[50:51]
	s_and_b64 s[50:51], s[22:23], 0xffffffff00000000
	s_delay_alu instid0(SALU_CYCLE_1) | instskip(NEXT) | instid1(SALU_CYCLE_1)
	s_or_b32 s50, s50, s22
	s_mul_u64 s[22:23], s[34:35], s[50:51]
	s_delay_alu instid0(SALU_CYCLE_1) | instskip(SKIP_1) | instid1(SALU_CYCLE_1)
	s_sub_co_u32 s22, s20, s22
	s_cselect_b32 s28, -1, 0
	s_cmp_lg_u32 s28, 0
	s_sub_co_ci_u32 s23, s21, s23
	s_sub_co_u32 s28, s22, s34
	s_cselect_b32 s44, -1, 0
	s_delay_alu instid0(SALU_CYCLE_1) | instskip(SKIP_3) | instid1(SALU_CYCLE_1)
	s_cmp_lg_u32 s44, 0
	s_sub_co_ci_u32 s44, s23, 0
	s_sub_co_u32 s45, s28, s34
	s_cselect_b32 s50, -1, 0
	s_cmp_lg_u32 s50, 0
	s_sub_co_ci_u32 s50, s44, 0
	s_cmp_ge_u32 s28, s34
	s_cselect_b32 s51, -1, 0
	s_cmp_eq_u32 s44, 0
	s_cselect_b32 s51, s51, -1
	s_delay_alu instid0(SALU_CYCLE_1)
	s_cmp_lg_u32 s51, 0
	s_cselect_b32 s44, s50, s44
	s_cselect_b32 s28, s45, s28
	s_cmp_ge_u32 s22, s34
	s_cselect_b32 s45, -1, 0
	s_cmp_eq_u32 s23, 0
	s_cselect_b32 s45, s45, -1
	s_delay_alu instid0(SALU_CYCLE_1)
	s_cmp_lg_u32 s45, 0
	s_cselect_b32 s23, s44, s23
	s_cselect_b32 s22, s28, s22
	s_cbranch_execnz .LBB204_132
.LBB204_131:                            ;   in Loop: Header=BB204_6 Depth=1
	v_cvt_f32_u32_e32 v6, s34
	s_sub_co_i32 s23, 0, s34
	s_delay_alu instid0(VALU_DEP_1) | instskip(SKIP_1) | instid1(TRANS32_DEP_1)
	v_rcp_iflag_f32_e32 v6, v6
	v_nop
	v_mul_f32_e32 v6, 0x4f7ffffe, v6
	s_delay_alu instid0(VALU_DEP_1) | instskip(NEXT) | instid1(VALU_DEP_1)
	v_cvt_u32_f32_e32 v6, v6
	v_readfirstlane_b32 s22, v6
	s_mul_i32 s23, s23, s22
	s_delay_alu instid0(SALU_CYCLE_1) | instskip(NEXT) | instid1(SALU_CYCLE_1)
	s_mul_hi_u32 s23, s22, s23
	s_add_co_i32 s22, s22, s23
	s_delay_alu instid0(SALU_CYCLE_1) | instskip(NEXT) | instid1(SALU_CYCLE_1)
	s_mul_hi_u32 s22, s20, s22
	s_mul_i32 s22, s22, s34
	s_delay_alu instid0(SALU_CYCLE_1) | instskip(NEXT) | instid1(SALU_CYCLE_1)
	s_sub_co_i32 s22, s20, s22
	s_sub_co_i32 s23, s22, s34
	s_cmp_ge_u32 s22, s34
	s_cselect_b32 s22, s23, s22
	s_delay_alu instid0(SALU_CYCLE_1) | instskip(SKIP_2) | instid1(SALU_CYCLE_1)
	s_sub_co_i32 s23, s22, s34
	s_cmp_ge_u32 s22, s34
	s_cselect_b32 s28, s23, s22
	s_mov_b64 s[22:23], s[28:29]
.LBB204_132:                            ;   in Loop: Header=BB204_6 Depth=1
	s_delay_alu instid0(SALU_CYCLE_1)
	s_sub_nc_u64 s[20:21], s[20:21], s[22:23]
	s_mov_b32 s23, 0
	s_mov_b32 s22, 0
	s_mov_b32 s28, exec_lo
                                        ; implicit-def: $vgpr8
	v_cmpx_gt_u64_e64 s[20:21], v[0:1]
	s_cbranch_execz .LBB204_144
; %bb.133:                              ;   in Loop: Header=BB204_6 Depth=1
	v_mov_b64_e32 v[6:7], v[0:1]
	v_mov_b32_e32 v8, v38
                                        ; implicit-def: $sgpr50
	s_branch .LBB204_137
.LBB204_134:                            ;   in Loop: Header=BB204_137 Depth=2
	s_or_b32 exec_lo, exec_lo, s51
	s_wait_dscnt 0x0
	s_barrier_signal -1
	s_barrier_wait -1
	ds_load_b32 v9, v3 offset:3072
	s_wait_dscnt 0x0
	s_barrier_signal -1
	s_barrier_wait -1
	v_cmp_neq_f16_e32 vcc_lo, 0, v9
	s_cbranch_vccnz .LBB204_140
; %bb.135:                              ;   in Loop: Header=BB204_137 Depth=2
	v_add_nc_u64_e32 v[6:7], s[34:35], v[6:7]
	v_add_nc_u32_e32 v8, s93, v8
	s_mov_b32 s51, 0
	s_delay_alu instid0(VALU_DEP_2)
	v_cmp_le_u64_e32 vcc_lo, s[20:21], v[6:7]
	s_or_not1_b32 s52, vcc_lo, exec_lo
.LBB204_136:                            ;   in Loop: Header=BB204_137 Depth=2
	s_delay_alu instid0(SALU_CYCLE_1) | instskip(NEXT) | instid1(SALU_CYCLE_1)
	s_and_b32 s8, exec_lo, s52
	s_or_b32 s22, s8, s22
	s_and_not1_b32 s8, s50, exec_lo
	s_and_b32 s44, s51, exec_lo
	s_delay_alu instid0(SALU_CYCLE_1)
	s_or_b32 s50, s8, s44
	s_and_not1_b32 exec_lo, exec_lo, s22
	s_cbranch_execz .LBB204_143
.LBB204_137:                            ;   Parent Loop BB204_6 Depth=1
                                        ; =>  This Inner Loop Header: Depth=2
	s_mov_b32 s51, exec_lo
	s_delay_alu instid0(VALU_DEP_2)
	v_cmpx_gt_u64_e64 s[10:11], v[6:7]
	s_cbranch_execz .LBB204_134
; %bb.138:                              ;   in Loop: Header=BB204_137 Depth=2
	ds_load_u16 v9, v8
	s_wait_dscnt 0x0
	v_cmp_lt_i16_e32 vcc_lo, -1, v9
	v_and_b32_e32 v32, 0xffff, v9
	v_cndmask_b32_e32 v33, 0xffff, v44, vcc_lo
	v_cmp_o_f16_e32 vcc_lo, v9, v9
	s_delay_alu instid0(VALU_DEP_2) | instskip(NEXT) | instid1(VALU_DEP_1)
	v_xor_b32_e32 v32, v33, v32
	v_cndmask_b32_e32 v32, 0xffff, v32, vcc_lo
	s_delay_alu instid0(VALU_DEP_1) | instskip(NEXT) | instid1(VALU_DEP_1)
	v_and_b32_e32 v32, v32, v11
	v_cmp_eq_u32_e32 vcc_lo, v32, v10
	s_and_b32 exec_lo, exec_lo, vcc_lo
	s_cbranch_execz .LBB204_134
; %bb.139:                              ;   in Loop: Header=BB204_137 Depth=2
	v_perm_b32 v9, v9, s95, 0x5040100
	ds_store_b32 v3, v9 offset:3072
	s_branch .LBB204_134
.LBB204_140:                            ;   in Loop: Header=BB204_137 Depth=2
	s_mov_b32 s52, -1
	s_mov_b32 s51, -1
                                        ; implicit-def: $vgpr6_vgpr7
                                        ; implicit-def: $vgpr8
	s_branch .LBB204_136
.LBB204_141:                            ;   in Loop: Header=BB204_6 Depth=1
                                        ; implicit-def: $sgpr22_sgpr23
	s_branch .LBB204_83
.LBB204_142:                            ;   in Loop: Header=BB204_6 Depth=1
                                        ; implicit-def: $sgpr10_sgpr11
	s_branch .LBB204_101
.LBB204_143:                            ;   in Loop: Header=BB204_6 Depth=1
	s_or_b32 exec_lo, exec_lo, s22
	v_lshrrev_b32_e32 v8, 16, v9
	s_and_b32 s22, s50, exec_lo
.LBB204_144:                            ;   in Loop: Header=BB204_6 Depth=1
	s_or_b32 exec_lo, exec_lo, s28
.LBB204_145:                            ;   in Loop: Header=BB204_6 Depth=1
	s_delay_alu instid0(SALU_CYCLE_1)
	s_and_b32 vcc_lo, exec_lo, s23
	s_cbranch_vccz .LBB204_160
; %bb.146:                              ;   in Loop: Header=BB204_6 Depth=1
	s_and_b64 s[10:11], s[56:57], 0xffffffff00000000
	s_delay_alu instid0(SALU_CYCLE_1)
	s_cmp_lg_u64 s[10:11], 0
	s_cbranch_scc0 .LBB204_189
; %bb.147:                              ;   in Loop: Header=BB204_6 Depth=1
	s_cvt_f32_u32 s10, s34
	s_sub_nc_u64 s[20:21], 0, s[34:35]
	s_delay_alu instid0(SALU_CYCLE_2) | instskip(NEXT) | instid1(SALU_CYCLE_3)
	s_fmamk_f32 s10, s94, 0x0, s10
	v_s_rcp_f32 s10, s10
	s_delay_alu instid0(TRANS32_DEP_1) | instskip(NEXT) | instid1(SALU_CYCLE_3)
	s_mul_f32 s10, s10, 0x5f7ffffc
	s_mul_f32 s11, s10, 0x2f800000
	s_delay_alu instid0(SALU_CYCLE_3) | instskip(NEXT) | instid1(SALU_CYCLE_3)
	s_trunc_f32 s11, s11
	s_fmamk_f32 s10, s11, 0xcf800000, s10
	s_cvt_u32_f32 s11, s11
	s_delay_alu instid0(SALU_CYCLE_2) | instskip(NEXT) | instid1(SALU_CYCLE_3)
	s_cvt_u32_f32 s10, s10
	s_mul_u64 s[50:51], s[20:21], s[10:11]
	s_delay_alu instid0(SALU_CYCLE_1)
	s_mul_hi_u32 s53, s10, s51
	s_mul_i32 s52, s10, s51
	s_mul_hi_u32 s28, s10, s50
	s_mul_i32 s44, s11, s50
	s_add_nc_u64 s[52:53], s[28:29], s[52:53]
	s_mul_hi_u32 s23, s11, s50
	s_mul_hi_u32 s45, s11, s51
	s_add_co_u32 s28, s52, s44
	s_add_co_ci_u32 s28, s53, s23
	s_mul_i32 s50, s11, s51
	s_add_co_ci_u32 s51, s45, 0
	s_delay_alu instid0(SALU_CYCLE_1) | instskip(NEXT) | instid1(SALU_CYCLE_1)
	s_add_nc_u64 s[50:51], s[28:29], s[50:51]
	s_add_co_u32 s10, s10, s50
	s_cselect_b32 s23, -1, 0
	s_delay_alu instid0(SALU_CYCLE_1) | instskip(SKIP_1) | instid1(SALU_CYCLE_1)
	s_cmp_lg_u32 s23, 0
	s_add_co_ci_u32 s11, s11, s51
	s_mul_u64 s[20:21], s[20:21], s[10:11]
	s_delay_alu instid0(SALU_CYCLE_1)
	s_mul_hi_u32 s51, s10, s21
	s_mul_i32 s50, s10, s21
	s_mul_hi_u32 s28, s10, s20
	s_mul_i32 s44, s11, s20
	s_add_nc_u64 s[50:51], s[28:29], s[50:51]
	s_mul_hi_u32 s23, s11, s20
	s_mul_hi_u32 s45, s11, s21
	s_mul_i32 s20, s11, s21
	s_add_co_u32 s21, s50, s44
	s_add_co_ci_u32 s28, s51, s23
	s_add_co_ci_u32 s21, s45, 0
	s_delay_alu instid0(SALU_CYCLE_1) | instskip(NEXT) | instid1(SALU_CYCLE_1)
	s_add_nc_u64 s[20:21], s[28:29], s[20:21]
	s_add_co_u32 s10, s10, s20
	s_cselect_b32 s20, -1, 0
	s_mul_hi_u32 s28, s56, s10
	s_cmp_lg_u32 s20, 0
	s_mul_hi_u32 s23, s57, s10
	s_add_co_ci_u32 s20, s11, s21
	s_mul_i32 s21, s57, s10
	s_mul_hi_u32 s11, s56, s20
	s_mul_i32 s10, s56, s20
	s_mul_hi_u32 s44, s57, s20
	s_add_nc_u64 s[10:11], s[28:29], s[10:11]
	s_mul_i32 s20, s57, s20
	s_add_co_u32 s10, s10, s21
	s_add_co_ci_u32 s28, s11, s23
	s_add_co_ci_u32 s21, s44, 0
	s_delay_alu instid0(SALU_CYCLE_1) | instskip(NEXT) | instid1(SALU_CYCLE_1)
	s_add_nc_u64 s[10:11], s[28:29], s[20:21]
	s_and_b64 s[20:21], s[10:11], 0xffffffff00000000
	s_delay_alu instid0(SALU_CYCLE_1) | instskip(NEXT) | instid1(SALU_CYCLE_1)
	s_or_b32 s20, s20, s10
	s_mul_u64 s[10:11], s[34:35], s[20:21]
	s_delay_alu instid0(SALU_CYCLE_1) | instskip(SKIP_1) | instid1(SALU_CYCLE_1)
	s_sub_co_u32 s10, s56, s10
	s_cselect_b32 s20, -1, 0
	s_cmp_lg_u32 s20, 0
	s_sub_co_ci_u32 s11, s57, s11
	s_sub_co_u32 s20, s10, s34
	s_cselect_b32 s21, -1, 0
	s_delay_alu instid0(SALU_CYCLE_1) | instskip(SKIP_3) | instid1(SALU_CYCLE_1)
	s_cmp_lg_u32 s21, 0
	s_sub_co_ci_u32 s21, s11, 0
	s_sub_co_u32 s23, s20, s34
	s_cselect_b32 s28, -1, 0
	s_cmp_lg_u32 s28, 0
	s_sub_co_ci_u32 s28, s21, 0
	s_cmp_ge_u32 s20, s34
	s_cselect_b32 s44, -1, 0
	s_cmp_eq_u32 s21, 0
	s_cselect_b32 s44, s44, -1
	s_delay_alu instid0(SALU_CYCLE_1)
	s_cmp_lg_u32 s44, 0
	s_cselect_b32 s21, s28, s21
	s_cselect_b32 s20, s23, s20
	s_cmp_ge_u32 s10, s34
	s_cselect_b32 s23, -1, 0
	s_cmp_eq_u32 s11, 0
	s_cselect_b32 s23, s23, -1
	s_delay_alu instid0(SALU_CYCLE_1)
	s_cmp_lg_u32 s23, 0
	s_cselect_b32 s11, s21, s11
	s_cselect_b32 s10, s20, s10
	s_cbranch_execnz .LBB204_149
.LBB204_148:                            ;   in Loop: Header=BB204_6 Depth=1
	v_cvt_f32_u32_e32 v6, s34
	s_sub_co_i32 s11, 0, s34
	s_delay_alu instid0(VALU_DEP_1) | instskip(SKIP_1) | instid1(TRANS32_DEP_1)
	v_rcp_iflag_f32_e32 v6, v6
	v_nop
	v_mul_f32_e32 v6, 0x4f7ffffe, v6
	s_delay_alu instid0(VALU_DEP_1) | instskip(NEXT) | instid1(VALU_DEP_1)
	v_cvt_u32_f32_e32 v6, v6
	v_readfirstlane_b32 s10, v6
	s_mul_i32 s11, s11, s10
	s_delay_alu instid0(SALU_CYCLE_1) | instskip(NEXT) | instid1(SALU_CYCLE_1)
	s_mul_hi_u32 s11, s10, s11
	s_add_co_i32 s10, s10, s11
	s_delay_alu instid0(SALU_CYCLE_1) | instskip(NEXT) | instid1(SALU_CYCLE_1)
	s_mul_hi_u32 s10, s56, s10
	s_mul_i32 s10, s10, s34
	s_delay_alu instid0(SALU_CYCLE_1) | instskip(NEXT) | instid1(SALU_CYCLE_1)
	s_sub_co_i32 s10, s56, s10
	s_sub_co_i32 s11, s10, s34
	s_cmp_ge_u32 s10, s34
	s_cselect_b32 s10, s11, s10
	s_delay_alu instid0(SALU_CYCLE_1) | instskip(SKIP_2) | instid1(SALU_CYCLE_1)
	s_sub_co_i32 s11, s10, s34
	s_cmp_ge_u32 s10, s34
	s_cselect_b32 s28, s11, s10
	s_mov_b64 s[10:11], s[28:29]
.LBB204_149:                            ;   in Loop: Header=BB204_6 Depth=1
	s_delay_alu instid0(SALU_CYCLE_1)
	s_sub_nc_u64 s[10:11], s[56:57], s[10:11]
	s_mov_b32 s20, exec_lo
                                        ; implicit-def: $vgpr8
	v_nop
	v_cmpx_gt_u64_e64 s[10:11], v[0:1]
	s_cbranch_execz .LBB204_159
; %bb.150:                              ;   in Loop: Header=BB204_6 Depth=1
	v_mov_b64_e32 v[6:7], v[14:15]
	v_mov_b64_e32 v[8:9], v[0:1]
	s_mov_b32 s21, 0
                                        ; implicit-def: $sgpr23
	s_branch .LBB204_154
.LBB204_151:                            ;   in Loop: Header=BB204_154 Depth=2
	s_or_b32 exec_lo, exec_lo, s28
	s_wait_dscnt 0x0
	s_barrier_signal -1
	s_barrier_wait -1
	ds_load_b32 v32, v3 offset:3072
	s_wait_dscnt 0x0
	s_barrier_signal -1
	s_barrier_wait -1
	v_cmp_eq_f16_e32 vcc_lo, 0, v32
	s_cbranch_vccz .LBB204_157
; %bb.152:                              ;   in Loop: Header=BB204_154 Depth=2
	v_add_nc_u64_e32 v[8:9], s[34:35], v[8:9]
	v_add_nc_u64_e32 v[6:7], s[40:41], v[6:7]
	s_mov_b32 s28, 0
	s_delay_alu instid0(VALU_DEP_2)
	v_cmp_le_u64_e32 vcc_lo, s[10:11], v[8:9]
	s_or_not1_b32 s49, vcc_lo, exec_lo
.LBB204_153:                            ;   in Loop: Header=BB204_154 Depth=2
	s_delay_alu instid0(SALU_CYCLE_1) | instskip(NEXT) | instid1(SALU_CYCLE_1)
	s_and_b32 s8, exec_lo, s49
	s_or_b32 s21, s8, s21
	s_and_not1_b32 s8, s23, exec_lo
	s_and_b32 s23, s28, exec_lo
	s_delay_alu instid0(SALU_CYCLE_1)
	s_or_b32 s23, s8, s23
	s_and_not1_b32 exec_lo, exec_lo, s21
	s_cbranch_execz .LBB204_158
.LBB204_154:                            ;   Parent Loop BB204_6 Depth=1
                                        ; =>  This Inner Loop Header: Depth=2
	s_mov_b32 s28, exec_lo
	s_delay_alu instid0(VALU_DEP_1)
	v_cmpx_gt_u64_e64 s[36:37], v[8:9]
	s_cbranch_execz .LBB204_151
; %bb.155:                              ;   in Loop: Header=BB204_154 Depth=2
	global_load_u16 v32, v[6:7], off
	s_wait_loadcnt 0x0
	v_cmp_lt_i16_e32 vcc_lo, -1, v32
	v_and_b32_e32 v33, 0xffff, v32
	v_cndmask_b32_e32 v34, 0xffff, v44, vcc_lo
	v_cmp_o_f16_e32 vcc_lo, v32, v32
	s_delay_alu instid0(VALU_DEP_2) | instskip(NEXT) | instid1(VALU_DEP_1)
	v_xor_b32_e32 v33, v34, v33
	v_cndmask_b32_e32 v33, 0xffff, v33, vcc_lo
	s_delay_alu instid0(VALU_DEP_1) | instskip(NEXT) | instid1(VALU_DEP_1)
	v_and_b32_e32 v33, v33, v11
	v_cmp_eq_u32_e32 vcc_lo, v33, v10
	s_and_b32 exec_lo, exec_lo, vcc_lo
	s_cbranch_execz .LBB204_151
; %bb.156:                              ;   in Loop: Header=BB204_154 Depth=2
	v_perm_b32 v32, v32, s95, 0x5040100
	ds_store_b32 v3, v32 offset:3072
	s_branch .LBB204_151
.LBB204_157:                            ;   in Loop: Header=BB204_154 Depth=2
	s_mov_b32 s49, -1
	s_mov_b32 s28, -1
                                        ; implicit-def: $vgpr8_vgpr9
                                        ; implicit-def: $vgpr6_vgpr7
	s_branch .LBB204_153
.LBB204_158:                            ;   in Loop: Header=BB204_6 Depth=1
	s_or_b32 exec_lo, exec_lo, s21
	v_lshrrev_b32_e32 v8, 16, v32
	s_and_not1_b32 s8, s22, exec_lo
	s_and_b32 s10, s23, exec_lo
	s_delay_alu instid0(SALU_CYCLE_1)
	s_or_b32 s22, s8, s10
.LBB204_159:                            ;   in Loop: Header=BB204_6 Depth=1
	s_or_b32 exec_lo, exec_lo, s20
	s_mov_b32 s49, 0
	s_mov_b32 s76, -1
.LBB204_160:                            ;   in Loop: Header=BB204_6 Depth=1
	s_or_not1_b32 s10, s22, exec_lo
.LBB204_161:                            ;   in Loop: Header=BB204_6 Depth=1
	s_or_b32 exec_lo, exec_lo, s77
	s_mov_b32 s11, 0
	s_and_saveexec_b32 s77, s10
	s_cbranch_execz .LBB204_274
; %bb.162:                              ;   in Loop: Header=BB204_6 Depth=1
	v_mov_b64_e32 v[6:7], 1
	v_mov_b32_e32 v2, 1
	s_xor_b32 s20, s78, -1
	s_delay_alu instid0(SALU_CYCLE_1)
	s_and_saveexec_b32 s10, s20
	s_cbranch_execz .LBB204_171
; %bb.163:                              ;   in Loop: Header=BB204_6 Depth=1
	s_mov_b32 s11, exec_lo
	v_cmpx_ge_u64_e64 s[14:15], v[4:5]
	s_xor_b32 s11, exec_lo, s11
	s_cbranch_execz .LBB204_168
; %bb.164:                              ;   in Loop: Header=BB204_6 Depth=1
	ds_load_b64 v[6:7], v3 offset:5120
	s_lshl_b32 s20, 1, s96
	v_or_b32_e32 v11, s24, v11
	v_and_or_b32 v10, v10, s25, s20
	s_wait_dscnt 0x0
	v_cmp_ne_u64_e32 vcc_lo, 0, v[6:7]
	s_cbranch_vccnz .LBB204_168
; %bb.165:                              ;   in Loop: Header=BB204_6 Depth=1
	s_and_saveexec_b32 s20, s5
; %bb.166:                              ;   in Loop: Header=BB204_6 Depth=1
	v_mov_b64_e32 v[6:7], s[14:15]
	ds_store_b64 v3, v[6:7] offset:5128
; %bb.167:                              ;   in Loop: Header=BB204_6 Depth=1
	s_or_b32 exec_lo, exec_lo, s20
	s_wait_dscnt 0x0
	s_barrier_signal -1
	s_barrier_wait -1
.LBB204_168:                            ;   in Loop: Header=BB204_6 Depth=1
	s_or_saveexec_b32 s11, s11
	v_mov_b32_e32 v2, 8
	s_mov_b32 s20, 0
	s_xor_b32 exec_lo, exec_lo, s11
; %bb.169:                              ;   in Loop: Header=BB204_6 Depth=1
	v_sub_nc_u64_e64 v[4:5], v[4:5], s[14:15]
	v_mov_b32_e32 v2, 0
	s_mov_b32 s20, exec_lo
; %bb.170:                              ;   in Loop: Header=BB204_6 Depth=1
	s_or_b32 exec_lo, exec_lo, s11
	s_delay_alu instid0(VALU_DEP_2)
	v_mov_b64_e32 v[6:7], v[4:5]
	s_and_b32 s11, s20, exec_lo
.LBB204_171:                            ;   in Loop: Header=BB204_6 Depth=1
	s_or_b32 exec_lo, exec_lo, s10
	s_mov_b32 s10, -1
                                        ; implicit-def: $sgpr79
                                        ; implicit-def: $sgpr80
	s_and_saveexec_b32 s78, s11
	s_cbranch_execz .LBB204_273
; %bb.172:                              ;   in Loop: Header=BB204_6 Depth=1
	s_delay_alu instid0(VALU_DEP_1) | instskip(SKIP_2) | instid1(SALU_CYCLE_1)
	v_cmp_eq_u64_e32 vcc_lo, 1, v[6:7]
	s_cmp_eq_u64 s[16:17], 1
                                        ; implicit-def: $sgpr80
                                        ; implicit-def: $sgpr79
	s_cselect_b32 s10, -1, 0
	s_and_b32 s82, s10, vcc_lo
	s_mov_b32 s10, -1
	s_and_saveexec_b32 s81, s82
	s_cbranch_execz .LBB204_208
; %bb.173:                              ;   in Loop: Header=BB204_6 Depth=1
	ds_load_b64 v[4:5], v3 offset:5120
	s_wait_dscnt 0x0
	s_barrier_signal -1
	s_barrier_wait -1
	v_readfirstlane_b32 s10, v4
	v_readfirstlane_b32 s11, v5
	s_and_saveexec_b32 s20, s6
; %bb.174:                              ;   in Loop: Header=BB204_6 Depth=1
	ds_store_b16 v39, v3
; %bb.175:                              ;   in Loop: Header=BB204_6 Depth=1
	s_or_b32 exec_lo, exec_lo, s20
	s_lshl_b32 s20, 2, s96
	v_or_b32_e32 v11, s24, v11
	v_and_or_b32 v10, v10, s25, s20
	s_mov_b32 s79, -1
	s_mov_b32 s80, 0
	s_cmp_eq_u64 s[10:11], 0
	s_mov_b32 s22, 0
	s_mov_b32 s23, -1
	s_wait_dscnt 0x0
	s_barrier_signal -1
	s_barrier_wait -1
                                        ; implicit-def: $vgpr8
	s_cbranch_scc1 .LBB204_192
; %bb.176:                              ;   in Loop: Header=BB204_6 Depth=1
	s_add_nc_u64 s[20:21], s[10:11], s[54:55]
	s_delay_alu instid0(SALU_CYCLE_1) | instskip(NEXT) | instid1(SALU_CYCLE_1)
	s_and_b64 s[22:23], s[20:21], 0xffffffff00000000
	s_cmp_lg_u64 s[22:23], 0
	s_cbranch_scc0 .LBB204_225
; %bb.177:                              ;   in Loop: Header=BB204_6 Depth=1
	s_cvt_f32_u32 s22, s34
	s_sub_nc_u64 s[50:51], 0, s[34:35]
	s_delay_alu instid0(SALU_CYCLE_2) | instskip(NEXT) | instid1(SALU_CYCLE_3)
	s_fmamk_f32 s22, s94, 0x0, s22
	v_s_rcp_f32 s22, s22
	s_delay_alu instid0(TRANS32_DEP_1) | instskip(NEXT) | instid1(SALU_CYCLE_3)
	s_mul_f32 s22, s22, 0x5f7ffffc
	s_mul_f32 s23, s22, 0x2f800000
	s_delay_alu instid0(SALU_CYCLE_3) | instskip(NEXT) | instid1(SALU_CYCLE_3)
	s_trunc_f32 s23, s23
	s_fmamk_f32 s22, s23, 0xcf800000, s22
	s_cvt_u32_f32 s23, s23
	s_delay_alu instid0(SALU_CYCLE_2) | instskip(NEXT) | instid1(SALU_CYCLE_3)
	s_cvt_u32_f32 s22, s22
	s_mul_u64 s[52:53], s[50:51], s[22:23]
	s_delay_alu instid0(SALU_CYCLE_1)
	s_mul_hi_u32 s85, s22, s53
	s_mul_i32 s84, s22, s53
	s_mul_hi_u32 s28, s22, s52
	s_mul_i32 s45, s23, s52
	s_add_nc_u64 s[84:85], s[28:29], s[84:85]
	s_mul_hi_u32 s44, s23, s52
	s_mul_hi_u32 s66, s23, s53
	s_add_co_u32 s28, s84, s45
	s_add_co_ci_u32 s28, s85, s44
	s_mul_i32 s52, s23, s53
	s_add_co_ci_u32 s53, s66, 0
	s_delay_alu instid0(SALU_CYCLE_1) | instskip(NEXT) | instid1(SALU_CYCLE_1)
	s_add_nc_u64 s[52:53], s[28:29], s[52:53]
	s_add_co_u32 s22, s22, s52
	s_cselect_b32 s28, -1, 0
	s_delay_alu instid0(SALU_CYCLE_1) | instskip(SKIP_1) | instid1(SALU_CYCLE_1)
	s_cmp_lg_u32 s28, 0
	s_add_co_ci_u32 s23, s23, s53
	s_mul_u64 s[50:51], s[50:51], s[22:23]
	s_delay_alu instid0(SALU_CYCLE_1)
	s_mul_hi_u32 s53, s22, s51
	s_mul_i32 s52, s22, s51
	s_mul_hi_u32 s28, s22, s50
	s_mul_i32 s45, s23, s50
	s_add_nc_u64 s[52:53], s[28:29], s[52:53]
	s_mul_hi_u32 s44, s23, s50
	s_mul_hi_u32 s66, s23, s51
	s_add_co_u32 s28, s52, s45
	s_add_co_ci_u32 s28, s53, s44
	s_mul_i32 s50, s23, s51
	s_add_co_ci_u32 s51, s66, 0
	s_delay_alu instid0(SALU_CYCLE_1) | instskip(NEXT) | instid1(SALU_CYCLE_1)
	s_add_nc_u64 s[50:51], s[28:29], s[50:51]
	s_add_co_u32 s22, s22, s50
	s_cselect_b32 s44, -1, 0
	s_mul_hi_u32 s28, s20, s22
	s_cmp_lg_u32 s44, 0
	s_mul_hi_u32 s44, s21, s22
	s_add_co_ci_u32 s45, s23, s51
	s_mul_i32 s51, s21, s22
	s_mul_hi_u32 s23, s20, s45
	s_mul_i32 s22, s20, s45
	s_mul_hi_u32 s52, s21, s45
	s_add_nc_u64 s[22:23], s[28:29], s[22:23]
	s_mul_i32 s50, s21, s45
	s_add_co_u32 s22, s22, s51
	s_add_co_ci_u32 s28, s23, s44
	s_add_co_ci_u32 s51, s52, 0
	s_delay_alu instid0(SALU_CYCLE_1) | instskip(NEXT) | instid1(SALU_CYCLE_1)
	s_add_nc_u64 s[22:23], s[28:29], s[50:51]
	s_and_b64 s[50:51], s[22:23], 0xffffffff00000000
	s_delay_alu instid0(SALU_CYCLE_1) | instskip(NEXT) | instid1(SALU_CYCLE_1)
	s_or_b32 s50, s50, s22
	s_mul_u64 s[22:23], s[34:35], s[50:51]
	s_delay_alu instid0(SALU_CYCLE_1) | instskip(SKIP_1) | instid1(SALU_CYCLE_1)
	s_sub_co_u32 s22, s20, s22
	s_cselect_b32 s28, -1, 0
	s_cmp_lg_u32 s28, 0
	s_sub_co_ci_u32 s23, s21, s23
	s_sub_co_u32 s28, s22, s34
	s_cselect_b32 s44, -1, 0
	s_delay_alu instid0(SALU_CYCLE_1) | instskip(SKIP_3) | instid1(SALU_CYCLE_1)
	s_cmp_lg_u32 s44, 0
	s_sub_co_ci_u32 s44, s23, 0
	s_sub_co_u32 s45, s28, s34
	s_cselect_b32 s50, -1, 0
	s_cmp_lg_u32 s50, 0
	s_sub_co_ci_u32 s50, s44, 0
	s_cmp_ge_u32 s28, s34
	s_cselect_b32 s51, -1, 0
	s_cmp_eq_u32 s44, 0
	s_cselect_b32 s51, s51, -1
	s_delay_alu instid0(SALU_CYCLE_1)
	s_cmp_lg_u32 s51, 0
	s_cselect_b32 s44, s50, s44
	s_cselect_b32 s28, s45, s28
	s_cmp_ge_u32 s22, s34
	s_cselect_b32 s45, -1, 0
	s_cmp_eq_u32 s23, 0
	s_cselect_b32 s45, s45, -1
	s_delay_alu instid0(SALU_CYCLE_1)
	s_cmp_lg_u32 s45, 0
	s_cselect_b32 s23, s44, s23
	s_cselect_b32 s22, s28, s22
	s_cbranch_execnz .LBB204_179
.LBB204_178:                            ;   in Loop: Header=BB204_6 Depth=1
	v_cvt_f32_u32_e32 v4, s34
	s_sub_co_i32 s23, 0, s34
	s_delay_alu instid0(VALU_DEP_1) | instskip(SKIP_1) | instid1(TRANS32_DEP_1)
	v_rcp_iflag_f32_e32 v4, v4
	v_nop
	v_mul_f32_e32 v4, 0x4f7ffffe, v4
	s_delay_alu instid0(VALU_DEP_1) | instskip(NEXT) | instid1(VALU_DEP_1)
	v_cvt_u32_f32_e32 v4, v4
	v_readfirstlane_b32 s22, v4
	s_mul_i32 s23, s23, s22
	s_delay_alu instid0(SALU_CYCLE_1) | instskip(NEXT) | instid1(SALU_CYCLE_1)
	s_mul_hi_u32 s23, s22, s23
	s_add_co_i32 s22, s22, s23
	s_delay_alu instid0(SALU_CYCLE_1) | instskip(NEXT) | instid1(SALU_CYCLE_1)
	s_mul_hi_u32 s22, s20, s22
	s_mul_i32 s22, s22, s34
	s_delay_alu instid0(SALU_CYCLE_1) | instskip(NEXT) | instid1(SALU_CYCLE_1)
	s_sub_co_i32 s22, s20, s22
	s_sub_co_i32 s23, s22, s34
	s_cmp_ge_u32 s22, s34
	s_cselect_b32 s22, s23, s22
	s_delay_alu instid0(SALU_CYCLE_1) | instskip(SKIP_2) | instid1(SALU_CYCLE_1)
	s_sub_co_i32 s23, s22, s34
	s_cmp_ge_u32 s22, s34
	s_cselect_b32 s28, s23, s22
	s_mov_b64 s[22:23], s[28:29]
.LBB204_179:                            ;   in Loop: Header=BB204_6 Depth=1
	s_delay_alu instid0(SALU_CYCLE_1)
	s_sub_nc_u64 s[20:21], s[20:21], s[22:23]
	s_mov_b32 s23, 0
	s_mov_b32 s22, 0
	s_mov_b32 s28, exec_lo
                                        ; implicit-def: $vgpr8
	v_cmpx_gt_u64_e64 s[20:21], v[0:1]
	s_cbranch_execz .LBB204_191
; %bb.180:                              ;   in Loop: Header=BB204_6 Depth=1
	v_mov_b64_e32 v[4:5], v[0:1]
	v_mov_b32_e32 v8, v38
                                        ; implicit-def: $sgpr50
	s_branch .LBB204_184
.LBB204_181:                            ;   in Loop: Header=BB204_184 Depth=2
	s_or_b32 exec_lo, exec_lo, s51
	s_wait_dscnt 0x0
	s_barrier_signal -1
	s_barrier_wait -1
	ds_load_b32 v9, v3 offset:3072
	s_wait_dscnt 0x0
	s_barrier_signal -1
	s_barrier_wait -1
	v_cmp_neq_f16_e32 vcc_lo, 0, v9
	s_cbranch_vccnz .LBB204_187
; %bb.182:                              ;   in Loop: Header=BB204_184 Depth=2
	v_add_nc_u64_e32 v[4:5], s[34:35], v[4:5]
	v_add_nc_u32_e32 v8, s93, v8
	s_mov_b32 s51, 0
	s_delay_alu instid0(VALU_DEP_2)
	v_cmp_le_u64_e32 vcc_lo, s[20:21], v[4:5]
	s_or_not1_b32 s52, vcc_lo, exec_lo
.LBB204_183:                            ;   in Loop: Header=BB204_184 Depth=2
	s_delay_alu instid0(SALU_CYCLE_1) | instskip(NEXT) | instid1(SALU_CYCLE_1)
	s_and_b32 s8, exec_lo, s52
	s_or_b32 s22, s8, s22
	s_and_not1_b32 s8, s50, exec_lo
	s_and_b32 s44, s51, exec_lo
	s_delay_alu instid0(SALU_CYCLE_1)
	s_or_b32 s50, s8, s44
	s_and_not1_b32 exec_lo, exec_lo, s22
	s_cbranch_execz .LBB204_190
.LBB204_184:                            ;   Parent Loop BB204_6 Depth=1
                                        ; =>  This Inner Loop Header: Depth=2
	s_mov_b32 s51, exec_lo
	s_delay_alu instid0(VALU_DEP_2)
	v_cmpx_gt_u64_e64 s[10:11], v[4:5]
	s_cbranch_execz .LBB204_181
; %bb.185:                              ;   in Loop: Header=BB204_184 Depth=2
	ds_load_u16 v9, v8
	s_wait_dscnt 0x0
	v_cmp_lt_i16_e32 vcc_lo, -1, v9
	v_and_b32_e32 v32, 0xffff, v9
	v_cndmask_b32_e32 v33, 0xffff, v44, vcc_lo
	v_cmp_o_f16_e32 vcc_lo, v9, v9
	s_delay_alu instid0(VALU_DEP_2) | instskip(NEXT) | instid1(VALU_DEP_1)
	v_xor_b32_e32 v32, v33, v32
	v_cndmask_b32_e32 v32, 0xffff, v32, vcc_lo
	s_delay_alu instid0(VALU_DEP_1) | instskip(NEXT) | instid1(VALU_DEP_1)
	v_and_b32_e32 v32, v32, v11
	v_cmp_eq_u32_e32 vcc_lo, v32, v10
	s_and_b32 exec_lo, exec_lo, vcc_lo
	s_cbranch_execz .LBB204_181
; %bb.186:                              ;   in Loop: Header=BB204_184 Depth=2
	v_perm_b32 v9, v9, s95, 0x5040100
	ds_store_b32 v3, v9 offset:3072
	s_branch .LBB204_181
.LBB204_187:                            ;   in Loop: Header=BB204_184 Depth=2
	s_mov_b32 s52, -1
	s_mov_b32 s51, -1
                                        ; implicit-def: $vgpr4_vgpr5
                                        ; implicit-def: $vgpr8
	s_branch .LBB204_183
.LBB204_188:                            ;   in Loop: Header=BB204_6 Depth=1
                                        ; implicit-def: $sgpr22_sgpr23
	s_branch .LBB204_131
.LBB204_189:                            ;   in Loop: Header=BB204_6 Depth=1
                                        ; implicit-def: $sgpr10_sgpr11
	s_branch .LBB204_148
.LBB204_190:                            ;   in Loop: Header=BB204_6 Depth=1
	s_or_b32 exec_lo, exec_lo, s22
	v_lshrrev_b32_e32 v8, 16, v9
	s_and_b32 s22, s50, exec_lo
.LBB204_191:                            ;   in Loop: Header=BB204_6 Depth=1
	s_or_b32 exec_lo, exec_lo, s28
.LBB204_192:                            ;   in Loop: Header=BB204_6 Depth=1
	s_delay_alu instid0(SALU_CYCLE_1)
	s_and_b32 vcc_lo, exec_lo, s23
	s_cbranch_vccz .LBB204_207
; %bb.193:                              ;   in Loop: Header=BB204_6 Depth=1
	s_and_b64 s[10:11], s[56:57], 0xffffffff00000000
	s_delay_alu instid0(SALU_CYCLE_1)
	s_cmp_lg_u64 s[10:11], 0
	s_cbranch_scc0 .LBB204_226
; %bb.194:                              ;   in Loop: Header=BB204_6 Depth=1
	s_cvt_f32_u32 s10, s34
	s_sub_nc_u64 s[20:21], 0, s[34:35]
	s_delay_alu instid0(SALU_CYCLE_2) | instskip(NEXT) | instid1(SALU_CYCLE_3)
	s_fmamk_f32 s10, s94, 0x0, s10
	v_s_rcp_f32 s10, s10
	s_delay_alu instid0(TRANS32_DEP_1) | instskip(NEXT) | instid1(SALU_CYCLE_3)
	s_mul_f32 s10, s10, 0x5f7ffffc
	s_mul_f32 s11, s10, 0x2f800000
	s_delay_alu instid0(SALU_CYCLE_3) | instskip(NEXT) | instid1(SALU_CYCLE_3)
	s_trunc_f32 s11, s11
	s_fmamk_f32 s10, s11, 0xcf800000, s10
	s_cvt_u32_f32 s11, s11
	s_delay_alu instid0(SALU_CYCLE_2) | instskip(NEXT) | instid1(SALU_CYCLE_3)
	s_cvt_u32_f32 s10, s10
	s_mul_u64 s[50:51], s[20:21], s[10:11]
	s_delay_alu instid0(SALU_CYCLE_1)
	s_mul_hi_u32 s53, s10, s51
	s_mul_i32 s52, s10, s51
	s_mul_hi_u32 s28, s10, s50
	s_mul_i32 s44, s11, s50
	s_add_nc_u64 s[52:53], s[28:29], s[52:53]
	s_mul_hi_u32 s23, s11, s50
	s_mul_hi_u32 s45, s11, s51
	s_add_co_u32 s28, s52, s44
	s_add_co_ci_u32 s28, s53, s23
	s_mul_i32 s50, s11, s51
	s_add_co_ci_u32 s51, s45, 0
	s_delay_alu instid0(SALU_CYCLE_1) | instskip(NEXT) | instid1(SALU_CYCLE_1)
	s_add_nc_u64 s[50:51], s[28:29], s[50:51]
	s_add_co_u32 s10, s10, s50
	s_cselect_b32 s23, -1, 0
	s_delay_alu instid0(SALU_CYCLE_1) | instskip(SKIP_1) | instid1(SALU_CYCLE_1)
	s_cmp_lg_u32 s23, 0
	s_add_co_ci_u32 s11, s11, s51
	s_mul_u64 s[20:21], s[20:21], s[10:11]
	s_delay_alu instid0(SALU_CYCLE_1)
	s_mul_hi_u32 s51, s10, s21
	s_mul_i32 s50, s10, s21
	s_mul_hi_u32 s28, s10, s20
	s_mul_i32 s44, s11, s20
	s_add_nc_u64 s[50:51], s[28:29], s[50:51]
	s_mul_hi_u32 s23, s11, s20
	s_mul_hi_u32 s45, s11, s21
	s_mul_i32 s20, s11, s21
	s_add_co_u32 s21, s50, s44
	s_add_co_ci_u32 s28, s51, s23
	s_add_co_ci_u32 s21, s45, 0
	s_delay_alu instid0(SALU_CYCLE_1) | instskip(NEXT) | instid1(SALU_CYCLE_1)
	s_add_nc_u64 s[20:21], s[28:29], s[20:21]
	s_add_co_u32 s10, s10, s20
	s_cselect_b32 s20, -1, 0
	s_mul_hi_u32 s28, s56, s10
	s_cmp_lg_u32 s20, 0
	s_mul_hi_u32 s23, s57, s10
	s_add_co_ci_u32 s20, s11, s21
	s_mul_i32 s21, s57, s10
	s_mul_hi_u32 s11, s56, s20
	s_mul_i32 s10, s56, s20
	s_mul_hi_u32 s44, s57, s20
	s_add_nc_u64 s[10:11], s[28:29], s[10:11]
	s_mul_i32 s20, s57, s20
	s_add_co_u32 s10, s10, s21
	s_add_co_ci_u32 s28, s11, s23
	s_add_co_ci_u32 s21, s44, 0
	s_delay_alu instid0(SALU_CYCLE_1) | instskip(NEXT) | instid1(SALU_CYCLE_1)
	s_add_nc_u64 s[10:11], s[28:29], s[20:21]
	s_and_b64 s[20:21], s[10:11], 0xffffffff00000000
	s_delay_alu instid0(SALU_CYCLE_1) | instskip(NEXT) | instid1(SALU_CYCLE_1)
	s_or_b32 s20, s20, s10
	s_mul_u64 s[10:11], s[34:35], s[20:21]
	s_delay_alu instid0(SALU_CYCLE_1) | instskip(SKIP_1) | instid1(SALU_CYCLE_1)
	s_sub_co_u32 s10, s56, s10
	s_cselect_b32 s20, -1, 0
	s_cmp_lg_u32 s20, 0
	s_sub_co_ci_u32 s11, s57, s11
	s_sub_co_u32 s20, s10, s34
	s_cselect_b32 s21, -1, 0
	s_delay_alu instid0(SALU_CYCLE_1) | instskip(SKIP_3) | instid1(SALU_CYCLE_1)
	s_cmp_lg_u32 s21, 0
	s_sub_co_ci_u32 s21, s11, 0
	s_sub_co_u32 s23, s20, s34
	s_cselect_b32 s28, -1, 0
	s_cmp_lg_u32 s28, 0
	s_sub_co_ci_u32 s28, s21, 0
	s_cmp_ge_u32 s20, s34
	s_cselect_b32 s44, -1, 0
	s_cmp_eq_u32 s21, 0
	s_cselect_b32 s44, s44, -1
	s_delay_alu instid0(SALU_CYCLE_1)
	s_cmp_lg_u32 s44, 0
	s_cselect_b32 s21, s28, s21
	s_cselect_b32 s20, s23, s20
	s_cmp_ge_u32 s10, s34
	s_cselect_b32 s23, -1, 0
	s_cmp_eq_u32 s11, 0
	s_cselect_b32 s23, s23, -1
	s_delay_alu instid0(SALU_CYCLE_1)
	s_cmp_lg_u32 s23, 0
	s_cselect_b32 s11, s21, s11
	s_cselect_b32 s10, s20, s10
	s_cbranch_execnz .LBB204_196
.LBB204_195:                            ;   in Loop: Header=BB204_6 Depth=1
	v_cvt_f32_u32_e32 v4, s34
	s_sub_co_i32 s11, 0, s34
	s_delay_alu instid0(VALU_DEP_1) | instskip(SKIP_1) | instid1(TRANS32_DEP_1)
	v_rcp_iflag_f32_e32 v4, v4
	v_nop
	v_mul_f32_e32 v4, 0x4f7ffffe, v4
	s_delay_alu instid0(VALU_DEP_1) | instskip(NEXT) | instid1(VALU_DEP_1)
	v_cvt_u32_f32_e32 v4, v4
	v_readfirstlane_b32 s10, v4
	s_mul_i32 s11, s11, s10
	s_delay_alu instid0(SALU_CYCLE_1) | instskip(NEXT) | instid1(SALU_CYCLE_1)
	s_mul_hi_u32 s11, s10, s11
	s_add_co_i32 s10, s10, s11
	s_delay_alu instid0(SALU_CYCLE_1) | instskip(NEXT) | instid1(SALU_CYCLE_1)
	s_mul_hi_u32 s10, s56, s10
	s_mul_i32 s10, s10, s34
	s_delay_alu instid0(SALU_CYCLE_1) | instskip(NEXT) | instid1(SALU_CYCLE_1)
	s_sub_co_i32 s10, s56, s10
	s_sub_co_i32 s11, s10, s34
	s_cmp_ge_u32 s10, s34
	s_cselect_b32 s10, s11, s10
	s_delay_alu instid0(SALU_CYCLE_1) | instskip(SKIP_2) | instid1(SALU_CYCLE_1)
	s_sub_co_i32 s11, s10, s34
	s_cmp_ge_u32 s10, s34
	s_cselect_b32 s28, s11, s10
	s_mov_b64 s[10:11], s[28:29]
.LBB204_196:                            ;   in Loop: Header=BB204_6 Depth=1
	s_delay_alu instid0(SALU_CYCLE_1)
	s_sub_nc_u64 s[10:11], s[56:57], s[10:11]
	s_mov_b32 s20, exec_lo
                                        ; implicit-def: $vgpr8
	v_nop
	v_cmpx_gt_u64_e64 s[10:11], v[0:1]
	s_cbranch_execz .LBB204_206
; %bb.197:                              ;   in Loop: Header=BB204_6 Depth=1
	v_mov_b64_e32 v[4:5], v[14:15]
	v_mov_b64_e32 v[8:9], v[0:1]
	s_mov_b32 s21, 0
                                        ; implicit-def: $sgpr23
	s_branch .LBB204_201
.LBB204_198:                            ;   in Loop: Header=BB204_201 Depth=2
	s_or_b32 exec_lo, exec_lo, s28
	s_wait_dscnt 0x0
	s_barrier_signal -1
	s_barrier_wait -1
	ds_load_b32 v32, v3 offset:3072
	s_wait_dscnt 0x0
	s_barrier_signal -1
	s_barrier_wait -1
	v_cmp_eq_f16_e32 vcc_lo, 0, v32
	s_cbranch_vccz .LBB204_204
; %bb.199:                              ;   in Loop: Header=BB204_201 Depth=2
	v_add_nc_u64_e32 v[8:9], s[34:35], v[8:9]
	v_add_nc_u64_e32 v[4:5], s[40:41], v[4:5]
	s_mov_b32 s28, 0
	s_delay_alu instid0(VALU_DEP_2)
	v_cmp_le_u64_e32 vcc_lo, s[10:11], v[8:9]
	s_or_not1_b32 s50, vcc_lo, exec_lo
.LBB204_200:                            ;   in Loop: Header=BB204_201 Depth=2
	s_delay_alu instid0(SALU_CYCLE_1) | instskip(NEXT) | instid1(SALU_CYCLE_1)
	s_and_b32 s8, exec_lo, s50
	s_or_b32 s21, s8, s21
	s_and_not1_b32 s8, s23, exec_lo
	s_and_b32 s23, s28, exec_lo
	s_delay_alu instid0(SALU_CYCLE_1)
	s_or_b32 s23, s8, s23
	s_and_not1_b32 exec_lo, exec_lo, s21
	s_cbranch_execz .LBB204_205
.LBB204_201:                            ;   Parent Loop BB204_6 Depth=1
                                        ; =>  This Inner Loop Header: Depth=2
	s_mov_b32 s28, exec_lo
	s_delay_alu instid0(VALU_DEP_1)
	v_cmpx_gt_u64_e64 s[36:37], v[8:9]
	s_cbranch_execz .LBB204_198
; %bb.202:                              ;   in Loop: Header=BB204_201 Depth=2
	global_load_u16 v32, v[4:5], off
	s_wait_loadcnt 0x0
	v_cmp_lt_i16_e32 vcc_lo, -1, v32
	v_and_b32_e32 v33, 0xffff, v32
	v_cndmask_b32_e32 v34, 0xffff, v44, vcc_lo
	v_cmp_o_f16_e32 vcc_lo, v32, v32
	s_delay_alu instid0(VALU_DEP_2) | instskip(NEXT) | instid1(VALU_DEP_1)
	v_xor_b32_e32 v33, v34, v33
	v_cndmask_b32_e32 v33, 0xffff, v33, vcc_lo
	s_delay_alu instid0(VALU_DEP_1) | instskip(NEXT) | instid1(VALU_DEP_1)
	v_and_b32_e32 v33, v33, v11
	v_cmp_eq_u32_e32 vcc_lo, v33, v10
	s_and_b32 exec_lo, exec_lo, vcc_lo
	s_cbranch_execz .LBB204_198
; %bb.203:                              ;   in Loop: Header=BB204_201 Depth=2
	v_perm_b32 v32, v32, s95, 0x5040100
	ds_store_b32 v3, v32 offset:3072
	s_branch .LBB204_198
.LBB204_204:                            ;   in Loop: Header=BB204_201 Depth=2
	s_mov_b32 s50, -1
	s_mov_b32 s28, -1
                                        ; implicit-def: $vgpr8_vgpr9
                                        ; implicit-def: $vgpr4_vgpr5
	s_branch .LBB204_200
.LBB204_205:                            ;   in Loop: Header=BB204_6 Depth=1
	s_or_b32 exec_lo, exec_lo, s21
	v_lshrrev_b32_e32 v8, 16, v32
	s_and_not1_b32 s8, s22, exec_lo
	s_and_b32 s10, s23, exec_lo
	s_delay_alu instid0(SALU_CYCLE_1)
	s_or_b32 s22, s8, s10
.LBB204_206:                            ;   in Loop: Header=BB204_6 Depth=1
	s_or_b32 exec_lo, exec_lo, s20
	s_mov_b32 s79, 0
	s_mov_b32 s80, -1
.LBB204_207:                            ;   in Loop: Header=BB204_6 Depth=1
	s_or_not1_b32 s10, s22, exec_lo
.LBB204_208:                            ;   in Loop: Header=BB204_6 Depth=1
	s_or_b32 exec_lo, exec_lo, s81
	s_mov_b32 s11, 0
	s_and_saveexec_b32 s81, s10
	s_cbranch_execz .LBB204_272
; %bb.209:                              ;   in Loop: Header=BB204_6 Depth=1
	v_mov_b64_e32 v[4:5], 1
	v_mov_b32_e32 v2, 1
	s_xor_b32 s20, s82, -1
	s_delay_alu instid0(SALU_CYCLE_1)
	s_and_saveexec_b32 s10, s20
	s_cbranch_execz .LBB204_218
; %bb.210:                              ;   in Loop: Header=BB204_6 Depth=1
	s_mov_b32 s11, exec_lo
	v_cmpx_ge_u64_e64 s[16:17], v[6:7]
	s_xor_b32 s11, exec_lo, s11
	s_cbranch_execz .LBB204_215
; %bb.211:                              ;   in Loop: Header=BB204_6 Depth=1
	ds_load_b64 v[4:5], v3 offset:5120
	s_lshl_b32 s20, 2, s96
	v_or_b32_e32 v11, s24, v11
	v_and_or_b32 v10, v10, s25, s20
	s_wait_dscnt 0x0
	v_cmp_ne_u64_e32 vcc_lo, 0, v[4:5]
	s_cbranch_vccnz .LBB204_215
; %bb.212:                              ;   in Loop: Header=BB204_6 Depth=1
	s_and_saveexec_b32 s20, s5
; %bb.213:                              ;   in Loop: Header=BB204_6 Depth=1
	v_mov_b64_e32 v[4:5], s[16:17]
	ds_store_b64 v3, v[4:5] offset:5128
; %bb.214:                              ;   in Loop: Header=BB204_6 Depth=1
	s_or_b32 exec_lo, exec_lo, s20
	s_wait_dscnt 0x0
	s_barrier_signal -1
	s_barrier_wait -1
.LBB204_215:                            ;   in Loop: Header=BB204_6 Depth=1
	s_or_saveexec_b32 s11, s11
	v_mov_b32_e32 v2, 8
	s_mov_b32 s20, 0
	s_xor_b32 exec_lo, exec_lo, s11
; %bb.216:                              ;   in Loop: Header=BB204_6 Depth=1
	v_sub_nc_u64_e64 v[6:7], v[6:7], s[16:17]
	v_mov_b32_e32 v2, 0
	s_mov_b32 s20, exec_lo
; %bb.217:                              ;   in Loop: Header=BB204_6 Depth=1
	s_or_b32 exec_lo, exec_lo, s11
	s_delay_alu instid0(VALU_DEP_2)
	v_mov_b64_e32 v[4:5], v[6:7]
	s_and_b32 s11, s20, exec_lo
.LBB204_218:                            ;   in Loop: Header=BB204_6 Depth=1
	s_or_b32 exec_lo, exec_lo, s10
	s_mov_b32 s10, -1
                                        ; implicit-def: $sgpr50
                                        ; implicit-def: $sgpr85
	s_and_saveexec_b32 s82, s11
	s_cbranch_execz .LBB204_271
; %bb.219:                              ;   in Loop: Header=BB204_6 Depth=1
	s_delay_alu instid0(VALU_DEP_1) | instskip(SKIP_3) | instid1(SALU_CYCLE_1)
	v_cmp_eq_u64_e32 vcc_lo, 1, v[4:5]
	s_cmp_eq_u64 s[18:19], 1
	s_mov_b32 s11, -1
	s_cselect_b32 s10, -1, 0
                                        ; implicit-def: $sgpr50
                                        ; implicit-def: $sgpr85
	s_and_b32 s83, s10, vcc_lo
	s_delay_alu instid0(SALU_CYCLE_1)
	s_and_saveexec_b32 s84, s83
	s_cbranch_execz .LBB204_259
; %bb.220:                              ;   in Loop: Header=BB204_6 Depth=1
	ds_load_b64 v[6:7], v3 offset:5120
	s_wait_dscnt 0x0
	s_barrier_signal -1
	s_barrier_wait -1
	v_readfirstlane_b32 s10, v6
	v_readfirstlane_b32 s11, v7
	s_and_saveexec_b32 s20, s6
; %bb.221:                              ;   in Loop: Header=BB204_6 Depth=1
	ds_store_b16 v39, v3
; %bb.222:                              ;   in Loop: Header=BB204_6 Depth=1
	s_or_b32 exec_lo, exec_lo, s20
	v_or_b32_e32 v10, s24, v10
	v_or_b32_e32 v11, s24, v11
	s_mov_b32 s85, -1
	s_mov_b32 s50, 0
	s_cmp_eq_u64 s[10:11], 0
	s_mov_b32 s22, 0
	s_mov_b32 s23, -1
	s_wait_dscnt 0x0
	s_barrier_signal -1
	s_barrier_wait -1
                                        ; implicit-def: $vgpr8
	s_cbranch_scc1 .LBB204_241
; %bb.223:                              ;   in Loop: Header=BB204_6 Depth=1
	s_add_nc_u64 s[20:21], s[10:11], s[54:55]
	v_writelane_b32 v56, s3, 12
	s_and_b64 s[22:23], s[20:21], 0xffffffff00000000
	s_mov_b32 s3, s7
	s_mov_b32 s7, s4
	;; [unrolled: 1-line block ×3, first 2 shown]
	s_cmp_lg_u64 s[22:23], 0
	s_cbranch_scc0 .LBB204_227
; %bb.224:                              ;   in Loop: Header=BB204_6 Depth=1
	s_cvt_f32_u32 s22, s34
	s_sub_nc_u64 s[52:53], 0, s[34:35]
	s_delay_alu instid0(SALU_CYCLE_2) | instskip(NEXT) | instid1(SALU_CYCLE_3)
	s_fmamk_f32 s22, s94, 0x0, s22
	v_s_rcp_f32 s22, s22
	s_delay_alu instid0(TRANS32_DEP_1) | instskip(NEXT) | instid1(SALU_CYCLE_3)
	s_mul_f32 s22, s22, 0x5f7ffffc
	s_mul_f32 s23, s22, 0x2f800000
	s_delay_alu instid0(SALU_CYCLE_3) | instskip(NEXT) | instid1(SALU_CYCLE_3)
	s_trunc_f32 s23, s23
	s_fmamk_f32 s22, s23, 0xcf800000, s22
	s_cvt_u32_f32 s23, s23
	s_delay_alu instid0(SALU_CYCLE_2) | instskip(NEXT) | instid1(SALU_CYCLE_3)
	s_cvt_u32_f32 s22, s22
	s_mul_u64 s[44:45], s[52:53], s[22:23]
	s_delay_alu instid0(SALU_CYCLE_1)
	s_mul_hi_u32 s67, s22, s45
	s_mul_i32 s66, s22, s45
	s_mul_hi_u32 s28, s22, s44
	s_mul_i32 vcc_lo, s23, s44
	s_add_nc_u64 s[66:67], s[28:29], s[66:67]
	s_mul_hi_u32 s51, s23, s44
	s_mul_hi_u32 s8, s23, s45
	s_add_co_u32 s28, s66, vcc_lo
	s_add_co_ci_u32 s28, s67, s51
	s_mul_i32 s44, s23, s45
	s_add_co_ci_u32 s45, s8, 0
	s_delay_alu instid0(SALU_CYCLE_1) | instskip(NEXT) | instid1(SALU_CYCLE_1)
	s_add_nc_u64 s[44:45], s[28:29], s[44:45]
	s_add_co_u32 s22, s22, s44
	s_cselect_b32 s8, -1, 0
	s_delay_alu instid0(SALU_CYCLE_1) | instskip(SKIP_1) | instid1(SALU_CYCLE_1)
	s_cmp_lg_u32 s8, 0
	s_add_co_ci_u32 s23, s23, s45
	s_mul_u64 s[44:45], s[52:53], s[22:23]
	s_delay_alu instid0(SALU_CYCLE_1)
	s_mul_hi_u32 s53, s22, s45
	s_mul_i32 s52, s22, s45
	s_mul_hi_u32 s28, s22, s44
	s_mul_i32 s51, s23, s44
	s_add_nc_u64 s[52:53], s[28:29], s[52:53]
	s_mul_hi_u32 s8, s23, s44
	s_mul_hi_u32 s66, s23, s45
	s_add_co_u32 s28, s52, s51
	s_add_co_ci_u32 s28, s53, s8
	s_mul_i32 s44, s23, s45
	s_add_co_ci_u32 s45, s66, 0
	s_delay_alu instid0(SALU_CYCLE_1) | instskip(NEXT) | instid1(SALU_CYCLE_1)
	s_add_nc_u64 s[44:45], s[28:29], s[44:45]
	s_add_co_u32 s8, s22, s44
	s_cselect_b32 s22, -1, 0
	s_mul_hi_u32 s28, s20, s8
	s_cmp_lg_u32 s22, 0
	s_mul_hi_u32 s51, s21, s8
	s_add_co_ci_u32 s44, s23, s45
	s_mul_i32 s8, s21, s8
	s_mul_hi_u32 s23, s20, s44
	s_mul_i32 s22, s20, s44
	s_mul_hi_u32 s45, s21, s44
	s_add_nc_u64 s[22:23], s[28:29], s[22:23]
	s_mul_i32 s44, s21, s44
	s_add_co_u32 s8, s22, s8
	s_add_co_ci_u32 s28, s23, s51
	s_add_co_ci_u32 s45, s45, 0
	s_delay_alu instid0(SALU_CYCLE_1) | instskip(NEXT) | instid1(SALU_CYCLE_1)
	s_add_nc_u64 s[22:23], s[28:29], s[44:45]
	s_and_b64 s[44:45], s[22:23], 0xffffffff00000000
	s_delay_alu instid0(SALU_CYCLE_1) | instskip(NEXT) | instid1(SALU_CYCLE_1)
	s_or_b32 s44, s44, s22
	s_mul_u64 s[22:23], s[34:35], s[44:45]
	s_delay_alu instid0(SALU_CYCLE_1) | instskip(SKIP_1) | instid1(SALU_CYCLE_1)
	s_sub_co_u32 s8, s20, s22
	s_cselect_b32 s22, -1, 0
	s_cmp_lg_u32 s22, 0
	s_sub_co_ci_u32 s22, s21, s23
	s_sub_co_u32 s23, s8, s34
	s_cselect_b32 s28, -1, 0
	s_delay_alu instid0(SALU_CYCLE_1) | instskip(SKIP_3) | instid1(SALU_CYCLE_1)
	s_cmp_lg_u32 s28, 0
	s_sub_co_ci_u32 s28, s22, 0
	s_sub_co_u32 s44, s23, s34
	s_cselect_b32 s45, -1, 0
	s_cmp_lg_u32 s45, 0
	s_sub_co_ci_u32 s45, s28, 0
	s_cmp_ge_u32 s23, s34
	s_cselect_b32 s51, -1, 0
	s_cmp_eq_u32 s28, 0
	s_cselect_b32 s51, s51, -1
	s_delay_alu instid0(SALU_CYCLE_1)
	s_cmp_lg_u32 s51, 0
	s_cselect_b32 s28, s45, s28
	s_cselect_b32 s44, s44, s23
	s_cmp_ge_u32 s8, s34
	s_cselect_b32 s23, -1, 0
	s_cmp_eq_u32 s22, 0
	s_cselect_b32 s23, s23, -1
	s_delay_alu instid0(SALU_CYCLE_1)
	s_cmp_lg_u32 s23, 0
	s_cselect_b32 s23, s28, s22
	s_cselect_b32 s22, s44, s8
	s_mov_b32 s28, 0
	s_branch .LBB204_228
.LBB204_225:                            ;   in Loop: Header=BB204_6 Depth=1
                                        ; implicit-def: $sgpr22_sgpr23
	s_branch .LBB204_178
.LBB204_226:                            ;   in Loop: Header=BB204_6 Depth=1
                                        ; implicit-def: $sgpr10_sgpr11
	s_branch .LBB204_195
.LBB204_227:                            ;   in Loop: Header=BB204_6 Depth=1
	s_mov_b32 s28, -1
                                        ; implicit-def: $sgpr22_sgpr23
.LBB204_228:                            ;   in Loop: Header=BB204_6 Depth=1
	s_delay_alu instid0(SALU_CYCLE_1)
	s_and_not1_b32 vcc_lo, exec_lo, s28
	s_cbranch_vccnz .LBB204_230
; %bb.229:                              ;   in Loop: Header=BB204_6 Depth=1
	v_cvt_f32_u32_e32 v6, s34
	s_sub_co_i32 s23, 0, s34
	s_delay_alu instid0(VALU_DEP_1) | instskip(SKIP_1) | instid1(TRANS32_DEP_1)
	v_rcp_iflag_f32_e32 v6, v6
	v_nop
	v_mul_f32_e32 v6, 0x4f7ffffe, v6
	s_delay_alu instid0(VALU_DEP_1) | instskip(NEXT) | instid1(VALU_DEP_1)
	v_cvt_u32_f32_e32 v6, v6
	v_readfirstlane_b32 s22, v6
	s_mul_i32 s23, s23, s22
	s_delay_alu instid0(SALU_CYCLE_1) | instskip(NEXT) | instid1(SALU_CYCLE_1)
	s_mul_hi_u32 s23, s22, s23
	s_add_co_i32 s22, s22, s23
	s_delay_alu instid0(SALU_CYCLE_1) | instskip(NEXT) | instid1(SALU_CYCLE_1)
	s_mul_hi_u32 s22, s20, s22
	s_mul_i32 s22, s22, s34
	s_delay_alu instid0(SALU_CYCLE_1) | instskip(NEXT) | instid1(SALU_CYCLE_1)
	s_sub_co_i32 s22, s20, s22
	s_sub_co_i32 s23, s22, s34
	s_cmp_ge_u32 s22, s34
	s_cselect_b32 s22, s23, s22
	s_delay_alu instid0(SALU_CYCLE_1) | instskip(SKIP_2) | instid1(SALU_CYCLE_1)
	s_sub_co_i32 s23, s22, s34
	s_cmp_ge_u32 s22, s34
	s_cselect_b32 s28, s23, s22
	s_mov_b64 s[22:23], s[28:29]
.LBB204_230:                            ;   in Loop: Header=BB204_6 Depth=1
	s_delay_alu instid0(SALU_CYCLE_1)
	s_sub_nc_u64 s[20:21], s[20:21], s[22:23]
	s_mov_b32 s23, 0
	s_mov_b32 s22, 0
	s_mov_b32 s28, exec_lo
                                        ; implicit-def: $vgpr8
	v_cmpx_gt_u64_e64 s[20:21], v[0:1]
	s_mov_b32 s67, s4
	s_mov_b32 s4, s7
	;; [unrolled: 1-line block ×3, first 2 shown]
	v_readlane_b32 s3, v56, 12
	s_cbranch_execz .LBB204_240
; %bb.231:                              ;   in Loop: Header=BB204_6 Depth=1
	v_mov_b64_e32 v[6:7], v[0:1]
	v_mov_b32_e32 v8, v38
                                        ; implicit-def: $sgpr51
	s_branch .LBB204_235
.LBB204_232:                            ;   in Loop: Header=BB204_235 Depth=2
	s_or_b32 exec_lo, exec_lo, s52
	s_wait_dscnt 0x0
	s_barrier_signal -1
	s_barrier_wait -1
	ds_load_b32 v9, v3 offset:3072
	s_wait_dscnt 0x0
	s_barrier_signal -1
	s_barrier_wait -1
	v_cmp_neq_f16_e32 vcc_lo, 0, v9
	s_cbranch_vccnz .LBB204_238
; %bb.233:                              ;   in Loop: Header=BB204_235 Depth=2
	v_add_nc_u64_e32 v[6:7], s[34:35], v[6:7]
	v_add_nc_u32_e32 v8, s93, v8
	s_mov_b32 s52, 0
	s_delay_alu instid0(VALU_DEP_2)
	v_cmp_le_u64_e32 vcc_lo, s[20:21], v[6:7]
	s_or_not1_b32 s53, vcc_lo, exec_lo
.LBB204_234:                            ;   in Loop: Header=BB204_235 Depth=2
	s_delay_alu instid0(SALU_CYCLE_1) | instskip(NEXT) | instid1(SALU_CYCLE_1)
	s_and_b32 s8, exec_lo, s53
	s_or_b32 s22, s8, s22
	s_and_not1_b32 s8, s51, exec_lo
	s_and_b32 s44, s52, exec_lo
	s_delay_alu instid0(SALU_CYCLE_1)
	s_or_b32 s51, s8, s44
	s_and_not1_b32 exec_lo, exec_lo, s22
	s_cbranch_execz .LBB204_239
.LBB204_235:                            ;   Parent Loop BB204_6 Depth=1
                                        ; =>  This Inner Loop Header: Depth=2
	s_mov_b32 s52, exec_lo
	s_delay_alu instid0(VALU_DEP_2)
	v_cmpx_gt_u64_e64 s[10:11], v[6:7]
	s_cbranch_execz .LBB204_232
; %bb.236:                              ;   in Loop: Header=BB204_235 Depth=2
	ds_load_u16 v9, v8
	s_wait_dscnt 0x0
	v_cmp_lt_i16_e32 vcc_lo, -1, v9
	v_and_b32_e32 v32, 0xffff, v9
	v_cndmask_b32_e32 v33, 0xffff, v44, vcc_lo
	v_cmp_o_f16_e32 vcc_lo, v9, v9
	s_delay_alu instid0(VALU_DEP_2) | instskip(NEXT) | instid1(VALU_DEP_1)
	v_xor_b32_e32 v32, v33, v32
	v_cndmask_b32_e32 v32, 0xffff, v32, vcc_lo
	s_delay_alu instid0(VALU_DEP_1) | instskip(NEXT) | instid1(VALU_DEP_1)
	v_and_b32_e32 v32, v32, v11
	v_cmp_eq_u32_e32 vcc_lo, v32, v10
	s_and_b32 exec_lo, exec_lo, vcc_lo
	s_cbranch_execz .LBB204_232
; %bb.237:                              ;   in Loop: Header=BB204_235 Depth=2
	v_perm_b32 v9, v9, s95, 0x5040100
	ds_store_b32 v3, v9 offset:3072
	s_branch .LBB204_232
.LBB204_238:                            ;   in Loop: Header=BB204_235 Depth=2
	s_mov_b32 s53, -1
	s_mov_b32 s52, -1
                                        ; implicit-def: $vgpr6_vgpr7
                                        ; implicit-def: $vgpr8
	s_branch .LBB204_234
.LBB204_239:                            ;   in Loop: Header=BB204_6 Depth=1
	s_or_b32 exec_lo, exec_lo, s22
	v_lshrrev_b32_e32 v8, 16, v9
	s_and_b32 s22, s51, exec_lo
.LBB204_240:                            ;   in Loop: Header=BB204_6 Depth=1
	s_or_b32 exec_lo, exec_lo, s28
.LBB204_241:                            ;   in Loop: Header=BB204_6 Depth=1
	s_delay_alu instid0(SALU_CYCLE_1)
	s_and_b32 vcc_lo, exec_lo, s23
	s_cbranch_vccz .LBB204_258
; %bb.242:                              ;   in Loop: Header=BB204_6 Depth=1
	s_and_b64 s[10:11], s[56:57], 0xffffffff00000000
	s_delay_alu instid0(SALU_CYCLE_1)
	s_cmp_lg_u64 s[10:11], 0
	s_cbranch_scc0 .LBB204_244
; %bb.243:                              ;   in Loop: Header=BB204_6 Depth=1
	s_cvt_f32_u32 s8, s34
	s_sub_nc_u64 s[20:21], 0, s[34:35]
	s_delay_alu instid0(SALU_CYCLE_2) | instskip(NEXT) | instid1(SALU_CYCLE_3)
	s_fmamk_f32 s8, s94, 0x0, s8
	v_s_rcp_f32 s8, s8
	s_delay_alu instid0(TRANS32_DEP_1) | instskip(NEXT) | instid1(SALU_CYCLE_3)
	s_mul_f32 s8, s8, 0x5f7ffffc
	s_mul_f32 s10, s8, 0x2f800000
	s_delay_alu instid0(SALU_CYCLE_3) | instskip(NEXT) | instid1(SALU_CYCLE_3)
	s_trunc_f32 s10, s10
	s_fmamk_f32 s8, s10, 0xcf800000, s8
	s_cvt_u32_f32 s11, s10
	s_delay_alu instid0(SALU_CYCLE_2) | instskip(NEXT) | instid1(SALU_CYCLE_3)
	s_cvt_u32_f32 s10, s8
	s_mul_u64 s[44:45], s[20:21], s[10:11]
	s_delay_alu instid0(SALU_CYCLE_1)
	s_mul_hi_u32 s51, s10, s45
	s_mul_i32 s50, s10, s45
	s_mul_hi_u32 s28, s10, s44
	s_mul_i32 s23, s11, s44
	s_add_nc_u64 s[50:51], s[28:29], s[50:51]
	s_mul_hi_u32 s8, s11, s44
	s_mul_hi_u32 s52, s11, s45
	s_add_co_u32 s23, s50, s23
	s_add_co_ci_u32 s28, s51, s8
	s_mul_i32 s44, s11, s45
	s_add_co_ci_u32 s45, s52, 0
	s_delay_alu instid0(SALU_CYCLE_1) | instskip(NEXT) | instid1(SALU_CYCLE_1)
	s_add_nc_u64 s[44:45], s[28:29], s[44:45]
	s_add_co_u32 s10, s10, s44
	s_cselect_b32 s8, -1, 0
	s_delay_alu instid0(SALU_CYCLE_1) | instskip(SKIP_1) | instid1(SALU_CYCLE_1)
	s_cmp_lg_u32 s8, 0
	s_add_co_ci_u32 s11, s11, s45
	s_mul_u64 s[20:21], s[20:21], s[10:11]
	s_delay_alu instid0(SALU_CYCLE_1)
	s_mul_hi_u32 s45, s10, s21
	s_mul_i32 s44, s10, s21
	s_mul_hi_u32 s28, s10, s20
	s_mul_i32 s23, s11, s20
	s_add_nc_u64 s[44:45], s[28:29], s[44:45]
	s_mul_hi_u32 s8, s11, s20
	s_mul_hi_u32 s50, s11, s21
	s_mul_i32 s20, s11, s21
	s_add_co_u32 s21, s44, s23
	s_add_co_ci_u32 s28, s45, s8
	s_add_co_ci_u32 s21, s50, 0
	s_delay_alu instid0(SALU_CYCLE_1) | instskip(NEXT) | instid1(SALU_CYCLE_1)
	s_add_nc_u64 s[20:21], s[28:29], s[20:21]
	s_add_co_u32 s8, s10, s20
	s_cselect_b32 s10, -1, 0
	s_mul_hi_u32 s28, s56, s8
	s_cmp_lg_u32 s10, 0
	s_mul_hi_u32 s23, s57, s8
	s_add_co_ci_u32 s20, s11, s21
	s_mul_i32 s8, s57, s8
	s_mul_hi_u32 s11, s56, s20
	s_mul_i32 s10, s56, s20
	s_mul_hi_u32 s21, s57, s20
	s_add_nc_u64 s[10:11], s[28:29], s[10:11]
	s_mul_i32 s20, s57, s20
	s_add_co_u32 s8, s10, s8
	s_add_co_ci_u32 s28, s11, s23
	s_add_co_ci_u32 s21, s21, 0
	s_delay_alu instid0(SALU_CYCLE_1) | instskip(NEXT) | instid1(SALU_CYCLE_1)
	s_add_nc_u64 s[10:11], s[28:29], s[20:21]
	s_and_b64 s[20:21], s[10:11], 0xffffffff00000000
	s_delay_alu instid0(SALU_CYCLE_1) | instskip(NEXT) | instid1(SALU_CYCLE_1)
	s_or_b32 s20, s20, s10
	s_mul_u64 s[10:11], s[34:35], s[20:21]
	s_delay_alu instid0(SALU_CYCLE_1) | instskip(SKIP_1) | instid1(SALU_CYCLE_1)
	s_sub_co_u32 s8, s56, s10
	s_cselect_b32 s10, -1, 0
	s_cmp_lg_u32 s10, 0
	s_sub_co_ci_u32 s10, s57, s11
	s_sub_co_u32 s11, s8, s34
	s_cselect_b32 s20, -1, 0
	s_delay_alu instid0(SALU_CYCLE_1) | instskip(SKIP_3) | instid1(SALU_CYCLE_1)
	s_cmp_lg_u32 s20, 0
	s_sub_co_ci_u32 s20, s10, 0
	s_sub_co_u32 s21, s11, s34
	s_cselect_b32 s23, -1, 0
	s_cmp_lg_u32 s23, 0
	s_sub_co_ci_u32 s23, s20, 0
	s_cmp_ge_u32 s11, s34
	s_cselect_b32 s28, -1, 0
	s_cmp_eq_u32 s20, 0
	s_cselect_b32 s28, s28, -1
	s_delay_alu instid0(SALU_CYCLE_1)
	s_cmp_lg_u32 s28, 0
	s_cselect_b32 s20, s23, s20
	s_cselect_b32 s21, s21, s11
	s_cmp_ge_u32 s8, s34
	s_cselect_b32 s11, -1, 0
	s_cmp_eq_u32 s10, 0
	s_cselect_b32 s11, s11, -1
	s_delay_alu instid0(SALU_CYCLE_1)
	s_cmp_lg_u32 s11, 0
	s_cselect_b32 s11, s20, s10
	s_cselect_b32 s10, s21, s8
	s_mov_b32 s20, 0
	s_branch .LBB204_245
.LBB204_244:                            ;   in Loop: Header=BB204_6 Depth=1
	s_mov_b32 s20, -1
                                        ; implicit-def: $sgpr10_sgpr11
.LBB204_245:                            ;   in Loop: Header=BB204_6 Depth=1
	s_delay_alu instid0(SALU_CYCLE_1)
	s_and_not1_b32 vcc_lo, exec_lo, s20
	s_cbranch_vccnz .LBB204_247
; %bb.246:                              ;   in Loop: Header=BB204_6 Depth=1
	v_cvt_f32_u32_e32 v6, s34
	s_sub_co_i32 s10, 0, s34
	s_delay_alu instid0(VALU_DEP_1) | instskip(SKIP_1) | instid1(TRANS32_DEP_1)
	v_rcp_iflag_f32_e32 v6, v6
	v_nop
	v_mul_f32_e32 v6, 0x4f7ffffe, v6
	s_delay_alu instid0(VALU_DEP_1) | instskip(NEXT) | instid1(VALU_DEP_1)
	v_cvt_u32_f32_e32 v6, v6
	v_readfirstlane_b32 s8, v6
	s_mul_i32 s10, s10, s8
	s_delay_alu instid0(SALU_CYCLE_1) | instskip(NEXT) | instid1(SALU_CYCLE_1)
	s_mul_hi_u32 s10, s8, s10
	s_add_co_i32 s8, s8, s10
	s_delay_alu instid0(SALU_CYCLE_1) | instskip(NEXT) | instid1(SALU_CYCLE_1)
	s_mul_hi_u32 s8, s56, s8
	s_mul_i32 s8, s8, s34
	s_delay_alu instid0(SALU_CYCLE_1) | instskip(NEXT) | instid1(SALU_CYCLE_1)
	s_sub_co_i32 s8, s56, s8
	s_sub_co_i32 s10, s8, s34
	s_cmp_ge_u32 s8, s34
	s_cselect_b32 s8, s10, s8
	s_delay_alu instid0(SALU_CYCLE_1) | instskip(SKIP_2) | instid1(SALU_CYCLE_1)
	s_sub_co_i32 s10, s8, s34
	s_cmp_ge_u32 s8, s34
	s_cselect_b32 s28, s10, s8
	s_mov_b64 s[10:11], s[28:29]
.LBB204_247:                            ;   in Loop: Header=BB204_6 Depth=1
	s_delay_alu instid0(SALU_CYCLE_1)
	s_sub_nc_u64 s[10:11], s[56:57], s[10:11]
	s_mov_b32 s20, exec_lo
                                        ; implicit-def: $vgpr8
	v_cmpx_gt_u64_e64 s[10:11], v[0:1]
	s_cbranch_execz .LBB204_257
; %bb.248:                              ;   in Loop: Header=BB204_6 Depth=1
	v_mov_b64_e32 v[6:7], v[14:15]
	v_mov_b64_e32 v[8:9], v[0:1]
	s_mov_b32 s21, 0
                                        ; implicit-def: $sgpr23
	s_branch .LBB204_252
.LBB204_249:                            ;   in Loop: Header=BB204_252 Depth=2
	s_or_b32 exec_lo, exec_lo, s28
	s_wait_dscnt 0x0
	s_barrier_signal -1
	s_barrier_wait -1
	ds_load_b32 v32, v3 offset:3072
	s_wait_dscnt 0x0
	s_barrier_signal -1
	s_barrier_wait -1
	v_cmp_eq_f16_e32 vcc_lo, 0, v32
	s_cbranch_vccz .LBB204_255
; %bb.250:                              ;   in Loop: Header=BB204_252 Depth=2
	v_add_nc_u64_e32 v[8:9], s[34:35], v[8:9]
	v_add_nc_u64_e32 v[6:7], s[40:41], v[6:7]
	s_mov_b32 s28, 0
	s_delay_alu instid0(VALU_DEP_2)
	v_cmp_le_u64_e32 vcc_lo, s[10:11], v[8:9]
	s_or_not1_b32 s50, vcc_lo, exec_lo
.LBB204_251:                            ;   in Loop: Header=BB204_252 Depth=2
	s_delay_alu instid0(SALU_CYCLE_1) | instskip(NEXT) | instid1(SALU_CYCLE_1)
	s_and_b32 s8, exec_lo, s50
	s_or_b32 s21, s8, s21
	s_and_not1_b32 s8, s23, exec_lo
	s_and_b32 s23, s28, exec_lo
	s_delay_alu instid0(SALU_CYCLE_1)
	s_or_b32 s23, s8, s23
	s_and_not1_b32 exec_lo, exec_lo, s21
	s_cbranch_execz .LBB204_256
.LBB204_252:                            ;   Parent Loop BB204_6 Depth=1
                                        ; =>  This Inner Loop Header: Depth=2
	s_mov_b32 s28, exec_lo
	s_delay_alu instid0(VALU_DEP_1)
	v_cmpx_gt_u64_e64 s[36:37], v[8:9]
	s_cbranch_execz .LBB204_249
; %bb.253:                              ;   in Loop: Header=BB204_252 Depth=2
	global_load_u16 v32, v[6:7], off
	s_wait_loadcnt 0x0
	v_cmp_lt_i16_e32 vcc_lo, -1, v32
	v_and_b32_e32 v33, 0xffff, v32
	v_cndmask_b32_e32 v34, 0xffff, v44, vcc_lo
	v_cmp_o_f16_e32 vcc_lo, v32, v32
	s_delay_alu instid0(VALU_DEP_2) | instskip(NEXT) | instid1(VALU_DEP_1)
	v_xor_b32_e32 v33, v34, v33
	v_cndmask_b32_e32 v33, 0xffff, v33, vcc_lo
	s_delay_alu instid0(VALU_DEP_1) | instskip(NEXT) | instid1(VALU_DEP_1)
	v_and_b32_e32 v33, v33, v11
	v_cmp_eq_u32_e32 vcc_lo, v33, v10
	s_and_b32 exec_lo, exec_lo, vcc_lo
	s_cbranch_execz .LBB204_249
; %bb.254:                              ;   in Loop: Header=BB204_252 Depth=2
	v_perm_b32 v32, v32, s95, 0x5040100
	ds_store_b32 v3, v32 offset:3072
	s_branch .LBB204_249
.LBB204_255:                            ;   in Loop: Header=BB204_252 Depth=2
	s_mov_b32 s50, -1
	s_mov_b32 s28, -1
                                        ; implicit-def: $vgpr8_vgpr9
                                        ; implicit-def: $vgpr6_vgpr7
	s_branch .LBB204_251
.LBB204_256:                            ;   in Loop: Header=BB204_6 Depth=1
	s_or_b32 exec_lo, exec_lo, s21
	v_lshrrev_b32_e32 v8, 16, v32
	s_and_not1_b32 s8, s22, exec_lo
	s_and_b32 s10, s23, exec_lo
	s_delay_alu instid0(SALU_CYCLE_1)
	s_or_b32 s22, s8, s10
.LBB204_257:                            ;   in Loop: Header=BB204_6 Depth=1
	s_or_b32 exec_lo, exec_lo, s20
	s_mov_b32 s85, 0
	s_mov_b32 s50, -1
.LBB204_258:                            ;   in Loop: Header=BB204_6 Depth=1
	s_or_not1_b32 s11, s22, exec_lo
.LBB204_259:                            ;   in Loop: Header=BB204_6 Depth=1
	s_or_b32 exec_lo, exec_lo, s84
	s_mov_b32 s20, 0
	s_and_saveexec_b32 s10, s11
	s_cbranch_execz .LBB204_270
; %bb.260:                              ;   in Loop: Header=BB204_6 Depth=1
	v_mov_b64_e32 v[6:7], 1
	v_mov_b32_e32 v2, 1
	s_xor_b32 s8, s83, -1
	s_delay_alu instid0(SALU_CYCLE_1)
	s_and_saveexec_b32 s11, s8
	s_cbranch_execz .LBB204_269
; %bb.261:                              ;   in Loop: Header=BB204_6 Depth=1
	s_mov_b32 s8, exec_lo
	v_cmpx_ge_u64_e64 s[18:19], v[4:5]
	s_xor_b32 s20, exec_lo, s8
	s_cbranch_execz .LBB204_266
; %bb.262:                              ;   in Loop: Header=BB204_6 Depth=1
	ds_load_b64 v[6:7], v3 offset:5120
	v_or_b32_e32 v10, s24, v10
	v_or_b32_e32 v11, s24, v11
	s_wait_dscnt 0x0
	v_cmp_ne_u64_e32 vcc_lo, 0, v[6:7]
	s_cbranch_vccnz .LBB204_266
; %bb.263:                              ;   in Loop: Header=BB204_6 Depth=1
	s_and_saveexec_b32 s21, s5
; %bb.264:                              ;   in Loop: Header=BB204_6 Depth=1
	v_mov_b64_e32 v[6:7], s[18:19]
	ds_store_b64 v3, v[6:7] offset:5128
; %bb.265:                              ;   in Loop: Header=BB204_6 Depth=1
	s_or_b32 exec_lo, exec_lo, s21
	s_wait_dscnt 0x0
	s_barrier_signal -1
	s_barrier_wait -1
.LBB204_266:                            ;   in Loop: Header=BB204_6 Depth=1
	s_and_not1_saveexec_b32 s20, s20
; %bb.267:                              ;   in Loop: Header=BB204_6 Depth=1
	v_sub_nc_u64_e64 v[4:5], v[4:5], s[18:19]
; %bb.268:                              ;   in Loop: Header=BB204_6 Depth=1
	s_or_b32 exec_lo, exec_lo, s20
	s_delay_alu instid0(VALU_DEP_1)
	v_mov_b64_e32 v[6:7], v[4:5]
	v_mov_b32_e32 v2, 8
.LBB204_269:                            ;   in Loop: Header=BB204_6 Depth=1
	s_or_b32 exec_lo, exec_lo, s11
	s_delay_alu instid0(VALU_DEP_2)
	v_mov_b64_e32 v[4:5], v[6:7]
	s_mov_b32 s20, exec_lo
.LBB204_270:                            ;   in Loop: Header=BB204_6 Depth=1
	s_or_b32 exec_lo, exec_lo, s10
	s_delay_alu instid0(SALU_CYCLE_1)
	s_or_not1_b32 s10, s20, exec_lo
.LBB204_271:                            ;   in Loop: Header=BB204_6 Depth=1
	s_or_b32 exec_lo, exec_lo, s82
	s_delay_alu instid0(VALU_DEP_1)
	v_mov_b64_e32 v[6:7], v[4:5]
	s_and_not1_b32 s11, s80, exec_lo
	s_and_b32 s20, s50, exec_lo
	s_and_not1_b32 s21, s79, exec_lo
	s_and_b32 s22, s85, exec_lo
	s_or_b32 s80, s11, s20
	s_or_b32 s79, s21, s22
	s_and_b32 s11, s10, exec_lo
.LBB204_272:                            ;   in Loop: Header=BB204_6 Depth=1
	s_or_b32 exec_lo, exec_lo, s81
	s_delay_alu instid0(SALU_CYCLE_1)
	s_or_not1_b32 s10, s11, exec_lo
.LBB204_273:                            ;   in Loop: Header=BB204_6 Depth=1
	s_or_b32 exec_lo, exec_lo, s78
	v_mov_b64_e32 v[4:5], v[6:7]
	s_and_not1_b32 s11, s76, exec_lo
	s_and_b32 s20, s80, exec_lo
	s_and_not1_b32 s21, s49, exec_lo
	s_and_b32 s22, s79, exec_lo
	s_or_b32 s76, s11, s20
	s_or_b32 s49, s21, s22
	s_and_b32 s11, s10, exec_lo
.LBB204_274:                            ;   in Loop: Header=BB204_6 Depth=1
	s_or_b32 exec_lo, exec_lo, s77
	s_delay_alu instid0(SALU_CYCLE_1)
	s_or_not1_b32 s10, s11, exec_lo
.LBB204_275:                            ;   in Loop: Header=BB204_6 Depth=1
	s_or_b32 exec_lo, exec_lo, s27
	s_mov_b32 s11, 0
	s_mov_b32 s20, 0
	s_and_saveexec_b32 s21, s10
	s_delay_alu instid0(SALU_CYCLE_1)
	s_xor_b32 s21, exec_lo, s21
; %bb.276:                              ;   in Loop: Header=BB204_6 Depth=1
	v_cmp_ne_u32_e32 vcc_lo, 8, v2
	v_cmp_eq_u32_e64 s10, 8, v2
	s_and_b32 s20, vcc_lo, exec_lo
	s_and_b32 s11, s10, exec_lo
; %bb.277:                              ;   in Loop: Header=BB204_6 Depth=1
	s_or_b32 exec_lo, exec_lo, s21
	s_delay_alu instid0(SALU_CYCLE_1)
	s_and_not1_b32 s10, s73, exec_lo
	s_and_b32 s21, s76, exec_lo
	s_and_not1_b32 s22, s72, exec_lo
	s_and_b32 s23, s49, exec_lo
	s_or_b32 s73, s10, s21
	s_or_b32 s72, s22, s23
	s_and_b32 s27, s20, exec_lo
	s_and_b32 s49, s11, exec_lo
.LBB204_278:                            ;   in Loop: Header=BB204_6 Depth=1
	s_or_b32 exec_lo, exec_lo, s75
.LBB204_279:                            ;   in Loop: Header=BB204_6 Depth=1
	s_delay_alu instid0(SALU_CYCLE_1)
	s_and_b32 vcc_lo, exec_lo, s74
	s_cbranch_vccz .LBB204_296
; %bb.280:                              ;   in Loop: Header=BB204_6 Depth=1
	s_cmp_eq_u64 s[18:19], 1
                                        ; implicit-def: $sgpr74
                                        ; implicit-def: $sgpr26
	s_cselect_b32 s10, -1, 0
	s_delay_alu instid0(SALU_CYCLE_1)
	s_and_b32 s9, s10, s9
	s_mov_b32 s10, -1
	s_and_saveexec_b32 s72, s9
	s_cbranch_execz .LBB204_315
; %bb.281:                              ;   in Loop: Header=BB204_6 Depth=1
	ds_load_b64 v[4:5], v3 offset:5120
	s_wait_dscnt 0x0
	s_barrier_signal -1
	s_barrier_wait -1
	v_readfirstlane_b32 s10, v4
	v_readfirstlane_b32 s11, v5
	s_and_saveexec_b32 s20, s6
; %bb.282:                              ;   in Loop: Header=BB204_6 Depth=1
	ds_store_b16 v39, v3
; %bb.283:                              ;   in Loop: Header=BB204_6 Depth=1
	s_or_b32 exec_lo, exec_lo, s20
	v_or_b32_e32 v42, s24, v42
	v_or_b32_e32 v45, s24, v45
	s_mov_b32 s26, -1
	s_mov_b32 s74, 0
	s_cmp_eq_u64 s[10:11], 0
	s_mov_b32 s22, 0
	s_mov_b32 s23, -1
	s_wait_dscnt 0x0
	s_barrier_signal -1
	s_barrier_wait -1
                                        ; implicit-def: $vgpr46
	s_cbranch_scc1 .LBB204_299
; %bb.284:                              ;   in Loop: Header=BB204_6 Depth=1
	s_add_nc_u64 s[20:21], s[10:11], s[54:55]
	s_delay_alu instid0(SALU_CYCLE_1) | instskip(NEXT) | instid1(SALU_CYCLE_1)
	s_and_b64 s[22:23], s[20:21], 0xffffffff00000000
	s_cmp_lg_u64 s[22:23], 0
	s_cbranch_scc0 .LBB204_342
; %bb.285:                              ;   in Loop: Header=BB204_6 Depth=1
	s_cvt_f32_u32 s22, s34
	s_sub_nc_u64 s[50:51], 0, s[34:35]
	s_delay_alu instid0(SALU_CYCLE_2) | instskip(NEXT) | instid1(SALU_CYCLE_3)
	s_fmamk_f32 s22, s94, 0x0, s22
	v_s_rcp_f32 s22, s22
	s_delay_alu instid0(TRANS32_DEP_1) | instskip(NEXT) | instid1(SALU_CYCLE_3)
	s_mul_f32 s22, s22, 0x5f7ffffc
	s_mul_f32 s23, s22, 0x2f800000
	s_delay_alu instid0(SALU_CYCLE_3) | instskip(NEXT) | instid1(SALU_CYCLE_3)
	s_trunc_f32 s23, s23
	s_fmamk_f32 s22, s23, 0xcf800000, s22
	s_cvt_u32_f32 s23, s23
	s_delay_alu instid0(SALU_CYCLE_2) | instskip(NEXT) | instid1(SALU_CYCLE_3)
	s_cvt_u32_f32 s22, s22
	s_mul_u64 s[52:53], s[50:51], s[22:23]
	s_delay_alu instid0(SALU_CYCLE_1)
	s_mul_hi_u32 s77, s22, s53
	s_mul_i32 s76, s22, s53
	s_mul_hi_u32 s28, s22, s52
	s_mul_i32 s45, s23, s52
	s_add_nc_u64 s[76:77], s[28:29], s[76:77]
	s_mul_hi_u32 s44, s23, s52
	s_mul_hi_u32 s66, s23, s53
	s_add_co_u32 s28, s76, s45
	s_add_co_ci_u32 s28, s77, s44
	s_mul_i32 s52, s23, s53
	s_add_co_ci_u32 s53, s66, 0
	s_delay_alu instid0(SALU_CYCLE_1) | instskip(NEXT) | instid1(SALU_CYCLE_1)
	s_add_nc_u64 s[52:53], s[28:29], s[52:53]
	s_add_co_u32 s22, s22, s52
	s_cselect_b32 s28, -1, 0
	s_delay_alu instid0(SALU_CYCLE_1) | instskip(SKIP_1) | instid1(SALU_CYCLE_1)
	s_cmp_lg_u32 s28, 0
	s_add_co_ci_u32 s23, s23, s53
	s_mul_u64 s[50:51], s[50:51], s[22:23]
	s_delay_alu instid0(SALU_CYCLE_1)
	s_mul_hi_u32 s53, s22, s51
	s_mul_i32 s52, s22, s51
	s_mul_hi_u32 s28, s22, s50
	s_mul_i32 s45, s23, s50
	s_add_nc_u64 s[52:53], s[28:29], s[52:53]
	s_mul_hi_u32 s44, s23, s50
	s_mul_hi_u32 s66, s23, s51
	s_add_co_u32 s28, s52, s45
	s_add_co_ci_u32 s28, s53, s44
	s_mul_i32 s50, s23, s51
	s_add_co_ci_u32 s51, s66, 0
	s_delay_alu instid0(SALU_CYCLE_1) | instskip(NEXT) | instid1(SALU_CYCLE_1)
	s_add_nc_u64 s[50:51], s[28:29], s[50:51]
	s_add_co_u32 s22, s22, s50
	s_cselect_b32 s44, -1, 0
	s_mul_hi_u32 s28, s20, s22
	s_cmp_lg_u32 s44, 0
	s_mul_hi_u32 s44, s21, s22
	s_add_co_ci_u32 s45, s23, s51
	s_mul_i32 s51, s21, s22
	s_mul_hi_u32 s23, s20, s45
	s_mul_i32 s22, s20, s45
	s_mul_hi_u32 s52, s21, s45
	s_add_nc_u64 s[22:23], s[28:29], s[22:23]
	s_mul_i32 s50, s21, s45
	s_add_co_u32 s22, s22, s51
	s_add_co_ci_u32 s28, s23, s44
	s_add_co_ci_u32 s51, s52, 0
	s_delay_alu instid0(SALU_CYCLE_1) | instskip(NEXT) | instid1(SALU_CYCLE_1)
	s_add_nc_u64 s[22:23], s[28:29], s[50:51]
	s_and_b64 s[50:51], s[22:23], 0xffffffff00000000
	s_delay_alu instid0(SALU_CYCLE_1) | instskip(NEXT) | instid1(SALU_CYCLE_1)
	s_or_b32 s50, s50, s22
	s_mul_u64 s[22:23], s[34:35], s[50:51]
	s_delay_alu instid0(SALU_CYCLE_1) | instskip(SKIP_1) | instid1(SALU_CYCLE_1)
	s_sub_co_u32 s22, s20, s22
	s_cselect_b32 s28, -1, 0
	s_cmp_lg_u32 s28, 0
	s_sub_co_ci_u32 s23, s21, s23
	s_sub_co_u32 s28, s22, s34
	s_cselect_b32 s44, -1, 0
	s_delay_alu instid0(SALU_CYCLE_1) | instskip(SKIP_3) | instid1(SALU_CYCLE_1)
	s_cmp_lg_u32 s44, 0
	s_sub_co_ci_u32 s44, s23, 0
	s_sub_co_u32 s45, s28, s34
	s_cselect_b32 s50, -1, 0
	s_cmp_lg_u32 s50, 0
	s_sub_co_ci_u32 s50, s44, 0
	s_cmp_ge_u32 s28, s34
	s_cselect_b32 s51, -1, 0
	s_cmp_eq_u32 s44, 0
	s_cselect_b32 s51, s51, -1
	s_delay_alu instid0(SALU_CYCLE_1)
	s_cmp_lg_u32 s51, 0
	s_cselect_b32 s44, s50, s44
	s_cselect_b32 s28, s45, s28
	s_cmp_ge_u32 s22, s34
	s_cselect_b32 s45, -1, 0
	s_cmp_eq_u32 s23, 0
	s_cselect_b32 s45, s45, -1
	s_delay_alu instid0(SALU_CYCLE_1)
	s_cmp_lg_u32 s45, 0
	s_cselect_b32 s23, s44, s23
	s_cselect_b32 s22, s28, s22
	s_cbranch_execnz .LBB204_287
.LBB204_286:                            ;   in Loop: Header=BB204_6 Depth=1
	v_cvt_f32_u32_e32 v2, s34
	s_sub_co_i32 s23, 0, s34
	s_delay_alu instid0(VALU_DEP_1) | instskip(SKIP_1) | instid1(TRANS32_DEP_1)
	v_rcp_iflag_f32_e32 v2, v2
	v_nop
	v_mul_f32_e32 v2, 0x4f7ffffe, v2
	s_delay_alu instid0(VALU_DEP_1) | instskip(NEXT) | instid1(VALU_DEP_1)
	v_cvt_u32_f32_e32 v2, v2
	v_readfirstlane_b32 s22, v2
	s_mul_i32 s23, s23, s22
	s_delay_alu instid0(SALU_CYCLE_1) | instskip(NEXT) | instid1(SALU_CYCLE_1)
	s_mul_hi_u32 s23, s22, s23
	s_add_co_i32 s22, s22, s23
	s_delay_alu instid0(SALU_CYCLE_1) | instskip(NEXT) | instid1(SALU_CYCLE_1)
	s_mul_hi_u32 s22, s20, s22
	s_mul_i32 s22, s22, s34
	s_delay_alu instid0(SALU_CYCLE_1) | instskip(NEXT) | instid1(SALU_CYCLE_1)
	s_sub_co_i32 s22, s20, s22
	s_sub_co_i32 s23, s22, s34
	s_cmp_ge_u32 s22, s34
	s_cselect_b32 s22, s23, s22
	s_delay_alu instid0(SALU_CYCLE_1) | instskip(SKIP_2) | instid1(SALU_CYCLE_1)
	s_sub_co_i32 s23, s22, s34
	s_cmp_ge_u32 s22, s34
	s_cselect_b32 s28, s23, s22
	s_mov_b64 s[22:23], s[28:29]
.LBB204_287:                            ;   in Loop: Header=BB204_6 Depth=1
	s_delay_alu instid0(SALU_CYCLE_1)
	s_sub_nc_u64 s[20:21], s[20:21], s[22:23]
	s_mov_b32 s23, 0
	s_mov_b32 s22, 0
	s_mov_b32 s28, exec_lo
                                        ; implicit-def: $vgpr46
	v_cmpx_gt_u64_e64 s[20:21], v[0:1]
	s_cbranch_execz .LBB204_298
; %bb.288:                              ;   in Loop: Header=BB204_6 Depth=1
	v_mov_b64_e32 v[4:5], v[0:1]
	v_mov_b32_e32 v2, v38
                                        ; implicit-def: $sgpr50
	s_branch .LBB204_292
.LBB204_289:                            ;   in Loop: Header=BB204_292 Depth=2
	s_or_b32 exec_lo, exec_lo, s51
	s_wait_dscnt 0x0
	s_barrier_signal -1
	s_barrier_wait -1
	ds_load_b32 v6, v3 offset:3072
	s_wait_dscnt 0x0
	s_barrier_signal -1
	s_barrier_wait -1
	v_cmp_neq_f16_e32 vcc_lo, 0, v6
	s_cbranch_vccnz .LBB204_295
; %bb.290:                              ;   in Loop: Header=BB204_292 Depth=2
	v_add_nc_u64_e32 v[4:5], s[34:35], v[4:5]
	v_add_nc_u32_e32 v2, s93, v2
	s_mov_b32 s51, 0
	s_delay_alu instid0(VALU_DEP_2)
	v_cmp_le_u64_e32 vcc_lo, s[20:21], v[4:5]
	s_or_not1_b32 s52, vcc_lo, exec_lo
.LBB204_291:                            ;   in Loop: Header=BB204_292 Depth=2
	s_delay_alu instid0(SALU_CYCLE_1) | instskip(NEXT) | instid1(SALU_CYCLE_1)
	s_and_b32 s8, exec_lo, s52
	s_or_b32 s22, s8, s22
	s_and_not1_b32 s8, s50, exec_lo
	s_and_b32 s44, s51, exec_lo
	s_delay_alu instid0(SALU_CYCLE_1)
	s_or_b32 s50, s8, s44
	s_and_not1_b32 exec_lo, exec_lo, s22
	s_cbranch_execz .LBB204_297
.LBB204_292:                            ;   Parent Loop BB204_6 Depth=1
                                        ; =>  This Inner Loop Header: Depth=2
	s_mov_b32 s51, exec_lo
	s_delay_alu instid0(VALU_DEP_2)
	v_cmpx_gt_u64_e64 s[10:11], v[4:5]
	s_cbranch_execz .LBB204_289
; %bb.293:                              ;   in Loop: Header=BB204_292 Depth=2
	ds_load_u16 v6, v2
	s_wait_dscnt 0x0
	v_cmp_lt_i16_e32 vcc_lo, -1, v6
	v_and_b32_e32 v7, 0xffff, v6
	v_cndmask_b32_e32 v8, 0xffff, v44, vcc_lo
	v_cmp_o_f16_e32 vcc_lo, v6, v6
	s_delay_alu instid0(VALU_DEP_2) | instskip(NEXT) | instid1(VALU_DEP_1)
	v_xor_b32_e32 v7, v8, v7
	v_cndmask_b32_e32 v7, 0xffff, v7, vcc_lo
	s_delay_alu instid0(VALU_DEP_1) | instskip(NEXT) | instid1(VALU_DEP_1)
	v_and_b32_e32 v7, v7, v45
	v_cmp_eq_u32_e32 vcc_lo, v7, v42
	s_and_b32 exec_lo, exec_lo, vcc_lo
	s_cbranch_execz .LBB204_289
; %bb.294:                              ;   in Loop: Header=BB204_292 Depth=2
	v_perm_b32 v6, v6, s95, 0x5040100
	ds_store_b32 v3, v6 offset:3072
	s_branch .LBB204_289
.LBB204_295:                            ;   in Loop: Header=BB204_292 Depth=2
	s_mov_b32 s52, -1
	s_mov_b32 s51, -1
                                        ; implicit-def: $vgpr4_vgpr5
                                        ; implicit-def: $vgpr2
	s_branch .LBB204_291
.LBB204_296:                            ;   in Loop: Header=BB204_6 Depth=1
	v_dual_mov_b32 v42, v10 :: v_dual_mov_b32 v45, v11
	v_mov_b32_e32 v46, v8
	s_mov_b32 s74, 0
	s_and_saveexec_b32 s9, s49
	s_cbranch_execnz .LBB204_480
	s_branch .LBB204_481
.LBB204_297:                            ;   in Loop: Header=BB204_6 Depth=1
	s_or_b32 exec_lo, exec_lo, s22
	v_lshrrev_b32_e32 v46, 16, v6
	s_and_b32 s22, s50, exec_lo
.LBB204_298:                            ;   in Loop: Header=BB204_6 Depth=1
	s_or_b32 exec_lo, exec_lo, s28
.LBB204_299:                            ;   in Loop: Header=BB204_6 Depth=1
	s_delay_alu instid0(SALU_CYCLE_1)
	s_and_b32 vcc_lo, exec_lo, s23
	s_cbranch_vccz .LBB204_314
; %bb.300:                              ;   in Loop: Header=BB204_6 Depth=1
	s_and_b64 s[10:11], s[56:57], 0xffffffff00000000
	s_delay_alu instid0(SALU_CYCLE_1)
	s_cmp_lg_u64 s[10:11], 0
	s_cbranch_scc0 .LBB204_343
; %bb.301:                              ;   in Loop: Header=BB204_6 Depth=1
	s_cvt_f32_u32 s10, s34
	s_sub_nc_u64 s[20:21], 0, s[34:35]
	s_delay_alu instid0(SALU_CYCLE_2) | instskip(NEXT) | instid1(SALU_CYCLE_3)
	s_fmamk_f32 s10, s94, 0x0, s10
	v_s_rcp_f32 s10, s10
	s_delay_alu instid0(TRANS32_DEP_1) | instskip(NEXT) | instid1(SALU_CYCLE_3)
	s_mul_f32 s10, s10, 0x5f7ffffc
	s_mul_f32 s11, s10, 0x2f800000
	s_delay_alu instid0(SALU_CYCLE_3) | instskip(NEXT) | instid1(SALU_CYCLE_3)
	s_trunc_f32 s11, s11
	s_fmamk_f32 s10, s11, 0xcf800000, s10
	s_cvt_u32_f32 s11, s11
	s_delay_alu instid0(SALU_CYCLE_2) | instskip(NEXT) | instid1(SALU_CYCLE_3)
	s_cvt_u32_f32 s10, s10
	s_mul_u64 s[50:51], s[20:21], s[10:11]
	s_delay_alu instid0(SALU_CYCLE_1)
	s_mul_hi_u32 s53, s10, s51
	s_mul_i32 s52, s10, s51
	s_mul_hi_u32 s28, s10, s50
	s_mul_i32 s26, s11, s50
	s_add_nc_u64 s[52:53], s[28:29], s[52:53]
	s_mul_hi_u32 s23, s11, s50
	s_mul_hi_u32 s44, s11, s51
	s_add_co_u32 s26, s52, s26
	s_add_co_ci_u32 s28, s53, s23
	s_mul_i32 s50, s11, s51
	s_add_co_ci_u32 s51, s44, 0
	s_delay_alu instid0(SALU_CYCLE_1) | instskip(NEXT) | instid1(SALU_CYCLE_1)
	s_add_nc_u64 s[50:51], s[28:29], s[50:51]
	s_add_co_u32 s10, s10, s50
	s_cselect_b32 s23, -1, 0
	s_delay_alu instid0(SALU_CYCLE_1) | instskip(SKIP_1) | instid1(SALU_CYCLE_1)
	s_cmp_lg_u32 s23, 0
	s_add_co_ci_u32 s11, s11, s51
	s_mul_u64 s[20:21], s[20:21], s[10:11]
	s_delay_alu instid0(SALU_CYCLE_1)
	s_mul_hi_u32 s51, s10, s21
	s_mul_i32 s50, s10, s21
	s_mul_hi_u32 s28, s10, s20
	s_mul_i32 s26, s11, s20
	s_add_nc_u64 s[50:51], s[28:29], s[50:51]
	s_mul_hi_u32 s23, s11, s20
	s_mul_hi_u32 s44, s11, s21
	s_mul_i32 s20, s11, s21
	s_add_co_u32 s21, s50, s26
	s_add_co_ci_u32 s28, s51, s23
	s_add_co_ci_u32 s21, s44, 0
	s_delay_alu instid0(SALU_CYCLE_1) | instskip(NEXT) | instid1(SALU_CYCLE_1)
	s_add_nc_u64 s[20:21], s[28:29], s[20:21]
	s_add_co_u32 s10, s10, s20
	s_cselect_b32 s20, -1, 0
	s_mul_hi_u32 s28, s56, s10
	s_cmp_lg_u32 s20, 0
	s_mul_hi_u32 s23, s57, s10
	s_add_co_ci_u32 s20, s11, s21
	s_mul_i32 s21, s57, s10
	s_mul_hi_u32 s11, s56, s20
	s_mul_i32 s10, s56, s20
	s_mul_hi_u32 s26, s57, s20
	s_add_nc_u64 s[10:11], s[28:29], s[10:11]
	s_mul_i32 s20, s57, s20
	s_add_co_u32 s10, s10, s21
	s_add_co_ci_u32 s28, s11, s23
	s_add_co_ci_u32 s21, s26, 0
	s_delay_alu instid0(SALU_CYCLE_1) | instskip(NEXT) | instid1(SALU_CYCLE_1)
	s_add_nc_u64 s[10:11], s[28:29], s[20:21]
	s_and_b64 s[20:21], s[10:11], 0xffffffff00000000
	s_delay_alu instid0(SALU_CYCLE_1) | instskip(NEXT) | instid1(SALU_CYCLE_1)
	s_or_b32 s20, s20, s10
	s_mul_u64 s[10:11], s[34:35], s[20:21]
	s_delay_alu instid0(SALU_CYCLE_1) | instskip(SKIP_1) | instid1(SALU_CYCLE_1)
	s_sub_co_u32 s10, s56, s10
	s_cselect_b32 s20, -1, 0
	s_cmp_lg_u32 s20, 0
	s_sub_co_ci_u32 s11, s57, s11
	s_sub_co_u32 s20, s10, s34
	s_cselect_b32 s21, -1, 0
	s_delay_alu instid0(SALU_CYCLE_1) | instskip(SKIP_3) | instid1(SALU_CYCLE_1)
	s_cmp_lg_u32 s21, 0
	s_sub_co_ci_u32 s21, s11, 0
	s_sub_co_u32 s23, s20, s34
	s_cselect_b32 s26, -1, 0
	s_cmp_lg_u32 s26, 0
	s_sub_co_ci_u32 s26, s21, 0
	s_cmp_ge_u32 s20, s34
	s_cselect_b32 s28, -1, 0
	s_cmp_eq_u32 s21, 0
	s_cselect_b32 s28, s28, -1
	s_delay_alu instid0(SALU_CYCLE_1)
	s_cmp_lg_u32 s28, 0
	s_cselect_b32 s21, s26, s21
	s_cselect_b32 s20, s23, s20
	s_cmp_ge_u32 s10, s34
	s_cselect_b32 s23, -1, 0
	s_cmp_eq_u32 s11, 0
	s_cselect_b32 s23, s23, -1
	s_delay_alu instid0(SALU_CYCLE_1)
	s_cmp_lg_u32 s23, 0
	s_cselect_b32 s11, s21, s11
	s_cselect_b32 s10, s20, s10
	s_cbranch_execnz .LBB204_303
.LBB204_302:                            ;   in Loop: Header=BB204_6 Depth=1
	v_cvt_f32_u32_e32 v2, s34
	s_sub_co_i32 s11, 0, s34
	s_delay_alu instid0(VALU_DEP_1) | instskip(SKIP_1) | instid1(TRANS32_DEP_1)
	v_rcp_iflag_f32_e32 v2, v2
	v_nop
	v_mul_f32_e32 v2, 0x4f7ffffe, v2
	s_delay_alu instid0(VALU_DEP_1) | instskip(NEXT) | instid1(VALU_DEP_1)
	v_cvt_u32_f32_e32 v2, v2
	v_readfirstlane_b32 s10, v2
	s_mul_i32 s11, s11, s10
	s_delay_alu instid0(SALU_CYCLE_1) | instskip(NEXT) | instid1(SALU_CYCLE_1)
	s_mul_hi_u32 s11, s10, s11
	s_add_co_i32 s10, s10, s11
	s_delay_alu instid0(SALU_CYCLE_1) | instskip(NEXT) | instid1(SALU_CYCLE_1)
	s_mul_hi_u32 s10, s56, s10
	s_mul_i32 s10, s10, s34
	s_delay_alu instid0(SALU_CYCLE_1) | instskip(NEXT) | instid1(SALU_CYCLE_1)
	s_sub_co_i32 s10, s56, s10
	s_sub_co_i32 s11, s10, s34
	s_cmp_ge_u32 s10, s34
	s_cselect_b32 s10, s11, s10
	s_delay_alu instid0(SALU_CYCLE_1) | instskip(SKIP_2) | instid1(SALU_CYCLE_1)
	s_sub_co_i32 s11, s10, s34
	s_cmp_ge_u32 s10, s34
	s_cselect_b32 s28, s11, s10
	s_mov_b64 s[10:11], s[28:29]
.LBB204_303:                            ;   in Loop: Header=BB204_6 Depth=1
	s_delay_alu instid0(SALU_CYCLE_1)
	s_sub_nc_u64 s[10:11], s[56:57], s[10:11]
	s_mov_b32 s20, exec_lo
                                        ; implicit-def: $vgpr46
	v_nop
	v_cmpx_gt_u64_e64 s[10:11], v[0:1]
	s_cbranch_execz .LBB204_313
; %bb.304:                              ;   in Loop: Header=BB204_6 Depth=1
	v_mov_b64_e32 v[4:5], v[14:15]
	v_mov_b64_e32 v[6:7], v[0:1]
	s_mov_b32 s21, 0
                                        ; implicit-def: $sgpr23
	s_branch .LBB204_308
.LBB204_305:                            ;   in Loop: Header=BB204_308 Depth=2
	s_or_b32 exec_lo, exec_lo, s26
	s_wait_dscnt 0x0
	s_barrier_signal -1
	s_barrier_wait -1
	ds_load_b32 v2, v3 offset:3072
	s_wait_dscnt 0x0
	s_barrier_signal -1
	s_barrier_wait -1
	v_cmp_neq_f16_e32 vcc_lo, 0, v2
	s_cbranch_vccnz .LBB204_311
; %bb.306:                              ;   in Loop: Header=BB204_308 Depth=2
	v_add_nc_u64_e32 v[6:7], s[34:35], v[6:7]
	v_add_nc_u64_e32 v[4:5], s[40:41], v[4:5]
	s_mov_b32 s26, 0
	s_delay_alu instid0(VALU_DEP_2)
	v_cmp_le_u64_e32 vcc_lo, s[10:11], v[6:7]
	s_or_not1_b32 s28, vcc_lo, exec_lo
.LBB204_307:                            ;   in Loop: Header=BB204_308 Depth=2
	s_delay_alu instid0(SALU_CYCLE_1) | instskip(NEXT) | instid1(SALU_CYCLE_1)
	s_and_b32 s8, exec_lo, s28
	s_or_b32 s21, s8, s21
	s_and_not1_b32 s8, s23, exec_lo
	s_and_b32 s23, s26, exec_lo
	s_delay_alu instid0(SALU_CYCLE_1)
	s_or_b32 s23, s8, s23
	s_and_not1_b32 exec_lo, exec_lo, s21
	s_cbranch_execz .LBB204_312
.LBB204_308:                            ;   Parent Loop BB204_6 Depth=1
                                        ; =>  This Inner Loop Header: Depth=2
	s_mov_b32 s26, exec_lo
	s_delay_alu instid0(VALU_DEP_1)
	v_cmpx_gt_u64_e64 s[36:37], v[6:7]
	s_cbranch_execz .LBB204_305
; %bb.309:                              ;   in Loop: Header=BB204_308 Depth=2
	global_load_u16 v2, v[4:5], off
	s_wait_loadcnt 0x0
	v_cmp_lt_i16_e32 vcc_lo, -1, v2
	v_and_b32_e32 v8, 0xffff, v2
	v_cndmask_b32_e32 v9, 0xffff, v44, vcc_lo
	v_cmp_o_f16_e32 vcc_lo, v2, v2
	s_delay_alu instid0(VALU_DEP_2) | instskip(NEXT) | instid1(VALU_DEP_1)
	v_xor_b32_e32 v8, v9, v8
	v_cndmask_b32_e32 v8, 0xffff, v8, vcc_lo
	s_delay_alu instid0(VALU_DEP_1) | instskip(NEXT) | instid1(VALU_DEP_1)
	v_and_b32_e32 v8, v8, v45
	v_cmp_eq_u32_e32 vcc_lo, v8, v42
	s_and_b32 exec_lo, exec_lo, vcc_lo
	s_cbranch_execz .LBB204_305
; %bb.310:                              ;   in Loop: Header=BB204_308 Depth=2
	v_perm_b32 v2, v2, s95, 0x5040100
	ds_store_b32 v3, v2 offset:3072
	s_branch .LBB204_305
.LBB204_311:                            ;   in Loop: Header=BB204_308 Depth=2
	s_mov_b32 s28, -1
	s_mov_b32 s26, -1
                                        ; implicit-def: $vgpr6_vgpr7
                                        ; implicit-def: $vgpr4_vgpr5
	s_branch .LBB204_307
.LBB204_312:                            ;   in Loop: Header=BB204_6 Depth=1
	s_or_b32 exec_lo, exec_lo, s21
	s_delay_alu instid0(SALU_CYCLE_1)
	s_and_not1_b32 s8, s22, exec_lo
	s_and_b32 s10, s23, exec_lo
	v_lshrrev_b32_e32 v46, 16, v2
	s_or_b32 s22, s8, s10
.LBB204_313:                            ;   in Loop: Header=BB204_6 Depth=1
	s_or_b32 exec_lo, exec_lo, s20
	s_mov_b32 s26, 0
	s_mov_b32 s74, -1
.LBB204_314:                            ;   in Loop: Header=BB204_6 Depth=1
	s_or_not1_b32 s10, s22, exec_lo
.LBB204_315:                            ;   in Loop: Header=BB204_6 Depth=1
	s_or_b32 exec_lo, exec_lo, s72
                                        ; implicit-def: $vgpr4_vgpr5
                                        ; implicit-def: $vgpr2
	s_and_saveexec_b32 s22, s10
	s_cbranch_execz .LBB204_479
; %bb.316:                              ;   in Loop: Header=BB204_6 Depth=1
	v_mov_b64_e32 v[4:5], 1
	v_mov_b32_e32 v2, 1
	s_xor_b32 s10, s9, -1
	s_mov_b32 s11, 0
	s_and_saveexec_b32 s9, s10
	s_cbranch_execz .LBB204_325
; %bb.317:                              ;   in Loop: Header=BB204_6 Depth=1
	s_mov_b32 s10, exec_lo
	v_cmpx_ge_u64_e64 s[18:19], v[30:31]
	s_xor_b32 s10, exec_lo, s10
	s_cbranch_execz .LBB204_322
; %bb.318:                              ;   in Loop: Header=BB204_6 Depth=1
	ds_load_b64 v[4:5], v3 offset:5120
	v_or_b32_e32 v42, s24, v42
	v_or_b32_e32 v45, s24, v45
	s_wait_dscnt 0x0
	v_cmp_ne_u64_e32 vcc_lo, 0, v[4:5]
	s_cbranch_vccnz .LBB204_322
; %bb.319:                              ;   in Loop: Header=BB204_6 Depth=1
	s_and_saveexec_b32 s11, s5
; %bb.320:                              ;   in Loop: Header=BB204_6 Depth=1
	v_mov_b64_e32 v[4:5], s[18:19]
	ds_store_b64 v3, v[4:5] offset:5128
; %bb.321:                              ;   in Loop: Header=BB204_6 Depth=1
	s_or_b32 exec_lo, exec_lo, s11
	s_wait_dscnt 0x0
	s_barrier_signal -1
	s_barrier_wait -1
.LBB204_322:                            ;   in Loop: Header=BB204_6 Depth=1
	s_or_saveexec_b32 s10, s10
	v_mov_b32_e32 v2, 5
	s_mov_b32 s11, 0
	s_xor_b32 exec_lo, exec_lo, s10
; %bb.323:                              ;   in Loop: Header=BB204_6 Depth=1
	v_sub_nc_u64_e64 v[30:31], v[30:31], s[18:19]
	v_mov_b32_e32 v2, 0
	s_mov_b32 s11, exec_lo
; %bb.324:                              ;   in Loop: Header=BB204_6 Depth=1
	s_or_b32 exec_lo, exec_lo, s10
	s_delay_alu instid0(VALU_DEP_2)
	v_mov_b64_e32 v[4:5], v[30:31]
	s_and_b32 s11, s11, exec_lo
.LBB204_325:                            ;   in Loop: Header=BB204_6 Depth=1
	s_or_b32 exec_lo, exec_lo, s9
	s_mov_b32 s10, -1
                                        ; implicit-def: $sgpr23
                                        ; implicit-def: $sgpr72
	s_and_saveexec_b32 s9, s11
	s_delay_alu instid0(SALU_CYCLE_1)
	s_xor_b32 s9, exec_lo, s9
	s_cbranch_execz .LBB204_476
; %bb.326:                              ;   in Loop: Header=BB204_6 Depth=1
	v_cmp_eq_u64_e32 vcc_lo, 1, v[4:5]
	s_cmp_eq_u64 s[16:17], 1
                                        ; implicit-def: $sgpr72
                                        ; implicit-def: $sgpr23
	s_cselect_b32 s10, -1, 0
	s_delay_alu instid0(SALU_CYCLE_1)
	s_and_b32 s73, s10, vcc_lo
	s_mov_b32 s10, -1
	s_and_saveexec_b32 s75, s73
	s_cbranch_execz .LBB204_362
; %bb.327:                              ;   in Loop: Header=BB204_6 Depth=1
	ds_load_b64 v[6:7], v3 offset:5120
	s_wait_dscnt 0x0
	s_barrier_signal -1
	s_barrier_wait -1
	v_readfirstlane_b32 s10, v6
	v_readfirstlane_b32 s11, v7
	s_and_saveexec_b32 s18, s6
; %bb.328:                              ;   in Loop: Header=BB204_6 Depth=1
	ds_store_b16 v39, v3
; %bb.329:                              ;   in Loop: Header=BB204_6 Depth=1
	s_or_b32 exec_lo, exec_lo, s18
	s_lshl_b32 s18, 2, s96
	v_or_b32_e32 v45, s24, v45
	v_and_or_b32 v42, v42, s25, s18
	s_mov_b32 s23, -1
	s_mov_b32 s72, 0
	s_cmp_eq_u64 s[10:11], 0
	s_mov_b32 s20, 0
	s_mov_b32 s21, -1
	s_wait_dscnt 0x0
	s_barrier_signal -1
	s_barrier_wait -1
                                        ; implicit-def: $vgpr46
	s_cbranch_scc1 .LBB204_346
; %bb.330:                              ;   in Loop: Header=BB204_6 Depth=1
	s_add_nc_u64 s[18:19], s[10:11], s[54:55]
	s_delay_alu instid0(SALU_CYCLE_1) | instskip(NEXT) | instid1(SALU_CYCLE_1)
	s_and_b64 s[20:21], s[18:19], 0xffffffff00000000
	s_cmp_lg_u64 s[20:21], 0
	s_cbranch_scc0 .LBB204_389
; %bb.331:                              ;   in Loop: Header=BB204_6 Depth=1
	s_cvt_f32_u32 s20, s34
	s_sub_nc_u64 s[50:51], 0, s[34:35]
	s_delay_alu instid0(SALU_CYCLE_2) | instskip(NEXT) | instid1(SALU_CYCLE_3)
	s_fmamk_f32 s20, s94, 0x0, s20
	v_s_rcp_f32 s20, s20
	s_delay_alu instid0(TRANS32_DEP_1) | instskip(NEXT) | instid1(SALU_CYCLE_3)
	s_mul_f32 s20, s20, 0x5f7ffffc
	s_mul_f32 s21, s20, 0x2f800000
	s_delay_alu instid0(SALU_CYCLE_3) | instskip(NEXT) | instid1(SALU_CYCLE_3)
	s_trunc_f32 s21, s21
	s_fmamk_f32 s20, s21, 0xcf800000, s20
	s_cvt_u32_f32 s21, s21
	s_delay_alu instid0(SALU_CYCLE_2) | instskip(NEXT) | instid1(SALU_CYCLE_3)
	s_cvt_u32_f32 s20, s20
	s_mul_u64 s[52:53], s[50:51], s[20:21]
	s_delay_alu instid0(SALU_CYCLE_1)
	s_mul_hi_u32 s77, s20, s53
	s_mul_i32 s76, s20, s53
	s_mul_hi_u32 s28, s20, s52
	s_mul_i32 s45, s21, s52
	s_add_nc_u64 s[76:77], s[28:29], s[76:77]
	s_mul_hi_u32 s44, s21, s52
	s_mul_hi_u32 s66, s21, s53
	s_add_co_u32 s28, s76, s45
	s_add_co_ci_u32 s28, s77, s44
	s_mul_i32 s52, s21, s53
	s_add_co_ci_u32 s53, s66, 0
	s_delay_alu instid0(SALU_CYCLE_1) | instskip(NEXT) | instid1(SALU_CYCLE_1)
	s_add_nc_u64 s[52:53], s[28:29], s[52:53]
	s_add_co_u32 s20, s20, s52
	s_cselect_b32 s28, -1, 0
	s_delay_alu instid0(SALU_CYCLE_1) | instskip(SKIP_1) | instid1(SALU_CYCLE_1)
	s_cmp_lg_u32 s28, 0
	s_add_co_ci_u32 s21, s21, s53
	s_mul_u64 s[50:51], s[50:51], s[20:21]
	s_delay_alu instid0(SALU_CYCLE_1)
	s_mul_hi_u32 s53, s20, s51
	s_mul_i32 s52, s20, s51
	s_mul_hi_u32 s28, s20, s50
	s_mul_i32 s45, s21, s50
	s_add_nc_u64 s[52:53], s[28:29], s[52:53]
	s_mul_hi_u32 s44, s21, s50
	s_mul_hi_u32 s66, s21, s51
	s_add_co_u32 s28, s52, s45
	s_add_co_ci_u32 s28, s53, s44
	s_mul_i32 s50, s21, s51
	s_add_co_ci_u32 s51, s66, 0
	s_delay_alu instid0(SALU_CYCLE_1) | instskip(NEXT) | instid1(SALU_CYCLE_1)
	s_add_nc_u64 s[50:51], s[28:29], s[50:51]
	s_add_co_u32 s20, s20, s50
	s_cselect_b32 s44, -1, 0
	s_mul_hi_u32 s28, s18, s20
	s_cmp_lg_u32 s44, 0
	s_mul_hi_u32 s44, s19, s20
	s_add_co_ci_u32 s45, s21, s51
	s_mul_i32 s51, s19, s20
	s_mul_hi_u32 s21, s18, s45
	s_mul_i32 s20, s18, s45
	s_mul_hi_u32 s52, s19, s45
	s_add_nc_u64 s[20:21], s[28:29], s[20:21]
	s_mul_i32 s50, s19, s45
	s_add_co_u32 s20, s20, s51
	s_add_co_ci_u32 s28, s21, s44
	s_add_co_ci_u32 s51, s52, 0
	s_delay_alu instid0(SALU_CYCLE_1) | instskip(NEXT) | instid1(SALU_CYCLE_1)
	s_add_nc_u64 s[20:21], s[28:29], s[50:51]
	s_and_b64 s[50:51], s[20:21], 0xffffffff00000000
	s_delay_alu instid0(SALU_CYCLE_1) | instskip(NEXT) | instid1(SALU_CYCLE_1)
	s_or_b32 s50, s50, s20
	s_mul_u64 s[20:21], s[34:35], s[50:51]
	s_delay_alu instid0(SALU_CYCLE_1) | instskip(SKIP_1) | instid1(SALU_CYCLE_1)
	s_sub_co_u32 s20, s18, s20
	s_cselect_b32 s28, -1, 0
	s_cmp_lg_u32 s28, 0
	s_sub_co_ci_u32 s21, s19, s21
	s_sub_co_u32 s28, s20, s34
	s_cselect_b32 s44, -1, 0
	s_delay_alu instid0(SALU_CYCLE_1) | instskip(SKIP_3) | instid1(SALU_CYCLE_1)
	s_cmp_lg_u32 s44, 0
	s_sub_co_ci_u32 s44, s21, 0
	s_sub_co_u32 s45, s28, s34
	s_cselect_b32 s50, -1, 0
	s_cmp_lg_u32 s50, 0
	s_sub_co_ci_u32 s50, s44, 0
	s_cmp_ge_u32 s28, s34
	s_cselect_b32 s51, -1, 0
	s_cmp_eq_u32 s44, 0
	s_cselect_b32 s51, s51, -1
	s_delay_alu instid0(SALU_CYCLE_1)
	s_cmp_lg_u32 s51, 0
	s_cselect_b32 s44, s50, s44
	s_cselect_b32 s28, s45, s28
	s_cmp_ge_u32 s20, s34
	s_cselect_b32 s45, -1, 0
	s_cmp_eq_u32 s21, 0
	s_cselect_b32 s45, s45, -1
	s_delay_alu instid0(SALU_CYCLE_1)
	s_cmp_lg_u32 s45, 0
	s_cselect_b32 s21, s44, s21
	s_cselect_b32 s20, s28, s20
	s_cbranch_execnz .LBB204_333
.LBB204_332:                            ;   in Loop: Header=BB204_6 Depth=1
	v_cvt_f32_u32_e32 v6, s34
	s_sub_co_i32 s21, 0, s34
	s_delay_alu instid0(VALU_DEP_1) | instskip(SKIP_1) | instid1(TRANS32_DEP_1)
	v_rcp_iflag_f32_e32 v6, v6
	v_nop
	v_mul_f32_e32 v6, 0x4f7ffffe, v6
	s_delay_alu instid0(VALU_DEP_1) | instskip(NEXT) | instid1(VALU_DEP_1)
	v_cvt_u32_f32_e32 v6, v6
	v_readfirstlane_b32 s20, v6
	s_mul_i32 s21, s21, s20
	s_delay_alu instid0(SALU_CYCLE_1) | instskip(NEXT) | instid1(SALU_CYCLE_1)
	s_mul_hi_u32 s21, s20, s21
	s_add_co_i32 s20, s20, s21
	s_delay_alu instid0(SALU_CYCLE_1) | instskip(NEXT) | instid1(SALU_CYCLE_1)
	s_mul_hi_u32 s20, s18, s20
	s_mul_i32 s20, s20, s34
	s_delay_alu instid0(SALU_CYCLE_1) | instskip(NEXT) | instid1(SALU_CYCLE_1)
	s_sub_co_i32 s20, s18, s20
	s_sub_co_i32 s21, s20, s34
	s_cmp_ge_u32 s20, s34
	s_cselect_b32 s20, s21, s20
	s_delay_alu instid0(SALU_CYCLE_1) | instskip(SKIP_2) | instid1(SALU_CYCLE_1)
	s_sub_co_i32 s21, s20, s34
	s_cmp_ge_u32 s20, s34
	s_cselect_b32 s28, s21, s20
	s_mov_b64 s[20:21], s[28:29]
.LBB204_333:                            ;   in Loop: Header=BB204_6 Depth=1
	s_delay_alu instid0(SALU_CYCLE_1)
	s_sub_nc_u64 s[18:19], s[18:19], s[20:21]
	s_mov_b32 s21, 0
	s_mov_b32 s20, 0
	s_mov_b32 s28, exec_lo
                                        ; implicit-def: $vgpr46
	v_cmpx_gt_u64_e64 s[18:19], v[0:1]
	s_cbranch_execz .LBB204_345
; %bb.334:                              ;   in Loop: Header=BB204_6 Depth=1
	v_mov_b64_e32 v[6:7], v[0:1]
	v_mov_b32_e32 v8, v38
                                        ; implicit-def: $sgpr50
	s_branch .LBB204_338
.LBB204_335:                            ;   in Loop: Header=BB204_338 Depth=2
	s_or_b32 exec_lo, exec_lo, s51
	s_wait_dscnt 0x0
	s_barrier_signal -1
	s_barrier_wait -1
	ds_load_b32 v9, v3 offset:3072
	s_wait_dscnt 0x0
	s_barrier_signal -1
	s_barrier_wait -1
	v_cmp_neq_f16_e32 vcc_lo, 0, v9
	s_cbranch_vccnz .LBB204_341
; %bb.336:                              ;   in Loop: Header=BB204_338 Depth=2
	v_add_nc_u64_e32 v[6:7], s[34:35], v[6:7]
	v_add_nc_u32_e32 v8, s93, v8
	s_mov_b32 s51, 0
	s_delay_alu instid0(VALU_DEP_2)
	v_cmp_le_u64_e32 vcc_lo, s[18:19], v[6:7]
	s_or_not1_b32 s52, vcc_lo, exec_lo
.LBB204_337:                            ;   in Loop: Header=BB204_338 Depth=2
	s_delay_alu instid0(SALU_CYCLE_1) | instskip(NEXT) | instid1(SALU_CYCLE_1)
	s_and_b32 s8, exec_lo, s52
	s_or_b32 s20, s8, s20
	s_and_not1_b32 s8, s50, exec_lo
	s_and_b32 s44, s51, exec_lo
	s_delay_alu instid0(SALU_CYCLE_1)
	s_or_b32 s50, s8, s44
	s_and_not1_b32 exec_lo, exec_lo, s20
	s_cbranch_execz .LBB204_344
.LBB204_338:                            ;   Parent Loop BB204_6 Depth=1
                                        ; =>  This Inner Loop Header: Depth=2
	s_mov_b32 s51, exec_lo
	s_delay_alu instid0(VALU_DEP_2)
	v_cmpx_gt_u64_e64 s[10:11], v[6:7]
	s_cbranch_execz .LBB204_335
; %bb.339:                              ;   in Loop: Header=BB204_338 Depth=2
	ds_load_u16 v9, v8
	s_wait_dscnt 0x0
	v_cmp_lt_i16_e32 vcc_lo, -1, v9
	v_and_b32_e32 v10, 0xffff, v9
	v_cndmask_b32_e32 v11, 0xffff, v44, vcc_lo
	v_cmp_o_f16_e32 vcc_lo, v9, v9
	s_delay_alu instid0(VALU_DEP_2) | instskip(NEXT) | instid1(VALU_DEP_1)
	v_xor_b32_e32 v10, v11, v10
	v_cndmask_b32_e32 v10, 0xffff, v10, vcc_lo
	s_delay_alu instid0(VALU_DEP_1) | instskip(NEXT) | instid1(VALU_DEP_1)
	v_and_b32_e32 v10, v10, v45
	v_cmp_eq_u32_e32 vcc_lo, v10, v42
	s_and_b32 exec_lo, exec_lo, vcc_lo
	s_cbranch_execz .LBB204_335
; %bb.340:                              ;   in Loop: Header=BB204_338 Depth=2
	v_perm_b32 v9, v9, s95, 0x5040100
	ds_store_b32 v3, v9 offset:3072
	s_branch .LBB204_335
.LBB204_341:                            ;   in Loop: Header=BB204_338 Depth=2
	s_mov_b32 s52, -1
	s_mov_b32 s51, -1
                                        ; implicit-def: $vgpr6_vgpr7
                                        ; implicit-def: $vgpr8
	s_branch .LBB204_337
.LBB204_342:                            ;   in Loop: Header=BB204_6 Depth=1
                                        ; implicit-def: $sgpr22_sgpr23
	s_branch .LBB204_286
.LBB204_343:                            ;   in Loop: Header=BB204_6 Depth=1
                                        ; implicit-def: $sgpr10_sgpr11
	s_branch .LBB204_302
.LBB204_344:                            ;   in Loop: Header=BB204_6 Depth=1
	s_or_b32 exec_lo, exec_lo, s20
	v_lshrrev_b32_e32 v46, 16, v9
	s_and_b32 s20, s50, exec_lo
.LBB204_345:                            ;   in Loop: Header=BB204_6 Depth=1
	s_or_b32 exec_lo, exec_lo, s28
.LBB204_346:                            ;   in Loop: Header=BB204_6 Depth=1
	s_delay_alu instid0(SALU_CYCLE_1)
	s_and_b32 vcc_lo, exec_lo, s21
	s_cbranch_vccz .LBB204_361
; %bb.347:                              ;   in Loop: Header=BB204_6 Depth=1
	s_and_b64 s[10:11], s[56:57], 0xffffffff00000000
	s_delay_alu instid0(SALU_CYCLE_1)
	s_cmp_lg_u64 s[10:11], 0
	s_cbranch_scc0 .LBB204_390
; %bb.348:                              ;   in Loop: Header=BB204_6 Depth=1
	s_cvt_f32_u32 s10, s34
	s_sub_nc_u64 s[18:19], 0, s[34:35]
	s_delay_alu instid0(SALU_CYCLE_2) | instskip(NEXT) | instid1(SALU_CYCLE_3)
	s_fmamk_f32 s10, s94, 0x0, s10
	v_s_rcp_f32 s10, s10
	s_delay_alu instid0(TRANS32_DEP_1) | instskip(NEXT) | instid1(SALU_CYCLE_3)
	s_mul_f32 s10, s10, 0x5f7ffffc
	s_mul_f32 s11, s10, 0x2f800000
	s_delay_alu instid0(SALU_CYCLE_3) | instskip(NEXT) | instid1(SALU_CYCLE_3)
	s_trunc_f32 s11, s11
	s_fmamk_f32 s10, s11, 0xcf800000, s10
	s_cvt_u32_f32 s11, s11
	s_delay_alu instid0(SALU_CYCLE_2) | instskip(NEXT) | instid1(SALU_CYCLE_3)
	s_cvt_u32_f32 s10, s10
	s_mul_u64 s[50:51], s[18:19], s[10:11]
	s_delay_alu instid0(SALU_CYCLE_1)
	s_mul_hi_u32 s53, s10, s51
	s_mul_i32 s52, s10, s51
	s_mul_hi_u32 s28, s10, s50
	s_mul_i32 s23, s11, s50
	s_add_nc_u64 s[52:53], s[28:29], s[52:53]
	s_mul_hi_u32 s21, s11, s50
	s_mul_hi_u32 s44, s11, s51
	s_add_co_u32 s23, s52, s23
	s_add_co_ci_u32 s28, s53, s21
	s_mul_i32 s50, s11, s51
	s_add_co_ci_u32 s51, s44, 0
	s_delay_alu instid0(SALU_CYCLE_1) | instskip(NEXT) | instid1(SALU_CYCLE_1)
	s_add_nc_u64 s[50:51], s[28:29], s[50:51]
	s_add_co_u32 s10, s10, s50
	s_cselect_b32 s21, -1, 0
	s_delay_alu instid0(SALU_CYCLE_1) | instskip(SKIP_1) | instid1(SALU_CYCLE_1)
	s_cmp_lg_u32 s21, 0
	s_add_co_ci_u32 s11, s11, s51
	s_mul_u64 s[18:19], s[18:19], s[10:11]
	s_delay_alu instid0(SALU_CYCLE_1)
	s_mul_hi_u32 s51, s10, s19
	s_mul_i32 s50, s10, s19
	s_mul_hi_u32 s28, s10, s18
	s_mul_i32 s23, s11, s18
	s_add_nc_u64 s[50:51], s[28:29], s[50:51]
	s_mul_hi_u32 s21, s11, s18
	s_mul_hi_u32 s44, s11, s19
	s_mul_i32 s18, s11, s19
	s_add_co_u32 s19, s50, s23
	s_add_co_ci_u32 s28, s51, s21
	s_add_co_ci_u32 s19, s44, 0
	s_delay_alu instid0(SALU_CYCLE_1) | instskip(NEXT) | instid1(SALU_CYCLE_1)
	s_add_nc_u64 s[18:19], s[28:29], s[18:19]
	s_add_co_u32 s10, s10, s18
	s_cselect_b32 s18, -1, 0
	s_mul_hi_u32 s28, s56, s10
	s_cmp_lg_u32 s18, 0
	s_mul_hi_u32 s21, s57, s10
	s_add_co_ci_u32 s18, s11, s19
	s_mul_i32 s19, s57, s10
	s_mul_hi_u32 s11, s56, s18
	s_mul_i32 s10, s56, s18
	s_mul_hi_u32 s23, s57, s18
	s_add_nc_u64 s[10:11], s[28:29], s[10:11]
	s_mul_i32 s18, s57, s18
	s_add_co_u32 s10, s10, s19
	s_add_co_ci_u32 s28, s11, s21
	s_add_co_ci_u32 s19, s23, 0
	s_delay_alu instid0(SALU_CYCLE_1) | instskip(NEXT) | instid1(SALU_CYCLE_1)
	s_add_nc_u64 s[10:11], s[28:29], s[18:19]
	s_and_b64 s[18:19], s[10:11], 0xffffffff00000000
	s_delay_alu instid0(SALU_CYCLE_1) | instskip(NEXT) | instid1(SALU_CYCLE_1)
	s_or_b32 s18, s18, s10
	s_mul_u64 s[10:11], s[34:35], s[18:19]
	s_delay_alu instid0(SALU_CYCLE_1) | instskip(SKIP_1) | instid1(SALU_CYCLE_1)
	s_sub_co_u32 s10, s56, s10
	s_cselect_b32 s18, -1, 0
	s_cmp_lg_u32 s18, 0
	s_sub_co_ci_u32 s11, s57, s11
	s_sub_co_u32 s18, s10, s34
	s_cselect_b32 s19, -1, 0
	s_delay_alu instid0(SALU_CYCLE_1) | instskip(SKIP_3) | instid1(SALU_CYCLE_1)
	s_cmp_lg_u32 s19, 0
	s_sub_co_ci_u32 s19, s11, 0
	s_sub_co_u32 s21, s18, s34
	s_cselect_b32 s23, -1, 0
	s_cmp_lg_u32 s23, 0
	s_sub_co_ci_u32 s23, s19, 0
	s_cmp_ge_u32 s18, s34
	s_cselect_b32 s28, -1, 0
	s_cmp_eq_u32 s19, 0
	s_cselect_b32 s28, s28, -1
	s_delay_alu instid0(SALU_CYCLE_1)
	s_cmp_lg_u32 s28, 0
	s_cselect_b32 s19, s23, s19
	s_cselect_b32 s18, s21, s18
	s_cmp_ge_u32 s10, s34
	s_cselect_b32 s21, -1, 0
	s_cmp_eq_u32 s11, 0
	s_cselect_b32 s21, s21, -1
	s_delay_alu instid0(SALU_CYCLE_1)
	s_cmp_lg_u32 s21, 0
	s_cselect_b32 s11, s19, s11
	s_cselect_b32 s10, s18, s10
	s_cbranch_execnz .LBB204_350
.LBB204_349:                            ;   in Loop: Header=BB204_6 Depth=1
	v_cvt_f32_u32_e32 v6, s34
	s_sub_co_i32 s11, 0, s34
	s_delay_alu instid0(VALU_DEP_1) | instskip(SKIP_1) | instid1(TRANS32_DEP_1)
	v_rcp_iflag_f32_e32 v6, v6
	v_nop
	v_mul_f32_e32 v6, 0x4f7ffffe, v6
	s_delay_alu instid0(VALU_DEP_1) | instskip(NEXT) | instid1(VALU_DEP_1)
	v_cvt_u32_f32_e32 v6, v6
	v_readfirstlane_b32 s10, v6
	s_mul_i32 s11, s11, s10
	s_delay_alu instid0(SALU_CYCLE_1) | instskip(NEXT) | instid1(SALU_CYCLE_1)
	s_mul_hi_u32 s11, s10, s11
	s_add_co_i32 s10, s10, s11
	s_delay_alu instid0(SALU_CYCLE_1) | instskip(NEXT) | instid1(SALU_CYCLE_1)
	s_mul_hi_u32 s10, s56, s10
	s_mul_i32 s10, s10, s34
	s_delay_alu instid0(SALU_CYCLE_1) | instskip(NEXT) | instid1(SALU_CYCLE_1)
	s_sub_co_i32 s10, s56, s10
	s_sub_co_i32 s11, s10, s34
	s_cmp_ge_u32 s10, s34
	s_cselect_b32 s10, s11, s10
	s_delay_alu instid0(SALU_CYCLE_1) | instskip(SKIP_2) | instid1(SALU_CYCLE_1)
	s_sub_co_i32 s11, s10, s34
	s_cmp_ge_u32 s10, s34
	s_cselect_b32 s28, s11, s10
	s_mov_b64 s[10:11], s[28:29]
.LBB204_350:                            ;   in Loop: Header=BB204_6 Depth=1
	s_delay_alu instid0(SALU_CYCLE_1)
	s_sub_nc_u64 s[10:11], s[56:57], s[10:11]
	s_mov_b32 s18, exec_lo
                                        ; implicit-def: $vgpr46
	v_nop
	v_cmpx_gt_u64_e64 s[10:11], v[0:1]
	s_cbranch_execz .LBB204_360
; %bb.351:                              ;   in Loop: Header=BB204_6 Depth=1
	v_mov_b64_e32 v[6:7], v[14:15]
	v_mov_b64_e32 v[8:9], v[0:1]
	s_mov_b32 s19, 0
                                        ; implicit-def: $sgpr21
	s_branch .LBB204_355
.LBB204_352:                            ;   in Loop: Header=BB204_355 Depth=2
	s_or_b32 exec_lo, exec_lo, s23
	s_wait_dscnt 0x0
	s_barrier_signal -1
	s_barrier_wait -1
	ds_load_b32 v10, v3 offset:3072
	s_wait_dscnt 0x0
	s_barrier_signal -1
	s_barrier_wait -1
	v_cmp_eq_f16_e32 vcc_lo, 0, v10
	s_cbranch_vccz .LBB204_358
; %bb.353:                              ;   in Loop: Header=BB204_355 Depth=2
	v_add_nc_u64_e32 v[8:9], s[34:35], v[8:9]
	v_add_nc_u64_e32 v[6:7], s[40:41], v[6:7]
	s_mov_b32 s23, 0
	s_delay_alu instid0(VALU_DEP_2)
	v_cmp_le_u64_e32 vcc_lo, s[10:11], v[8:9]
	s_or_not1_b32 s28, vcc_lo, exec_lo
.LBB204_354:                            ;   in Loop: Header=BB204_355 Depth=2
	s_delay_alu instid0(SALU_CYCLE_1) | instskip(NEXT) | instid1(SALU_CYCLE_1)
	s_and_b32 s8, exec_lo, s28
	s_or_b32 s19, s8, s19
	s_and_not1_b32 s8, s21, exec_lo
	s_and_b32 s21, s23, exec_lo
	s_delay_alu instid0(SALU_CYCLE_1)
	s_or_b32 s21, s8, s21
	s_and_not1_b32 exec_lo, exec_lo, s19
	s_cbranch_execz .LBB204_359
.LBB204_355:                            ;   Parent Loop BB204_6 Depth=1
                                        ; =>  This Inner Loop Header: Depth=2
	s_mov_b32 s23, exec_lo
	s_delay_alu instid0(VALU_DEP_1)
	v_cmpx_gt_u64_e64 s[36:37], v[8:9]
	s_cbranch_execz .LBB204_352
; %bb.356:                              ;   in Loop: Header=BB204_355 Depth=2
	global_load_u16 v10, v[6:7], off
	s_wait_loadcnt 0x0
	v_cmp_lt_i16_e32 vcc_lo, -1, v10
	v_and_b32_e32 v11, 0xffff, v10
	v_cndmask_b32_e32 v30, 0xffff, v44, vcc_lo
	v_cmp_o_f16_e32 vcc_lo, v10, v10
	s_delay_alu instid0(VALU_DEP_2) | instskip(NEXT) | instid1(VALU_DEP_1)
	v_xor_b32_e32 v11, v30, v11
	v_cndmask_b32_e32 v11, 0xffff, v11, vcc_lo
	s_delay_alu instid0(VALU_DEP_1) | instskip(NEXT) | instid1(VALU_DEP_1)
	v_and_b32_e32 v11, v11, v45
	v_cmp_eq_u32_e32 vcc_lo, v11, v42
	s_and_b32 exec_lo, exec_lo, vcc_lo
	s_cbranch_execz .LBB204_352
; %bb.357:                              ;   in Loop: Header=BB204_355 Depth=2
	v_perm_b32 v10, v10, s95, 0x5040100
	ds_store_b32 v3, v10 offset:3072
	s_branch .LBB204_352
.LBB204_358:                            ;   in Loop: Header=BB204_355 Depth=2
	s_mov_b32 s28, -1
	s_mov_b32 s23, -1
                                        ; implicit-def: $vgpr8_vgpr9
                                        ; implicit-def: $vgpr6_vgpr7
	s_branch .LBB204_354
.LBB204_359:                            ;   in Loop: Header=BB204_6 Depth=1
	s_or_b32 exec_lo, exec_lo, s19
	v_lshrrev_b32_e32 v46, 16, v10
	s_and_not1_b32 s8, s20, exec_lo
	s_and_b32 s10, s21, exec_lo
	s_delay_alu instid0(SALU_CYCLE_1)
	s_or_b32 s20, s8, s10
.LBB204_360:                            ;   in Loop: Header=BB204_6 Depth=1
	s_or_b32 exec_lo, exec_lo, s18
	s_mov_b32 s23, 0
	s_mov_b32 s72, -1
.LBB204_361:                            ;   in Loop: Header=BB204_6 Depth=1
	s_or_not1_b32 s10, s20, exec_lo
.LBB204_362:                            ;   in Loop: Header=BB204_6 Depth=1
	s_or_b32 exec_lo, exec_lo, s75
	s_mov_b32 s11, 0
	s_and_saveexec_b32 s20, s10
	s_cbranch_execz .LBB204_475
; %bb.363:                              ;   in Loop: Header=BB204_6 Depth=1
	v_mov_b64_e32 v[6:7], 1
	v_mov_b32_e32 v2, 1
	s_xor_b32 s18, s73, -1
	s_delay_alu instid0(SALU_CYCLE_1)
	s_and_saveexec_b32 s10, s18
	s_cbranch_execz .LBB204_372
; %bb.364:                              ;   in Loop: Header=BB204_6 Depth=1
	s_mov_b32 s11, exec_lo
	v_cmpx_ge_u64_e64 s[16:17], v[4:5]
	s_xor_b32 s11, exec_lo, s11
	s_cbranch_execz .LBB204_369
; %bb.365:                              ;   in Loop: Header=BB204_6 Depth=1
	ds_load_b64 v[6:7], v3 offset:5120
	s_lshl_b32 s18, 2, s96
	v_or_b32_e32 v45, s24, v45
	v_and_or_b32 v42, v42, s25, s18
	s_wait_dscnt 0x0
	v_cmp_ne_u64_e32 vcc_lo, 0, v[6:7]
	s_cbranch_vccnz .LBB204_369
; %bb.366:                              ;   in Loop: Header=BB204_6 Depth=1
	s_and_saveexec_b32 s18, s5
; %bb.367:                              ;   in Loop: Header=BB204_6 Depth=1
	v_mov_b64_e32 v[6:7], s[16:17]
	ds_store_b64 v3, v[6:7] offset:5128
; %bb.368:                              ;   in Loop: Header=BB204_6 Depth=1
	s_or_b32 exec_lo, exec_lo, s18
	s_wait_dscnt 0x0
	s_barrier_signal -1
	s_barrier_wait -1
.LBB204_369:                            ;   in Loop: Header=BB204_6 Depth=1
	s_or_saveexec_b32 s11, s11
	v_mov_b32_e32 v2, 5
	s_mov_b32 s18, 0
	s_xor_b32 exec_lo, exec_lo, s11
; %bb.370:                              ;   in Loop: Header=BB204_6 Depth=1
	v_sub_nc_u64_e64 v[4:5], v[4:5], s[16:17]
	v_mov_b32_e32 v2, 0
	s_mov_b32 s18, exec_lo
; %bb.371:                              ;   in Loop: Header=BB204_6 Depth=1
	s_or_b32 exec_lo, exec_lo, s11
	s_delay_alu instid0(VALU_DEP_2)
	v_mov_b64_e32 v[6:7], v[4:5]
	s_and_b32 s11, s18, exec_lo
.LBB204_372:                            ;   in Loop: Header=BB204_6 Depth=1
	s_or_b32 exec_lo, exec_lo, s10
	s_mov_b32 s10, -1
                                        ; implicit-def: $sgpr73
                                        ; implicit-def: $sgpr75
	s_and_saveexec_b32 s21, s11
	s_cbranch_execz .LBB204_474
; %bb.373:                              ;   in Loop: Header=BB204_6 Depth=1
	s_delay_alu instid0(VALU_DEP_1) | instskip(SKIP_2) | instid1(SALU_CYCLE_1)
	v_cmp_eq_u64_e32 vcc_lo, 1, v[6:7]
	s_cmp_eq_u64 s[14:15], 1
                                        ; implicit-def: $sgpr75
                                        ; implicit-def: $sgpr73
	s_cselect_b32 s10, -1, 0
	s_and_b32 s76, s10, vcc_lo
	s_mov_b32 s10, -1
	s_and_saveexec_b32 s77, s76
	s_cbranch_execz .LBB204_409
; %bb.374:                              ;   in Loop: Header=BB204_6 Depth=1
	ds_load_b64 v[4:5], v3 offset:5120
	s_wait_dscnt 0x0
	s_barrier_signal -1
	s_barrier_wait -1
	v_readfirstlane_b32 s10, v4
	v_readfirstlane_b32 s11, v5
	s_and_saveexec_b32 s16, s6
; %bb.375:                              ;   in Loop: Header=BB204_6 Depth=1
	ds_store_b16 v39, v3
; %bb.376:                              ;   in Loop: Header=BB204_6 Depth=1
	s_or_b32 exec_lo, exec_lo, s16
	s_lshl_b32 s16, 1, s96
	v_or_b32_e32 v45, s24, v45
	v_and_or_b32 v42, v42, s25, s16
	s_mov_b32 s73, -1
	s_mov_b32 s75, 0
	s_cmp_eq_u64 s[10:11], 0
	s_mov_b32 s18, 0
	s_mov_b32 s19, -1
	s_wait_dscnt 0x0
	s_barrier_signal -1
	s_barrier_wait -1
                                        ; implicit-def: $vgpr46
	s_cbranch_scc1 .LBB204_393
; %bb.377:                              ;   in Loop: Header=BB204_6 Depth=1
	s_add_nc_u64 s[16:17], s[10:11], s[54:55]
	s_delay_alu instid0(SALU_CYCLE_1) | instskip(NEXT) | instid1(SALU_CYCLE_1)
	s_and_b64 s[18:19], s[16:17], 0xffffffff00000000
	s_cmp_lg_u64 s[18:19], 0
	s_cbranch_scc0 .LBB204_426
; %bb.378:                              ;   in Loop: Header=BB204_6 Depth=1
	s_cvt_f32_u32 s18, s34
	s_sub_nc_u64 s[50:51], 0, s[34:35]
	s_delay_alu instid0(SALU_CYCLE_2) | instskip(NEXT) | instid1(SALU_CYCLE_3)
	s_fmamk_f32 s18, s94, 0x0, s18
	v_s_rcp_f32 s18, s18
	s_delay_alu instid0(TRANS32_DEP_1) | instskip(NEXT) | instid1(SALU_CYCLE_3)
	s_mul_f32 s18, s18, 0x5f7ffffc
	s_mul_f32 s19, s18, 0x2f800000
	s_delay_alu instid0(SALU_CYCLE_3) | instskip(NEXT) | instid1(SALU_CYCLE_3)
	s_trunc_f32 s19, s19
	s_fmamk_f32 s18, s19, 0xcf800000, s18
	s_cvt_u32_f32 s19, s19
	s_delay_alu instid0(SALU_CYCLE_2) | instskip(NEXT) | instid1(SALU_CYCLE_3)
	s_cvt_u32_f32 s18, s18
	s_mul_u64 s[52:53], s[50:51], s[18:19]
	s_delay_alu instid0(SALU_CYCLE_1)
	s_mul_hi_u32 s79, s18, s53
	s_mul_i32 s78, s18, s53
	s_mul_hi_u32 s28, s18, s52
	s_mul_i32 s45, s19, s52
	s_add_nc_u64 s[78:79], s[28:29], s[78:79]
	s_mul_hi_u32 s44, s19, s52
	s_mul_hi_u32 s66, s19, s53
	s_add_co_u32 s28, s78, s45
	s_add_co_ci_u32 s28, s79, s44
	s_mul_i32 s52, s19, s53
	s_add_co_ci_u32 s53, s66, 0
	s_delay_alu instid0(SALU_CYCLE_1) | instskip(NEXT) | instid1(SALU_CYCLE_1)
	s_add_nc_u64 s[52:53], s[28:29], s[52:53]
	s_add_co_u32 s18, s18, s52
	s_cselect_b32 s28, -1, 0
	s_delay_alu instid0(SALU_CYCLE_1) | instskip(SKIP_1) | instid1(SALU_CYCLE_1)
	s_cmp_lg_u32 s28, 0
	s_add_co_ci_u32 s19, s19, s53
	s_mul_u64 s[50:51], s[50:51], s[18:19]
	s_delay_alu instid0(SALU_CYCLE_1)
	s_mul_hi_u32 s53, s18, s51
	s_mul_i32 s52, s18, s51
	s_mul_hi_u32 s28, s18, s50
	s_mul_i32 s45, s19, s50
	s_add_nc_u64 s[52:53], s[28:29], s[52:53]
	s_mul_hi_u32 s44, s19, s50
	s_mul_hi_u32 s66, s19, s51
	s_add_co_u32 s28, s52, s45
	s_add_co_ci_u32 s28, s53, s44
	s_mul_i32 s50, s19, s51
	s_add_co_ci_u32 s51, s66, 0
	s_delay_alu instid0(SALU_CYCLE_1) | instskip(NEXT) | instid1(SALU_CYCLE_1)
	s_add_nc_u64 s[50:51], s[28:29], s[50:51]
	s_add_co_u32 s18, s18, s50
	s_cselect_b32 s44, -1, 0
	s_mul_hi_u32 s28, s16, s18
	s_cmp_lg_u32 s44, 0
	s_mul_hi_u32 s44, s17, s18
	s_add_co_ci_u32 s45, s19, s51
	s_mul_i32 s51, s17, s18
	s_mul_hi_u32 s19, s16, s45
	s_mul_i32 s18, s16, s45
	s_mul_hi_u32 s52, s17, s45
	s_add_nc_u64 s[18:19], s[28:29], s[18:19]
	s_mul_i32 s50, s17, s45
	s_add_co_u32 s18, s18, s51
	s_add_co_ci_u32 s28, s19, s44
	s_add_co_ci_u32 s51, s52, 0
	s_delay_alu instid0(SALU_CYCLE_1) | instskip(NEXT) | instid1(SALU_CYCLE_1)
	s_add_nc_u64 s[18:19], s[28:29], s[50:51]
	s_and_b64 s[50:51], s[18:19], 0xffffffff00000000
	s_delay_alu instid0(SALU_CYCLE_1) | instskip(NEXT) | instid1(SALU_CYCLE_1)
	s_or_b32 s50, s50, s18
	s_mul_u64 s[18:19], s[34:35], s[50:51]
	s_delay_alu instid0(SALU_CYCLE_1) | instskip(SKIP_1) | instid1(SALU_CYCLE_1)
	s_sub_co_u32 s18, s16, s18
	s_cselect_b32 s28, -1, 0
	s_cmp_lg_u32 s28, 0
	s_sub_co_ci_u32 s19, s17, s19
	s_sub_co_u32 s28, s18, s34
	s_cselect_b32 s44, -1, 0
	s_delay_alu instid0(SALU_CYCLE_1) | instskip(SKIP_3) | instid1(SALU_CYCLE_1)
	s_cmp_lg_u32 s44, 0
	s_sub_co_ci_u32 s44, s19, 0
	s_sub_co_u32 s45, s28, s34
	s_cselect_b32 s50, -1, 0
	s_cmp_lg_u32 s50, 0
	s_sub_co_ci_u32 s50, s44, 0
	s_cmp_ge_u32 s28, s34
	s_cselect_b32 s51, -1, 0
	s_cmp_eq_u32 s44, 0
	s_cselect_b32 s51, s51, -1
	s_delay_alu instid0(SALU_CYCLE_1)
	s_cmp_lg_u32 s51, 0
	s_cselect_b32 s44, s50, s44
	s_cselect_b32 s28, s45, s28
	s_cmp_ge_u32 s18, s34
	s_cselect_b32 s45, -1, 0
	s_cmp_eq_u32 s19, 0
	s_cselect_b32 s45, s45, -1
	s_delay_alu instid0(SALU_CYCLE_1)
	s_cmp_lg_u32 s45, 0
	s_cselect_b32 s19, s44, s19
	s_cselect_b32 s18, s28, s18
	s_cbranch_execnz .LBB204_380
.LBB204_379:                            ;   in Loop: Header=BB204_6 Depth=1
	v_cvt_f32_u32_e32 v4, s34
	s_sub_co_i32 s19, 0, s34
	s_delay_alu instid0(VALU_DEP_1) | instskip(SKIP_1) | instid1(TRANS32_DEP_1)
	v_rcp_iflag_f32_e32 v4, v4
	v_nop
	v_mul_f32_e32 v4, 0x4f7ffffe, v4
	s_delay_alu instid0(VALU_DEP_1) | instskip(NEXT) | instid1(VALU_DEP_1)
	v_cvt_u32_f32_e32 v4, v4
	v_readfirstlane_b32 s18, v4
	s_mul_i32 s19, s19, s18
	s_delay_alu instid0(SALU_CYCLE_1) | instskip(NEXT) | instid1(SALU_CYCLE_1)
	s_mul_hi_u32 s19, s18, s19
	s_add_co_i32 s18, s18, s19
	s_delay_alu instid0(SALU_CYCLE_1) | instskip(NEXT) | instid1(SALU_CYCLE_1)
	s_mul_hi_u32 s18, s16, s18
	s_mul_i32 s18, s18, s34
	s_delay_alu instid0(SALU_CYCLE_1) | instskip(NEXT) | instid1(SALU_CYCLE_1)
	s_sub_co_i32 s18, s16, s18
	s_sub_co_i32 s19, s18, s34
	s_cmp_ge_u32 s18, s34
	s_cselect_b32 s18, s19, s18
	s_delay_alu instid0(SALU_CYCLE_1) | instskip(SKIP_2) | instid1(SALU_CYCLE_1)
	s_sub_co_i32 s19, s18, s34
	s_cmp_ge_u32 s18, s34
	s_cselect_b32 s28, s19, s18
	s_mov_b64 s[18:19], s[28:29]
.LBB204_380:                            ;   in Loop: Header=BB204_6 Depth=1
	s_delay_alu instid0(SALU_CYCLE_1)
	s_sub_nc_u64 s[16:17], s[16:17], s[18:19]
	s_mov_b32 s19, 0
	s_mov_b32 s18, 0
	s_mov_b32 s28, exec_lo
                                        ; implicit-def: $vgpr46
	v_cmpx_gt_u64_e64 s[16:17], v[0:1]
	s_cbranch_execz .LBB204_392
; %bb.381:                              ;   in Loop: Header=BB204_6 Depth=1
	v_mov_b64_e32 v[4:5], v[0:1]
	v_mov_b32_e32 v8, v38
                                        ; implicit-def: $sgpr50
	s_branch .LBB204_385
.LBB204_382:                            ;   in Loop: Header=BB204_385 Depth=2
	s_or_b32 exec_lo, exec_lo, s51
	s_wait_dscnt 0x0
	s_barrier_signal -1
	s_barrier_wait -1
	ds_load_b32 v9, v3 offset:3072
	s_wait_dscnt 0x0
	s_barrier_signal -1
	s_barrier_wait -1
	v_cmp_neq_f16_e32 vcc_lo, 0, v9
	s_cbranch_vccnz .LBB204_388
; %bb.383:                              ;   in Loop: Header=BB204_385 Depth=2
	v_add_nc_u64_e32 v[4:5], s[34:35], v[4:5]
	v_add_nc_u32_e32 v8, s93, v8
	s_mov_b32 s51, 0
	s_delay_alu instid0(VALU_DEP_2)
	v_cmp_le_u64_e32 vcc_lo, s[16:17], v[4:5]
	s_or_not1_b32 s52, vcc_lo, exec_lo
.LBB204_384:                            ;   in Loop: Header=BB204_385 Depth=2
	s_delay_alu instid0(SALU_CYCLE_1) | instskip(NEXT) | instid1(SALU_CYCLE_1)
	s_and_b32 s8, exec_lo, s52
	s_or_b32 s18, s8, s18
	s_and_not1_b32 s8, s50, exec_lo
	s_and_b32 s44, s51, exec_lo
	s_delay_alu instid0(SALU_CYCLE_1)
	s_or_b32 s50, s8, s44
	s_and_not1_b32 exec_lo, exec_lo, s18
	s_cbranch_execz .LBB204_391
.LBB204_385:                            ;   Parent Loop BB204_6 Depth=1
                                        ; =>  This Inner Loop Header: Depth=2
	s_mov_b32 s51, exec_lo
	s_delay_alu instid0(VALU_DEP_2)
	v_cmpx_gt_u64_e64 s[10:11], v[4:5]
	s_cbranch_execz .LBB204_382
; %bb.386:                              ;   in Loop: Header=BB204_385 Depth=2
	ds_load_u16 v9, v8
	s_wait_dscnt 0x0
	v_cmp_lt_i16_e32 vcc_lo, -1, v9
	v_and_b32_e32 v10, 0xffff, v9
	v_cndmask_b32_e32 v11, 0xffff, v44, vcc_lo
	v_cmp_o_f16_e32 vcc_lo, v9, v9
	s_delay_alu instid0(VALU_DEP_2) | instskip(NEXT) | instid1(VALU_DEP_1)
	v_xor_b32_e32 v10, v11, v10
	v_cndmask_b32_e32 v10, 0xffff, v10, vcc_lo
	s_delay_alu instid0(VALU_DEP_1) | instskip(NEXT) | instid1(VALU_DEP_1)
	v_and_b32_e32 v10, v10, v45
	v_cmp_eq_u32_e32 vcc_lo, v10, v42
	s_and_b32 exec_lo, exec_lo, vcc_lo
	s_cbranch_execz .LBB204_382
; %bb.387:                              ;   in Loop: Header=BB204_385 Depth=2
	v_perm_b32 v9, v9, s95, 0x5040100
	ds_store_b32 v3, v9 offset:3072
	s_branch .LBB204_382
.LBB204_388:                            ;   in Loop: Header=BB204_385 Depth=2
	s_mov_b32 s52, -1
	s_mov_b32 s51, -1
                                        ; implicit-def: $vgpr4_vgpr5
                                        ; implicit-def: $vgpr8
	s_branch .LBB204_384
.LBB204_389:                            ;   in Loop: Header=BB204_6 Depth=1
                                        ; implicit-def: $sgpr20_sgpr21
	s_branch .LBB204_332
.LBB204_390:                            ;   in Loop: Header=BB204_6 Depth=1
                                        ; implicit-def: $sgpr10_sgpr11
	s_branch .LBB204_349
.LBB204_391:                            ;   in Loop: Header=BB204_6 Depth=1
	s_or_b32 exec_lo, exec_lo, s18
	v_lshrrev_b32_e32 v46, 16, v9
	s_and_b32 s18, s50, exec_lo
.LBB204_392:                            ;   in Loop: Header=BB204_6 Depth=1
	s_or_b32 exec_lo, exec_lo, s28
.LBB204_393:                            ;   in Loop: Header=BB204_6 Depth=1
	s_delay_alu instid0(SALU_CYCLE_1)
	s_and_b32 vcc_lo, exec_lo, s19
	s_cbranch_vccz .LBB204_408
; %bb.394:                              ;   in Loop: Header=BB204_6 Depth=1
	s_and_b64 s[10:11], s[56:57], 0xffffffff00000000
	s_delay_alu instid0(SALU_CYCLE_1)
	s_cmp_lg_u64 s[10:11], 0
	s_cbranch_scc0 .LBB204_427
; %bb.395:                              ;   in Loop: Header=BB204_6 Depth=1
	s_cvt_f32_u32 s10, s34
	s_sub_nc_u64 s[16:17], 0, s[34:35]
	s_delay_alu instid0(SALU_CYCLE_2) | instskip(NEXT) | instid1(SALU_CYCLE_3)
	s_fmamk_f32 s10, s94, 0x0, s10
	v_s_rcp_f32 s10, s10
	s_delay_alu instid0(TRANS32_DEP_1) | instskip(NEXT) | instid1(SALU_CYCLE_3)
	s_mul_f32 s10, s10, 0x5f7ffffc
	s_mul_f32 s11, s10, 0x2f800000
	s_delay_alu instid0(SALU_CYCLE_3) | instskip(NEXT) | instid1(SALU_CYCLE_3)
	s_trunc_f32 s11, s11
	s_fmamk_f32 s10, s11, 0xcf800000, s10
	s_cvt_u32_f32 s11, s11
	s_delay_alu instid0(SALU_CYCLE_2) | instskip(NEXT) | instid1(SALU_CYCLE_3)
	s_cvt_u32_f32 s10, s10
	s_mul_u64 s[50:51], s[16:17], s[10:11]
	s_delay_alu instid0(SALU_CYCLE_1)
	s_mul_hi_u32 s53, s10, s51
	s_mul_i32 s52, s10, s51
	s_mul_hi_u32 s28, s10, s50
	s_mul_i32 s44, s11, s50
	s_add_nc_u64 s[52:53], s[28:29], s[52:53]
	s_mul_hi_u32 s19, s11, s50
	s_mul_hi_u32 s45, s11, s51
	s_add_co_u32 s28, s52, s44
	s_add_co_ci_u32 s28, s53, s19
	s_mul_i32 s50, s11, s51
	s_add_co_ci_u32 s51, s45, 0
	s_delay_alu instid0(SALU_CYCLE_1) | instskip(NEXT) | instid1(SALU_CYCLE_1)
	s_add_nc_u64 s[50:51], s[28:29], s[50:51]
	s_add_co_u32 s10, s10, s50
	s_cselect_b32 s19, -1, 0
	s_delay_alu instid0(SALU_CYCLE_1) | instskip(SKIP_1) | instid1(SALU_CYCLE_1)
	s_cmp_lg_u32 s19, 0
	s_add_co_ci_u32 s11, s11, s51
	s_mul_u64 s[16:17], s[16:17], s[10:11]
	s_delay_alu instid0(SALU_CYCLE_1)
	s_mul_hi_u32 s51, s10, s17
	s_mul_i32 s50, s10, s17
	s_mul_hi_u32 s28, s10, s16
	s_mul_i32 s44, s11, s16
	s_add_nc_u64 s[50:51], s[28:29], s[50:51]
	s_mul_hi_u32 s19, s11, s16
	s_mul_hi_u32 s45, s11, s17
	s_mul_i32 s16, s11, s17
	s_add_co_u32 s17, s50, s44
	s_add_co_ci_u32 s28, s51, s19
	s_add_co_ci_u32 s17, s45, 0
	s_delay_alu instid0(SALU_CYCLE_1) | instskip(NEXT) | instid1(SALU_CYCLE_1)
	s_add_nc_u64 s[16:17], s[28:29], s[16:17]
	s_add_co_u32 s10, s10, s16
	s_cselect_b32 s16, -1, 0
	s_mul_hi_u32 s28, s56, s10
	s_cmp_lg_u32 s16, 0
	s_mul_hi_u32 s19, s57, s10
	s_add_co_ci_u32 s16, s11, s17
	s_mul_i32 s17, s57, s10
	s_mul_hi_u32 s11, s56, s16
	s_mul_i32 s10, s56, s16
	s_mul_hi_u32 s44, s57, s16
	s_add_nc_u64 s[10:11], s[28:29], s[10:11]
	s_mul_i32 s16, s57, s16
	s_add_co_u32 s10, s10, s17
	s_add_co_ci_u32 s28, s11, s19
	s_add_co_ci_u32 s17, s44, 0
	s_delay_alu instid0(SALU_CYCLE_1) | instskip(NEXT) | instid1(SALU_CYCLE_1)
	s_add_nc_u64 s[10:11], s[28:29], s[16:17]
	s_and_b64 s[16:17], s[10:11], 0xffffffff00000000
	s_delay_alu instid0(SALU_CYCLE_1) | instskip(NEXT) | instid1(SALU_CYCLE_1)
	s_or_b32 s16, s16, s10
	s_mul_u64 s[10:11], s[34:35], s[16:17]
	s_delay_alu instid0(SALU_CYCLE_1) | instskip(SKIP_1) | instid1(SALU_CYCLE_1)
	s_sub_co_u32 s10, s56, s10
	s_cselect_b32 s16, -1, 0
	s_cmp_lg_u32 s16, 0
	s_sub_co_ci_u32 s11, s57, s11
	s_sub_co_u32 s16, s10, s34
	s_cselect_b32 s17, -1, 0
	s_delay_alu instid0(SALU_CYCLE_1) | instskip(SKIP_3) | instid1(SALU_CYCLE_1)
	s_cmp_lg_u32 s17, 0
	s_sub_co_ci_u32 s17, s11, 0
	s_sub_co_u32 s19, s16, s34
	s_cselect_b32 s28, -1, 0
	s_cmp_lg_u32 s28, 0
	s_sub_co_ci_u32 s28, s17, 0
	s_cmp_ge_u32 s16, s34
	s_cselect_b32 s44, -1, 0
	s_cmp_eq_u32 s17, 0
	s_cselect_b32 s44, s44, -1
	s_delay_alu instid0(SALU_CYCLE_1)
	s_cmp_lg_u32 s44, 0
	s_cselect_b32 s17, s28, s17
	s_cselect_b32 s16, s19, s16
	s_cmp_ge_u32 s10, s34
	s_cselect_b32 s19, -1, 0
	s_cmp_eq_u32 s11, 0
	s_cselect_b32 s19, s19, -1
	s_delay_alu instid0(SALU_CYCLE_1)
	s_cmp_lg_u32 s19, 0
	s_cselect_b32 s11, s17, s11
	s_cselect_b32 s10, s16, s10
	s_cbranch_execnz .LBB204_397
.LBB204_396:                            ;   in Loop: Header=BB204_6 Depth=1
	v_cvt_f32_u32_e32 v4, s34
	s_sub_co_i32 s11, 0, s34
	s_delay_alu instid0(VALU_DEP_1) | instskip(SKIP_1) | instid1(TRANS32_DEP_1)
	v_rcp_iflag_f32_e32 v4, v4
	v_nop
	v_mul_f32_e32 v4, 0x4f7ffffe, v4
	s_delay_alu instid0(VALU_DEP_1) | instskip(NEXT) | instid1(VALU_DEP_1)
	v_cvt_u32_f32_e32 v4, v4
	v_readfirstlane_b32 s10, v4
	s_mul_i32 s11, s11, s10
	s_delay_alu instid0(SALU_CYCLE_1) | instskip(NEXT) | instid1(SALU_CYCLE_1)
	s_mul_hi_u32 s11, s10, s11
	s_add_co_i32 s10, s10, s11
	s_delay_alu instid0(SALU_CYCLE_1) | instskip(NEXT) | instid1(SALU_CYCLE_1)
	s_mul_hi_u32 s10, s56, s10
	s_mul_i32 s10, s10, s34
	s_delay_alu instid0(SALU_CYCLE_1) | instskip(NEXT) | instid1(SALU_CYCLE_1)
	s_sub_co_i32 s10, s56, s10
	s_sub_co_i32 s11, s10, s34
	s_cmp_ge_u32 s10, s34
	s_cselect_b32 s10, s11, s10
	s_delay_alu instid0(SALU_CYCLE_1) | instskip(SKIP_2) | instid1(SALU_CYCLE_1)
	s_sub_co_i32 s11, s10, s34
	s_cmp_ge_u32 s10, s34
	s_cselect_b32 s28, s11, s10
	s_mov_b64 s[10:11], s[28:29]
.LBB204_397:                            ;   in Loop: Header=BB204_6 Depth=1
	s_delay_alu instid0(SALU_CYCLE_1)
	s_sub_nc_u64 s[10:11], s[56:57], s[10:11]
	s_mov_b32 s16, exec_lo
                                        ; implicit-def: $vgpr46
	v_nop
	v_cmpx_gt_u64_e64 s[10:11], v[0:1]
	s_cbranch_execz .LBB204_407
; %bb.398:                              ;   in Loop: Header=BB204_6 Depth=1
	v_mov_b64_e32 v[4:5], v[14:15]
	v_mov_b64_e32 v[8:9], v[0:1]
	s_mov_b32 s17, 0
                                        ; implicit-def: $sgpr19
	s_branch .LBB204_402
.LBB204_399:                            ;   in Loop: Header=BB204_402 Depth=2
	s_or_b32 exec_lo, exec_lo, s28
	s_wait_dscnt 0x0
	s_barrier_signal -1
	s_barrier_wait -1
	ds_load_b32 v10, v3 offset:3072
	s_wait_dscnt 0x0
	s_barrier_signal -1
	s_barrier_wait -1
	v_cmp_eq_f16_e32 vcc_lo, 0, v10
	s_cbranch_vccz .LBB204_405
; %bb.400:                              ;   in Loop: Header=BB204_402 Depth=2
	v_add_nc_u64_e32 v[8:9], s[34:35], v[8:9]
	v_add_nc_u64_e32 v[4:5], s[40:41], v[4:5]
	s_mov_b32 s28, 0
	s_delay_alu instid0(VALU_DEP_2)
	v_cmp_le_u64_e32 vcc_lo, s[10:11], v[8:9]
	s_or_not1_b32 s50, vcc_lo, exec_lo
.LBB204_401:                            ;   in Loop: Header=BB204_402 Depth=2
	s_delay_alu instid0(SALU_CYCLE_1) | instskip(NEXT) | instid1(SALU_CYCLE_1)
	s_and_b32 s8, exec_lo, s50
	s_or_b32 s17, s8, s17
	s_and_not1_b32 s8, s19, exec_lo
	s_and_b32 s19, s28, exec_lo
	s_delay_alu instid0(SALU_CYCLE_1)
	s_or_b32 s19, s8, s19
	s_and_not1_b32 exec_lo, exec_lo, s17
	s_cbranch_execz .LBB204_406
.LBB204_402:                            ;   Parent Loop BB204_6 Depth=1
                                        ; =>  This Inner Loop Header: Depth=2
	s_mov_b32 s28, exec_lo
	s_delay_alu instid0(VALU_DEP_1)
	v_cmpx_gt_u64_e64 s[36:37], v[8:9]
	s_cbranch_execz .LBB204_399
; %bb.403:                              ;   in Loop: Header=BB204_402 Depth=2
	global_load_u16 v10, v[4:5], off
	s_wait_loadcnt 0x0
	v_cmp_lt_i16_e32 vcc_lo, -1, v10
	v_and_b32_e32 v11, 0xffff, v10
	v_cndmask_b32_e32 v30, 0xffff, v44, vcc_lo
	v_cmp_o_f16_e32 vcc_lo, v10, v10
	s_delay_alu instid0(VALU_DEP_2) | instskip(NEXT) | instid1(VALU_DEP_1)
	v_xor_b32_e32 v11, v30, v11
	v_cndmask_b32_e32 v11, 0xffff, v11, vcc_lo
	s_delay_alu instid0(VALU_DEP_1) | instskip(NEXT) | instid1(VALU_DEP_1)
	v_and_b32_e32 v11, v11, v45
	v_cmp_eq_u32_e32 vcc_lo, v11, v42
	s_and_b32 exec_lo, exec_lo, vcc_lo
	s_cbranch_execz .LBB204_399
; %bb.404:                              ;   in Loop: Header=BB204_402 Depth=2
	v_perm_b32 v10, v10, s95, 0x5040100
	ds_store_b32 v3, v10 offset:3072
	s_branch .LBB204_399
.LBB204_405:                            ;   in Loop: Header=BB204_402 Depth=2
	s_mov_b32 s50, -1
	s_mov_b32 s28, -1
                                        ; implicit-def: $vgpr8_vgpr9
                                        ; implicit-def: $vgpr4_vgpr5
	s_branch .LBB204_401
.LBB204_406:                            ;   in Loop: Header=BB204_6 Depth=1
	s_or_b32 exec_lo, exec_lo, s17
	v_lshrrev_b32_e32 v46, 16, v10
	s_and_not1_b32 s8, s18, exec_lo
	s_and_b32 s10, s19, exec_lo
	s_delay_alu instid0(SALU_CYCLE_1)
	s_or_b32 s18, s8, s10
.LBB204_407:                            ;   in Loop: Header=BB204_6 Depth=1
	s_or_b32 exec_lo, exec_lo, s16
	s_mov_b32 s73, 0
	s_mov_b32 s75, -1
.LBB204_408:                            ;   in Loop: Header=BB204_6 Depth=1
	s_or_not1_b32 s10, s18, exec_lo
.LBB204_409:                            ;   in Loop: Header=BB204_6 Depth=1
	s_or_b32 exec_lo, exec_lo, s77
	s_mov_b32 s11, 0
	s_and_saveexec_b32 s18, s10
	s_cbranch_execz .LBB204_473
; %bb.410:                              ;   in Loop: Header=BB204_6 Depth=1
	v_mov_b64_e32 v[4:5], 1
	v_mov_b32_e32 v2, 1
	s_xor_b32 s16, s76, -1
	s_delay_alu instid0(SALU_CYCLE_1)
	s_and_saveexec_b32 s10, s16
	s_cbranch_execz .LBB204_419
; %bb.411:                              ;   in Loop: Header=BB204_6 Depth=1
	s_mov_b32 s11, exec_lo
	v_cmpx_ge_u64_e64 s[14:15], v[6:7]
	s_xor_b32 s11, exec_lo, s11
	s_cbranch_execz .LBB204_416
; %bb.412:                              ;   in Loop: Header=BB204_6 Depth=1
	ds_load_b64 v[4:5], v3 offset:5120
	s_lshl_b32 s16, 1, s96
	v_or_b32_e32 v45, s24, v45
	v_and_or_b32 v42, v42, s25, s16
	s_wait_dscnt 0x0
	v_cmp_ne_u64_e32 vcc_lo, 0, v[4:5]
	s_cbranch_vccnz .LBB204_416
; %bb.413:                              ;   in Loop: Header=BB204_6 Depth=1
	s_and_saveexec_b32 s16, s5
; %bb.414:                              ;   in Loop: Header=BB204_6 Depth=1
	v_mov_b64_e32 v[4:5], s[14:15]
	ds_store_b64 v3, v[4:5] offset:5128
; %bb.415:                              ;   in Loop: Header=BB204_6 Depth=1
	s_or_b32 exec_lo, exec_lo, s16
	s_wait_dscnt 0x0
	s_barrier_signal -1
	s_barrier_wait -1
.LBB204_416:                            ;   in Loop: Header=BB204_6 Depth=1
	s_or_saveexec_b32 s11, s11
	v_mov_b32_e32 v2, 5
	s_mov_b32 s16, 0
	s_xor_b32 exec_lo, exec_lo, s11
; %bb.417:                              ;   in Loop: Header=BB204_6 Depth=1
	v_sub_nc_u64_e64 v[6:7], v[6:7], s[14:15]
	v_mov_b32_e32 v2, 0
	s_mov_b32 s16, exec_lo
; %bb.418:                              ;   in Loop: Header=BB204_6 Depth=1
	s_or_b32 exec_lo, exec_lo, s11
	s_delay_alu instid0(VALU_DEP_2)
	v_mov_b64_e32 v[4:5], v[6:7]
	s_and_b32 s11, s16, exec_lo
.LBB204_419:                            ;   in Loop: Header=BB204_6 Depth=1
	s_or_b32 exec_lo, exec_lo, s10
	s_mov_b32 s10, -1
                                        ; implicit-def: $sgpr50
                                        ; implicit-def: $sgpr78
	s_and_saveexec_b32 s19, s11
	s_cbranch_execz .LBB204_472
; %bb.420:                              ;   in Loop: Header=BB204_6 Depth=1
	s_delay_alu instid0(VALU_DEP_1) | instskip(SKIP_3) | instid1(SALU_CYCLE_1)
	v_cmp_eq_u64_e32 vcc_lo, 1, v[4:5]
	s_cmp_eq_u64 s[12:13], 1
	s_mov_b32 s11, -1
	s_cselect_b32 s10, -1, 0
                                        ; implicit-def: $sgpr50
                                        ; implicit-def: $sgpr78
	s_and_b32 s76, s10, vcc_lo
	s_delay_alu instid0(SALU_CYCLE_1)
	s_and_saveexec_b32 s77, s76
	s_cbranch_execz .LBB204_460
; %bb.421:                              ;   in Loop: Header=BB204_6 Depth=1
	ds_load_b64 v[6:7], v3 offset:5120
	s_wait_dscnt 0x0
	s_barrier_signal -1
	s_barrier_wait -1
	v_readfirstlane_b32 s10, v6
	v_readfirstlane_b32 s11, v7
	s_and_saveexec_b32 s14, s6
; %bb.422:                              ;   in Loop: Header=BB204_6 Depth=1
	ds_store_b16 v39, v3
; %bb.423:                              ;   in Loop: Header=BB204_6 Depth=1
	s_or_b32 exec_lo, exec_lo, s14
	v_and_b32_e32 v42, s25, v42
	v_or_b32_e32 v45, s24, v45
	s_mov_b32 s78, -1
	s_mov_b32 s50, 0
	s_cmp_eq_u64 s[10:11], 0
	s_mov_b32 s16, 0
	s_mov_b32 s17, -1
	s_wait_dscnt 0x0
	s_barrier_signal -1
	s_barrier_wait -1
                                        ; implicit-def: $vgpr46
	s_cbranch_scc1 .LBB204_442
; %bb.424:                              ;   in Loop: Header=BB204_6 Depth=1
	s_add_nc_u64 s[14:15], s[10:11], s[54:55]
	s_delay_alu instid0(SALU_CYCLE_1) | instskip(NEXT) | instid1(SALU_CYCLE_1)
	s_and_b64 s[16:17], s[14:15], 0xffffffff00000000
	s_cmp_lg_u64 s[16:17], 0
	s_cbranch_scc0 .LBB204_428
; %bb.425:                              ;   in Loop: Header=BB204_6 Depth=1
	s_cvt_f32_u32 s16, s34
	s_sub_nc_u64 s[52:53], 0, s[34:35]
	s_delay_alu instid0(SALU_CYCLE_2) | instskip(NEXT) | instid1(SALU_CYCLE_3)
	s_fmamk_f32 s16, s94, 0x0, s16
	v_s_rcp_f32 s16, s16
	s_delay_alu instid0(TRANS32_DEP_1) | instskip(NEXT) | instid1(SALU_CYCLE_3)
	s_mul_f32 s16, s16, 0x5f7ffffc
	s_mul_f32 s17, s16, 0x2f800000
	s_delay_alu instid0(SALU_CYCLE_3) | instskip(NEXT) | instid1(SALU_CYCLE_3)
	s_trunc_f32 s17, s17
	s_fmamk_f32 s16, s17, 0xcf800000, s16
	s_cvt_u32_f32 s17, s17
	s_delay_alu instid0(SALU_CYCLE_2) | instskip(NEXT) | instid1(SALU_CYCLE_3)
	s_cvt_u32_f32 s16, s16
	s_mul_u64 s[80:81], s[52:53], s[16:17]
	s_delay_alu instid0(SALU_CYCLE_1)
	s_mul_hi_u32 s83, s16, s81
	s_mul_i32 s82, s16, s81
	s_mul_hi_u32 s28, s16, s80
	s_mul_i32 s45, s17, s80
	s_add_nc_u64 s[82:83], s[28:29], s[82:83]
	s_mul_hi_u32 s44, s17, s80
	s_mul_hi_u32 s51, s17, s81
	s_add_co_u32 s28, s82, s45
	s_add_co_ci_u32 s28, s83, s44
	s_mul_i32 s80, s17, s81
	s_add_co_ci_u32 s81, s51, 0
	s_delay_alu instid0(SALU_CYCLE_1) | instskip(NEXT) | instid1(SALU_CYCLE_1)
	s_add_nc_u64 s[80:81], s[28:29], s[80:81]
	s_add_co_u32 s16, s16, s80
	s_cselect_b32 s28, -1, 0
	s_delay_alu instid0(SALU_CYCLE_1) | instskip(SKIP_1) | instid1(SALU_CYCLE_1)
	s_cmp_lg_u32 s28, 0
	s_add_co_ci_u32 s17, s17, s81
	s_mul_u64 s[52:53], s[52:53], s[16:17]
	s_delay_alu instid0(SALU_CYCLE_1)
	s_mul_hi_u32 s81, s16, s53
	s_mul_i32 s80, s16, s53
	s_mul_hi_u32 s28, s16, s52
	s_mul_i32 s45, s17, s52
	s_add_nc_u64 s[80:81], s[28:29], s[80:81]
	s_mul_hi_u32 s44, s17, s52
	s_mul_hi_u32 s51, s17, s53
	s_add_co_u32 s28, s80, s45
	s_add_co_ci_u32 s28, s81, s44
	s_mul_i32 s52, s17, s53
	s_add_co_ci_u32 s53, s51, 0
	s_delay_alu instid0(SALU_CYCLE_1) | instskip(NEXT) | instid1(SALU_CYCLE_1)
	s_add_nc_u64 s[52:53], s[28:29], s[52:53]
	s_add_co_u32 s16, s16, s52
	s_cselect_b32 s44, -1, 0
	s_mul_hi_u32 s28, s14, s16
	s_cmp_lg_u32 s44, 0
	s_mul_hi_u32 s44, s15, s16
	s_add_co_ci_u32 s45, s17, s53
	s_mul_i32 s51, s15, s16
	s_mul_hi_u32 s17, s14, s45
	s_mul_i32 s16, s14, s45
	s_mul_hi_u32 s53, s15, s45
	s_add_nc_u64 s[16:17], s[28:29], s[16:17]
	s_mul_i32 s52, s15, s45
	s_add_co_u32 s16, s16, s51
	s_add_co_ci_u32 s28, s17, s44
	s_add_co_ci_u32 s53, s53, 0
	s_delay_alu instid0(SALU_CYCLE_1) | instskip(NEXT) | instid1(SALU_CYCLE_1)
	s_add_nc_u64 s[16:17], s[28:29], s[52:53]
	s_and_b64 s[52:53], s[16:17], 0xffffffff00000000
	s_delay_alu instid0(SALU_CYCLE_1) | instskip(NEXT) | instid1(SALU_CYCLE_1)
	s_or_b32 s52, s52, s16
	s_mul_u64 s[16:17], s[34:35], s[52:53]
	s_delay_alu instid0(SALU_CYCLE_1) | instskip(SKIP_1) | instid1(SALU_CYCLE_1)
	s_sub_co_u32 s16, s14, s16
	s_cselect_b32 s28, -1, 0
	s_cmp_lg_u32 s28, 0
	s_sub_co_ci_u32 s17, s15, s17
	s_sub_co_u32 s28, s16, s34
	s_cselect_b32 s44, -1, 0
	s_delay_alu instid0(SALU_CYCLE_1) | instskip(SKIP_3) | instid1(SALU_CYCLE_1)
	s_cmp_lg_u32 s44, 0
	s_sub_co_ci_u32 s44, s17, 0
	s_sub_co_u32 s45, s28, s34
	s_cselect_b32 s51, -1, 0
	s_cmp_lg_u32 s51, 0
	s_sub_co_ci_u32 s51, s44, 0
	s_cmp_ge_u32 s28, s34
	s_cselect_b32 s52, -1, 0
	s_cmp_eq_u32 s44, 0
	s_cselect_b32 s52, s52, -1
	s_delay_alu instid0(SALU_CYCLE_1)
	s_cmp_lg_u32 s52, 0
	s_cselect_b32 s44, s51, s44
	s_cselect_b32 s28, s45, s28
	s_cmp_ge_u32 s16, s34
	s_cselect_b32 s45, -1, 0
	s_cmp_eq_u32 s17, 0
	s_cselect_b32 s45, s45, -1
	s_delay_alu instid0(SALU_CYCLE_1)
	s_cmp_lg_u32 s45, 0
	s_cselect_b32 s17, s44, s17
	s_cselect_b32 s16, s28, s16
	s_mov_b32 s28, 0
	s_branch .LBB204_429
.LBB204_426:                            ;   in Loop: Header=BB204_6 Depth=1
                                        ; implicit-def: $sgpr18_sgpr19
	s_branch .LBB204_379
.LBB204_427:                            ;   in Loop: Header=BB204_6 Depth=1
                                        ; implicit-def: $sgpr10_sgpr11
	s_branch .LBB204_396
.LBB204_428:                            ;   in Loop: Header=BB204_6 Depth=1
	s_mov_b32 s28, -1
                                        ; implicit-def: $sgpr16_sgpr17
.LBB204_429:                            ;   in Loop: Header=BB204_6 Depth=1
	s_delay_alu instid0(SALU_CYCLE_1)
	s_and_not1_b32 vcc_lo, exec_lo, s28
	s_cbranch_vccnz .LBB204_431
; %bb.430:                              ;   in Loop: Header=BB204_6 Depth=1
	v_cvt_f32_u32_e32 v6, s34
	s_sub_co_i32 s17, 0, s34
	s_delay_alu instid0(VALU_DEP_1) | instskip(SKIP_1) | instid1(TRANS32_DEP_1)
	v_rcp_iflag_f32_e32 v6, v6
	v_nop
	v_mul_f32_e32 v6, 0x4f7ffffe, v6
	s_delay_alu instid0(VALU_DEP_1) | instskip(NEXT) | instid1(VALU_DEP_1)
	v_cvt_u32_f32_e32 v6, v6
	v_readfirstlane_b32 s16, v6
	s_mul_i32 s17, s17, s16
	s_delay_alu instid0(SALU_CYCLE_1) | instskip(NEXT) | instid1(SALU_CYCLE_1)
	s_mul_hi_u32 s17, s16, s17
	s_add_co_i32 s16, s16, s17
	s_delay_alu instid0(SALU_CYCLE_1) | instskip(NEXT) | instid1(SALU_CYCLE_1)
	s_mul_hi_u32 s16, s14, s16
	s_mul_i32 s16, s16, s34
	s_delay_alu instid0(SALU_CYCLE_1) | instskip(NEXT) | instid1(SALU_CYCLE_1)
	s_sub_co_i32 s16, s14, s16
	s_sub_co_i32 s17, s16, s34
	s_cmp_ge_u32 s16, s34
	s_cselect_b32 s16, s17, s16
	s_delay_alu instid0(SALU_CYCLE_1) | instskip(SKIP_2) | instid1(SALU_CYCLE_1)
	s_sub_co_i32 s17, s16, s34
	s_cmp_ge_u32 s16, s34
	s_cselect_b32 s28, s17, s16
	s_mov_b64 s[16:17], s[28:29]
.LBB204_431:                            ;   in Loop: Header=BB204_6 Depth=1
	s_delay_alu instid0(SALU_CYCLE_1)
	s_sub_nc_u64 s[14:15], s[14:15], s[16:17]
	s_mov_b32 s17, 0
	s_mov_b32 s16, 0
	s_mov_b32 s28, exec_lo
                                        ; implicit-def: $vgpr46
	v_cmpx_gt_u64_e64 s[14:15], v[0:1]
	s_cbranch_execz .LBB204_441
; %bb.432:                              ;   in Loop: Header=BB204_6 Depth=1
	v_mov_b64_e32 v[6:7], v[0:1]
	v_mov_b32_e32 v8, v38
                                        ; implicit-def: $sgpr51
	s_branch .LBB204_436
.LBB204_433:                            ;   in Loop: Header=BB204_436 Depth=2
	s_or_b32 exec_lo, exec_lo, s52
	s_wait_dscnt 0x0
	s_barrier_signal -1
	s_barrier_wait -1
	ds_load_b32 v9, v3 offset:3072
	s_wait_dscnt 0x0
	s_barrier_signal -1
	s_barrier_wait -1
	v_cmp_neq_f16_e32 vcc_lo, 0, v9
	s_cbranch_vccnz .LBB204_439
; %bb.434:                              ;   in Loop: Header=BB204_436 Depth=2
	v_add_nc_u64_e32 v[6:7], s[34:35], v[6:7]
	v_add_nc_u32_e32 v8, s93, v8
	s_mov_b32 s52, 0
	s_delay_alu instid0(VALU_DEP_2)
	v_cmp_le_u64_e32 vcc_lo, s[14:15], v[6:7]
	s_or_not1_b32 s53, vcc_lo, exec_lo
.LBB204_435:                            ;   in Loop: Header=BB204_436 Depth=2
	s_delay_alu instid0(SALU_CYCLE_1) | instskip(NEXT) | instid1(SALU_CYCLE_1)
	s_and_b32 s8, exec_lo, s53
	s_or_b32 s16, s8, s16
	s_and_not1_b32 s8, s51, exec_lo
	s_and_b32 s44, s52, exec_lo
	s_delay_alu instid0(SALU_CYCLE_1)
	s_or_b32 s51, s8, s44
	s_and_not1_b32 exec_lo, exec_lo, s16
	s_cbranch_execz .LBB204_440
.LBB204_436:                            ;   Parent Loop BB204_6 Depth=1
                                        ; =>  This Inner Loop Header: Depth=2
	s_mov_b32 s52, exec_lo
	s_delay_alu instid0(VALU_DEP_2)
	v_cmpx_gt_u64_e64 s[10:11], v[6:7]
	s_cbranch_execz .LBB204_433
; %bb.437:                              ;   in Loop: Header=BB204_436 Depth=2
	ds_load_u16 v9, v8
	s_wait_dscnt 0x0
	v_cmp_lt_i16_e32 vcc_lo, -1, v9
	v_and_b32_e32 v10, 0xffff, v9
	v_cndmask_b32_e32 v11, 0xffff, v44, vcc_lo
	v_cmp_o_f16_e32 vcc_lo, v9, v9
	s_delay_alu instid0(VALU_DEP_2) | instskip(NEXT) | instid1(VALU_DEP_1)
	v_xor_b32_e32 v10, v11, v10
	v_cndmask_b32_e32 v10, 0xffff, v10, vcc_lo
	s_delay_alu instid0(VALU_DEP_1) | instskip(NEXT) | instid1(VALU_DEP_1)
	v_and_b32_e32 v10, v10, v45
	v_cmp_eq_u32_e32 vcc_lo, v10, v42
	s_and_b32 exec_lo, exec_lo, vcc_lo
	s_cbranch_execz .LBB204_433
; %bb.438:                              ;   in Loop: Header=BB204_436 Depth=2
	v_perm_b32 v9, v9, s95, 0x5040100
	ds_store_b32 v3, v9 offset:3072
	s_branch .LBB204_433
.LBB204_439:                            ;   in Loop: Header=BB204_436 Depth=2
	s_mov_b32 s53, -1
	s_mov_b32 s52, -1
                                        ; implicit-def: $vgpr6_vgpr7
                                        ; implicit-def: $vgpr8
	s_branch .LBB204_435
.LBB204_440:                            ;   in Loop: Header=BB204_6 Depth=1
	s_or_b32 exec_lo, exec_lo, s16
	v_lshrrev_b32_e32 v46, 16, v9
	s_and_b32 s16, s51, exec_lo
.LBB204_441:                            ;   in Loop: Header=BB204_6 Depth=1
	s_or_b32 exec_lo, exec_lo, s28
.LBB204_442:                            ;   in Loop: Header=BB204_6 Depth=1
	s_delay_alu instid0(SALU_CYCLE_1)
	s_and_b32 vcc_lo, exec_lo, s17
	s_cbranch_vccz .LBB204_459
; %bb.443:                              ;   in Loop: Header=BB204_6 Depth=1
	s_and_b64 s[10:11], s[56:57], 0xffffffff00000000
	s_delay_alu instid0(SALU_CYCLE_1)
	s_cmp_lg_u64 s[10:11], 0
	s_cbranch_scc0 .LBB204_445
; %bb.444:                              ;   in Loop: Header=BB204_6 Depth=1
	s_cvt_f32_u32 s10, s34
	s_sub_nc_u64 s[14:15], 0, s[34:35]
	s_delay_alu instid0(SALU_CYCLE_2) | instskip(NEXT) | instid1(SALU_CYCLE_3)
	s_fmamk_f32 s10, s94, 0x0, s10
	v_s_rcp_f32 s10, s10
	s_delay_alu instid0(TRANS32_DEP_1) | instskip(NEXT) | instid1(SALU_CYCLE_3)
	s_mul_f32 s10, s10, 0x5f7ffffc
	s_mul_f32 s11, s10, 0x2f800000
	s_delay_alu instid0(SALU_CYCLE_3) | instskip(NEXT) | instid1(SALU_CYCLE_3)
	s_trunc_f32 s11, s11
	s_fmamk_f32 s10, s11, 0xcf800000, s10
	s_cvt_u32_f32 s11, s11
	s_delay_alu instid0(SALU_CYCLE_2) | instskip(NEXT) | instid1(SALU_CYCLE_3)
	s_cvt_u32_f32 s10, s10
	s_mul_u64 s[50:51], s[14:15], s[10:11]
	s_delay_alu instid0(SALU_CYCLE_1)
	s_mul_hi_u32 s53, s10, s51
	s_mul_i32 s52, s10, s51
	s_mul_hi_u32 s28, s10, s50
	s_mul_i32 s44, s11, s50
	s_add_nc_u64 s[52:53], s[28:29], s[52:53]
	s_mul_hi_u32 s17, s11, s50
	s_mul_hi_u32 s45, s11, s51
	s_add_co_u32 s28, s52, s44
	s_add_co_ci_u32 s28, s53, s17
	s_mul_i32 s50, s11, s51
	s_add_co_ci_u32 s51, s45, 0
	s_delay_alu instid0(SALU_CYCLE_1) | instskip(NEXT) | instid1(SALU_CYCLE_1)
	s_add_nc_u64 s[50:51], s[28:29], s[50:51]
	s_add_co_u32 s10, s10, s50
	s_cselect_b32 s17, -1, 0
	s_delay_alu instid0(SALU_CYCLE_1) | instskip(SKIP_1) | instid1(SALU_CYCLE_1)
	s_cmp_lg_u32 s17, 0
	s_add_co_ci_u32 s11, s11, s51
	s_mul_u64 s[14:15], s[14:15], s[10:11]
	s_delay_alu instid0(SALU_CYCLE_1)
	s_mul_hi_u32 s51, s10, s15
	s_mul_i32 s50, s10, s15
	s_mul_hi_u32 s28, s10, s14
	s_mul_i32 s44, s11, s14
	s_add_nc_u64 s[50:51], s[28:29], s[50:51]
	s_mul_hi_u32 s17, s11, s14
	s_mul_hi_u32 s45, s11, s15
	s_mul_i32 s14, s11, s15
	s_add_co_u32 s15, s50, s44
	s_add_co_ci_u32 s28, s51, s17
	s_add_co_ci_u32 s15, s45, 0
	s_delay_alu instid0(SALU_CYCLE_1) | instskip(NEXT) | instid1(SALU_CYCLE_1)
	s_add_nc_u64 s[14:15], s[28:29], s[14:15]
	s_add_co_u32 s10, s10, s14
	s_cselect_b32 s14, -1, 0
	s_mul_hi_u32 s28, s56, s10
	s_cmp_lg_u32 s14, 0
	s_mul_hi_u32 s17, s57, s10
	s_add_co_ci_u32 s14, s11, s15
	s_mul_i32 s15, s57, s10
	s_mul_hi_u32 s11, s56, s14
	s_mul_i32 s10, s56, s14
	s_mul_hi_u32 s44, s57, s14
	s_add_nc_u64 s[10:11], s[28:29], s[10:11]
	s_mul_i32 s14, s57, s14
	s_add_co_u32 s10, s10, s15
	s_add_co_ci_u32 s28, s11, s17
	s_add_co_ci_u32 s15, s44, 0
	s_delay_alu instid0(SALU_CYCLE_1) | instskip(NEXT) | instid1(SALU_CYCLE_1)
	s_add_nc_u64 s[10:11], s[28:29], s[14:15]
	s_and_b64 s[14:15], s[10:11], 0xffffffff00000000
	s_delay_alu instid0(SALU_CYCLE_1) | instskip(NEXT) | instid1(SALU_CYCLE_1)
	s_or_b32 s14, s14, s10
	s_mul_u64 s[10:11], s[34:35], s[14:15]
	s_delay_alu instid0(SALU_CYCLE_1) | instskip(SKIP_1) | instid1(SALU_CYCLE_1)
	s_sub_co_u32 s10, s56, s10
	s_cselect_b32 s14, -1, 0
	s_cmp_lg_u32 s14, 0
	s_sub_co_ci_u32 s11, s57, s11
	s_sub_co_u32 s14, s10, s34
	s_cselect_b32 s15, -1, 0
	s_delay_alu instid0(SALU_CYCLE_1) | instskip(SKIP_3) | instid1(SALU_CYCLE_1)
	s_cmp_lg_u32 s15, 0
	s_sub_co_ci_u32 s15, s11, 0
	s_sub_co_u32 s17, s14, s34
	s_cselect_b32 s28, -1, 0
	s_cmp_lg_u32 s28, 0
	s_sub_co_ci_u32 s28, s15, 0
	s_cmp_ge_u32 s14, s34
	s_cselect_b32 s44, -1, 0
	s_cmp_eq_u32 s15, 0
	s_cselect_b32 s44, s44, -1
	s_delay_alu instid0(SALU_CYCLE_1)
	s_cmp_lg_u32 s44, 0
	s_cselect_b32 s15, s28, s15
	s_cselect_b32 s14, s17, s14
	s_cmp_ge_u32 s10, s34
	s_cselect_b32 s17, -1, 0
	s_cmp_eq_u32 s11, 0
	s_cselect_b32 s17, s17, -1
	s_delay_alu instid0(SALU_CYCLE_1)
	s_cmp_lg_u32 s17, 0
	s_cselect_b32 s11, s15, s11
	s_cselect_b32 s10, s14, s10
	s_mov_b32 s14, 0
	s_branch .LBB204_446
.LBB204_445:                            ;   in Loop: Header=BB204_6 Depth=1
	s_mov_b32 s14, -1
                                        ; implicit-def: $sgpr10_sgpr11
.LBB204_446:                            ;   in Loop: Header=BB204_6 Depth=1
	s_delay_alu instid0(SALU_CYCLE_1)
	s_and_not1_b32 vcc_lo, exec_lo, s14
	s_cbranch_vccnz .LBB204_448
; %bb.447:                              ;   in Loop: Header=BB204_6 Depth=1
	v_cvt_f32_u32_e32 v6, s34
	s_sub_co_i32 s11, 0, s34
	s_delay_alu instid0(VALU_DEP_1) | instskip(SKIP_1) | instid1(TRANS32_DEP_1)
	v_rcp_iflag_f32_e32 v6, v6
	v_nop
	v_mul_f32_e32 v6, 0x4f7ffffe, v6
	s_delay_alu instid0(VALU_DEP_1) | instskip(NEXT) | instid1(VALU_DEP_1)
	v_cvt_u32_f32_e32 v6, v6
	v_readfirstlane_b32 s10, v6
	s_mul_i32 s11, s11, s10
	s_delay_alu instid0(SALU_CYCLE_1) | instskip(NEXT) | instid1(SALU_CYCLE_1)
	s_mul_hi_u32 s11, s10, s11
	s_add_co_i32 s10, s10, s11
	s_delay_alu instid0(SALU_CYCLE_1) | instskip(NEXT) | instid1(SALU_CYCLE_1)
	s_mul_hi_u32 s10, s56, s10
	s_mul_i32 s10, s10, s34
	s_delay_alu instid0(SALU_CYCLE_1) | instskip(NEXT) | instid1(SALU_CYCLE_1)
	s_sub_co_i32 s10, s56, s10
	s_sub_co_i32 s11, s10, s34
	s_cmp_ge_u32 s10, s34
	s_cselect_b32 s10, s11, s10
	s_delay_alu instid0(SALU_CYCLE_1) | instskip(SKIP_2) | instid1(SALU_CYCLE_1)
	s_sub_co_i32 s11, s10, s34
	s_cmp_ge_u32 s10, s34
	s_cselect_b32 s28, s11, s10
	s_mov_b64 s[10:11], s[28:29]
.LBB204_448:                            ;   in Loop: Header=BB204_6 Depth=1
	s_delay_alu instid0(SALU_CYCLE_1)
	s_sub_nc_u64 s[10:11], s[56:57], s[10:11]
	s_mov_b32 s14, exec_lo
                                        ; implicit-def: $vgpr46
	v_nop
	v_cmpx_gt_u64_e64 s[10:11], v[0:1]
	s_cbranch_execz .LBB204_458
; %bb.449:                              ;   in Loop: Header=BB204_6 Depth=1
	v_mov_b64_e32 v[6:7], v[14:15]
	v_mov_b64_e32 v[8:9], v[0:1]
	s_mov_b32 s15, 0
                                        ; implicit-def: $sgpr17
	s_branch .LBB204_453
.LBB204_450:                            ;   in Loop: Header=BB204_453 Depth=2
	s_or_b32 exec_lo, exec_lo, s28
	s_wait_dscnt 0x0
	s_barrier_signal -1
	s_barrier_wait -1
	ds_load_b32 v10, v3 offset:3072
	s_wait_dscnt 0x0
	s_barrier_signal -1
	s_barrier_wait -1
	v_cmp_eq_f16_e32 vcc_lo, 0, v10
	s_cbranch_vccz .LBB204_456
; %bb.451:                              ;   in Loop: Header=BB204_453 Depth=2
	v_add_nc_u64_e32 v[8:9], s[34:35], v[8:9]
	v_add_nc_u64_e32 v[6:7], s[40:41], v[6:7]
	s_mov_b32 s28, 0
	s_delay_alu instid0(VALU_DEP_2)
	v_cmp_le_u64_e32 vcc_lo, s[10:11], v[8:9]
	s_or_not1_b32 s50, vcc_lo, exec_lo
.LBB204_452:                            ;   in Loop: Header=BB204_453 Depth=2
	s_delay_alu instid0(SALU_CYCLE_1) | instskip(NEXT) | instid1(SALU_CYCLE_1)
	s_and_b32 s8, exec_lo, s50
	s_or_b32 s15, s8, s15
	s_and_not1_b32 s8, s17, exec_lo
	s_and_b32 s17, s28, exec_lo
	s_delay_alu instid0(SALU_CYCLE_1)
	s_or_b32 s17, s8, s17
	s_and_not1_b32 exec_lo, exec_lo, s15
	s_cbranch_execz .LBB204_457
.LBB204_453:                            ;   Parent Loop BB204_6 Depth=1
                                        ; =>  This Inner Loop Header: Depth=2
	s_mov_b32 s28, exec_lo
	s_delay_alu instid0(VALU_DEP_1)
	v_cmpx_gt_u64_e64 s[36:37], v[8:9]
	s_cbranch_execz .LBB204_450
; %bb.454:                              ;   in Loop: Header=BB204_453 Depth=2
	global_load_u16 v10, v[6:7], off
	s_wait_loadcnt 0x0
	v_cmp_lt_i16_e32 vcc_lo, -1, v10
	v_and_b32_e32 v11, 0xffff, v10
	v_cndmask_b32_e32 v30, 0xffff, v44, vcc_lo
	v_cmp_o_f16_e32 vcc_lo, v10, v10
	s_delay_alu instid0(VALU_DEP_2) | instskip(NEXT) | instid1(VALU_DEP_1)
	v_xor_b32_e32 v11, v30, v11
	v_cndmask_b32_e32 v11, 0xffff, v11, vcc_lo
	s_delay_alu instid0(VALU_DEP_1) | instskip(NEXT) | instid1(VALU_DEP_1)
	v_and_b32_e32 v11, v11, v45
	v_cmp_eq_u32_e32 vcc_lo, v11, v42
	s_and_b32 exec_lo, exec_lo, vcc_lo
	s_cbranch_execz .LBB204_450
; %bb.455:                              ;   in Loop: Header=BB204_453 Depth=2
	v_perm_b32 v10, v10, s95, 0x5040100
	ds_store_b32 v3, v10 offset:3072
	s_branch .LBB204_450
.LBB204_456:                            ;   in Loop: Header=BB204_453 Depth=2
	s_mov_b32 s50, -1
	s_mov_b32 s28, -1
                                        ; implicit-def: $vgpr8_vgpr9
                                        ; implicit-def: $vgpr6_vgpr7
	s_branch .LBB204_452
.LBB204_457:                            ;   in Loop: Header=BB204_6 Depth=1
	s_or_b32 exec_lo, exec_lo, s15
	v_lshrrev_b32_e32 v46, 16, v10
	s_and_not1_b32 s8, s16, exec_lo
	s_and_b32 s10, s17, exec_lo
	s_delay_alu instid0(SALU_CYCLE_1)
	s_or_b32 s16, s8, s10
.LBB204_458:                            ;   in Loop: Header=BB204_6 Depth=1
	s_or_b32 exec_lo, exec_lo, s14
	s_mov_b32 s78, 0
	s_mov_b32 s50, -1
.LBB204_459:                            ;   in Loop: Header=BB204_6 Depth=1
	s_or_not1_b32 s11, s16, exec_lo
.LBB204_460:                            ;   in Loop: Header=BB204_6 Depth=1
	s_or_b32 exec_lo, exec_lo, s77
	s_mov_b32 s14, 0
	s_and_saveexec_b32 s10, s11
	s_cbranch_execz .LBB204_471
; %bb.461:                              ;   in Loop: Header=BB204_6 Depth=1
	v_mov_b64_e32 v[6:7], 1
	v_mov_b32_e32 v2, 1
	s_xor_b32 s14, s76, -1
	s_delay_alu instid0(SALU_CYCLE_1)
	s_and_saveexec_b32 s11, s14
	s_cbranch_execz .LBB204_470
; %bb.462:                              ;   in Loop: Header=BB204_6 Depth=1
	s_mov_b32 s14, exec_lo
	v_cmpx_ge_u64_e64 s[12:13], v[4:5]
	s_xor_b32 s14, exec_lo, s14
	s_cbranch_execz .LBB204_467
; %bb.463:                              ;   in Loop: Header=BB204_6 Depth=1
	ds_load_b64 v[6:7], v3 offset:5120
	v_and_b32_e32 v42, s25, v42
	v_or_b32_e32 v45, s24, v45
	s_wait_dscnt 0x0
	v_cmp_ne_u64_e32 vcc_lo, 0, v[6:7]
	s_cbranch_vccnz .LBB204_467
; %bb.464:                              ;   in Loop: Header=BB204_6 Depth=1
	s_and_saveexec_b32 s15, s5
; %bb.465:                              ;   in Loop: Header=BB204_6 Depth=1
	v_mov_b64_e32 v[6:7], s[12:13]
	ds_store_b64 v3, v[6:7] offset:5128
; %bb.466:                              ;   in Loop: Header=BB204_6 Depth=1
	s_or_b32 exec_lo, exec_lo, s15
	s_wait_dscnt 0x0
	s_barrier_signal -1
	s_barrier_wait -1
.LBB204_467:                            ;   in Loop: Header=BB204_6 Depth=1
	s_and_not1_saveexec_b32 s14, s14
; %bb.468:                              ;   in Loop: Header=BB204_6 Depth=1
	v_sub_nc_u64_e64 v[4:5], v[4:5], s[12:13]
; %bb.469:                              ;   in Loop: Header=BB204_6 Depth=1
	s_or_b32 exec_lo, exec_lo, s14
	s_delay_alu instid0(VALU_DEP_1)
	v_mov_b64_e32 v[6:7], v[4:5]
	v_mov_b32_e32 v2, 5
.LBB204_470:                            ;   in Loop: Header=BB204_6 Depth=1
	s_or_b32 exec_lo, exec_lo, s11
	s_delay_alu instid0(VALU_DEP_2)
	v_mov_b64_e32 v[4:5], v[6:7]
	s_mov_b32 s14, exec_lo
.LBB204_471:                            ;   in Loop: Header=BB204_6 Depth=1
	s_or_b32 exec_lo, exec_lo, s10
	s_delay_alu instid0(SALU_CYCLE_1)
	s_or_not1_b32 s10, s14, exec_lo
.LBB204_472:                            ;   in Loop: Header=BB204_6 Depth=1
	s_or_b32 exec_lo, exec_lo, s19
	s_delay_alu instid0(SALU_CYCLE_1)
	s_and_not1_b32 s11, s75, exec_lo
	s_and_b32 s12, s50, exec_lo
	s_and_not1_b32 s13, s73, exec_lo
	s_and_b32 s14, s78, exec_lo
	v_mov_b64_e32 v[6:7], v[4:5]
	s_or_b32 s75, s11, s12
	s_or_b32 s73, s13, s14
	s_and_b32 s11, s10, exec_lo
.LBB204_473:                            ;   in Loop: Header=BB204_6 Depth=1
	s_or_b32 exec_lo, exec_lo, s18
	s_delay_alu instid0(SALU_CYCLE_1)
	s_or_not1_b32 s10, s11, exec_lo
.LBB204_474:                            ;   in Loop: Header=BB204_6 Depth=1
	s_or_b32 exec_lo, exec_lo, s21
	s_delay_alu instid0(SALU_CYCLE_1)
	s_and_not1_b32 s11, s72, exec_lo
	s_and_b32 s12, s75, exec_lo
	s_and_not1_b32 s13, s23, exec_lo
	s_and_b32 s14, s73, exec_lo
	v_mov_b64_e32 v[4:5], v[6:7]
	s_or_b32 s72, s11, s12
	s_or_b32 s23, s13, s14
	s_and_b32 s11, s10, exec_lo
.LBB204_475:                            ;   in Loop: Header=BB204_6 Depth=1
	s_or_b32 exec_lo, exec_lo, s20
	s_delay_alu instid0(SALU_CYCLE_1)
	s_or_not1_b32 s10, s11, exec_lo
.LBB204_476:                            ;   in Loop: Header=BB204_6 Depth=1
	s_or_b32 exec_lo, exec_lo, s9
	s_mov_b32 s9, s49
	s_mov_b32 s11, s27
	s_and_saveexec_b32 s12, s10
; %bb.477:                              ;   in Loop: Header=BB204_6 Depth=1
	v_cmp_ne_u32_e32 vcc_lo, 5, v2
	v_cmp_eq_u32_e64 s9, 5, v2
	s_and_not1_b32 s10, s27, exec_lo
	s_and_not1_b32 s13, s49, exec_lo
	s_and_b32 s11, vcc_lo, exec_lo
	s_and_b32 s9, s9, exec_lo
	s_or_b32 s11, s10, s11
	s_or_b32 s9, s13, s9
; %bb.478:                              ;   in Loop: Header=BB204_6 Depth=1
	s_or_b32 exec_lo, exec_lo, s12
	s_delay_alu instid0(SALU_CYCLE_1)
	s_and_not1_b32 s8, s74, exec_lo
	s_and_b32 s10, s72, exec_lo
	s_and_not1_b32 s12, s26, exec_lo
	s_and_b32 s13, s23, exec_lo
	s_or_b32 s74, s8, s10
	s_and_not1_b32 s8, s27, exec_lo
	s_and_b32 s10, s11, exec_lo
	s_and_not1_b32 s11, s49, exec_lo
	s_and_b32 s9, s9, exec_lo
	s_or_b32 s26, s12, s13
	s_or_b32 s27, s8, s10
	;; [unrolled: 1-line block ×3, first 2 shown]
.LBB204_479:                            ;   in Loop: Header=BB204_6 Depth=1
	s_or_b32 exec_lo, exec_lo, s22
	s_mov_b32 s72, 0
	s_mov_b32 s73, 0
	s_and_saveexec_b32 s9, s49
.LBB204_480:                            ;   in Loop: Header=BB204_6 Depth=1
	v_mov_b32_e32 v2, 0
	s_or_b32 s27, s27, exec_lo
.LBB204_481:                            ;   in Loop: Header=BB204_6 Depth=1
	s_or_b32 exec_lo, exec_lo, s9
	v_mov_b64_e32 v[30:31], v[4:5]
	s_and_not1_b32 s8, s46, exec_lo
	s_and_b32 s9, s74, exec_lo
	s_and_not1_b32 s11, s104, exec_lo
	s_and_b32 s12, s26, exec_lo
	s_or_b32 s46, s8, s9
	s_or_b32 s104, s11, s12
	s_and_not1_b32 s8, s48, exec_lo
	s_and_b32 s9, s73, exec_lo
	s_and_not1_b32 s11, s47, exec_lo
	s_and_b32 s12, s72, exec_lo
	s_mov_b32 s10, -1
	s_and_not1_b32 vcc_hi, vcc_hi, exec_lo
	s_or_b32 s48, s8, s9
	s_or_b32 s47, s11, s12
	s_and_saveexec_b32 s8, s27
	s_delay_alu instid0(SALU_CYCLE_1)
	s_xor_b32 s9, exec_lo, s8
	s_cbranch_execz .LBB204_5
; %bb.482:                              ;   in Loop: Header=BB204_6 Depth=1
	s_mov_b32 s11, -1
	s_mov_b32 s12, exec_lo
	v_cmpx_eq_u32_e32 0, v2
	s_cbranch_execz .LBB204_4
; %bb.483:                              ;   in Loop: Header=BB204_6 Depth=1
	s_xor_b32 s99, s99, 1
	s_add_co_i32 s13, s96, -2
	s_cmp_eq_u32 s96, 0
	s_mov_b32 s96, s13
	s_cselect_b32 s10, -1, 0
	s_xor_b32 s11, exec_lo, -1
	s_or_not1_b32 s10, s10, exec_lo
	s_branch .LBB204_4
.LBB204_484:
	s_or_b32 exec_lo, exec_lo, s97
	s_xor_b32 s7, s103, -1
	s_xor_b32 s9, s101, -1
	;; [unrolled: 1-line block ×5, first 2 shown]
	s_mov_b32 s8, 0
	s_and_saveexec_b32 s12, s11
	s_delay_alu instid0(SALU_CYCLE_1)
	s_xor_b32 s16, exec_lo, s12
	s_cbranch_execnz .LBB204_489
; %bb.485:
	s_and_not1_saveexec_b32 s0, s16
	s_cbranch_execnz .LBB204_508
.LBB204_486:
	s_or_b32 exec_lo, exec_lo, s0
	s_and_saveexec_b32 s0, s8
.LBB204_487:
	; divergent unreachable
.LBB204_488:
	s_endpgm
.LBB204_489:
	s_and_saveexec_b32 s11, s10
	s_delay_alu instid0(SALU_CYCLE_1)
	s_xor_b32 s17, exec_lo, s11
	s_cbranch_execz .LBB204_506
; %bb.490:
	s_and_saveexec_b32 s10, s9
	s_delay_alu instid0(SALU_CYCLE_1)
	s_xor_b32 s18, exec_lo, s10
	s_cbranch_execz .LBB204_504
; %bb.491:
	;; [unrolled: 5-line block ×3, first 2 shown]
	s_and_saveexec_b32 s7, s6
	s_delay_alu instid0(SALU_CYCLE_1)
	s_xor_b32 s6, exec_lo, s7
; %bb.493:
	v_and_b32_e32 v2, 0x8000, v42
	v_mov_b32_e32 v3, 0xffff
	s_delay_alu instid0(VALU_DEP_2) | instskip(NEXT) | instid1(VALU_DEP_2)
	v_cmp_eq_u32_e32 vcc_lo, 0, v2
	v_cndmask_b32_e32 v2, 0x8000, v3, vcc_lo
	s_delay_alu instid0(VALU_DEP_1)
	v_xor_b32_e32 v46, v2, v42
; %bb.494:
	s_or_b32 exec_lo, exec_lo, s6
	s_and_saveexec_b32 s6, s5
; %bb.495:
	v_mov_b64_e32 v[2:3], 0
	v_mov_b32_e32 v4, 0
	ds_store_b64 v4, v[2:3] offset:5136
; %bb.496:
	s_or_b32 exec_lo, exec_lo, s6
	v_mov_b32_e32 v19, 0
	s_wait_dscnt 0x0
	s_barrier_signal -1
	s_barrier_wait -1
	s_and_saveexec_b32 s5, s3
	s_cbranch_execz .LBB204_498
; %bb.497:
	global_load_u16 v19, v[14:15], off
.LBB204_498:
	s_wait_xcnt 0x0
	s_or_b32 exec_lo, exec_lo, s5
	v_mov_b32_e32 v18, 0x8000
	v_cmp_lt_i16_e32 vcc_lo, -1, v46
	v_readlane_b32 s20, v56, 2
	v_readlane_b32 s14, v56, 6
	;; [unrolled: 1-line block ×6, first 2 shown]
	s_clause 0x1
	s_load_b64 s[6:7], s[0:1], 0x368
	s_load_b64 s[8:9], s[0:1], 0x510
	v_and_b32_e32 v2, 0xffff, v46
	v_cndmask_b32_e32 v3, 0xffff, v18, vcc_lo
	s_add_nc_u64 s[10:11], s[36:37], 31
	s_mov_b64 s[12:13], 0xffffffffffffffe0
	s_mul_u64 s[14:15], s[14:15], s[20:21]
	s_mul_u64 s[20:21], s[22:23], s[20:21]
	s_and_b64 s[10:11], s[10:11], s[12:13]
	s_lshl_b64 s[12:13], s[14:15], 1
	s_lshl_b64 s[14:15], s[20:21], 3
	v_readlane_b32 s20, v56, 8
	v_readlane_b32 s21, v56, 9
	v_xor_b32_e32 v2, v3, v2
	v_cmp_o_f16_e32 vcc_lo, v46, v46
	s_wait_xcnt 0x0
	s_mov_b32 s0, -1
	s_mov_b32 s5, 0
	s_add_nc_u64 s[12:13], s[20:21], s[12:13]
	v_readlane_b32 s20, v56, 4
	v_cndmask_b32_e32 v13, 0xffff, v2, vcc_lo
	v_cmp_gt_u64_e32 vcc_lo, s[10:11], v[0:1]
	v_readlane_b32 s21, v56, 5
	s_mov_b32 s1, 0
	s_add_nc_u64 s[14:15], s[20:21], s[14:15]
	s_and_saveexec_b32 s20, vcc_lo
	s_cbranch_execnz .LBB204_509
; %bb.499:
	s_or_b32 exec_lo, exec_lo, s20
	s_and_saveexec_b32 s4, s0
	s_cbranch_execnz .LBB204_526
.LBB204_500:
	s_or_b32 exec_lo, exec_lo, s4
	s_and_saveexec_b32 s0, s1
	s_delay_alu instid0(SALU_CYCLE_1)
	s_xor_b32 s0, exec_lo, s0
	s_cbranch_execnz .LBB204_549
.LBB204_501:
	s_or_b32 exec_lo, exec_lo, s0
	s_wait_kmcnt 0x0
	s_and_b32 s8, s5, exec_lo
.LBB204_502:
	s_and_not1_saveexec_b32 s0, s19
	s_cbranch_execnz .LBB204_551
.LBB204_503:
	s_or_b32 exec_lo, exec_lo, s0
	s_delay_alu instid0(SALU_CYCLE_1)
	s_and_b32 s8, s8, exec_lo
.LBB204_504:
	s_and_not1_saveexec_b32 s0, s18
	s_cbranch_execnz .LBB204_550
.LBB204_505:
	s_or_b32 exec_lo, exec_lo, s0
	s_delay_alu instid0(SALU_CYCLE_1)
	s_and_b32 s8, s8, exec_lo
.LBB204_506:
	s_and_not1_saveexec_b32 s0, s17
	s_cbranch_execnz .LBB204_545
.LBB204_507:
	s_or_b32 exec_lo, exec_lo, s0
	s_delay_alu instid0(SALU_CYCLE_1)
	s_and_b32 s8, s8, exec_lo
	s_and_not1_saveexec_b32 s0, s16
	s_cbranch_execz .LBB204_486
.LBB204_508:
	s_or_b32 s8, s8, exec_lo
	s_trap 2
	s_or_b32 exec_lo, exec_lo, s0
	s_and_saveexec_b32 s0, s8
	s_cbranch_execnz .LBB204_487
	s_branch .LBB204_488
.LBB204_509:
	v_add_nc_u64_e32 v[2:3], s[34:35], v[0:1]
	v_mov_b64_e32 v[10:11], v[0:1]
	s_mov_b32 s21, 0
                                        ; implicit-def: $sgpr22
                                        ; implicit-def: $vgpr8_vgpr9
	s_delay_alu instid0(VALU_DEP_2) | instskip(SKIP_1) | instid1(VALU_DEP_2)
	v_mul_u64_e32 v[4:5], s[30:31], v[2:3]
	v_mov_b32_e32 v3, 0
	v_lshl_add_u64 v[4:5], v[4:5], 1, s[42:43]
	s_branch .LBB204_511
.LBB204_510:                            ;   in Loop: Header=BB204_511 Depth=1
	s_or_b32 exec_lo, exec_lo, s24
	s_xor_b32 s0, s23, -1
	s_and_b32 s1, exec_lo, s1
	v_mov_b64_e32 v[10:11], v[6:7]
	s_or_b32 s21, s1, s21
	s_wait_loadcnt 0x0
	v_mov_b32_e32 v19, v20
	s_and_not1_b32 s1, s22, exec_lo
	s_and_b32 s0, s0, exec_lo
	s_delay_alu instid0(SALU_CYCLE_1)
	s_or_b32 s22, s1, s0
	s_and_not1_b32 exec_lo, exec_lo, s21
	s_cbranch_execz .LBB204_525
.LBB204_511:                            ; =>This Inner Loop Header: Depth=1
	s_delay_alu instid0(VALU_DEP_4) | instskip(SKIP_2) | instid1(VALU_DEP_2)
	v_add_nc_u64_e32 v[6:7], s[34:35], v[10:11]
	v_mov_b32_e32 v20, 0
	s_mov_b32 s1, exec_lo
	v_cmpx_gt_u64_e64 s[36:37], v[6:7]
	s_cbranch_execz .LBB204_513
; %bb.512:                              ;   in Loop: Header=BB204_511 Depth=1
	global_load_u16 v20, v[4:5], off
.LBB204_513:                            ;   in Loop: Header=BB204_511 Depth=1
	s_wait_xcnt 0x0
	s_or_b32 exec_lo, exec_lo, s1
	s_mov_b32 s23, 0
	s_mov_b32 s1, exec_lo
	v_cmpx_gt_u64_e64 s[36:37], v[10:11]
	s_cbranch_execz .LBB204_515
; %bb.514:                              ;   in Loop: Header=BB204_511 Depth=1
	s_wait_loadcnt 0x0
	v_cmp_lt_i16_e64 s0, -1, v19
	v_and_b32_e32 v2, 0xffff, v19
	s_delay_alu instid0(VALU_DEP_2) | instskip(SKIP_1) | instid1(VALU_DEP_2)
	v_cndmask_b32_e64 v16, 0xffff, v18, s0
	v_cmp_o_f16_e64 s0, v19, v19
	v_xor_b32_e32 v2, v16, v2
	s_delay_alu instid0(VALU_DEP_1) | instskip(NEXT) | instid1(VALU_DEP_1)
	v_cndmask_b32_e64 v2, 0xffff, v2, s0
	v_cmp_gt_u32_e64 s0, v2, v13
	s_delay_alu instid0(VALU_DEP_1) | instskip(SKIP_1) | instid1(VALU_DEP_1)
	v_cndmask_b32_e64 v16, 0, 1, s0
	v_cmp_lt_u32_e64 s0, v2, v13
	v_cndmask_b32_e64 v2, 0, 1, s0
	s_delay_alu instid0(VALU_DEP_1) | instskip(NEXT) | instid1(VALU_DEP_1)
	v_cndmask_b32_e64 v2, v2, v16, s4
	v_and_b32_e32 v2, 1, v2
	s_delay_alu instid0(VALU_DEP_1)
	v_cmp_eq_u32_e64 s0, 1, v2
	s_and_b32 s23, s0, exec_lo
.LBB204_515:                            ;   in Loop: Header=BB204_511 Depth=1
	s_or_b32 exec_lo, exec_lo, s1
	v_cndmask_b32_e64 v2, 0, 1, s23
	s_delay_alu instid0(VALU_DEP_1) | instskip(SKIP_2) | instid1(SALU_CYCLE_1)
	v_cmp_ne_u32_e64 s0, 0, v2
	s_cmp_lg_u32 s0, 0
	s_cselect_b32 s1, -1, 0
	s_and_b32 s1, s2, s1
	s_delay_alu instid0(SALU_CYCLE_1)
	s_and_saveexec_b32 s24, s1
	s_cbranch_execz .LBB204_519
; %bb.516:                              ;   in Loop: Header=BB204_511 Depth=1
	s_mov_b32 s27, exec_lo
	s_bcnt1_i32_b32 s25, s0
	v_mbcnt_lo_u32_b32 v16, s27, 0
	s_mov_b32 s26, exec_lo
                                        ; implicit-def: $vgpr8_vgpr9
	s_delay_alu instid0(VALU_DEP_1)
	v_cmpx_eq_u32_e32 0, v16
	s_cbranch_execz .LBB204_518
; %bb.517:                              ;   in Loop: Header=BB204_511 Depth=1
	s_bcnt1_i32_b32 s1, s27
	s_delay_alu instid0(SALU_CYCLE_1) | instskip(NEXT) | instid1(SALU_CYCLE_1)
	s_mul_i32 s1, s25, s1
	v_mov_b32_e32 v2, s1
	s_wait_dscnt 0x0
	ds_add_rtn_u64 v[8:9], v3, v[2:3] offset:5136
.LBB204_518:                            ;   in Loop: Header=BB204_511 Depth=1
	s_or_b32 exec_lo, exec_lo, s26
	s_wait_dscnt 0x0
	v_readfirstlane_b32 s27, v9
	v_readfirstlane_b32 s26, v8
	s_delay_alu instid0(VALU_DEP_1)
	v_mad_nc_u64_u32 v[8:9], s25, v16, s[26:27]
.LBB204_519:                            ;   in Loop: Header=BB204_511 Depth=1
	s_or_b32 exec_lo, exec_lo, s24
	s_wait_dscnt 0x1
	ds_bpermute_b32 v8, v3, v8
	s_wait_dscnt 0x1
	ds_bpermute_b32 v9, v3, v9
	s_mov_b32 s1, -1
	s_mov_b32 s25, -1
	s_and_saveexec_b32 s24, s23
	s_cbranch_execz .LBB204_523
; %bb.520:                              ;   in Loop: Header=BB204_511 Depth=1
	v_and_b32_e32 v2, s0, v12
	s_mov_b32 s23, 0
	s_mov_b32 s25, exec_lo
	s_delay_alu instid0(VALU_DEP_1) | instskip(SKIP_1) | instid1(VALU_DEP_1)
	v_bcnt_u32_b32 v2, v2, 0
	s_wait_dscnt 0x0
	v_add_nc_u64_e32 v[16:17], v[8:9], v[2:3]
	s_delay_alu instid0(VALU_DEP_1)
	v_cmpx_gt_u64_e64 s[38:39], v[16:17]
	s_cbranch_execz .LBB204_522
; %bb.521:                              ;   in Loop: Header=BB204_511 Depth=1
	s_wait_kmcnt 0x0
	v_mul_u64_e32 v[22:23], s[6:7], v[16:17]
	v_mul_u64_e32 v[16:17], s[8:9], v[16:17]
	s_mov_b32 s23, exec_lo
	s_delay_alu instid0(VALU_DEP_2) | instskip(NEXT) | instid1(VALU_DEP_2)
	v_lshl_add_u64 v[22:23], v[22:23], 1, s[12:13]
	v_lshl_add_u64 v[16:17], v[16:17], 3, s[14:15]
	s_wait_loadcnt 0x0
	global_store_b16 v[22:23], v19, off
	global_store_b64 v[16:17], v[10:11], off
.LBB204_522:                            ;   in Loop: Header=BB204_511 Depth=1
	s_wait_xcnt 0x0
	s_or_b32 exec_lo, exec_lo, s25
	s_delay_alu instid0(SALU_CYCLE_1)
	s_or_not1_b32 s25, s23, exec_lo
.LBB204_523:                            ;   in Loop: Header=BB204_511 Depth=1
	s_or_b32 exec_lo, exec_lo, s24
	s_mov_b32 s23, -1
	s_and_saveexec_b32 s24, s25
	s_cbranch_execz .LBB204_510
; %bb.524:                              ;   in Loop: Header=BB204_511 Depth=1
	v_cmp_le_u64_e64 s0, s[10:11], v[6:7]
	v_add_nc_u64_e32 v[4:5], s[40:41], v[4:5]
	s_xor_b32 s23, exec_lo, -1
	s_or_not1_b32 s1, s0, exec_lo
	s_branch .LBB204_510
.LBB204_525:
	s_or_b32 exec_lo, exec_lo, s21
	s_delay_alu instid0(SALU_CYCLE_1)
	s_mov_b32 s1, exec_lo
	s_or_not1_b32 s0, s22, exec_lo
	s_or_b32 exec_lo, exec_lo, s20
	s_and_saveexec_b32 s4, s0
	s_cbranch_execz .LBB204_500
.LBB204_526:
	v_mov_b32_e32 v16, 0
	s_wait_storecnt 0x0
	s_wait_loadcnt_dscnt 0x0
	s_barrier_signal -1
	s_barrier_wait -1
	s_and_saveexec_b32 s0, s3
	s_cbranch_execz .LBB204_528
; %bb.527:
	global_load_u16 v16, v[14:15], off
.LBB204_528:
	s_wait_xcnt 0x0
	s_or_b32 exec_lo, exec_lo, s0
	s_mov_b32 s0, 0
	s_and_saveexec_b32 s3, vcc_lo
	s_cbranch_execz .LBB204_548
; %bb.529:
	v_add_nc_u64_e32 v[2:3], s[34:35], v[0:1]
	v_dual_mov_b32 v14, 0x8000 :: v_dual_mov_b32 v5, 0
	s_mov_b32 s5, 0
                                        ; implicit-def: $sgpr20
                                        ; implicit-def: $vgpr8_vgpr9
	s_delay_alu instid0(VALU_DEP_2) | instskip(NEXT) | instid1(VALU_DEP_1)
	v_mul_u64_e32 v[2:3], s[30:31], v[2:3]
	v_lshl_add_u64 v[2:3], v[2:3], 1, s[42:43]
	s_branch .LBB204_532
.LBB204_530:                            ;   in Loop: Header=BB204_532 Depth=1
	s_or_b32 exec_lo, exec_lo, s23
	s_delay_alu instid0(SALU_CYCLE_1)
	s_or_not1_b32 s23, s21, exec_lo
	s_or_not1_b32 s22, s22, exec_lo
.LBB204_531:                            ;   in Loop: Header=BB204_532 Depth=1
	s_or_b32 exec_lo, exec_lo, s0
	s_xor_b32 s0, s23, -1
	s_and_b32 s21, exec_lo, s22
	v_mov_b64_e32 v[0:1], v[6:7]
	s_or_b32 s5, s21, s5
	v_mov_b32_e32 v16, v15
	s_and_not1_b32 s20, s20, exec_lo
	s_and_b32 s0, s0, exec_lo
	s_delay_alu instid0(SALU_CYCLE_1)
	s_or_b32 s20, s20, s0
	s_and_not1_b32 exec_lo, exec_lo, s5
	s_cbranch_execz .LBB204_546
.LBB204_532:                            ; =>This Inner Loop Header: Depth=1
	v_add_nc_u64_e32 v[6:7], s[34:35], v[0:1]
	v_mov_b32_e32 v15, 0
	s_mov_b32 s0, exec_lo
	s_delay_alu instid0(VALU_DEP_2)
	v_cmpx_gt_u64_e64 s[36:37], v[6:7]
	s_cbranch_execz .LBB204_534
; %bb.533:                              ;   in Loop: Header=BB204_532 Depth=1
	global_load_u16 v15, v[2:3], off
.LBB204_534:                            ;   in Loop: Header=BB204_532 Depth=1
	s_wait_xcnt 0x0
	s_or_b32 exec_lo, exec_lo, s0
	s_wait_loadcnt 0x0
	v_cmp_lt_i16_e32 vcc_lo, -1, v16
	v_and_b32_e32 v4, 0xffff, v16
	v_cndmask_b32_e32 v10, 0xffff, v14, vcc_lo
	v_cmp_o_f16_e32 vcc_lo, v16, v16
	s_delay_alu instid0(VALU_DEP_2) | instskip(NEXT) | instid1(VALU_DEP_1)
	v_xor_b32_e32 v4, v10, v4
	v_cndmask_b32_e32 v4, 0xffff, v4, vcc_lo
	v_cmp_gt_u64_e32 vcc_lo, s[36:37], v[0:1]
	s_delay_alu instid0(VALU_DEP_2) | instskip(SKIP_1) | instid1(SALU_CYCLE_1)
	v_cmp_eq_u32_e64 s0, v4, v13
	s_and_b32 s21, vcc_lo, s0
	v_cndmask_b32_e64 v4, 0, 1, s21
	s_delay_alu instid0(VALU_DEP_1) | instskip(SKIP_2) | instid1(SALU_CYCLE_1)
	v_cmp_ne_u32_e32 vcc_lo, 0, v4
	s_cmp_lg_u32 vcc_lo, 0
	s_cselect_b32 s0, -1, 0
	s_and_b32 s0, s2, s0
	s_delay_alu instid0(SALU_CYCLE_1)
	s_and_saveexec_b32 s22, s0
	s_cbranch_execz .LBB204_538
; %bb.535:                              ;   in Loop: Header=BB204_532 Depth=1
	s_mov_b32 s25, exec_lo
	s_bcnt1_i32_b32 s23, vcc_lo
	v_mbcnt_lo_u32_b32 v10, s25, 0
	s_mov_b32 s24, exec_lo
                                        ; implicit-def: $vgpr8_vgpr9
	s_delay_alu instid0(VALU_DEP_1)
	v_cmpx_eq_u32_e32 0, v10
; %bb.536:                              ;   in Loop: Header=BB204_532 Depth=1
	s_bcnt1_i32_b32 s0, s25
	s_delay_alu instid0(SALU_CYCLE_1) | instskip(NEXT) | instid1(SALU_CYCLE_1)
	s_mul_i32 s0, s23, s0
	v_mov_b32_e32 v4, s0
	ds_add_rtn_u64 v[8:9], v5, v[4:5] offset:5136
; %bb.537:                              ;   in Loop: Header=BB204_532 Depth=1
	s_or_b32 exec_lo, exec_lo, s24
	s_wait_dscnt 0x0
	v_readfirstlane_b32 s25, v9
	v_readfirstlane_b32 s24, v8
	s_delay_alu instid0(VALU_DEP_1)
	v_mad_nc_u64_u32 v[8:9], s23, v10, s[24:25]
.LBB204_538:                            ;   in Loop: Header=BB204_532 Depth=1
	s_or_b32 exec_lo, exec_lo, s22
	ds_bpermute_b32 v8, v5, v8
	ds_bpermute_b32 v9, v5, v9
	s_cmp_eq_u32 vcc_lo, 0
	s_mov_b32 s22, -1
	s_cselect_b32 s23, -1, 0
	s_wait_dscnt 0x0
	v_cmp_gt_u64_e64 s0, s[38:39], v[8:9]
	s_or_b32 s24, s23, s0
	s_mov_b32 s23, -1
	s_and_saveexec_b32 s0, s24
	s_cbranch_execz .LBB204_531
; %bb.539:                              ;   in Loop: Header=BB204_532 Depth=1
	v_and_b32_e32 v4, vcc_lo, v12
	v_sub_nc_u64_e32 v[10:11], s[38:39], v[8:9]
	s_mov_b32 s24, -1
	s_delay_alu instid0(VALU_DEP_2) | instskip(NEXT) | instid1(VALU_DEP_1)
	v_bcnt_u32_b32 v4, v4, 0
	v_bcnt_u32_b32 v4, 0, v4
	s_delay_alu instid0(VALU_DEP_1)
	v_cmp_gt_u64_e32 vcc_lo, v[10:11], v[4:5]
	s_and_b32 s25, s21, vcc_lo
	s_mov_b32 s21, -1
	s_and_saveexec_b32 s23, s25
	s_cbranch_execz .LBB204_543
; %bb.540:                              ;   in Loop: Header=BB204_532 Depth=1
	v_add_nc_u64_e32 v[10:11], v[8:9], v[4:5]
	s_mov_b32 s24, 0
	s_mov_b32 s21, exec_lo
	s_delay_alu instid0(VALU_DEP_1)
	v_cmpx_gt_u64_e64 s[38:39], v[10:11]
	s_cbranch_execz .LBB204_542
; %bb.541:                              ;   in Loop: Header=BB204_532 Depth=1
	s_wait_kmcnt 0x0
	v_mul_u64_e32 v[18:19], s[6:7], v[10:11]
	v_mul_u64_e32 v[10:11], s[8:9], v[10:11]
	s_mov_b32 s24, exec_lo
	s_delay_alu instid0(VALU_DEP_2) | instskip(NEXT) | instid1(VALU_DEP_2)
	v_lshl_add_u64 v[18:19], v[18:19], 1, s[12:13]
	v_lshl_add_u64 v[10:11], v[10:11], 3, s[14:15]
	global_store_b16 v[18:19], v16, off
	global_store_b64 v[10:11], v[0:1], off
.LBB204_542:                            ;   in Loop: Header=BB204_532 Depth=1
	s_wait_xcnt 0x0
	s_or_b32 exec_lo, exec_lo, s21
	s_delay_alu instid0(SALU_CYCLE_1)
	s_xor_b32 s21, exec_lo, -1
	s_or_not1_b32 s24, s24, exec_lo
.LBB204_543:                            ;   in Loop: Header=BB204_532 Depth=1
	s_or_b32 exec_lo, exec_lo, s23
	s_and_saveexec_b32 s23, s24
	s_cbranch_execz .LBB204_530
; %bb.544:                              ;   in Loop: Header=BB204_532 Depth=1
	v_cmp_le_u64_e32 vcc_lo, s[10:11], v[6:7]
	v_add_nc_u64_e32 v[2:3], s[40:41], v[2:3]
	s_or_b32 s21, s21, exec_lo
	s_or_not1_b32 s22, vcc_lo, exec_lo
	s_branch .LBB204_530
.LBB204_545:
	s_or_b32 s8, s8, exec_lo
	s_trap 2
	s_branch .LBB204_507
.LBB204_546:
	s_or_b32 exec_lo, exec_lo, s5
	s_mov_b32 s0, 0
	s_and_saveexec_b32 s2, s20
	s_delay_alu instid0(SALU_CYCLE_1)
	s_xor_b32 s2, exec_lo, s2
	s_cbranch_execnz .LBB204_552
.LBB204_547:
	s_or_b32 exec_lo, exec_lo, s2
	s_delay_alu instid0(SALU_CYCLE_1)
	s_and_b32 s0, s0, exec_lo
.LBB204_548:
	s_or_b32 exec_lo, exec_lo, s3
	s_delay_alu instid0(SALU_CYCLE_1) | instskip(SKIP_3) | instid1(SALU_CYCLE_1)
	s_and_b32 s5, s0, exec_lo
	s_and_not1_b32 s1, s1, exec_lo
	s_or_b32 exec_lo, exec_lo, s4
	s_and_saveexec_b32 s0, s1
	s_xor_b32 s0, exec_lo, s0
	s_cbranch_execz .LBB204_501
.LBB204_549:
	s_or_b32 s5, s5, exec_lo
	s_trap 2
	s_branch .LBB204_501
.LBB204_550:
	s_or_b32 s8, s8, exec_lo
	s_trap 2
	s_branch .LBB204_505
.LBB204_551:
	s_or_b32 s8, s8, exec_lo
	s_trap 2
	s_branch .LBB204_503
.LBB204_552:
	s_mov_b32 s0, exec_lo
	s_trap 2
	s_branch .LBB204_547
	.section	.rodata,"a",@progbits
	.p2align	6, 0x0
	.amdhsa_kernel _ZN2at6native6sbtopk10gatherTopKIN3c104HalfEmLi1ELb0EEEvNS_4cuda6detail10TensorInfoIKT_T0_EESA_SA_bSA_SA_NS7_IS8_SA_EESA_NS7_IlSA_EESA_PS8_
		.amdhsa_group_segment_fixed_size 5152
		.amdhsa_private_segment_fixed_size 0
		.amdhsa_kernarg_size 1568
		.amdhsa_user_sgpr_count 2
		.amdhsa_user_sgpr_dispatch_ptr 0
		.amdhsa_user_sgpr_queue_ptr 0
		.amdhsa_user_sgpr_kernarg_segment_ptr 1
		.amdhsa_user_sgpr_dispatch_id 0
		.amdhsa_user_sgpr_kernarg_preload_length 0
		.amdhsa_user_sgpr_kernarg_preload_offset 0
		.amdhsa_user_sgpr_private_segment_size 0
		.amdhsa_wavefront_size32 1
		.amdhsa_uses_dynamic_stack 0
		.amdhsa_enable_private_segment 0
		.amdhsa_system_sgpr_workgroup_id_x 1
		.amdhsa_system_sgpr_workgroup_id_y 1
		.amdhsa_system_sgpr_workgroup_id_z 1
		.amdhsa_system_sgpr_workgroup_info 0
		.amdhsa_system_vgpr_workitem_id 0
		.amdhsa_next_free_vgpr 57
		.amdhsa_next_free_sgpr 105
		.amdhsa_named_barrier_count 0
		.amdhsa_reserve_vcc 1
		.amdhsa_float_round_mode_32 0
		.amdhsa_float_round_mode_16_64 0
		.amdhsa_float_denorm_mode_32 3
		.amdhsa_float_denorm_mode_16_64 3
		.amdhsa_fp16_overflow 0
		.amdhsa_memory_ordered 1
		.amdhsa_forward_progress 1
		.amdhsa_inst_pref_size 201
		.amdhsa_round_robin_scheduling 0
		.amdhsa_exception_fp_ieee_invalid_op 0
		.amdhsa_exception_fp_denorm_src 0
		.amdhsa_exception_fp_ieee_div_zero 0
		.amdhsa_exception_fp_ieee_overflow 0
		.amdhsa_exception_fp_ieee_underflow 0
		.amdhsa_exception_fp_ieee_inexact 0
		.amdhsa_exception_int_div_zero 0
	.end_amdhsa_kernel
	.section	.text._ZN2at6native6sbtopk10gatherTopKIN3c104HalfEmLi1ELb0EEEvNS_4cuda6detail10TensorInfoIKT_T0_EESA_SA_bSA_SA_NS7_IS8_SA_EESA_NS7_IlSA_EESA_PS8_,"axG",@progbits,_ZN2at6native6sbtopk10gatherTopKIN3c104HalfEmLi1ELb0EEEvNS_4cuda6detail10TensorInfoIKT_T0_EESA_SA_bSA_SA_NS7_IS8_SA_EESA_NS7_IlSA_EESA_PS8_,comdat
.Lfunc_end204:
	.size	_ZN2at6native6sbtopk10gatherTopKIN3c104HalfEmLi1ELb0EEEvNS_4cuda6detail10TensorInfoIKT_T0_EESA_SA_bSA_SA_NS7_IS8_SA_EESA_NS7_IlSA_EESA_PS8_, .Lfunc_end204-_ZN2at6native6sbtopk10gatherTopKIN3c104HalfEmLi1ELb0EEEvNS_4cuda6detail10TensorInfoIKT_T0_EESA_SA_bSA_SA_NS7_IS8_SA_EESA_NS7_IlSA_EESA_PS8_
                                        ; -- End function
	.set _ZN2at6native6sbtopk10gatherTopKIN3c104HalfEmLi1ELb0EEEvNS_4cuda6detail10TensorInfoIKT_T0_EESA_SA_bSA_SA_NS7_IS8_SA_EESA_NS7_IlSA_EESA_PS8_.num_vgpr, 57
	.set _ZN2at6native6sbtopk10gatherTopKIN3c104HalfEmLi1ELb0EEEvNS_4cuda6detail10TensorInfoIKT_T0_EESA_SA_bSA_SA_NS7_IS8_SA_EESA_NS7_IlSA_EESA_PS8_.num_agpr, 0
	.set _ZN2at6native6sbtopk10gatherTopKIN3c104HalfEmLi1ELb0EEEvNS_4cuda6detail10TensorInfoIKT_T0_EESA_SA_bSA_SA_NS7_IS8_SA_EESA_NS7_IlSA_EESA_PS8_.numbered_sgpr, 105
	.set _ZN2at6native6sbtopk10gatherTopKIN3c104HalfEmLi1ELb0EEEvNS_4cuda6detail10TensorInfoIKT_T0_EESA_SA_bSA_SA_NS7_IS8_SA_EESA_NS7_IlSA_EESA_PS8_.num_named_barrier, 0
	.set _ZN2at6native6sbtopk10gatherTopKIN3c104HalfEmLi1ELb0EEEvNS_4cuda6detail10TensorInfoIKT_T0_EESA_SA_bSA_SA_NS7_IS8_SA_EESA_NS7_IlSA_EESA_PS8_.private_seg_size, 0
	.set _ZN2at6native6sbtopk10gatherTopKIN3c104HalfEmLi1ELb0EEEvNS_4cuda6detail10TensorInfoIKT_T0_EESA_SA_bSA_SA_NS7_IS8_SA_EESA_NS7_IlSA_EESA_PS8_.uses_vcc, 1
	.set _ZN2at6native6sbtopk10gatherTopKIN3c104HalfEmLi1ELb0EEEvNS_4cuda6detail10TensorInfoIKT_T0_EESA_SA_bSA_SA_NS7_IS8_SA_EESA_NS7_IlSA_EESA_PS8_.uses_flat_scratch, 0
	.set _ZN2at6native6sbtopk10gatherTopKIN3c104HalfEmLi1ELb0EEEvNS_4cuda6detail10TensorInfoIKT_T0_EESA_SA_bSA_SA_NS7_IS8_SA_EESA_NS7_IlSA_EESA_PS8_.has_dyn_sized_stack, 0
	.set _ZN2at6native6sbtopk10gatherTopKIN3c104HalfEmLi1ELb0EEEvNS_4cuda6detail10TensorInfoIKT_T0_EESA_SA_bSA_SA_NS7_IS8_SA_EESA_NS7_IlSA_EESA_PS8_.has_recursion, 0
	.set _ZN2at6native6sbtopk10gatherTopKIN3c104HalfEmLi1ELb0EEEvNS_4cuda6detail10TensorInfoIKT_T0_EESA_SA_bSA_SA_NS7_IS8_SA_EESA_NS7_IlSA_EESA_PS8_.has_indirect_call, 0
	.section	.AMDGPU.csdata,"",@progbits
; Kernel info:
; codeLenInByte = 25716
; TotalNumSgprs: 107
; NumVgprs: 57
; ScratchSize: 0
; MemoryBound: 0
; FloatMode: 240
; IeeeMode: 1
; LDSByteSize: 5152 bytes/workgroup (compile time only)
; SGPRBlocks: 0
; VGPRBlocks: 3
; NumSGPRsForWavesPerEU: 107
; NumVGPRsForWavesPerEU: 57
; NamedBarCnt: 0
; Occupancy: 16
; WaveLimiterHint : 1
; COMPUTE_PGM_RSRC2:SCRATCH_EN: 0
; COMPUTE_PGM_RSRC2:USER_SGPR: 2
; COMPUTE_PGM_RSRC2:TRAP_HANDLER: 0
; COMPUTE_PGM_RSRC2:TGID_X_EN: 1
; COMPUTE_PGM_RSRC2:TGID_Y_EN: 1
; COMPUTE_PGM_RSRC2:TGID_Z_EN: 1
; COMPUTE_PGM_RSRC2:TIDIG_COMP_CNT: 0
	.section	.text._ZN2at6native6mbtopk23computeBlockDigitCountsIN3c104HalfEmjLi2EEEvNS_4cuda6detail10TensorInfoIKT_T0_EEjPjjSA_iijT1_PSD_Ps,"axG",@progbits,_ZN2at6native6mbtopk23computeBlockDigitCountsIN3c104HalfEmjLi2EEEvNS_4cuda6detail10TensorInfoIKT_T0_EEjPjjSA_iijT1_PSD_Ps,comdat
	.protected	_ZN2at6native6mbtopk23computeBlockDigitCountsIN3c104HalfEmjLi2EEEvNS_4cuda6detail10TensorInfoIKT_T0_EEjPjjSA_iijT1_PSD_Ps ; -- Begin function _ZN2at6native6mbtopk23computeBlockDigitCountsIN3c104HalfEmjLi2EEEvNS_4cuda6detail10TensorInfoIKT_T0_EEjPjjSA_iijT1_PSD_Ps
	.globl	_ZN2at6native6mbtopk23computeBlockDigitCountsIN3c104HalfEmjLi2EEEvNS_4cuda6detail10TensorInfoIKT_T0_EEjPjjSA_iijT1_PSD_Ps
	.p2align	8
	.type	_ZN2at6native6mbtopk23computeBlockDigitCountsIN3c104HalfEmjLi2EEEvNS_4cuda6detail10TensorInfoIKT_T0_EEjPjjSA_iijT1_PSD_Ps,@function
_ZN2at6native6mbtopk23computeBlockDigitCountsIN3c104HalfEmjLi2EEEvNS_4cuda6detail10TensorInfoIKT_T0_EEjPjjSA_iijT1_PSD_Ps: ; @_ZN2at6native6mbtopk23computeBlockDigitCountsIN3c104HalfEmjLi2EEEvNS_4cuda6detail10TensorInfoIKT_T0_EEjPjjSA_iijT1_PSD_Ps
; %bb.0:
	s_load_b128 s[4:7], s[0:1], 0x1c0
	s_bfe_u32 s2, ttmp6, 0x40010
	s_and_b32 s8, ttmp7, 0xffff
	s_add_co_i32 s9, s2, 1
	s_bfe_u32 s10, ttmp6, 0x40004
	s_mul_i32 s9, s8, s9
	s_load_b64 s[2:3], s[0:1], 0x1e0
	s_add_co_i32 s10, s10, s9
	s_bfe_u32 s11, ttmp6, 0x4000c
	s_bfe_u32 s13, ttmp6, 0x40014
	s_add_co_i32 s11, s11, 1
	s_and_b32 s12, ttmp6, 15
	s_mul_i32 s11, ttmp9, s11
	s_add_co_i32 s13, s13, 1
	s_add_co_i32 s12, s12, s11
	s_getreg_b32 s14, hwreg(HW_REG_IB_STS2, 6, 4)
	s_wait_kmcnt 0x0
	s_cvt_f32_u32 s9, s6
	s_delay_alu instid0(SALU_CYCLE_3) | instskip(SKIP_1) | instid1(SALU_CYCLE_1)
	v_rcp_iflag_f32_e32 v1, s9
	s_lshr_b32 s9, ttmp7, 16
	s_mul_i32 s11, s9, s13
	s_bfe_u32 s13, ttmp6, 0x40008
	s_delay_alu instid0(SALU_CYCLE_1) | instskip(SKIP_1) | instid1(TRANS32_DEP_1)
	s_add_co_i32 s13, s13, s11
	v_nop
	v_readfirstlane_b32 s15, v1
	s_cmp_eq_u32 s14, 0
	s_cselect_b32 s9, s9, s13
	s_load_b32 s13, s[0:1], 0x1b0
	s_mul_f32 s11, s15, 0x4f7ffffe
	s_mul_i32 s3, s3, s9
	s_cselect_b32 s9, ttmp9, s12
	s_cselect_b32 s8, s8, s10
	s_cvt_u32_f32 s11, s11
	s_sub_co_i32 s10, 0, s6
	s_add_co_i32 s3, s3, s8
	s_delay_alu instid0(SALU_CYCLE_1) | instskip(SKIP_3) | instid1(SALU_CYCLE_1)
	s_mul_i32 s20, s3, s2
	s_mul_i32 s10, s10, s11
	s_add_co_i32 s20, s20, s9
	s_mul_hi_u32 s2, s11, s10
	s_add_co_i32 s11, s11, s2
	s_delay_alu instid0(SALU_CYCLE_1) | instskip(NEXT) | instid1(SALU_CYCLE_1)
	s_mul_hi_u32 s2, s20, s11
	s_mul_i32 s3, s2, s6
	s_add_co_i32 s8, s2, 1
	s_sub_co_i32 s3, s20, s3
	s_delay_alu instid0(SALU_CYCLE_1)
	s_sub_co_i32 s9, s3, s6
	s_cmp_ge_u32 s3, s6
	s_cselect_b32 s2, s8, s2
	s_cselect_b32 s3, s9, s3
	s_add_co_i32 s8, s2, 1
	s_cmp_ge_u32 s3, s6
	s_cselect_b32 s12, s8, s2
	s_wait_kmcnt 0x0
	s_cmp_ge_u32 s12, s13
	s_mov_b32 s13, 0
	s_cbranch_scc1 .LBB205_23
; %bb.1:
	s_load_b64 s[14:15], s[0:1], 0x10
	s_mov_b64 s[16:17], 0
	s_wait_kmcnt 0x0
	v_cmp_lt_u64_e64 s2, s[12:13], s[14:15]
	s_and_b32 vcc_lo, exec_lo, s2
	s_cbranch_vccnz .LBB205_3
; %bb.2:
	v_cvt_f32_u32_e32 v1, s14
	s_sub_co_i32 s3, 0, s14
	s_mov_b32 s17, 0
	s_delay_alu instid0(VALU_DEP_1) | instskip(SKIP_1) | instid1(TRANS32_DEP_1)
	v_rcp_iflag_f32_e32 v1, v1
	v_nop
	v_mul_f32_e32 v1, 0x4f7ffffe, v1
	s_delay_alu instid0(VALU_DEP_1) | instskip(NEXT) | instid1(VALU_DEP_1)
	v_cvt_u32_f32_e32 v1, v1
	v_readfirstlane_b32 s2, v1
	s_mul_i32 s3, s3, s2
	s_delay_alu instid0(SALU_CYCLE_1) | instskip(NEXT) | instid1(SALU_CYCLE_1)
	s_mul_hi_u32 s3, s2, s3
	s_add_co_i32 s2, s2, s3
	s_delay_alu instid0(SALU_CYCLE_1) | instskip(NEXT) | instid1(SALU_CYCLE_1)
	s_mul_hi_u32 s2, s12, s2
	s_mul_i32 s3, s2, s14
	s_add_co_i32 s8, s2, 1
	s_sub_co_i32 s3, s12, s3
	s_delay_alu instid0(SALU_CYCLE_1)
	s_sub_co_i32 s9, s3, s14
	s_cmp_ge_u32 s3, s14
	s_cselect_b32 s2, s8, s2
	s_cselect_b32 s3, s9, s3
	s_add_co_i32 s8, s2, 1
	s_cmp_ge_u32 s3, s14
	s_cselect_b32 s16, s8, s2
.LBB205_3:
	v_cmp_gt_u32_e32 vcc_lo, 0x100, v0
	v_lshlrev_b32_e32 v1, 2, v0
	s_and_saveexec_b32 s2, vcc_lo
; %bb.4:
	v_mov_b32_e32 v2, 0
	ds_store_b32 v1, v2
; %bb.5:
	s_or_b32 exec_lo, exec_lo, s2
	s_clause 0x1
	s_load_b32 s21, s[0:1], 0x1a0
	s_load_b128 s[8:11], s[0:1], 0x1d0
	s_mul_i32 s2, s12, s6
	s_mov_b32 s19, 0
	s_sub_co_i32 s23, s20, s2
	s_wait_dscnt 0x0
	s_mul_i32 s2, s5, s23
	s_add_co_i32 s23, s23, 1
	s_lshl_b32 s22, s2, 8
	s_barrier_signal -1
	s_barrier_wait -1
	s_wait_kmcnt 0x0
	s_sub_co_i32 s18, s21, s22
	s_delay_alu instid0(SALU_CYCLE_1) | instskip(NEXT) | instid1(SALU_CYCLE_1)
	s_add_nc_u64 s[2:3], s[18:19], 0xff
	s_lshr_b64 s[2:3], s[2:3], 8
	s_cmp_lt_u32 s23, s6
	s_cselect_b32 s18, s5, s2
	s_delay_alu instid0(SALU_CYCLE_1)
	s_cmp_lt_i32 s18, 1
	s_cbranch_scc1 .LBB205_21
; %bb.6:
	s_clause 0x1
	s_load_b128 s[24:27], s[0:1], 0xd0
	s_load_b64 s[28:29], s[0:1], 0x0
	s_load_b32 s6, s[8:9], s12 offset:0x0 scale_offset
	s_load_b64 s[2:3], s[0:1], 0x1b8
	s_wait_xcnt 0x0
	s_mul_u64 s[0:1], s[16:17], s[14:15]
	v_add_nc_u32_e32 v6, s22, v0
	s_sub_nc_u64 s[0:1], s[12:13], s[0:1]
	s_wait_kmcnt 0x0
	s_mul_u64 s[8:9], s[16:17], s[24:25]
	s_mul_u64 s[0:1], s[0:1], s[26:27]
	s_lshl_b64 s[8:9], s[8:9], 1
	s_lshl_b64 s[12:13], s[0:1], 1
	s_add_nc_u64 s[8:9], s[28:29], s[8:9]
	s_and_b32 s1, s4, 0xff
	s_cmp_eq_u32 s18, 1
	s_add_nc_u64 s[4:5], s[8:9], s[12:13]
	s_cbranch_scc1 .LBB205_16
; %bb.7:
	v_dual_mov_b32 v3, 0 :: v_dual_mov_b32 v7, 1
	v_mov_b32_e32 v8, 0x8000
	v_mov_b32_e32 v2, v6
	s_and_b32 s8, s18, 0x7ffffffe
	s_mov_b32 s9, 0
	s_branch .LBB205_9
.LBB205_8:                              ;   in Loop: Header=BB205_9 Depth=1
	s_or_b32 exec_lo, exec_lo, s12
	v_add_nc_u32_e32 v2, 0x200, v2
	s_add_co_i32 s9, s9, 2
	s_delay_alu instid0(SALU_CYCLE_1)
	s_cmp_eq_u32 s8, s9
	s_cbranch_scc1 .LBB205_15
.LBB205_9:                              ; =>This Inner Loop Header: Depth=1
	s_mov_b32 s12, exec_lo
	v_cmpx_gt_u32_e64 s21, v2
	s_cbranch_execz .LBB205_12
; %bb.10:                               ;   in Loop: Header=BB205_9 Depth=1
	v_mul_u64_e32 v[4:5], s[2:3], v[2:3]
	s_delay_alu instid0(VALU_DEP_1)
	v_lshl_add_u64 v[4:5], v[4:5], 1, s[4:5]
	global_load_u16 v4, v[4:5], off
	s_wait_loadcnt 0x0
	v_cmp_lt_i16_e64 s0, -1, v4
	s_wait_xcnt 0x0
	v_and_b32_e32 v5, 0xffff, v4
	s_delay_alu instid0(VALU_DEP_2) | instskip(SKIP_1) | instid1(VALU_DEP_2)
	v_cndmask_b32_e64 v9, 0xffff, v8, s0
	v_cmp_o_f16_e64 s0, v4, v4
	v_xor_b32_e32 v5, v9, v5
	s_delay_alu instid0(VALU_DEP_1) | instskip(NEXT) | instid1(VALU_DEP_1)
	v_cndmask_b32_e64 v4, 0xffff, v5, s0
	v_bitop3_b32 v5, v4, s7, s6 bitop3:0x48
	s_delay_alu instid0(VALU_DEP_1)
	v_cmp_eq_u32_e64 s0, 0, v5
	s_and_b32 exec_lo, exec_lo, s0
; %bb.11:                               ;   in Loop: Header=BB205_9 Depth=1
	v_bfe_u32 v4, v4, s1, 8
	s_delay_alu instid0(VALU_DEP_1)
	v_lshlrev_b32_e32 v4, 2, v4
	ds_add_u32 v4, v7
.LBB205_12:                             ;   in Loop: Header=BB205_9 Depth=1
	s_or_b32 exec_lo, exec_lo, s12
	v_add_nc_u32_e32 v4, 0x100, v2
	s_mov_b32 s12, exec_lo
	s_delay_alu instid0(VALU_DEP_1)
	v_cmpx_gt_u32_e64 s21, v4
	s_cbranch_execz .LBB205_8
; %bb.13:                               ;   in Loop: Header=BB205_9 Depth=1
	v_mov_b32_e32 v5, v3
	s_delay_alu instid0(VALU_DEP_1) | instskip(NEXT) | instid1(VALU_DEP_1)
	v_mul_u64_e32 v[4:5], s[2:3], v[4:5]
	v_lshl_add_u64 v[4:5], v[4:5], 1, s[4:5]
	global_load_u16 v4, v[4:5], off
	s_wait_loadcnt 0x0
	v_cmp_lt_i16_e64 s0, -1, v4
	v_and_b32_e32 v5, 0xffff, v4
	s_delay_alu instid0(VALU_DEP_2) | instskip(SKIP_1) | instid1(VALU_DEP_2)
	v_cndmask_b32_e64 v9, 0xffff, v8, s0
	v_cmp_o_f16_e64 s0, v4, v4
	v_xor_b32_e32 v5, v9, v5
	s_delay_alu instid0(VALU_DEP_1) | instskip(NEXT) | instid1(VALU_DEP_1)
	v_cndmask_b32_e64 v4, 0xffff, v5, s0
	v_bitop3_b32 v5, v4, s7, s6 bitop3:0x48
	s_delay_alu instid0(VALU_DEP_1)
	v_cmp_eq_u32_e64 s0, 0, v5
	s_and_b32 exec_lo, exec_lo, s0
	s_cbranch_execz .LBB205_8
; %bb.14:                               ;   in Loop: Header=BB205_9 Depth=1
	v_bfe_u32 v4, v4, s1, 8
	s_delay_alu instid0(VALU_DEP_1)
	v_lshlrev_b32_e32 v4, 2, v4
	ds_add_u32 v4, v7
	s_branch .LBB205_8
.LBB205_15:
	s_lshl_b32 s19, s8, 8
.LBB205_16:
	s_bitcmp0_b32 s18, 0
	s_cbranch_scc1 .LBB205_21
; %bb.17:
	v_add_nc_u32_e32 v2, s19, v6
	s_mov_b32 s8, exec_lo
	s_delay_alu instid0(VALU_DEP_1)
	v_cmpx_gt_u32_e64 s21, v2
	s_cbranch_execz .LBB205_20
; %bb.18:
	v_mov_b32_e32 v3, 0
	s_delay_alu instid0(VALU_DEP_1) | instskip(NEXT) | instid1(VALU_DEP_1)
	v_mul_u64_e32 v[2:3], s[2:3], v[2:3]
	v_lshl_add_u64 v[2:3], v[2:3], 1, s[4:5]
	global_load_u16 v2, v[2:3], off
	s_wait_xcnt 0x0
	v_mov_b32_e32 v3, 0x8000
	s_wait_loadcnt 0x0
	v_cmp_lt_i16_e64 s0, -1, v2
	v_and_b32_e32 v4, 0xffff, v2
	s_delay_alu instid0(VALU_DEP_2) | instskip(SKIP_1) | instid1(VALU_DEP_2)
	v_cndmask_b32_e64 v3, 0xffff, v3, s0
	v_cmp_o_f16_e64 s0, v2, v2
	v_xor_b32_e32 v3, v3, v4
	s_delay_alu instid0(VALU_DEP_1) | instskip(NEXT) | instid1(VALU_DEP_1)
	v_cndmask_b32_e64 v2, 0xffff, v3, s0
	v_bitop3_b32 v3, v2, s7, s6 bitop3:0x48
	s_delay_alu instid0(VALU_DEP_1)
	v_cmp_eq_u32_e64 s0, 0, v3
	s_and_b32 exec_lo, exec_lo, s0
; %bb.19:
	v_bfe_u32 v2, v2, s1, 8
	s_delay_alu instid0(VALU_DEP_1)
	v_dual_mov_b32 v3, 1 :: v_dual_lshlrev_b32 v2, 2, v2
	ds_add_u32 v2, v3
.LBB205_20:
	s_or_b32 exec_lo, exec_lo, s8
.LBB205_21:
	s_wait_dscnt 0x0
	s_barrier_signal -1
	s_barrier_wait -1
	s_and_saveexec_b32 s0, vcc_lo
	s_cbranch_execz .LBB205_23
; %bb.22:
	ds_load_b32 v1, v1
	v_lshl_or_b32 v0, s20, 8, v0
	s_wait_dscnt 0x0
	global_store_b16 v0, v1, s[10:11] scale_offset
.LBB205_23:
	s_endpgm
	.section	.rodata,"a",@progbits
	.p2align	6, 0x0
	.amdhsa_kernel _ZN2at6native6mbtopk23computeBlockDigitCountsIN3c104HalfEmjLi2EEEvNS_4cuda6detail10TensorInfoIKT_T0_EEjPjjSA_iijT1_PSD_Ps
		.amdhsa_group_segment_fixed_size 1024
		.amdhsa_private_segment_fixed_size 0
		.amdhsa_kernarg_size 736
		.amdhsa_user_sgpr_count 2
		.amdhsa_user_sgpr_dispatch_ptr 0
		.amdhsa_user_sgpr_queue_ptr 0
		.amdhsa_user_sgpr_kernarg_segment_ptr 1
		.amdhsa_user_sgpr_dispatch_id 0
		.amdhsa_user_sgpr_kernarg_preload_length 0
		.amdhsa_user_sgpr_kernarg_preload_offset 0
		.amdhsa_user_sgpr_private_segment_size 0
		.amdhsa_wavefront_size32 1
		.amdhsa_uses_dynamic_stack 0
		.amdhsa_enable_private_segment 0
		.amdhsa_system_sgpr_workgroup_id_x 1
		.amdhsa_system_sgpr_workgroup_id_y 1
		.amdhsa_system_sgpr_workgroup_id_z 1
		.amdhsa_system_sgpr_workgroup_info 0
		.amdhsa_system_vgpr_workitem_id 0
		.amdhsa_next_free_vgpr 10
		.amdhsa_next_free_sgpr 30
		.amdhsa_named_barrier_count 0
		.amdhsa_reserve_vcc 1
		.amdhsa_float_round_mode_32 0
		.amdhsa_float_round_mode_16_64 0
		.amdhsa_float_denorm_mode_32 3
		.amdhsa_float_denorm_mode_16_64 3
		.amdhsa_fp16_overflow 0
		.amdhsa_memory_ordered 1
		.amdhsa_forward_progress 1
		.amdhsa_inst_pref_size 11
		.amdhsa_round_robin_scheduling 0
		.amdhsa_exception_fp_ieee_invalid_op 0
		.amdhsa_exception_fp_denorm_src 0
		.amdhsa_exception_fp_ieee_div_zero 0
		.amdhsa_exception_fp_ieee_overflow 0
		.amdhsa_exception_fp_ieee_underflow 0
		.amdhsa_exception_fp_ieee_inexact 0
		.amdhsa_exception_int_div_zero 0
	.end_amdhsa_kernel
	.section	.text._ZN2at6native6mbtopk23computeBlockDigitCountsIN3c104HalfEmjLi2EEEvNS_4cuda6detail10TensorInfoIKT_T0_EEjPjjSA_iijT1_PSD_Ps,"axG",@progbits,_ZN2at6native6mbtopk23computeBlockDigitCountsIN3c104HalfEmjLi2EEEvNS_4cuda6detail10TensorInfoIKT_T0_EEjPjjSA_iijT1_PSD_Ps,comdat
.Lfunc_end205:
	.size	_ZN2at6native6mbtopk23computeBlockDigitCountsIN3c104HalfEmjLi2EEEvNS_4cuda6detail10TensorInfoIKT_T0_EEjPjjSA_iijT1_PSD_Ps, .Lfunc_end205-_ZN2at6native6mbtopk23computeBlockDigitCountsIN3c104HalfEmjLi2EEEvNS_4cuda6detail10TensorInfoIKT_T0_EEjPjjSA_iijT1_PSD_Ps
                                        ; -- End function
	.set _ZN2at6native6mbtopk23computeBlockDigitCountsIN3c104HalfEmjLi2EEEvNS_4cuda6detail10TensorInfoIKT_T0_EEjPjjSA_iijT1_PSD_Ps.num_vgpr, 10
	.set _ZN2at6native6mbtopk23computeBlockDigitCountsIN3c104HalfEmjLi2EEEvNS_4cuda6detail10TensorInfoIKT_T0_EEjPjjSA_iijT1_PSD_Ps.num_agpr, 0
	.set _ZN2at6native6mbtopk23computeBlockDigitCountsIN3c104HalfEmjLi2EEEvNS_4cuda6detail10TensorInfoIKT_T0_EEjPjjSA_iijT1_PSD_Ps.numbered_sgpr, 30
	.set _ZN2at6native6mbtopk23computeBlockDigitCountsIN3c104HalfEmjLi2EEEvNS_4cuda6detail10TensorInfoIKT_T0_EEjPjjSA_iijT1_PSD_Ps.num_named_barrier, 0
	.set _ZN2at6native6mbtopk23computeBlockDigitCountsIN3c104HalfEmjLi2EEEvNS_4cuda6detail10TensorInfoIKT_T0_EEjPjjSA_iijT1_PSD_Ps.private_seg_size, 0
	.set _ZN2at6native6mbtopk23computeBlockDigitCountsIN3c104HalfEmjLi2EEEvNS_4cuda6detail10TensorInfoIKT_T0_EEjPjjSA_iijT1_PSD_Ps.uses_vcc, 1
	.set _ZN2at6native6mbtopk23computeBlockDigitCountsIN3c104HalfEmjLi2EEEvNS_4cuda6detail10TensorInfoIKT_T0_EEjPjjSA_iijT1_PSD_Ps.uses_flat_scratch, 0
	.set _ZN2at6native6mbtopk23computeBlockDigitCountsIN3c104HalfEmjLi2EEEvNS_4cuda6detail10TensorInfoIKT_T0_EEjPjjSA_iijT1_PSD_Ps.has_dyn_sized_stack, 0
	.set _ZN2at6native6mbtopk23computeBlockDigitCountsIN3c104HalfEmjLi2EEEvNS_4cuda6detail10TensorInfoIKT_T0_EEjPjjSA_iijT1_PSD_Ps.has_recursion, 0
	.set _ZN2at6native6mbtopk23computeBlockDigitCountsIN3c104HalfEmjLi2EEEvNS_4cuda6detail10TensorInfoIKT_T0_EEjPjjSA_iijT1_PSD_Ps.has_indirect_call, 0
	.section	.AMDGPU.csdata,"",@progbits
; Kernel info:
; codeLenInByte = 1320
; TotalNumSgprs: 32
; NumVgprs: 10
; ScratchSize: 0
; MemoryBound: 0
; FloatMode: 240
; IeeeMode: 1
; LDSByteSize: 1024 bytes/workgroup (compile time only)
; SGPRBlocks: 0
; VGPRBlocks: 0
; NumSGPRsForWavesPerEU: 32
; NumVGPRsForWavesPerEU: 10
; NamedBarCnt: 0
; Occupancy: 16
; WaveLimiterHint : 1
; COMPUTE_PGM_RSRC2:SCRATCH_EN: 0
; COMPUTE_PGM_RSRC2:USER_SGPR: 2
; COMPUTE_PGM_RSRC2:TRAP_HANDLER: 0
; COMPUTE_PGM_RSRC2:TGID_X_EN: 1
; COMPUTE_PGM_RSRC2:TGID_Y_EN: 1
; COMPUTE_PGM_RSRC2:TGID_Z_EN: 1
; COMPUTE_PGM_RSRC2:TIDIG_COMP_CNT: 0
	.section	.text._ZN2at6native6mbtopk10gatherTopKIN3c104HalfEmLi2EEEvNS_4cuda6detail10TensorInfoIKT_T0_EESA_SA_bjSA_NS7_IS8_SA_EESA_NS7_IlSA_EESA_jjPS8_PjSF_j,"axG",@progbits,_ZN2at6native6mbtopk10gatherTopKIN3c104HalfEmLi2EEEvNS_4cuda6detail10TensorInfoIKT_T0_EESA_SA_bjSA_NS7_IS8_SA_EESA_NS7_IlSA_EESA_jjPS8_PjSF_j,comdat
	.protected	_ZN2at6native6mbtopk10gatherTopKIN3c104HalfEmLi2EEEvNS_4cuda6detail10TensorInfoIKT_T0_EESA_SA_bjSA_NS7_IS8_SA_EESA_NS7_IlSA_EESA_jjPS8_PjSF_j ; -- Begin function _ZN2at6native6mbtopk10gatherTopKIN3c104HalfEmLi2EEEvNS_4cuda6detail10TensorInfoIKT_T0_EESA_SA_bjSA_NS7_IS8_SA_EESA_NS7_IlSA_EESA_jjPS8_PjSF_j
	.globl	_ZN2at6native6mbtopk10gatherTopKIN3c104HalfEmLi2EEEvNS_4cuda6detail10TensorInfoIKT_T0_EESA_SA_bjSA_NS7_IS8_SA_EESA_NS7_IlSA_EESA_jjPS8_PjSF_j
	.p2align	8
	.type	_ZN2at6native6mbtopk10gatherTopKIN3c104HalfEmLi2EEEvNS_4cuda6detail10TensorInfoIKT_T0_EESA_SA_bjSA_NS7_IS8_SA_EESA_NS7_IlSA_EESA_jjPS8_PjSF_j,@function
_ZN2at6native6mbtopk10gatherTopKIN3c104HalfEmLi2EEEvNS_4cuda6detail10TensorInfoIKT_T0_EESA_SA_bjSA_NS7_IS8_SA_EESA_NS7_IlSA_EESA_jjPS8_PjSF_j: ; @_ZN2at6native6mbtopk10gatherTopKIN3c104HalfEmLi2EEEvNS_4cuda6detail10TensorInfoIKT_T0_EESA_SA_bjSA_NS7_IS8_SA_EESA_NS7_IlSA_EESA_jjPS8_PjSF_j
; %bb.0:
	s_bfe_u32 s2, ttmp6, 0x40010
	s_and_b32 s4, ttmp7, 0xffff
	s_add_co_i32 s5, s2, 1
	s_clause 0x1
	s_load_b32 s6, s[0:1], 0x530
	s_load_b64 s[2:3], s[0:1], 0x538
	s_bfe_u32 s8, ttmp6, 0x4000c
	s_mul_i32 s5, s4, s5
	s_bfe_u32 s7, ttmp6, 0x40004
	s_add_co_i32 s8, s8, 1
	s_bfe_u32 s9, ttmp6, 0x40014
	s_add_co_i32 s7, s7, s5
	s_and_b32 s5, ttmp6, 15
	s_mul_i32 s8, ttmp9, s8
	s_lshr_b32 s10, ttmp7, 16
	s_add_co_i32 s9, s9, 1
	s_add_co_i32 s5, s5, s8
	s_mul_i32 s8, s10, s9
	s_bfe_u32 s9, ttmp6, 0x40008
	s_getreg_b32 s11, hwreg(HW_REG_IB_STS2, 6, 4)
	s_add_co_i32 s9, s9, s8
	s_cmp_eq_u32 s11, 0
	s_cselect_b32 s8, s10, s9
	s_cselect_b32 s4, s4, s7
	s_wait_kmcnt 0x0
	s_mul_i32 s3, s3, s8
	s_cselect_b32 s5, ttmp9, s5
	s_add_co_i32 s3, s3, s4
	s_delay_alu instid0(SALU_CYCLE_1) | instskip(NEXT) | instid1(SALU_CYCLE_1)
	s_mul_i32 s2, s3, s2
	s_add_co_i32 s2, s2, s5
	s_delay_alu instid0(SALU_CYCLE_1)
	s_cmp_ge_u32 s2, s6
	s_cbranch_scc1 .LBB206_48
; %bb.1:
	s_load_b64 s[28:29], s[0:1], 0x510
	s_wait_kmcnt 0x0
	s_cvt_f32_u32 s3, s29
	s_sub_co_i32 s4, 0, s29
	s_lshl_b32 s33, s28, 8
	s_delay_alu instid0(SALU_CYCLE_1) | instskip(SKIP_1) | instid1(TRANS32_DEP_1)
	v_rcp_iflag_f32_e32 v1, s3
	v_nop
	v_readfirstlane_b32 s3, v1
	s_mul_f32 s3, s3, 0x4f7ffffe
	s_delay_alu instid0(SALU_CYCLE_3) | instskip(NEXT) | instid1(SALU_CYCLE_3)
	s_cvt_u32_f32 s3, s3
	s_mul_i32 s4, s4, s3
	s_delay_alu instid0(SALU_CYCLE_1) | instskip(NEXT) | instid1(SALU_CYCLE_1)
	s_mul_hi_u32 s4, s3, s4
	s_add_co_i32 s3, s3, s4
	s_clause 0x1
	s_load_b128 s[4:7], s[0:1], 0x1a0
	s_load_b64 s[34:35], s[0:1], 0x10
	s_mul_hi_u32 s3, s2, s3
	s_delay_alu instid0(SALU_CYCLE_1) | instskip(SKIP_2) | instid1(SALU_CYCLE_1)
	s_mul_i32 s8, s3, s29
	s_add_co_i32 s9, s3, 1
	s_sub_co_i32 s8, s2, s8
	s_sub_co_i32 s10, s8, s29
	s_cmp_ge_u32 s8, s29
	s_cselect_b32 s3, s9, s3
	s_cselect_b32 s8, s10, s8
	s_add_co_i32 s9, s3, 1
	s_cmp_ge_u32 s8, s29
	s_cselect_b32 s30, s9, s3
	s_delay_alu instid0(SALU_CYCLE_1) | instskip(NEXT) | instid1(SALU_CYCLE_1)
	s_mul_i32 s16, s30, s29
	s_sub_co_i32 s48, s2, s16
	s_delay_alu instid0(SALU_CYCLE_1) | instskip(NEXT) | instid1(SALU_CYCLE_1)
	s_add_co_i32 s2, s48, 1
	s_cmp_lt_u32 s2, s29
	s_cbranch_scc1 .LBB206_3
; %bb.2:
	s_mul_i32 s2, s48, s33
	s_mov_b32 s3, 0
	s_wait_kmcnt 0x0
	s_sub_nc_u64 s[8:9], s[4:5], s[2:3]
	s_delay_alu instid0(SALU_CYCLE_1) | instskip(NEXT) | instid1(SALU_CYCLE_1)
	s_add_nc_u64 s[8:9], s[8:9], 0xff
	s_ashr_i32 s2, s9, 31
	s_delay_alu instid0(SALU_CYCLE_1) | instskip(NEXT) | instid1(SALU_CYCLE_1)
	s_lshr_b32 s2, s2, 24
	s_add_nc_u64 s[2:3], s[8:9], s[2:3]
	s_delay_alu instid0(SALU_CYCLE_1) | instskip(NEXT) | instid1(SALU_CYCLE_1)
	s_lshr_b64 s[2:3], s[2:3], 8
	s_mov_b32 s28, s2
.LBB206_3:
	s_load_b64 s[36:37], s[0:1], 0x1d0
	s_mov_b32 s31, 0
	s_mov_b64 s[42:43], 0
	s_wait_kmcnt 0x0
	v_cmp_lt_u64_e64 s2, s[30:31], s[34:35]
	s_mov_b64 s[38:39], 0
	s_and_b32 vcc_lo, exec_lo, s2
	s_cbranch_vccz .LBB206_20
; %bb.4:
	s_load_b64 s[40:41], s[0:1], 0x378
	v_cmp_lt_u64_e64 s2, s[30:31], s[36:37]
	s_and_b32 vcc_lo, exec_lo, s2
	s_cbranch_vccz .LBB206_21
.LBB206_5:
	s_wait_kmcnt 0x0
	v_cmp_lt_u64_e64 s2, s[30:31], s[40:41]
	s_mov_b64 s[44:45], 0
	s_and_b32 vcc_lo, exec_lo, s2
	s_cbranch_vccnz .LBB206_7
.LBB206_6:
	v_cvt_f32_u32_e32 v1, s40
	s_sub_co_i32 s3, 0, s40
	s_mov_b32 s45, 0
	s_delay_alu instid0(VALU_DEP_1) | instskip(SKIP_1) | instid1(TRANS32_DEP_1)
	v_rcp_iflag_f32_e32 v1, v1
	v_nop
	v_mul_f32_e32 v1, 0x4f7ffffe, v1
	s_delay_alu instid0(VALU_DEP_1) | instskip(NEXT) | instid1(VALU_DEP_1)
	v_cvt_u32_f32_e32 v1, v1
	v_readfirstlane_b32 s2, v1
	s_mul_i32 s3, s3, s2
	s_delay_alu instid0(SALU_CYCLE_1) | instskip(NEXT) | instid1(SALU_CYCLE_1)
	s_mul_hi_u32 s3, s2, s3
	s_add_co_i32 s2, s2, s3
	s_delay_alu instid0(SALU_CYCLE_1) | instskip(NEXT) | instid1(SALU_CYCLE_1)
	s_mul_hi_u32 s2, s30, s2
	s_mul_i32 s3, s2, s40
	s_add_co_i32 s8, s2, 1
	s_sub_co_i32 s3, s30, s3
	s_delay_alu instid0(SALU_CYCLE_1)
	s_sub_co_i32 s9, s3, s40
	s_cmp_ge_u32 s3, s40
	s_cselect_b32 s2, s8, s2
	s_cselect_b32 s3, s9, s3
	s_add_co_i32 s8, s2, 1
	s_cmp_ge_u32 s3, s40
	s_cselect_b32 s44, s8, s2
.LBB206_7:
	s_load_b128 s[8:11], s[0:1], 0x518
	v_mov_b32_e32 v1, 0
	s_lshl_b64 s[2:3], s[30:31], 1
	s_mov_b32 s17, 0
	s_wait_kmcnt 0x0
	s_add_nc_u64 s[2:3], s[8:9], s[2:3]
	global_load_u16 v1, v1, s[2:3]
	s_wait_xcnt 0x0
	v_cmp_ne_u32_e64 s2, 0, v0
	v_cmp_eq_u32_e64 s3, 0, v0
	s_wait_loadcnt 0x0
	v_readfirstlane_b32 s49, v1
	s_and_saveexec_b32 s24, s3
	s_cbranch_execz .LBB206_25
; %bb.8:
	s_load_b64 s[18:19], s[0:1], 0x528
	s_lshl_b64 s[20:21], s[16:17], 2
	s_cmp_lt_u32 s29, 4
	s_cbranch_scc1 .LBB206_22
; %bb.9:
	s_mov_b64 s[8:9], 0
	s_mov_b32 s16, 0
.LBB206_10:                             ; =>This Inner Loop Header: Depth=1
	s_add_nc_u64 s[22:23], s[10:11], s[20:21]
	s_cmp_ge_u32 s16, s48
	s_load_b128 s[12:15], s[22:23], 0x0
	s_wait_kmcnt 0x0
	s_add_nc_u64 s[22:23], s[18:19], s[20:21]
	s_cbranch_scc0 .LBB206_17
; %bb.11:                               ;   in Loop: Header=BB206_10 Depth=1
	s_add_co_i32 s25, s16, 1
	s_delay_alu instid0(SALU_CYCLE_1)
	s_cmp_ge_u32 s25, s48
	s_cbranch_scc0 .LBB206_18
.LBB206_12:                             ;   in Loop: Header=BB206_10 Depth=1
	s_add_co_i32 s25, s25, 1
	s_delay_alu instid0(SALU_CYCLE_1)
	s_cmp_ge_u32 s25, s48
	s_cbranch_scc0 .LBB206_19
.LBB206_13:                             ;   in Loop: Header=BB206_10 Depth=1
	s_add_co_i32 s25, s25, 1
	s_delay_alu instid0(SALU_CYCLE_1)
	s_cmp_ge_u32 s25, s48
	s_cbranch_scc1 .LBB206_15
.LBB206_14:                             ;   in Loop: Header=BB206_10 Depth=1
	s_load_b32 s22, s[22:23], 0xc
	s_add_co_i32 s9, s15, s9
	s_wait_kmcnt 0x0
	s_add_co_i32 s8, s22, s8
.LBB206_15:                             ;   in Loop: Header=BB206_10 Depth=1
	s_add_co_i32 s12, s12, s17
	s_add_nc_u64 s[10:11], s[10:11], 16
	s_add_co_i32 s12, s12, s13
	s_add_co_i32 s13, s25, 4
	;; [unrolled: 1-line block ×3, first 2 shown]
	s_add_nc_u64 s[18:19], s[18:19], 16
	s_add_co_i32 s17, s12, s15
	s_add_co_i32 s12, s25, 1
	s_cmp_ge_u32 s13, s29
	s_cbranch_scc1 .LBB206_23
; %bb.16:                               ;   in Loop: Header=BB206_10 Depth=1
	s_mov_b32 s16, s12
	s_branch .LBB206_10
.LBB206_17:                             ;   in Loop: Header=BB206_10 Depth=1
	s_load_b32 s25, s[22:23], 0x0
	s_add_co_i32 s9, s12, s9
	s_wait_kmcnt 0x0
	s_add_co_i32 s8, s25, s8
	s_add_co_i32 s25, s16, 1
	s_delay_alu instid0(SALU_CYCLE_1)
	s_cmp_ge_u32 s25, s48
	s_cbranch_scc1 .LBB206_12
.LBB206_18:                             ;   in Loop: Header=BB206_10 Depth=1
	s_load_b32 s26, s[22:23], 0x4
	s_add_co_i32 s9, s13, s9
	s_wait_kmcnt 0x0
	s_add_co_i32 s8, s26, s8
	s_add_co_i32 s25, s25, 1
	s_delay_alu instid0(SALU_CYCLE_1)
	s_cmp_ge_u32 s25, s48
	s_cbranch_scc1 .LBB206_13
.LBB206_19:                             ;   in Loop: Header=BB206_10 Depth=1
	s_load_b32 s26, s[22:23], 0x8
	s_add_co_i32 s9, s14, s9
	s_wait_kmcnt 0x0
	s_add_co_i32 s8, s26, s8
	s_add_co_i32 s25, s25, 1
	s_delay_alu instid0(SALU_CYCLE_1)
	s_cmp_ge_u32 s25, s48
	s_cbranch_scc0 .LBB206_14
	s_branch .LBB206_15
.LBB206_20:
	v_cvt_f32_u32_e32 v1, s34
	s_sub_co_i32 s3, 0, s34
	s_mov_b32 s39, s31
	s_delay_alu instid0(VALU_DEP_1) | instskip(SKIP_1) | instid1(TRANS32_DEP_1)
	v_rcp_iflag_f32_e32 v1, v1
	v_nop
	v_mul_f32_e32 v1, 0x4f7ffffe, v1
	s_delay_alu instid0(VALU_DEP_1) | instskip(NEXT) | instid1(VALU_DEP_1)
	v_cvt_u32_f32_e32 v1, v1
	v_readfirstlane_b32 s2, v1
	s_mul_i32 s3, s3, s2
	s_delay_alu instid0(SALU_CYCLE_1) | instskip(NEXT) | instid1(SALU_CYCLE_1)
	s_mul_hi_u32 s3, s2, s3
	s_add_co_i32 s2, s2, s3
	s_delay_alu instid0(SALU_CYCLE_1) | instskip(NEXT) | instid1(SALU_CYCLE_1)
	s_mul_hi_u32 s2, s30, s2
	s_mul_i32 s3, s2, s34
	s_add_co_i32 s8, s2, 1
	s_sub_co_i32 s3, s30, s3
	s_delay_alu instid0(SALU_CYCLE_1)
	s_sub_co_i32 s9, s3, s34
	s_cmp_ge_u32 s3, s34
	s_cselect_b32 s2, s8, s2
	s_cselect_b32 s3, s9, s3
	s_add_co_i32 s8, s2, 1
	s_cmp_ge_u32 s3, s34
	s_cselect_b32 s38, s8, s2
	s_load_b64 s[40:41], s[0:1], 0x378
	v_cmp_lt_u64_e64 s2, s[30:31], s[36:37]
	s_and_b32 vcc_lo, exec_lo, s2
	s_cbranch_vccnz .LBB206_5
.LBB206_21:
	v_cvt_f32_u32_e32 v1, s36
	s_sub_co_i32 s3, 0, s36
	s_mov_b32 s43, 0
	s_delay_alu instid0(VALU_DEP_1) | instskip(SKIP_1) | instid1(TRANS32_DEP_1)
	v_rcp_iflag_f32_e32 v1, v1
	v_nop
	v_mul_f32_e32 v1, 0x4f7ffffe, v1
	s_delay_alu instid0(VALU_DEP_1) | instskip(NEXT) | instid1(VALU_DEP_1)
	v_cvt_u32_f32_e32 v1, v1
	v_readfirstlane_b32 s2, v1
	s_mul_i32 s3, s3, s2
	s_delay_alu instid0(SALU_CYCLE_1) | instskip(NEXT) | instid1(SALU_CYCLE_1)
	s_mul_hi_u32 s3, s2, s3
	s_add_co_i32 s2, s2, s3
	s_delay_alu instid0(SALU_CYCLE_1) | instskip(NEXT) | instid1(SALU_CYCLE_1)
	s_mul_hi_u32 s2, s30, s2
	s_mul_i32 s3, s2, s36
	s_add_co_i32 s8, s2, 1
	s_sub_co_i32 s3, s30, s3
	s_delay_alu instid0(SALU_CYCLE_1)
	s_sub_co_i32 s9, s3, s36
	s_cmp_ge_u32 s3, s36
	s_cselect_b32 s2, s8, s2
	s_cselect_b32 s3, s9, s3
	s_add_co_i32 s8, s2, 1
	s_cmp_ge_u32 s3, s36
	s_cselect_b32 s42, s8, s2
	s_wait_kmcnt 0x0
	v_cmp_lt_u64_e64 s2, s[30:31], s[40:41]
	s_mov_b64 s[44:45], 0
	s_and_b32 vcc_lo, exec_lo, s2
	s_cbranch_vccz .LBB206_6
	s_branch .LBB206_7
.LBB206_22:
	s_mov_b64 s[8:9], 0
	s_add_nc_u64 s[10:11], s[10:11], s[20:21]
	s_wait_kmcnt 0x0
	s_add_nc_u64 s[12:13], s[18:19], s[20:21]
	s_mov_b32 s14, 0
	s_delay_alu instid0(SALU_CYCLE_1)
	s_cmp_ge_u32 s14, s29
	s_cbranch_scc0 .LBB206_46
	s_branch .LBB206_24
.LBB206_23:
	s_add_co_i32 s14, s16, 4
	s_add_nc_u64 s[12:13], s[18:19], s[20:21]
	s_add_nc_u64 s[10:11], s[10:11], s[20:21]
	s_cmp_ge_u32 s14, s29
	s_cbranch_scc0 .LBB206_46
.LBB206_24:
	v_dual_mov_b32 v2, s8 :: v_dual_mov_b32 v3, s17
	v_dual_mov_b32 v4, s9 :: v_dual_mov_b32 v1, 0
	ds_store_b96 v1, v[2:4] offset:1056
.LBB206_25:
	s_or_b32 exec_lo, exec_lo, s24
	s_clause 0x5
	s_load_b64 s[46:47], s[0:1], 0x0
	s_load_b128 s[16:19], s[0:1], 0xd0
	s_load_b128 s[8:11], s[0:1], 0x1b8
	;; [unrolled: 1-line block ×5, first 2 shown]
	s_cmp_eq_u32 s28, 0
	s_wait_dscnt 0x0
	s_barrier_signal -1
	s_barrier_wait -1
	s_cbranch_scc1 .LBB206_48
; %bb.26:
	s_mul_u64 s[36:37], s[42:43], s[36:37]
	s_mul_u64 s[34:35], s[38:39], s[34:35]
	s_sub_nc_u64 s[36:37], s[30:31], s[36:37]
	s_sub_nc_u64 s[34:35], s[30:31], s[34:35]
	s_wait_kmcnt 0x0
	s_mul_u64 s[16:17], s[38:39], s[16:17]
	v_dual_mov_b32 v1, 0 :: v_dual_lshrrev_b32 v5, 3, v0
	s_mul_u64 s[26:27], s[36:37], s[26:27]
	s_mul_u64 s[36:37], s[44:45], s[40:41]
	;; [unrolled: 1-line block ×4, first 2 shown]
	s_lshl_b64 s[16:17], s[16:17], 1
	s_sub_nc_u64 s[30:31], s[30:31], s[36:37]
	s_mul_u64 s[20:21], s[44:45], s[20:21]
	s_add_nc_u64 s[16:17], s[46:47], s[16:17]
	s_lshl_b64 s[24:25], s[24:25], 1
	s_lshl_b64 s[18:19], s[18:19], 1
	s_mul_u64 s[22:23], s[30:31], s[22:23]
	ds_load_b96 v[2:4], v1 offset:1056
	s_add_nc_u64 s[24:25], s[10:11], s[24:25]
	s_add_nc_u64 s[10:11], s[16:17], s[18:19]
	s_lshl_b64 s[18:19], s[20:21], 3
	s_sext_i32_i16 s20, s49
	s_lshl_b64 s[26:27], s[26:27], 1
	s_lshl_b64 s[22:23], s[22:23], 3
	s_and_b32 s21, 0xffff, s49
	s_cmp_gt_i32 s20, -1
	s_mov_b32 s20, 0x8000
	s_add_nc_u64 s[18:19], s[14:15], s[18:19]
	s_cselect_b32 s14, s20, 0xffff
	v_dual_add_nc_u32 v6, -1, v0 :: v_dual_bitop2_b32 v5, 28, v5 bitop3:0x40
	s_xor_b32 s20, s14, s21
	s_clause 0x1
	s_load_b32 s21, s[0:1], 0x1b0
	s_load_b64 s[14:15], s[0:1], 0x508
	v_lshrrev_b32_e32 v7, 3, v6
	v_lshl_add_u32 v5, v0, 2, v5
	s_wait_dscnt 0x0
	v_dual_lshlrev_b32 v10, 5, v0 :: v_dual_add_nc_u32 v2, v2, v3
	v_and_b32_e32 v3, 0xfc, v0
	s_wait_xcnt 0x0
	v_cmp_gt_u32_e64 s0, 32, v0
	v_mad_u32 v0, s48, s33, v0
	v_and_b32_e32 v7, 0x1ffffffc, v7
	v_mbcnt_lo_u32_b32 v8, -1, 0
	s_cmp_o_f16 s49, s49
	v_add_nc_u32_e32 v10, v3, v10
	v_mov_b32_e32 v14, 0x8000
	v_lshl_add_u32 v9, v6, 2, v7
	v_and_b32_e32 v11, 15, v8
	v_bfe_i32 v12, v8, 4, 1
	v_add_nc_u32_e32 v13, -1, v8
	s_cselect_b32 s20, s20, 0xffff
	s_add_nc_u64 s[16:17], s[24:25], s[26:27]
	s_wait_kmcnt 0x0
	s_bitcmp1_b32 s21, 0
	s_add_nc_u64 s[18:19], s[18:19], s[22:23]
	s_cselect_b32 s1, -1, 0
                                        ; implicit-def: $vgpr15
	s_branch .LBB206_29
.LBB206_27:                             ;   in Loop: Header=BB206_29 Depth=1
	s_wait_xcnt 0x0
	s_or_b32 exec_lo, exec_lo, s21
	v_add_nc_u32_e32 v2, v3, v2
.LBB206_28:                             ;   in Loop: Header=BB206_29 Depth=1
	v_add_nc_u32_e32 v4, v16, v4
	v_add_nc_u32_e32 v0, 0x100, v0
	s_add_co_i32 s28, s28, -1
	s_delay_alu instid0(SALU_CYCLE_1)
	s_cmp_lg_u32 s28, 0
	s_cbranch_scc0 .LBB206_48
.LBB206_29:                             ; =>This Inner Loop Header: Depth=1
	v_dual_mov_b32 v3, v1 :: v_dual_mov_b32 v6, v1
	s_mov_b32 s21, exec_lo
	v_cmpx_gt_u64_e64 s[4:5], v[0:1]
	s_cbranch_execz .LBB206_31
; %bb.30:                               ;   in Loop: Header=BB206_29 Depth=1
	v_mul_u64_e32 v[6:7], s[8:9], v[0:1]
	s_delay_alu instid0(VALU_DEP_1)
	v_lshl_add_u64 v[6:7], v[6:7], 1, s[10:11]
	global_load_u16 v15, v[6:7], off
	s_wait_loadcnt 0x0
	v_cmp_lt_i16_e32 vcc_lo, -1, v15
	v_and_b32_e32 v3, 0xffff, v15
	s_wait_xcnt 0x0
	v_cndmask_b32_e32 v6, 0xffff, v14, vcc_lo
	v_cmp_o_f16_e32 vcc_lo, v15, v15
	s_delay_alu instid0(VALU_DEP_2) | instskip(NEXT) | instid1(VALU_DEP_1)
	v_xor_b32_e32 v3, v6, v3
	v_cndmask_b32_e32 v6, 0xffff, v3, vcc_lo
	s_delay_alu instid0(VALU_DEP_1) | instskip(SKIP_4) | instid1(VALU_DEP_2)
	v_cmp_lt_u32_e32 vcc_lo, s20, v6
	v_cndmask_b32_e64 v3, 0, 1, vcc_lo
	v_cmp_gt_u32_e32 vcc_lo, s20, v6
	v_cndmask_b32_e64 v7, 0, 1, vcc_lo
	v_cmp_eq_u32_e32 vcc_lo, s20, v6
	v_cndmask_b32_e64 v3, v7, v3, s1
	v_cndmask_b32_e64 v6, 0, 1, vcc_lo
	s_delay_alu instid0(VALU_DEP_2)
	v_and_b32_e32 v3, 1, v3
.LBB206_31:                             ;   in Loop: Header=BB206_29 Depth=1
	s_or_b32 exec_lo, exec_lo, s21
	ds_store_b32 v5, v3
	s_wait_dscnt 0x0
	s_barrier_signal -1
	s_barrier_wait -1
	s_and_saveexec_b32 s21, s0
	s_cbranch_execz .LBB206_33
; %bb.32:                               ;   in Loop: Header=BB206_29 Depth=1
	ds_load_2addr_b32 v[16:17], v10 offset1:1
	ds_load_2addr_b32 v[18:19], v10 offset0:2 offset1:3
	ds_load_2addr_b32 v[20:21], v10 offset0:4 offset1:5
	;; [unrolled: 1-line block ×3, first 2 shown]
	v_cmp_ne_u32_e32 vcc_lo, 0, v11
	; wave barrier
	s_wait_dscnt 0x3
	v_add_nc_u32_e32 v7, v17, v16
	s_wait_dscnt 0x2
	s_delay_alu instid0(VALU_DEP_1) | instskip(SKIP_1) | instid1(VALU_DEP_1)
	v_add3_u32 v7, v7, v18, v19
	s_wait_dscnt 0x1
	v_add3_u32 v7, v7, v20, v21
	s_wait_dscnt 0x0
	s_delay_alu instid0(VALU_DEP_1) | instskip(NEXT) | instid1(VALU_DEP_1)
	v_add3_u32 v7, v7, v22, v23
	v_mov_b32_dpp v17, v7 row_shr:1 row_mask:0xf bank_mask:0xf
	s_delay_alu instid0(VALU_DEP_1) | instskip(SKIP_1) | instid1(VALU_DEP_2)
	v_cndmask_b32_e32 v17, 0, v17, vcc_lo
	v_cmp_lt_u32_e32 vcc_lo, 1, v11
	v_add_nc_u32_e32 v7, v17, v7
	s_delay_alu instid0(VALU_DEP_1) | instskip(NEXT) | instid1(VALU_DEP_1)
	v_mov_b32_dpp v17, v7 row_shr:2 row_mask:0xf bank_mask:0xf
	v_cndmask_b32_e32 v17, 0, v17, vcc_lo
	v_cmp_lt_u32_e32 vcc_lo, 3, v11
	s_delay_alu instid0(VALU_DEP_2) | instskip(NEXT) | instid1(VALU_DEP_1)
	v_add_nc_u32_e32 v7, v7, v17
	v_mov_b32_dpp v17, v7 row_shr:4 row_mask:0xf bank_mask:0xf
	s_delay_alu instid0(VALU_DEP_1) | instskip(SKIP_1) | instid1(VALU_DEP_2)
	v_cndmask_b32_e32 v17, 0, v17, vcc_lo
	v_cmp_lt_u32_e32 vcc_lo, 7, v11
	v_add_nc_u32_e32 v7, v7, v17
	s_delay_alu instid0(VALU_DEP_1) | instskip(NEXT) | instid1(VALU_DEP_1)
	v_mov_b32_dpp v17, v7 row_shr:8 row_mask:0xf bank_mask:0xf
	v_cndmask_b32_e32 v17, 0, v17, vcc_lo
	v_cmp_gt_i32_e32 vcc_lo, 0, v13
	s_delay_alu instid0(VALU_DEP_2) | instskip(SKIP_3) | instid1(VALU_DEP_1)
	v_dual_cndmask_b32 v18, v13, v8 :: v_dual_add_nc_u32 v7, v7, v17
	ds_swizzle_b32 v17, v7 offset:swizzle(BROADCAST,32,15)
	s_wait_dscnt 0x0
	v_dual_lshlrev_b32 v18, 2, v18 :: v_dual_bitop2_b32 v17, v12, v17 bitop3:0x40
	v_add_nc_u32_e32 v7, v7, v17
	ds_bpermute_b32 v7, v18, v7
	s_wait_dscnt 0x0
	v_add_nc_u32_e32 v7, v7, v16
	s_delay_alu instid0(VALU_DEP_1)
	v_cndmask_b32_e64 v7, v7, v3, s3
	ds_store_b32 v10, v7
	; wave barrier
	ds_load_2addr_b32 v[16:17], v10 offset0:1 offset1:2
	ds_load_2addr_b32 v[18:19], v10 offset0:3 offset1:4
	;; [unrolled: 1-line block ×3, first 2 shown]
	ds_load_b32 v22, v10 offset:28
	s_wait_dscnt 0x3
	v_add_nc_u32_e32 v7, v16, v7
	s_delay_alu instid0(VALU_DEP_1) | instskip(SKIP_1) | instid1(VALU_DEP_1)
	v_add_nc_u32_e32 v16, v17, v7
	s_wait_dscnt 0x2
	v_add_nc_u32_e32 v17, v18, v16
	s_delay_alu instid0(VALU_DEP_1) | instskip(SKIP_1) | instid1(VALU_DEP_1)
	v_add_nc_u32_e32 v18, v19, v17
	;; [unrolled: 4-line block ×3, first 2 shown]
	s_wait_dscnt 0x0
	v_add_nc_u32_e32 v21, v22, v20
	ds_store_2addr_b32 v10, v7, v16 offset0:1 offset1:2
	ds_store_2addr_b32 v10, v17, v18 offset0:3 offset1:4
	;; [unrolled: 1-line block ×3, first 2 shown]
	ds_store_b32 v10, v21 offset:28
.LBB206_33:                             ;   in Loop: Header=BB206_29 Depth=1
	s_or_b32 exec_lo, exec_lo, s21
	v_mov_b32_e32 v7, 0
	s_wait_dscnt 0x0
	s_barrier_signal -1
	s_barrier_wait -1
	s_and_saveexec_b32 s21, s2
; %bb.34:                               ;   in Loop: Header=BB206_29 Depth=1
	ds_load_b32 v7, v9
; %bb.35:                               ;   in Loop: Header=BB206_29 Depth=1
	s_or_b32 exec_lo, exec_lo, s21
	ds_load_b32 v16, v1 offset:1048
	s_mov_b32 s21, exec_lo
	s_wait_dscnt 0x0
	s_barrier_signal -1
	s_barrier_wait -1
	v_cmpx_ne_u32_e32 0, v3
	s_cbranch_execz .LBB206_37
; %bb.36:                               ;   in Loop: Header=BB206_29 Depth=1
	v_dual_mov_b32 v19, v1 :: v_dual_add_nc_u32 v18, v7, v4
	s_delay_alu instid0(VALU_DEP_1) | instskip(SKIP_1) | instid1(VALU_DEP_2)
	v_mul_u64_e32 v[20:21], s[12:13], v[18:19]
	v_mul_u64_e32 v[18:19], s[14:15], v[18:19]
	v_lshl_add_u64 v[20:21], v[20:21], 1, s[16:17]
	s_delay_alu instid0(VALU_DEP_2)
	v_lshl_add_u64 v[18:19], v[18:19], 3, s[18:19]
	global_store_b16 v[20:21], v15, off
	global_store_b64 v[18:19], v[0:1], off
.LBB206_37:                             ;   in Loop: Header=BB206_29 Depth=1
	s_wait_xcnt 0x0
	s_or_b32 exec_lo, exec_lo, s21
	v_mov_b32_e32 v3, v1
	s_delay_alu instid0(VALU_DEP_1)
	v_cmp_le_u64_e32 vcc_lo, s[6:7], v[2:3]
	s_cbranch_vccnz .LBB206_28
; %bb.38:                               ;   in Loop: Header=BB206_29 Depth=1
	ds_store_b32 v5, v6
	s_wait_storecnt_dscnt 0x0
	s_barrier_signal -1
	s_barrier_wait -1
	s_and_saveexec_b32 s21, s0
	s_cbranch_execz .LBB206_40
; %bb.39:                               ;   in Loop: Header=BB206_29 Depth=1
	ds_load_2addr_b32 v[18:19], v10 offset1:1
	ds_load_2addr_b32 v[20:21], v10 offset0:2 offset1:3
	ds_load_2addr_b32 v[22:23], v10 offset0:4 offset1:5
	;; [unrolled: 1-line block ×3, first 2 shown]
	v_cmp_ne_u32_e32 vcc_lo, 0, v11
	; wave barrier
	s_wait_dscnt 0x3
	v_add_nc_u32_e32 v3, v19, v18
	s_wait_dscnt 0x2
	s_delay_alu instid0(VALU_DEP_1) | instskip(SKIP_1) | instid1(VALU_DEP_1)
	v_add3_u32 v3, v3, v20, v21
	s_wait_dscnt 0x1
	v_add3_u32 v3, v3, v22, v23
	s_wait_dscnt 0x0
	s_delay_alu instid0(VALU_DEP_1) | instskip(NEXT) | instid1(VALU_DEP_1)
	v_add3_u32 v3, v3, v24, v25
	v_mov_b32_dpp v7, v3 row_shr:1 row_mask:0xf bank_mask:0xf
	s_delay_alu instid0(VALU_DEP_1) | instskip(SKIP_1) | instid1(VALU_DEP_2)
	v_cndmask_b32_e32 v7, 0, v7, vcc_lo
	v_cmp_lt_u32_e32 vcc_lo, 1, v11
	v_add_nc_u32_e32 v3, v7, v3
	s_delay_alu instid0(VALU_DEP_1) | instskip(NEXT) | instid1(VALU_DEP_1)
	v_mov_b32_dpp v7, v3 row_shr:2 row_mask:0xf bank_mask:0xf
	v_cndmask_b32_e32 v7, 0, v7, vcc_lo
	v_cmp_lt_u32_e32 vcc_lo, 3, v11
	s_delay_alu instid0(VALU_DEP_2) | instskip(NEXT) | instid1(VALU_DEP_1)
	v_add_nc_u32_e32 v3, v3, v7
	v_mov_b32_dpp v7, v3 row_shr:4 row_mask:0xf bank_mask:0xf
	s_delay_alu instid0(VALU_DEP_1) | instskip(SKIP_1) | instid1(VALU_DEP_2)
	v_cndmask_b32_e32 v7, 0, v7, vcc_lo
	v_cmp_lt_u32_e32 vcc_lo, 7, v11
	v_add_nc_u32_e32 v3, v3, v7
	s_delay_alu instid0(VALU_DEP_1) | instskip(NEXT) | instid1(VALU_DEP_1)
	v_mov_b32_dpp v7, v3 row_shr:8 row_mask:0xf bank_mask:0xf
	v_cndmask_b32_e32 v7, 0, v7, vcc_lo
	v_cmp_gt_i32_e32 vcc_lo, 0, v13
	s_delay_alu instid0(VALU_DEP_2) | instskip(SKIP_3) | instid1(VALU_DEP_1)
	v_dual_add_nc_u32 v3, v3, v7 :: v_dual_cndmask_b32 v17, v13, v8, vcc_lo
	ds_swizzle_b32 v7, v3 offset:swizzle(BROADCAST,32,15)
	s_wait_dscnt 0x0
	v_dual_lshlrev_b32 v17, 2, v17 :: v_dual_bitop2_b32 v7, v12, v7 bitop3:0x40
	v_add_nc_u32_e32 v3, v3, v7
	ds_bpermute_b32 v3, v17, v3
	s_wait_dscnt 0x0
	v_add_nc_u32_e32 v3, v3, v18
	s_delay_alu instid0(VALU_DEP_1)
	v_cndmask_b32_e64 v3, v3, v6, s3
	ds_store_b32 v10, v3
	; wave barrier
	ds_load_2addr_b32 v[18:19], v10 offset0:1 offset1:2
	ds_load_2addr_b32 v[20:21], v10 offset0:3 offset1:4
	;; [unrolled: 1-line block ×3, first 2 shown]
	ds_load_b32 v7, v10 offset:28
	s_wait_dscnt 0x3
	v_add_nc_u32_e32 v3, v18, v3
	s_delay_alu instid0(VALU_DEP_1) | instskip(SKIP_1) | instid1(VALU_DEP_1)
	v_add_nc_u32_e32 v17, v19, v3
	s_wait_dscnt 0x2
	v_add_nc_u32_e32 v18, v20, v17
	s_delay_alu instid0(VALU_DEP_1) | instskip(SKIP_1) | instid1(VALU_DEP_1)
	v_add_nc_u32_e32 v19, v21, v18
	;; [unrolled: 4-line block ×3, first 2 shown]
	s_wait_dscnt 0x0
	v_add_nc_u32_e32 v7, v7, v21
	ds_store_2addr_b32 v10, v3, v17 offset0:1 offset1:2
	ds_store_2addr_b32 v10, v18, v19 offset0:3 offset1:4
	;; [unrolled: 1-line block ×3, first 2 shown]
	ds_store_b32 v10, v7 offset:28
.LBB206_40:                             ;   in Loop: Header=BB206_29 Depth=1
	s_or_b32 exec_lo, exec_lo, s21
	v_mov_b32_e32 v7, 0
	s_wait_dscnt 0x0
	s_barrier_signal -1
	s_barrier_wait -1
	s_and_saveexec_b32 s21, s2
; %bb.41:                               ;   in Loop: Header=BB206_29 Depth=1
	ds_load_b32 v7, v9
; %bb.42:                               ;   in Loop: Header=BB206_29 Depth=1
	s_or_b32 exec_lo, exec_lo, s21
	ds_load_b32 v3, v1 offset:1048
	s_mov_b32 s21, exec_lo
	s_wait_dscnt 0x0
	s_barrier_signal -1
	s_barrier_wait -1
	v_cmpx_ne_u32_e32 0, v6
	s_cbranch_execz .LBB206_27
; %bb.43:                               ;   in Loop: Header=BB206_29 Depth=1
	v_dual_mov_b32 v7, v1 :: v_dual_add_nc_u32 v6, v7, v2
	s_delay_alu instid0(VALU_DEP_1)
	v_cmp_gt_u64_e32 vcc_lo, s[6:7], v[6:7]
	s_and_b32 exec_lo, exec_lo, vcc_lo
	s_cbranch_execz .LBB206_27
; %bb.44:                               ;   in Loop: Header=BB206_29 Depth=1
	v_mul_u64_e32 v[18:19], s[12:13], v[6:7]
	v_mul_u64_e32 v[6:7], s[14:15], v[6:7]
	s_delay_alu instid0(VALU_DEP_2) | instskip(NEXT) | instid1(VALU_DEP_2)
	v_lshl_add_u64 v[18:19], v[18:19], 1, s[16:17]
	v_lshl_add_u64 v[6:7], v[6:7], 3, s[18:19]
	global_store_b16 v[18:19], v15, off
	global_store_b64 v[6:7], v[0:1], off
	s_branch .LBB206_27
.LBB206_45:                             ;   in Loop: Header=BB206_46 Depth=1
	s_add_co_i32 s14, s14, 1
	s_wait_kmcnt 0x0
	s_add_co_i32 s17, s15, s17
	s_add_nc_u64 s[10:11], s[10:11], 4
	s_cmp_lt_u32 s14, s29
	s_add_nc_u64 s[12:13], s[12:13], 4
	s_cbranch_scc0 .LBB206_24
.LBB206_46:                             ; =>This Inner Loop Header: Depth=1
	s_load_b32 s15, s[10:11], 0x0
	s_cmp_ge_u32 s14, s48
	s_cbranch_scc1 .LBB206_45
; %bb.47:                               ;   in Loop: Header=BB206_46 Depth=1
	s_load_b32 s16, s[12:13], 0x0
	s_wait_kmcnt 0x0
	s_add_co_i32 s9, s15, s9
	s_add_co_i32 s8, s16, s8
	s_branch .LBB206_45
.LBB206_48:
	s_endpgm
	.section	.rodata,"a",@progbits
	.p2align	6, 0x0
	.amdhsa_kernel _ZN2at6native6mbtopk10gatherTopKIN3c104HalfEmLi2EEEvNS_4cuda6detail10TensorInfoIKT_T0_EESA_SA_bjSA_NS7_IS8_SA_EESA_NS7_IlSA_EESA_jjPS8_PjSF_j
		.amdhsa_group_segment_fixed_size 1068
		.amdhsa_private_segment_fixed_size 0
		.amdhsa_kernarg_size 1592
		.amdhsa_user_sgpr_count 2
		.amdhsa_user_sgpr_dispatch_ptr 0
		.amdhsa_user_sgpr_queue_ptr 0
		.amdhsa_user_sgpr_kernarg_segment_ptr 1
		.amdhsa_user_sgpr_dispatch_id 0
		.amdhsa_user_sgpr_kernarg_preload_length 0
		.amdhsa_user_sgpr_kernarg_preload_offset 0
		.amdhsa_user_sgpr_private_segment_size 0
		.amdhsa_wavefront_size32 1
		.amdhsa_uses_dynamic_stack 0
		.amdhsa_enable_private_segment 0
		.amdhsa_system_sgpr_workgroup_id_x 1
		.amdhsa_system_sgpr_workgroup_id_y 1
		.amdhsa_system_sgpr_workgroup_id_z 1
		.amdhsa_system_sgpr_workgroup_info 0
		.amdhsa_system_vgpr_workitem_id 0
		.amdhsa_next_free_vgpr 26
		.amdhsa_next_free_sgpr 50
		.amdhsa_named_barrier_count 0
		.amdhsa_reserve_vcc 1
		.amdhsa_float_round_mode_32 0
		.amdhsa_float_round_mode_16_64 0
		.amdhsa_float_denorm_mode_32 3
		.amdhsa_float_denorm_mode_16_64 3
		.amdhsa_fp16_overflow 0
		.amdhsa_memory_ordered 1
		.amdhsa_forward_progress 1
		.amdhsa_inst_pref_size 25
		.amdhsa_round_robin_scheduling 0
		.amdhsa_exception_fp_ieee_invalid_op 0
		.amdhsa_exception_fp_denorm_src 0
		.amdhsa_exception_fp_ieee_div_zero 0
		.amdhsa_exception_fp_ieee_overflow 0
		.amdhsa_exception_fp_ieee_underflow 0
		.amdhsa_exception_fp_ieee_inexact 0
		.amdhsa_exception_int_div_zero 0
	.end_amdhsa_kernel
	.section	.text._ZN2at6native6mbtopk10gatherTopKIN3c104HalfEmLi2EEEvNS_4cuda6detail10TensorInfoIKT_T0_EESA_SA_bjSA_NS7_IS8_SA_EESA_NS7_IlSA_EESA_jjPS8_PjSF_j,"axG",@progbits,_ZN2at6native6mbtopk10gatherTopKIN3c104HalfEmLi2EEEvNS_4cuda6detail10TensorInfoIKT_T0_EESA_SA_bjSA_NS7_IS8_SA_EESA_NS7_IlSA_EESA_jjPS8_PjSF_j,comdat
.Lfunc_end206:
	.size	_ZN2at6native6mbtopk10gatherTopKIN3c104HalfEmLi2EEEvNS_4cuda6detail10TensorInfoIKT_T0_EESA_SA_bjSA_NS7_IS8_SA_EESA_NS7_IlSA_EESA_jjPS8_PjSF_j, .Lfunc_end206-_ZN2at6native6mbtopk10gatherTopKIN3c104HalfEmLi2EEEvNS_4cuda6detail10TensorInfoIKT_T0_EESA_SA_bjSA_NS7_IS8_SA_EESA_NS7_IlSA_EESA_jjPS8_PjSF_j
                                        ; -- End function
	.set _ZN2at6native6mbtopk10gatherTopKIN3c104HalfEmLi2EEEvNS_4cuda6detail10TensorInfoIKT_T0_EESA_SA_bjSA_NS7_IS8_SA_EESA_NS7_IlSA_EESA_jjPS8_PjSF_j.num_vgpr, 26
	.set _ZN2at6native6mbtopk10gatherTopKIN3c104HalfEmLi2EEEvNS_4cuda6detail10TensorInfoIKT_T0_EESA_SA_bjSA_NS7_IS8_SA_EESA_NS7_IlSA_EESA_jjPS8_PjSF_j.num_agpr, 0
	.set _ZN2at6native6mbtopk10gatherTopKIN3c104HalfEmLi2EEEvNS_4cuda6detail10TensorInfoIKT_T0_EESA_SA_bjSA_NS7_IS8_SA_EESA_NS7_IlSA_EESA_jjPS8_PjSF_j.numbered_sgpr, 50
	.set _ZN2at6native6mbtopk10gatherTopKIN3c104HalfEmLi2EEEvNS_4cuda6detail10TensorInfoIKT_T0_EESA_SA_bjSA_NS7_IS8_SA_EESA_NS7_IlSA_EESA_jjPS8_PjSF_j.num_named_barrier, 0
	.set _ZN2at6native6mbtopk10gatherTopKIN3c104HalfEmLi2EEEvNS_4cuda6detail10TensorInfoIKT_T0_EESA_SA_bjSA_NS7_IS8_SA_EESA_NS7_IlSA_EESA_jjPS8_PjSF_j.private_seg_size, 0
	.set _ZN2at6native6mbtopk10gatherTopKIN3c104HalfEmLi2EEEvNS_4cuda6detail10TensorInfoIKT_T0_EESA_SA_bjSA_NS7_IS8_SA_EESA_NS7_IlSA_EESA_jjPS8_PjSF_j.uses_vcc, 1
	.set _ZN2at6native6mbtopk10gatherTopKIN3c104HalfEmLi2EEEvNS_4cuda6detail10TensorInfoIKT_T0_EESA_SA_bjSA_NS7_IS8_SA_EESA_NS7_IlSA_EESA_jjPS8_PjSF_j.uses_flat_scratch, 0
	.set _ZN2at6native6mbtopk10gatherTopKIN3c104HalfEmLi2EEEvNS_4cuda6detail10TensorInfoIKT_T0_EESA_SA_bjSA_NS7_IS8_SA_EESA_NS7_IlSA_EESA_jjPS8_PjSF_j.has_dyn_sized_stack, 0
	.set _ZN2at6native6mbtopk10gatherTopKIN3c104HalfEmLi2EEEvNS_4cuda6detail10TensorInfoIKT_T0_EESA_SA_bjSA_NS7_IS8_SA_EESA_NS7_IlSA_EESA_jjPS8_PjSF_j.has_recursion, 0
	.set _ZN2at6native6mbtopk10gatherTopKIN3c104HalfEmLi2EEEvNS_4cuda6detail10TensorInfoIKT_T0_EESA_SA_bjSA_NS7_IS8_SA_EESA_NS7_IlSA_EESA_jjPS8_PjSF_j.has_indirect_call, 0
	.section	.AMDGPU.csdata,"",@progbits
; Kernel info:
; codeLenInByte = 3104
; TotalNumSgprs: 52
; NumVgprs: 26
; ScratchSize: 0
; MemoryBound: 0
; FloatMode: 240
; IeeeMode: 1
; LDSByteSize: 1068 bytes/workgroup (compile time only)
; SGPRBlocks: 0
; VGPRBlocks: 1
; NumSGPRsForWavesPerEU: 52
; NumVGPRsForWavesPerEU: 26
; NamedBarCnt: 0
; Occupancy: 16
; WaveLimiterHint : 1
; COMPUTE_PGM_RSRC2:SCRATCH_EN: 0
; COMPUTE_PGM_RSRC2:USER_SGPR: 2
; COMPUTE_PGM_RSRC2:TRAP_HANDLER: 0
; COMPUTE_PGM_RSRC2:TGID_X_EN: 1
; COMPUTE_PGM_RSRC2:TGID_Y_EN: 1
; COMPUTE_PGM_RSRC2:TGID_Z_EN: 1
; COMPUTE_PGM_RSRC2:TIDIG_COMP_CNT: 0
	.section	.text._ZN2at6native6sbtopk10gatherTopKIN3c104HalfEmLi2ELb0EEEvNS_4cuda6detail10TensorInfoIKT_T0_EESA_SA_bSA_SA_NS7_IS8_SA_EESA_NS7_IlSA_EESA_PS8_,"axG",@progbits,_ZN2at6native6sbtopk10gatherTopKIN3c104HalfEmLi2ELb0EEEvNS_4cuda6detail10TensorInfoIKT_T0_EESA_SA_bSA_SA_NS7_IS8_SA_EESA_NS7_IlSA_EESA_PS8_,comdat
	.protected	_ZN2at6native6sbtopk10gatherTopKIN3c104HalfEmLi2ELb0EEEvNS_4cuda6detail10TensorInfoIKT_T0_EESA_SA_bSA_SA_NS7_IS8_SA_EESA_NS7_IlSA_EESA_PS8_ ; -- Begin function _ZN2at6native6sbtopk10gatherTopKIN3c104HalfEmLi2ELb0EEEvNS_4cuda6detail10TensorInfoIKT_T0_EESA_SA_bSA_SA_NS7_IS8_SA_EESA_NS7_IlSA_EESA_PS8_
	.globl	_ZN2at6native6sbtopk10gatherTopKIN3c104HalfEmLi2ELb0EEEvNS_4cuda6detail10TensorInfoIKT_T0_EESA_SA_bSA_SA_NS7_IS8_SA_EESA_NS7_IlSA_EESA_PS8_
	.p2align	8
	.type	_ZN2at6native6sbtopk10gatherTopKIN3c104HalfEmLi2ELb0EEEvNS_4cuda6detail10TensorInfoIKT_T0_EESA_SA_bSA_SA_NS7_IS8_SA_EESA_NS7_IlSA_EESA_PS8_,@function
_ZN2at6native6sbtopk10gatherTopKIN3c104HalfEmLi2ELb0EEEvNS_4cuda6detail10TensorInfoIKT_T0_EESA_SA_bSA_SA_NS7_IS8_SA_EESA_NS7_IlSA_EESA_PS8_: ; @_ZN2at6native6sbtopk10gatherTopKIN3c104HalfEmLi2ELb0EEEvNS_4cuda6detail10TensorInfoIKT_T0_EESA_SA_bSA_SA_NS7_IS8_SA_EESA_NS7_IlSA_EESA_PS8_
; %bb.0:
	s_clause 0x1
	s_load_b128 s[24:27], s[0:1], 0x1b8
	s_load_b64 s[12:13], s[0:1], 0x520
	s_bfe_u32 s2, ttmp6, 0x40010
	s_and_b32 s3, ttmp7, 0xffff
	s_add_co_i32 s2, s2, 1
	s_bfe_u32 s5, ttmp6, 0x4000c
	s_mul_i32 s2, s3, s2
	s_bfe_u32 s4, ttmp6, 0x40004
	s_add_co_i32 s5, s5, 1
	s_bfe_u32 s6, ttmp6, 0x40014
	s_add_co_i32 s4, s4, s2
	s_and_b32 s2, ttmp6, 15
	s_mul_i32 s5, ttmp9, s5
	s_lshr_b32 s7, ttmp7, 16
	s_add_co_i32 s6, s6, 1
	s_add_co_i32 s2, s2, s5
	s_mul_i32 s5, s7, s6
	s_bfe_u32 s6, ttmp6, 0x40008
	s_getreg_b32 s8, hwreg(HW_REG_IB_STS2, 6, 4)
	s_add_co_i32 s6, s6, s5
	s_cmp_eq_u32 s8, 0
	s_mov_b32 s45, 0
	s_cselect_b32 s5, s7, s6
	s_cselect_b32 s3, s3, s4
	s_wait_kmcnt 0x0
	s_mul_i32 s5, s13, s5
	s_cselect_b32 s13, ttmp9, s2
	s_add_co_i32 s2, s5, s3
	s_delay_alu instid0(SALU_CYCLE_1) | instskip(NEXT) | instid1(SALU_CYCLE_1)
	s_mul_i32 s2, s2, s12
	s_add_co_i32 s44, s2, s13
	s_delay_alu instid0(SALU_CYCLE_1)
	v_cmp_le_u64_e64 s2, s[24:25], s[44:45]
	s_and_b32 vcc_lo, exec_lo, s2
	s_cbranch_vccnz .LBB207_494
; %bb.1:
	s_clause 0x1
	s_load_b64 s[2:3], s[0:1], 0x10
	s_load_b64 s[50:51], s[0:1], 0x1d8
	s_mov_b64 s[52:53], 0
	s_mov_b64 s[6:7], 0
	s_wait_kmcnt 0x0
	v_cmp_lt_u64_e64 s4, s[44:45], s[2:3]
	s_and_b32 vcc_lo, exec_lo, s4
	s_cbranch_vccnz .LBB207_3
; %bb.2:
	v_cvt_f32_u32_e32 v1, s2
	s_sub_co_i32 s5, 0, s2
	s_delay_alu instid0(VALU_DEP_1) | instskip(SKIP_1) | instid1(TRANS32_DEP_1)
	v_rcp_iflag_f32_e32 v1, v1
	v_nop
	v_mul_f32_e32 v1, 0x4f7ffffe, v1
	s_delay_alu instid0(VALU_DEP_1) | instskip(NEXT) | instid1(VALU_DEP_1)
	v_cvt_u32_f32_e32 v1, v1
	v_readfirstlane_b32 s4, v1
	s_mul_i32 s5, s5, s4
	s_delay_alu instid0(SALU_CYCLE_1) | instskip(NEXT) | instid1(SALU_CYCLE_1)
	s_mul_hi_u32 s5, s4, s5
	s_add_co_i32 s4, s4, s5
	s_delay_alu instid0(SALU_CYCLE_1) | instskip(NEXT) | instid1(SALU_CYCLE_1)
	s_mul_hi_u32 s4, s44, s4
	s_mul_i32 s5, s4, s2
	s_add_co_i32 s6, s4, 1
	s_sub_co_i32 s5, s44, s5
	s_delay_alu instid0(SALU_CYCLE_1)
	s_sub_co_i32 s7, s5, s2
	s_cmp_ge_u32 s5, s2
	s_cselect_b32 s4, s6, s4
	s_cselect_b32 s5, s7, s5
	s_add_co_i32 s6, s4, 1
	s_cmp_ge_u32 s5, s2
	s_mov_b32 s7, 0
	s_cselect_b32 s6, s6, s4
.LBB207_3:
	s_load_b64 s[10:11], s[0:1], 0x380
	v_cmp_lt_u64_e64 s4, s[44:45], s[50:51]
	s_and_b32 vcc_lo, exec_lo, s4
	s_cbranch_vccnz .LBB207_5
; %bb.4:
	v_cvt_f32_u32_e32 v1, s50
	s_sub_co_i32 s5, 0, s50
	s_mov_b32 s53, 0
	s_delay_alu instid0(VALU_DEP_1) | instskip(SKIP_1) | instid1(TRANS32_DEP_1)
	v_rcp_iflag_f32_e32 v1, v1
	v_nop
	v_mul_f32_e32 v1, 0x4f7ffffe, v1
	s_delay_alu instid0(VALU_DEP_1) | instskip(NEXT) | instid1(VALU_DEP_1)
	v_cvt_u32_f32_e32 v1, v1
	v_readfirstlane_b32 s4, v1
	s_mul_i32 s5, s5, s4
	s_delay_alu instid0(SALU_CYCLE_1) | instskip(NEXT) | instid1(SALU_CYCLE_1)
	s_mul_hi_u32 s5, s4, s5
	s_add_co_i32 s4, s4, s5
	s_delay_alu instid0(SALU_CYCLE_1) | instskip(NEXT) | instid1(SALU_CYCLE_1)
	s_mul_hi_u32 s4, s44, s4
	s_mul_i32 s5, s4, s50
	s_add_co_i32 s8, s4, 1
	s_sub_co_i32 s5, s44, s5
	s_delay_alu instid0(SALU_CYCLE_1)
	s_sub_co_i32 s9, s5, s50
	s_cmp_ge_u32 s5, s50
	s_cselect_b32 s4, s8, s4
	s_cselect_b32 s5, s9, s5
	s_add_co_i32 s8, s4, 1
	s_cmp_ge_u32 s5, s50
	s_cselect_b32 s52, s8, s4
.LBB207_5:
	s_wait_kmcnt 0x0
	v_cmp_lt_u64_e64 s4, s[44:45], s[10:11]
                                        ; implicit-def: $vgpr46 : SGPR spill to VGPR lane
	s_and_b32 vcc_lo, exec_lo, s4
	s_mov_b64 s[4:5], 0
	s_delay_alu instid0(SALU_CYCLE_1)
	v_writelane_b32 v46, s4, 0
	v_writelane_b32 v46, s5, 1
	s_cbranch_vccnz .LBB207_7
; %bb.6:
	v_cvt_f32_u32_e32 v1, s10
	s_sub_co_i32 s5, 0, s10
	s_delay_alu instid0(VALU_DEP_1) | instskip(SKIP_1) | instid1(TRANS32_DEP_1)
	v_rcp_iflag_f32_e32 v1, v1
	v_nop
	v_mul_f32_e32 v1, 0x4f7ffffe, v1
	s_delay_alu instid0(VALU_DEP_1) | instskip(NEXT) | instid1(VALU_DEP_1)
	v_cvt_u32_f32_e32 v1, v1
	v_readfirstlane_b32 s4, v1
	s_mul_i32 s5, s5, s4
	s_delay_alu instid0(SALU_CYCLE_1) | instskip(NEXT) | instid1(SALU_CYCLE_1)
	s_mul_hi_u32 s5, s4, s5
	s_add_co_i32 s4, s4, s5
	s_delay_alu instid0(SALU_CYCLE_1) | instskip(NEXT) | instid1(SALU_CYCLE_1)
	s_mul_hi_u32 s4, s44, s4
	s_mul_i32 s5, s4, s10
	s_add_co_i32 s8, s4, 1
	s_sub_co_i32 s5, s44, s5
	s_delay_alu instid0(SALU_CYCLE_1)
	s_sub_co_i32 s9, s5, s10
	s_cmp_ge_u32 s5, s10
	s_cselect_b32 s4, s8, s4
	s_cselect_b32 s5, s9, s5
	s_add_co_i32 s8, s4, 1
	s_cmp_ge_u32 s5, s10
	s_mov_b32 s5, 0
	s_cselect_b32 s4, s8, s4
	s_delay_alu instid0(SALU_CYCLE_1)
	v_writelane_b32 v46, s4, 0
	v_writelane_b32 v46, s5, 1
.LBB207_7:
	v_writelane_b32 v46, s10, 2
	v_cmp_eq_u32_e64 s5, 0, v0
	s_add_nc_u64 s[14:15], s[0:1], 0x520
	s_mov_b32 s23, 0
	v_writelane_b32 v46, s11, 3
	s_clause 0x2
	s_load_b128 s[8:11], s[0:1], 0xd0
	s_load_b64 s[16:17], s[0:1], 0x0
	s_load_b128 s[28:31], s[0:1], 0x1a0
	s_and_saveexec_b32 s4, s5
	s_cbranch_execz .LBB207_9
; %bb.8:
	s_wait_kmcnt 0x0
	v_dual_mov_b32 v2, 0 :: v_dual_mov_b32 v4, s28
	s_delay_alu instid0(VALU_DEP_1)
	v_dual_mov_b32 v5, s29 :: v_dual_mov_b32 v3, v2
	ds_store_b32 v2, v2 offset:5144
	ds_store_b128 v2, v[2:5] offset:5120
.LBB207_9:
	s_or_b32 exec_lo, exec_lo, s4
	s_clause 0x1
	s_load_b128 s[36:39], s[0:1], 0x440
	s_load_b64 s[18:19], s[0:1], 0x370
	v_dual_mov_b32 v3, 0 :: v_dual_add_nc_u32 v2, 2, v0
	s_mul_u64 s[2:3], s[6:7], s[2:3]
	v_lshlrev_b32_e32 v16, 2, v0
	s_wait_kmcnt 0x0
	s_mul_u64 s[8:9], s[6:7], s[8:9]
	v_mov_b32_e32 v1, v3
	v_max_u64 v[6:7], s[28:29], v[2:3]
	s_clause 0x1
	s_load_b64 s[6:7], s[0:1], 0x1c8
	s_load_b32 s4, s[0:1], 0x1b0
	s_wait_dscnt 0x0
	v_mul_u64_e32 v[4:5], s[26:27], v[0:1]
	s_barrier_signal -1
	s_barrier_wait -1
	v_mbcnt_lo_u32_b32 v13, -1, 0
	s_sub_nc_u64 s[2:3], s[44:45], s[2:3]
	s_lshl_b64 s[8:9], s[8:9], 1
	s_mul_u64 s[10:11], s[2:3], s[10:11]
	v_writelane_b32 v46, s36, 4
	v_dual_mov_b32 v9, -1 :: v_dual_lshlrev_b32 v28, 1, v0
	v_not_b32_e32 v8, v0
	v_cmp_gt_u32_e32 vcc_lo, 32, v0
	v_writelane_b32 v46, s37, 5
	s_add_nc_u64 s[8:9], s[16:17], s[8:9]
	s_lshl_b64 s[10:11], s[10:11], 1
	v_lshlrev_b64_e64 v[10:11], v13, -1
	s_add_nc_u64 s[24:25], s[8:9], s[10:11]
	v_writelane_b32 v46, s38, 6
	s_wait_kmcnt 0x0
	s_bitcmp1_b32 s4, 0
	v_cmp_lt_u64_e64 s33, 0x600, s[28:29]
	s_cselect_b32 s4, -1, 0
	v_cmp_gt_u64_e64 s3, s[28:29], v[0:1]
	v_writelane_b32 v46, s39, 7
	s_load_b128 s[36:39], s[0:1], 0x298
	s_xor_b32 s87, s4, -1
	v_mov_b64_e32 v[22:23], s[30:31]
	s_mov_b32 s35, s23
	v_writelane_b32 v46, s18, 8
	v_cmp_eq_u32_e64 s2, 0, v13
	v_dual_mov_b32 v36, 0 :: v_dual_add_nc_u32 v29, 0xc00, v28
	v_lshl_add_u64 v[14:15], v[4:5], 1, s[24:25]
	v_writelane_b32 v46, s19, 9
	s_load_b32 s18, s[14:15], 0xc
	v_add_nc_u64_e32 v[4:5], v[6:7], v[8:9]
	v_dual_mov_b32 v17, v3 :: v_dual_lshlrev_b32 v32, 3, v0
	v_not_b32_e32 v12, v10
	v_lshl_or_b32 v33, v13, 3, 0xc00
	v_dual_mov_b32 v34, 0x8000 :: v_dual_mov_b32 v31, 0
	v_dual_mov_b32 v19, v5 :: v_dual_bitop2_b32 v18, -4, v4 bitop3:0x40
	s_wait_kmcnt 0x0
	v_writelane_b32 v46, s36, 10
	v_mov_b32_e32 v35, 0
	s_mov_b32 s62, s26
	s_mov_b32 s63, s27
	v_add_nc_u64_e32 v[20:21], v[18:19], v[0:1]
	v_writelane_b32 v46, s37, 11
	s_mov_b32 s64, s26
	s_mov_b32 s65, s27
	;; [unrolled: 1-line block ×4, first 2 shown]
	v_writelane_b32 v46, s38, 12
	s_and_b32 s34, s18, 0xffff
	s_bfe_u32 s8, s18, 0xb0005
	s_add_nc_u64 s[58:59], s[34:35], -1
	s_mov_b32 s96, 14
	v_writelane_b32 v46, s39, 13
	s_add_nc_u64 s[60:61], s[58:59], s[28:29]
	s_mov_b32 s94, 0x4f800000
	s_movk_i32 s95, 0x3c00
	s_mov_b32 s97, 0
	v_writelane_b32 v46, s6, 14
	s_mov_b32 s99, 0
                                        ; implicit-def: $sgpr98
                                        ; implicit-def: $sgpr102
                                        ; implicit-def: $sgpr101
                                        ; implicit-def: $sgpr103
                                        ; implicit-def: $sgpr100
                                        ; implicit-def: $sgpr55
                                        ; implicit-def: $sgpr56
                                        ; implicit-def: $sgpr104
                                        ; implicit-def: $sgpr54
                                        ; implicit-def: $vcc_hi
	v_writelane_b32 v46, s7, 15
	v_cmp_gt_i32_e64 s7, 4, v13
	v_cmp_gt_u32_e64 s6, 2, v0
	s_and_b32 s86, vcc_lo, s7
	s_cmp_gt_u32 s34, 31
	s_movk_i32 s7, 0x3e0
	s_cselect_b32 s88, -1, 0
	s_cmp_lt_u32 s13, s12
	v_and_or_b32 v30, v0, s7, 0xc00
	s_cselect_b32 s22, 12, 18
	s_add_co_i32 s9, s8, -1
	s_bfe_u32 s89, s34, 0x30005
	s_and_b32 s9, s9, 0xffff
	v_cmp_lt_u64_e64 s7, 3, v[4:5]
	s_cmp_gt_u32 s9, 6
	s_add_nc_u64 s[70:71], s[14:15], s[22:23]
	s_cselect_b32 s90, -1, 0
	s_and_b32 s91, s8, 0x7f8
	v_cmp_ne_u64_e64 s8, v[4:5], v[18:19]
	s_cmp_lg_u32 s89, 0
	s_cselect_b32 s92, -1, 0
	s_lshl_b32 s93, s34, 1
	s_and_b64 s[68:69], s[28:29], 0xffffffff00000000
	v_writelane_b32 v46, s8, 16
	s_branch .LBB207_12
.LBB207_10:                             ;   in Loop: Header=BB207_12 Depth=1
	s_or_b32 exec_lo, exec_lo, s11
	v_mov_b64_e32 v[22:23], v[4:5]
	s_and_not1_b32 s11, vcc_hi, exec_lo
	s_and_b32 s8, s8, exec_lo
	s_and_not1_b32 s54, s54, exec_lo
	s_or_b32 vcc_hi, s11, s8
	s_and_not1_b32 s104, s104, exec_lo
	s_and_not1_b32 s56, s56, exec_lo
	;; [unrolled: 1-line block ×3, first 2 shown]
	s_or_not1_b32 s10, s10, exec_lo
.LBB207_11:                             ;   in Loop: Header=BB207_12 Depth=1
	s_or_b32 exec_lo, exec_lo, s9
	s_delay_alu instid0(SALU_CYCLE_1) | instskip(NEXT) | instid1(SALU_CYCLE_1)
	s_and_b32 s8, exec_lo, s10
	s_or_b32 s97, s8, s97
	s_and_not1_b32 s8, s100, exec_lo
	s_and_b32 s9, vcc_hi, exec_lo
	s_and_not1_b32 s10, s103, exec_lo
	s_or_b32 s100, s8, s9
	s_and_b32 s8, s54, exec_lo
	s_and_not1_b32 s9, s101, exec_lo
	s_and_b32 s11, s104, exec_lo
	s_or_b32 s103, s10, s8
	s_or_b32 s101, s9, s11
	s_and_not1_b32 s8, s102, exec_lo
	s_and_b32 s9, s56, exec_lo
	s_and_not1_b32 s10, s98, exec_lo
	s_and_b32 s11, s55, exec_lo
	s_or_b32 s102, s8, s9
	s_or_b32 s98, s10, s11
	s_and_not1_b32 exec_lo, exec_lo, s97
	s_cbranch_execz .LBB207_490
.LBB207_12:                             ; =>This Loop Header: Depth=1
                                        ;     Child Loop BB207_17 Depth 2
                                        ;     Child Loop BB207_31 Depth 2
	;; [unrolled: 1-line block ×25, first 2 shown]
	ds_load_b128 v[4:7], v3 offset:5120
	s_wait_dscnt 0x0
	v_readfirstlane_b32 s73, v5
	v_readfirstlane_b32 s72, v4
	s_cmp_lg_u64 s[72:73], 0
	s_cbranch_scc1 .LBB207_44
; %bb.13:                               ;   in Loop: Header=BB207_12 Depth=1
	s_and_b32 vcc_lo, exec_lo, s33
	s_cbranch_vccz .LBB207_25
; %bb.14:                               ;   in Loop: Header=BB207_12 Depth=1
	v_cmp_gt_u64_e32 vcc_lo, 0x601, v[6:7]
	s_mov_b32 s11, 0
	s_mov_b32 s9, 0
	s_cbranch_vccz .LBB207_26
; %bb.15:                               ;   in Loop: Header=BB207_12 Depth=1
	global_load_u16 v2, v3, s[70:71]
	global_load_u16 v6, v[14:15], off
	v_mov_b64_e32 v[4:5], v[0:1]
	s_mov_b32 s12, 0
	s_wait_loadcnt 0x1
	v_and_b32_e32 v2, 0xffff, v2
	s_branch .LBB207_17
.LBB207_16:                             ;   in Loop: Header=BB207_17 Depth=2
	s_or_b32 exec_lo, exec_lo, s8
	v_mov_b32_e32 v6, v7
	s_and_not1_b32 exec_lo, exec_lo, s12
	s_cbranch_execz .LBB207_99
.LBB207_17:                             ;   Parent Loop BB207_12 Depth=1
                                        ; =>  This Inner Loop Header: Depth=2
	s_delay_alu instid0(VALU_DEP_1) | instskip(SKIP_3) | instid1(VALU_DEP_2)
	v_add_nc_u64_e32 v[4:5], v[4:5], v[2:3]
	s_wait_dscnt 0x0
	v_dual_mov_b32 v8, 0 :: v_dual_mov_b32 v7, 0
	s_mov_b32 s8, exec_lo
	v_cmp_le_u64_e32 vcc_lo, s[28:29], v[4:5]
	s_wait_xcnt 0x0
	v_cmpx_gt_u64_e64 s[28:29], v[4:5]
	s_cbranch_execz .LBB207_19
; %bb.18:                               ;   in Loop: Header=BB207_17 Depth=2
	v_mul_u64_e32 v[10:11], s[26:27], v[4:5]
	s_delay_alu instid0(VALU_DEP_1)
	v_lshl_add_u64 v[10:11], v[10:11], 1, s[24:25]
	global_load_u16 v7, v[10:11], off
.LBB207_19:                             ;   in Loop: Header=BB207_17 Depth=2
	s_wait_xcnt 0x0
	s_or_b32 exec_lo, exec_lo, s8
	s_wait_loadcnt 0x0
	v_cmp_lt_i16_e64 s9, -1, v6
	v_and_b32_e32 v9, 0xffff, v6
	s_delay_alu instid0(VALU_DEP_2) | instskip(SKIP_1) | instid1(VALU_DEP_2)
	v_cndmask_b32_e64 v10, 0xffff, v34, s9
	v_cmp_o_f16_e64 s9, v6, v6
	v_xor_b32_e32 v9, v10, v9
	s_delay_alu instid0(VALU_DEP_1) | instskip(NEXT) | instid1(VALU_DEP_1)
	v_cndmask_b32_e64 v9, 0xffff, v9, s9
	v_and_b32_e32 v9, v9, v35
	s_delay_alu instid0(VALU_DEP_1) | instskip(SKIP_2) | instid1(SALU_CYCLE_1)
	v_cmp_eq_u32_e64 s9, v9, v31
	s_cmp_lg_u32 s9, 0
	s_cselect_b32 s8, -1, 0
	s_and_b32 s8, s2, s8
	s_delay_alu instid0(SALU_CYCLE_1)
	s_and_saveexec_b32 s13, s8
	s_cbranch_execz .LBB207_23
; %bb.20:                               ;   in Loop: Header=BB207_17 Depth=2
	s_mov_b32 s15, exec_lo
	s_bcnt1_i32_b32 s8, s9
	v_mbcnt_lo_u32_b32 v8, s15, 0
	s_mov_b32 s14, exec_lo
                                        ; implicit-def: $vgpr9
	s_delay_alu instid0(VALU_DEP_1)
	v_cmpx_eq_u32_e32 0, v8
; %bb.21:                               ;   in Loop: Header=BB207_17 Depth=2
	s_bcnt1_i32_b32 s10, s15
	s_delay_alu instid0(SALU_CYCLE_1) | instskip(NEXT) | instid1(SALU_CYCLE_1)
	s_mul_i32 s10, s8, s10
	v_mov_b32_e32 v9, s10
	ds_add_rtn_u32 v9, v3, v9 offset:5144
; %bb.22:                               ;   in Loop: Header=BB207_17 Depth=2
	s_or_b32 exec_lo, exec_lo, s14
	s_wait_dscnt 0x0
	v_readfirstlane_b32 s10, v9
	s_delay_alu instid0(VALU_DEP_1)
	v_mad_u32_u24 v8, s8, v8, s10
.LBB207_23:                             ;   in Loop: Header=BB207_17 Depth=2
	s_or_b32 exec_lo, exec_lo, s13
	ds_bpermute_b32 v8, v3, v8
	s_and_b32 s8, exec_lo, vcc_lo
	s_delay_alu instid0(SALU_CYCLE_1)
	s_or_b32 s12, s8, s12
	s_and_saveexec_b32 s8, s9
	s_cbranch_execz .LBB207_16
; %bb.24:                               ;   in Loop: Header=BB207_17 Depth=2
	v_and_b32_e32 v9, s9, v12
	s_delay_alu instid0(VALU_DEP_1) | instskip(NEXT) | instid1(VALU_DEP_1)
	v_bcnt_u32_b32 v9, v9, 0
	v_lshlrev_b32_e32 v9, 1, v9
	s_wait_dscnt 0x0
	s_delay_alu instid0(VALU_DEP_1)
	v_lshl_add_u32 v8, v8, 1, v9
	ds_store_b16 v8, v6
	s_branch .LBB207_16
.LBB207_25:                             ;   in Loop: Header=BB207_12 Depth=1
	s_mov_b32 s11, -1
	s_mov_b32 s9, 0
.LBB207_26:                             ;   in Loop: Header=BB207_12 Depth=1
	s_and_b32 vcc_lo, exec_lo, s11
	s_cbranch_vccz .LBB207_42
.LBB207_27:                             ;   in Loop: Header=BB207_12 Depth=1
	s_and_saveexec_b32 s9, s3
	s_cbranch_execz .LBB207_39
; %bb.28:                               ;   in Loop: Header=BB207_12 Depth=1
	global_load_u16 v4, v3, s[70:71]
	global_load_u16 v26, v[14:15], off
	s_mov_b32 s12, exec_lo
	v_mov_b32_e32 v8, v0
	s_wait_loadcnt 0x1
	v_and_b32_e32 v2, 0xffff, v4
	v_readfirstlane_b32 s8, v4
	s_delay_alu instid0(VALU_DEP_2) | instskip(SKIP_1) | instid1(VALU_DEP_1)
	v_add_nc_u32_e32 v2, v2, v0
	s_wait_xcnt 0x0
	v_cmpx_gt_u64_e64 s[28:29], v[2:3]
	s_cbranch_execz .LBB207_38
; %bb.29:                               ;   in Loop: Header=BB207_12 Depth=1
	s_and_b32 s22, s8, 0xffff
	v_mov_b64_e32 v[6:7], v[0:1]
	v_mov_b64_e32 v[4:5], v[2:3]
	s_cmp_eq_u32 s22, 1
                                        ; implicit-def: $vgpr8_vgpr9
	s_cselect_b32 s8, -1, 0
	s_delay_alu instid0(SALU_CYCLE_1)
	s_and_b32 s11, s7, s8
	s_mov_b32 s8, -1
	s_and_saveexec_b32 s10, s11
	s_cbranch_execz .LBB207_33
; %bb.30:                               ;   in Loop: Header=BB207_12 Depth=1
	v_add_nc_u64_e32 v[8:9], 3, v[2:3]
	v_add_nc_u64_e32 v[6:7], 2, v[2:3]
	;; [unrolled: 1-line block ×3, first 2 shown]
	v_mov_b64_e32 v[24:25], v[18:19]
	s_wait_loadcnt 0x0
	v_dual_lshlrev_b32 v37, 16, v26 :: v_dual_mov_b32 v27, v28
	s_mov_b32 s11, 0
	v_mov_b64_e32 v[10:11], v[8:9]
	v_mov_b64_e32 v[8:9], v[6:7]
	;; [unrolled: 1-line block ×4, first 2 shown]
.LBB207_31:                             ;   Parent Loop BB207_12 Depth=1
                                        ; =>  This Inner Loop Header: Depth=2
	s_delay_alu instid0(VALU_DEP_2) | instskip(NEXT) | instid1(VALU_DEP_4)
	v_mul_u64_e32 v[38:39], s[26:27], v[6:7]
	v_mul_u64_e32 v[40:41], s[64:65], v[8:9]
	s_delay_alu instid0(VALU_DEP_3)
	v_mul_u64_e32 v[42:43], s[62:63], v[4:5]
	v_mul_u64_e32 v[44:45], s[66:67], v[10:11]
	v_add_nc_u64_e32 v[24:25], -4, v[24:25]
	v_add_nc_u64_e32 v[10:11], 4, v[10:11]
	v_add_nc_u64_e32 v[8:9], 4, v[8:9]
	;; [unrolled: 1-line block ×4, first 2 shown]
	v_cmp_eq_u64_e32 vcc_lo, 0, v[24:25]
	s_or_b32 s11, vcc_lo, s11
	v_lshl_add_u64 v[38:39], v[38:39], 1, s[24:25]
	v_lshl_add_u64 v[40:41], v[40:41], 1, s[24:25]
	;; [unrolled: 1-line block ×4, first 2 shown]
	s_clause 0x3
	global_load_u16 v38, v[38:39], off
	global_load_u16 v40, v[40:41], off
	;; [unrolled: 1-line block ×4, first 2 shown]
	s_wait_loadcnt 0x2
	v_perm_b32 v39, v40, v38, 0x5040100
	s_wait_loadcnt 0x1
	v_alignbit_b32 v38, v41, v37, 16
	s_wait_loadcnt 0x0
	v_perm_b32 v37, v26, v40, 0x5040100
	ds_store_b64 v27, v[38:39]
	v_add_nc_u32_e32 v27, 8, v27
	s_wait_xcnt 0x0
	s_and_not1_b32 exec_lo, exec_lo, s11
	s_cbranch_execnz .LBB207_31
; %bb.32:                               ;   in Loop: Header=BB207_12 Depth=1
	s_or_b32 exec_lo, exec_lo, s11
	v_add_nc_u64_e32 v[4:5], v[2:3], v[18:19]
	v_mov_b64_e32 v[6:7], v[20:21]
	v_readlane_b32 s8, v46, 16
	s_or_not1_b32 s8, s8, exec_lo
	v_add_nc_u64_e32 v[8:9], -1, v[4:5]
.LBB207_33:                             ;   in Loop: Header=BB207_12 Depth=1
	s_or_b32 exec_lo, exec_lo, s10
	s_and_saveexec_b32 s13, s8
	s_cbranch_execz .LBB207_37
; %bb.34:                               ;   in Loop: Header=BB207_12 Depth=1
	s_sub_nc_u64 s[10:11], 0, s[22:23]
	s_mov_b32 s14, 0
.LBB207_35:                             ;   Parent Loop BB207_12 Depth=1
                                        ; =>  This Inner Loop Header: Depth=2
	v_mov_b64_e32 v[8:9], v[4:5]
	s_wait_loadcnt 0x0
	v_dual_mov_b32 v2, v26 :: v_dual_lshlrev_b32 v10, 1, v6
	ds_store_b16 v10, v2
	v_mul_u64_e32 v[4:5], s[26:27], v[8:9]
	v_mov_b64_e32 v[6:7], v[8:9]
	s_delay_alu instid0(VALU_DEP_2) | instskip(SKIP_3) | instid1(VALU_DEP_1)
	v_lshl_add_u64 v[4:5], v[4:5], 1, s[24:25]
	global_load_u16 v26, v[4:5], off
	s_wait_xcnt 0x0
	v_add_nc_u64_e32 v[4:5], s[22:23], v[8:9]
	v_cmp_le_u64_e32 vcc_lo, s[28:29], v[4:5]
	s_or_b32 s14, vcc_lo, s14
	s_delay_alu instid0(SALU_CYCLE_1)
	s_and_not1_b32 exec_lo, exec_lo, s14
	s_cbranch_execnz .LBB207_35
; %bb.36:                               ;   in Loop: Header=BB207_12 Depth=1
	s_or_b32 exec_lo, exec_lo, s14
	v_add_nc_u64_e32 v[8:9], s[10:11], v[4:5]
.LBB207_37:                             ;   in Loop: Header=BB207_12 Depth=1
	s_or_b32 exec_lo, exec_lo, s13
.LBB207_38:                             ;   in Loop: Header=BB207_12 Depth=1
	s_delay_alu instid0(SALU_CYCLE_1) | instskip(NEXT) | instid1(VALU_DEP_1)
	s_or_b32 exec_lo, exec_lo, s12
	v_lshlrev_b32_e32 v2, 1, v8
	s_wait_loadcnt 0x0
	ds_store_b16 v2, v26
.LBB207_39:                             ;   in Loop: Header=BB207_12 Depth=1
	s_or_b32 exec_lo, exec_lo, s9
	s_wait_dscnt 0x0
	s_barrier_signal -1
	s_barrier_wait -1
	s_and_saveexec_b32 s8, s5
; %bb.40:                               ;   in Loop: Header=BB207_12 Depth=1
	v_mov_b64_e32 v[4:5], s[28:29]
	ds_store_b64 v3, v[4:5] offset:5120
; %bb.41:                               ;   in Loop: Header=BB207_12 Depth=1
	s_or_b32 exec_lo, exec_lo, s8
	s_mov_b32 s9, -1
	s_wait_dscnt 0x0
	s_barrier_signal -1
	s_barrier_wait -1
.LBB207_42:                             ;   in Loop: Header=BB207_12 Depth=1
	s_and_b32 vcc_lo, exec_lo, s9
	s_mov_b64 s[72:73], 0
	s_cbranch_vccz .LBB207_44
; %bb.43:                               ;   in Loop: Header=BB207_12 Depth=1
	ds_load_b64 v[4:5], v3 offset:5120
	s_wait_dscnt 0x0
	v_readfirstlane_b32 s72, v4
	v_readfirstlane_b32 s73, v5
.LBB207_44:                             ;   in Loop: Header=BB207_12 Depth=1
	s_delay_alu instid0(VALU_DEP_2)
	s_cmp_lt_i32 s72, 1
	s_mov_b32 s8, -1
                                        ; implicit-def: $vgpr4_vgpr5
                                        ; implicit-def: $vgpr8_vgpr9
	s_cbranch_scc1 .LBB207_54
; %bb.45:                               ;   in Loop: Header=BB207_12 Depth=1
	s_and_b32 vcc_lo, exec_lo, s8
	s_cbranch_vccnz .LBB207_68
.LBB207_46:                             ;   in Loop: Header=BB207_12 Depth=1
	s_lshl_b32 s9, s99, 7
	s_and_saveexec_b32 s8, s2
	s_cbranch_execz .LBB207_48
.LBB207_47:                             ;   in Loop: Header=BB207_12 Depth=1
	v_lshl_add_u32 v2, s9, 3, v30
	ds_store_b128 v2, v[4:7]
	ds_store_b128 v2, v[8:11] offset:16
.LBB207_48:                             ;   in Loop: Header=BB207_12 Depth=1
	s_or_b32 exec_lo, exec_lo, s8
	s_wait_dscnt 0x0
	s_barrier_signal -1
	s_barrier_wait -1
	s_and_saveexec_b32 s10, s86
	s_cbranch_execz .LBB207_82
; %bb.49:                               ;   in Loop: Header=BB207_12 Depth=1
	v_mov_b64_e32 v[4:5], 0
	s_and_not1_b32 vcc_lo, exec_lo, s88
	s_cbranch_vccnz .LBB207_81
; %bb.50:                               ;   in Loop: Header=BB207_12 Depth=1
	v_mov_b64_e32 v[4:5], 0
	s_and_not1_b32 vcc_lo, exec_lo, s90
	s_cbranch_vccnz .LBB207_78
; %bb.51:                               ;   in Loop: Header=BB207_12 Depth=1
	v_lshl_add_u32 v2, s99, 10, v33
	s_mov_b32 s11, 0
.LBB207_52:                             ;   Parent Loop BB207_12 Depth=1
                                        ; =>  This Inner Loop Header: Depth=2
	ds_load_2addr_b64 v[6:9], v2 offset1:4
	ds_load_2addr_b64 v[24:27], v2 offset0:8 offset1:12
	s_add_co_i32 s11, s11, 8
	s_delay_alu instid0(SALU_CYCLE_1) | instskip(SKIP_2) | instid1(VALU_DEP_1)
	s_cmp_eq_u32 s91, s11
	s_wait_dscnt 0x1
	v_add_nc_u64_e32 v[4:5], v[6:7], v[4:5]
	v_add_nc_u64_e32 v[8:9], v[8:9], v[4:5]
	ds_load_2addr_b64 v[4:7], v2 offset0:16 offset1:20
	s_wait_dscnt 0x1
	v_add_nc_u64_e32 v[8:9], v[24:25], v[8:9]
	s_delay_alu instid0(VALU_DEP_1) | instskip(SKIP_4) | instid1(VALU_DEP_1)
	v_add_nc_u64_e32 v[24:25], v[26:27], v[8:9]
	ds_load_2addr_b64 v[8:11], v2 offset0:24 offset1:28
	v_add_nc_u32_e32 v2, 0x100, v2
	s_wait_dscnt 0x1
	v_add_nc_u64_e32 v[4:5], v[4:5], v[24:25]
	v_add_nc_u64_e32 v[4:5], v[6:7], v[4:5]
	s_wait_dscnt 0x0
	s_delay_alu instid0(VALU_DEP_1) | instskip(NEXT) | instid1(VALU_DEP_1)
	v_add_nc_u64_e32 v[4:5], v[8:9], v[4:5]
	v_add_nc_u64_e32 v[4:5], v[10:11], v[4:5]
	s_cbranch_scc0 .LBB207_52
; %bb.53:                               ;   in Loop: Header=BB207_12 Depth=1
	s_mov_b32 s8, s91
	s_and_not1_b32 vcc_lo, exec_lo, s92
	s_cbranch_vccz .LBB207_79
	s_branch .LBB207_81
.LBB207_54:                             ;   in Loop: Header=BB207_12 Depth=1
	global_load_u16 v2, v3, s[70:71]
	s_mov_b32 s19, s23
	s_wait_loadcnt 0x0
	v_readfirstlane_b32 s8, v2
	s_and_b32 s8, 0xffff, s8
	s_delay_alu instid0(SALU_CYCLE_1)
	s_lshl_b32 s18, s8, 2
	s_cmp_lg_u64 s[68:69], 0
	s_cbranch_scc0 .LBB207_77
; %bb.55:                               ;   in Loop: Header=BB207_12 Depth=1
	s_cvt_f32_u32 s8, s18
	s_sub_nc_u64 s[10:11], 0, s[18:19]
	s_delay_alu instid0(SALU_CYCLE_2) | instskip(NEXT) | instid1(SALU_CYCLE_3)
	s_fmamk_f32 s8, s94, 0x0, s8
	v_s_rcp_f32 s8, s8
	s_delay_alu instid0(TRANS32_DEP_1) | instskip(NEXT) | instid1(SALU_CYCLE_3)
	s_mul_f32 s8, s8, 0x5f7ffffc
	s_mul_f32 s9, s8, 0x2f800000
	s_delay_alu instid0(SALU_CYCLE_3) | instskip(NEXT) | instid1(SALU_CYCLE_3)
	s_trunc_f32 s9, s9
	s_fmamk_f32 s8, s9, 0xcf800000, s8
	s_cvt_u32_f32 s9, s9
	s_delay_alu instid0(SALU_CYCLE_2) | instskip(NEXT) | instid1(SALU_CYCLE_3)
	s_cvt_u32_f32 s8, s8
	s_mul_u64 s[12:13], s[10:11], s[8:9]
	s_delay_alu instid0(SALU_CYCLE_1)
	s_mul_hi_u32 s15, s8, s13
	s_mul_i32 s14, s8, s13
	s_mul_hi_u32 s22, s8, s12
	s_mul_i32 s17, s9, s12
	s_add_nc_u64 s[14:15], s[22:23], s[14:15]
	s_mul_hi_u32 s16, s9, s12
	s_mul_hi_u32 s20, s9, s13
	s_mul_i32 s12, s9, s13
	s_add_co_u32 s13, s14, s17
	s_add_co_ci_u32 s22, s15, s16
	s_add_co_ci_u32 s13, s20, 0
	s_delay_alu instid0(SALU_CYCLE_1) | instskip(NEXT) | instid1(SALU_CYCLE_1)
	s_add_nc_u64 s[12:13], s[22:23], s[12:13]
	s_add_co_u32 s8, s8, s12
	s_cselect_b32 s12, -1, 0
	s_delay_alu instid0(SALU_CYCLE_1) | instskip(SKIP_1) | instid1(SALU_CYCLE_1)
	s_cmp_lg_u32 s12, 0
	s_add_co_ci_u32 s9, s9, s13
	s_mul_u64 s[10:11], s[10:11], s[8:9]
	s_delay_alu instid0(SALU_CYCLE_1)
	s_mul_hi_u32 s13, s8, s11
	s_mul_i32 s12, s8, s11
	s_mul_hi_u32 s22, s8, s10
	s_mul_i32 s15, s9, s10
	s_add_nc_u64 s[12:13], s[22:23], s[12:13]
	s_mul_hi_u32 s14, s9, s10
	s_mul_hi_u32 s16, s9, s11
	s_mul_i32 s10, s9, s11
	s_add_co_u32 s11, s12, s15
	s_add_co_ci_u32 s22, s13, s14
	s_add_co_ci_u32 s11, s16, 0
	s_delay_alu instid0(SALU_CYCLE_1) | instskip(NEXT) | instid1(SALU_CYCLE_1)
	s_add_nc_u64 s[10:11], s[22:23], s[10:11]
	s_add_co_u32 s8, s8, s10
	s_cselect_b32 s10, -1, 0
	s_mul_hi_u32 s22, s28, s8
	s_cmp_lg_u32 s10, 0
	s_mul_hi_u32 s12, s29, s8
	s_add_co_ci_u32 s10, s9, s11
	s_mul_i32 s11, s29, s8
	s_mul_hi_u32 s9, s28, s10
	s_mul_i32 s8, s28, s10
	s_mul_hi_u32 s13, s29, s10
	s_add_nc_u64 s[8:9], s[22:23], s[8:9]
	s_mul_i32 s10, s29, s10
	s_add_co_u32 s8, s8, s11
	s_add_co_ci_u32 s22, s9, s12
	s_add_co_ci_u32 s11, s13, 0
	s_delay_alu instid0(SALU_CYCLE_1) | instskip(NEXT) | instid1(SALU_CYCLE_1)
	s_add_nc_u64 s[8:9], s[22:23], s[10:11]
	s_and_b64 s[10:11], s[8:9], 0xffffffff00000000
	s_delay_alu instid0(SALU_CYCLE_1) | instskip(NEXT) | instid1(SALU_CYCLE_1)
	s_or_b32 s10, s10, s8
	s_mul_u64 s[8:9], s[18:19], s[10:11]
	s_delay_alu instid0(SALU_CYCLE_1) | instskip(SKIP_1) | instid1(SALU_CYCLE_1)
	s_sub_co_u32 s8, s28, s8
	s_cselect_b32 s10, -1, 0
	s_cmp_lg_u32 s10, 0
	s_sub_co_ci_u32 s9, s29, s9
	s_sub_co_u32 s10, s8, s18
	s_cselect_b32 s11, -1, 0
	s_delay_alu instid0(SALU_CYCLE_1) | instskip(SKIP_3) | instid1(SALU_CYCLE_1)
	s_cmp_lg_u32 s11, 0
	s_sub_co_ci_u32 s11, s9, 0
	s_sub_co_u32 s12, s10, s18
	s_cselect_b32 s13, -1, 0
	s_cmp_lg_u32 s13, 0
	s_sub_co_ci_u32 s13, s11, 0
	s_cmp_ge_u32 s10, s18
	s_cselect_b32 s14, -1, 0
	s_cmp_eq_u32 s11, 0
	s_cselect_b32 s14, s14, -1
	s_delay_alu instid0(SALU_CYCLE_1)
	s_cmp_lg_u32 s14, 0
	s_cselect_b32 s11, s13, s11
	s_cselect_b32 s10, s12, s10
	s_cmp_ge_u32 s8, s18
	s_cselect_b32 s12, -1, 0
	s_cmp_eq_u32 s9, 0
	s_cselect_b32 s12, s12, -1
	s_delay_alu instid0(SALU_CYCLE_1)
	s_cmp_lg_u32 s12, 0
	s_cselect_b32 s11, s11, s9
	s_cselect_b32 s10, s10, s8
	s_cbranch_execnz .LBB207_57
.LBB207_56:                             ;   in Loop: Header=BB207_12 Depth=1
	v_cvt_f32_u32_e32 v4, s18
	s_sub_co_i32 s9, 0, s18
	s_delay_alu instid0(VALU_DEP_1) | instskip(SKIP_1) | instid1(TRANS32_DEP_1)
	v_rcp_iflag_f32_e32 v4, v4
	v_nop
	v_mul_f32_e32 v4, 0x4f7ffffe, v4
	s_delay_alu instid0(VALU_DEP_1) | instskip(NEXT) | instid1(VALU_DEP_1)
	v_cvt_u32_f32_e32 v4, v4
	v_readfirstlane_b32 s8, v4
	s_mul_i32 s9, s9, s8
	s_delay_alu instid0(SALU_CYCLE_1) | instskip(NEXT) | instid1(SALU_CYCLE_1)
	s_mul_hi_u32 s9, s8, s9
	s_add_co_i32 s8, s8, s9
	s_delay_alu instid0(SALU_CYCLE_1) | instskip(NEXT) | instid1(SALU_CYCLE_1)
	s_mul_hi_u32 s8, s28, s8
	s_mul_i32 s8, s8, s18
	s_delay_alu instid0(SALU_CYCLE_1) | instskip(NEXT) | instid1(SALU_CYCLE_1)
	s_sub_co_i32 s8, s28, s8
	s_sub_co_i32 s9, s8, s18
	s_cmp_ge_u32 s8, s18
	s_cselect_b32 s8, s9, s8
	s_delay_alu instid0(SALU_CYCLE_1) | instskip(SKIP_2) | instid1(SALU_CYCLE_1)
	s_sub_co_i32 s9, s8, s18
	s_cmp_ge_u32 s8, s18
	s_cselect_b32 s22, s9, s8
	s_mov_b64 s[10:11], s[22:23]
.LBB207_57:                             ;   in Loop: Header=BB207_12 Depth=1
	v_mov_b64_e32 v[4:5], 0
	v_mov_b64_e32 v[6:7], 0
	;; [unrolled: 1-line block ×4, first 2 shown]
	s_sub_nc_u64 s[20:21], s[28:29], s[10:11]
	s_mov_b32 s36, exec_lo
	s_wait_xcnt 0x0
	v_cmpx_gt_u64_e64 s[20:21], v[16:17]
	s_cbranch_execz .LBB207_61
; %bb.58:                               ;   in Loop: Header=BB207_12 Depth=1
	v_mov_b64_e32 v[24:25], v[16:17]
	s_mov_b64 s[74:75], 0
	s_mov_b32 s37, 0
	s_mov_b64 s[76:77], 0
	s_mov_b64 s[78:79], 0
	;; [unrolled: 1-line block ×3, first 2 shown]
.LBB207_59:                             ;   Parent Loop BB207_12 Depth=1
                                        ; =>  This Inner Loop Header: Depth=2
	s_delay_alu instid0(VALU_DEP_1) | instskip(SKIP_2) | instid1(VALU_DEP_1)
	v_mul_u64_e32 v[4:5], s[26:27], v[24:25]
	s_lshl_b64 s[8:9], s[26:27], 1
	v_add_nc_u64_e32 v[24:25], s[18:19], v[24:25]
	v_cmp_le_u64_e32 vcc_lo, s[20:21], v[24:25]
	s_delay_alu instid0(VALU_DEP_3) | instskip(NEXT) | instid1(VALU_DEP_1)
	v_lshl_add_u64 v[4:5], v[4:5], 1, s[24:25]
	v_add_nc_u64_e32 v[6:7], s[8:9], v[4:5]
	global_load_u16 v8, v[4:5], off
	s_wait_xcnt 0x0
	v_add_nc_u64_e32 v[4:5], s[8:9], v[6:7]
	s_clause 0x1
	global_load_u16 v6, v[6:7], off
	global_load_u16 v7, v[4:5], off
	s_wait_xcnt 0x0
	v_add_nc_u64_e32 v[4:5], s[8:9], v[4:5]
	global_load_u16 v4, v[4:5], off
	s_wait_loadcnt 0x3
	v_cmp_lt_i16_e64 s9, -1, v8
	s_wait_xcnt 0x0
	v_and_b32_e32 v5, 0xffff, v8
	v_cmp_o_f16_e64 s10, v8, v8
	s_delay_alu instid0(VALU_DEP_3) | instskip(NEXT) | instid1(VALU_DEP_1)
	v_cndmask_b32_e64 v8, 0xffff, v34, s9
	v_xor_b32_e32 v5, v8, v5
	s_wait_loadcnt 0x2
	v_cmp_lt_i16_e64 s9, -1, v6
	v_and_b32_e32 v9, 0xffff, v6
	v_cmp_o_f16_e64 s11, v6, v6
	s_wait_loadcnt 0x1
	v_and_b32_e32 v8, 0xffff, v7
	v_cndmask_b32_e64 v5, 0xffff, v5, s10
	v_cndmask_b32_e64 v6, 0xffff, v34, s9
	v_cmp_lt_i16_e64 s9, -1, v7
	v_cmp_o_f16_e64 s12, v7, v7
	s_wait_loadcnt 0x0
	v_and_b32_e32 v10, 0xffff, v4
	v_xor_b32_e32 v6, v6, v9
	v_cndmask_b32_e64 v7, 0xffff, v34, s9
	v_and_b32_e32 v9, v5, v35
	v_bfe_u32 v5, v5, s96, 2
	v_cmp_lt_i16_e64 s9, -1, v4
	v_cmp_o_f16_e64 s10, v4, v4
	v_cndmask_b32_e64 v4, 0xffff, v6, s11
	v_xor_b32_e32 v6, v7, v8
	v_cmp_eq_u32_e64 s11, v9, v31
	v_cmp_eq_u32_e64 s13, 0, v5
	;; [unrolled: 1-line block ×5, first 2 shown]
	v_cndmask_b32_e64 v5, 0xffff, v34, s9
	v_and_b32_e32 v7, v4, v35
	v_bfe_u32 v4, v4, s96, 2
	v_cndmask_b32_e64 v6, 0xffff, v6, s12
	s_and_b32 s8, s11, s13
	s_and_b32 s9, s11, s14
	;; [unrolled: 1-line block ×4, first 2 shown]
	v_xor_b32_e32 v5, v5, v10
	v_cndmask_b32_e64 v9, 0, 1, s9
	v_cndmask_b32_e64 v10, 0, 1, s12
	v_cndmask_b32_e64 v11, 0, 1, s11
	v_cmp_eq_u32_e64 s9, v7, v31
	v_cmp_eq_u32_e64 s11, 0, v4
	;; [unrolled: 1-line block ×5, first 2 shown]
	v_cndmask_b32_e64 v8, 0, 1, s8
	v_and_b32_e32 v4, v6, v35
	v_bfe_u32 v6, v6, s96, 2
	v_cndmask_b32_e64 v5, 0xffff, v5, s10
	s_and_b32 s8, s9, s11
	s_and_b32 s11, s9, s12
	s_and_b32 s12, s9, s13
	s_and_b32 s9, s9, s14
	v_cmp_ne_u32_e64 s10, 0, v8
	v_cmp_ne_u32_e64 s15, 0, v9
	;; [unrolled: 1-line block ×3, first 2 shown]
	v_cndmask_b32_e64 v7, 0, 1, s8
	v_cndmask_b32_e64 v8, 0, 1, s11
	;; [unrolled: 1-line block ×4, first 2 shown]
	v_cmp_eq_u32_e64 s9, v4, v31
	v_cmp_eq_u32_e64 s11, 0, v6
	;; [unrolled: 1-line block ×5, first 2 shown]
	v_and_b32_e32 v4, v5, v35
	v_bfe_u32 v5, v5, s96, 2
	s_bcnt1_i32_b32 s8, s10
	v_cmp_ne_u32_e64 s10, 0, v7
	s_and_b32 s11, s9, s11
	s_and_b32 s12, s9, s12
	s_and_b32 s13, s9, s13
	s_and_b32 s9, s9, s14
	s_bcnt1_i32_b32 s22, s15
	s_bcnt1_i32_b32 s38, s16
	v_cmp_ne_u32_e64 s15, 0, v8
	v_cmp_ne_u32_e64 s16, 0, v9
	v_cndmask_b32_e64 v6, 0, 1, s11
	v_cndmask_b32_e64 v9, 0, 1, s9
	v_cmp_eq_u32_e64 s9, v4, v31
	v_cmp_eq_u32_e64 s11, 0, v5
	v_cndmask_b32_e64 v7, 0, 1, s12
	v_cmp_eq_u32_e64 s12, 1, v5
	v_cndmask_b32_e64 v8, 0, 1, s13
	v_cmp_eq_u32_e64 s13, 2, v5
	v_cmp_eq_u32_e64 s14, 3, v5
	s_bcnt1_i32_b32 s10, s10
	v_cmp_ne_u32_e64 s17, 0, v11
	s_bcnt1_i32_b32 s15, s15
	s_add_co_i32 s8, s10, s8
	v_cmp_ne_u32_e64 s10, 0, v6
	s_and_b32 s11, s9, s11
	s_bcnt1_i32_b32 s16, s16
	s_add_co_i32 s22, s15, s22
	v_cmp_ne_u32_e64 s15, 0, v7
	s_and_b32 s12, s9, s12
	v_cndmask_b32_e64 v4, 0, 1, s11
	s_and_b32 s13, s9, s13
	s_and_b32 s9, s9, s14
	s_bcnt1_i32_b32 s39, s17
	v_cmp_ne_u32_e64 s17, 0, v10
	s_add_co_i32 s38, s16, s38
	v_cmp_ne_u32_e64 s16, 0, v8
	v_cndmask_b32_e64 v5, 0, 1, s12
	v_cndmask_b32_e64 v7, 0, 1, s9
	s_bcnt1_i32_b32 s9, s10
	v_cndmask_b32_e64 v6, 0, 1, s13
	s_bcnt1_i32_b32 s10, s15
	s_add_co_i32 s8, s8, s9
	v_cmp_ne_u32_e64 s9, 0, v4
	s_bcnt1_i32_b32 s17, s17
	s_bcnt1_i32_b32 s11, s16
	s_add_co_i32 s14, s22, s10
	v_cmp_ne_u32_e64 s10, 0, v5
	s_add_co_i32 s39, s17, s39
	v_cmp_ne_u32_e64 s17, 0, v9
	;; [unrolled: 2-line block ×3, first 2 shown]
	s_bcnt1_i32_b32 s9, s9
	v_cmp_ne_u32_e64 s12, 0, v7
	s_bcnt1_i32_b32 s10, s10
	s_add_co_i32 s22, s8, s9
	s_bcnt1_i32_b32 s13, s17
	s_bcnt1_i32_b32 s11, s11
	s_add_nc_u64 s[80:81], s[80:81], s[22:23]
	s_add_co_i32 s22, s14, s10
	s_add_co_i32 s13, s39, s13
	s_bcnt1_i32_b32 s12, s12
	s_add_nc_u64 s[78:79], s[78:79], s[22:23]
	s_add_co_i32 s22, s15, s11
	v_mov_b64_e32 v[4:5], s[80:81]
	s_add_nc_u64 s[76:77], s[76:77], s[22:23]
	s_add_co_i32 s22, s13, s12
	v_mov_b64_e32 v[6:7], s[78:79]
	s_add_nc_u64 s[74:75], s[74:75], s[22:23]
	v_mov_b64_e32 v[8:9], s[76:77]
	v_mov_b64_e32 v[10:11], s[74:75]
	s_or_b32 s37, vcc_lo, s37
	s_delay_alu instid0(SALU_CYCLE_1)
	s_and_not1_b32 exec_lo, exec_lo, s37
	s_cbranch_execnz .LBB207_59
; %bb.60:                               ;   in Loop: Header=BB207_12 Depth=1
	s_or_b32 exec_lo, exec_lo, s37
.LBB207_61:                             ;   in Loop: Header=BB207_12 Depth=1
	s_delay_alu instid0(SALU_CYCLE_1) | instskip(SKIP_3) | instid1(VALU_DEP_2)
	s_or_b32 exec_lo, exec_lo, s36
	v_add_nc_u64_e32 v[24:25], s[20:21], v[0:1]
	v_and_b32_e32 v2, 0xffff, v2
	s_mov_b32 s12, exec_lo
	v_cmpx_gt_u64_e64 s[28:29], v[24:25]
	s_cbranch_execz .LBB207_67
; %bb.62:                               ;   in Loop: Header=BB207_12 Depth=1
	v_mul_u64_e32 v[26:27], s[26:27], v[24:25]
	s_mov_b32 s13, 0
	s_delay_alu instid0(VALU_DEP_1)
	v_lshl_add_u64 v[26:27], v[26:27], 1, s[24:25]
	global_load_u16 v27, v[26:27], off
	s_branch .LBB207_64
.LBB207_63:                             ;   in Loop: Header=BB207_64 Depth=2
	s_wait_xcnt 0x0
	s_or_b32 exec_lo, exec_lo, s8
	s_wait_loadcnt 0x0
	v_cmp_lt_i16_e64 s9, -1, v27
	v_and_b32_e32 v37, 0xffff, v27
	s_and_b32 s8, exec_lo, vcc_lo
	s_delay_alu instid0(SALU_CYCLE_1) | instskip(SKIP_2) | instid1(VALU_DEP_2)
	s_or_b32 s13, s8, s13
	v_cndmask_b32_e64 v38, 0xffff, v34, s9
	v_cmp_o_f16_e64 s9, v27, v27
	v_xor_b32_e32 v37, v38, v37
	s_delay_alu instid0(VALU_DEP_1) | instskip(NEXT) | instid1(VALU_DEP_1)
	v_cndmask_b32_e64 v27, 0xffff, v37, s9
	v_and_b32_e32 v37, v27, v35
	v_bfe_u32 v27, v27, s96, 2
	s_delay_alu instid0(VALU_DEP_2) | instskip(NEXT) | instid1(VALU_DEP_2)
	v_cmp_eq_u32_e64 s9, v37, v31
	v_cmp_eq_u32_e64 s10, 0, v27
	v_cmp_eq_u32_e32 vcc_lo, 1, v27
	s_and_b32 s8, s9, s10
	v_cmp_eq_u32_e64 s10, 2, v27
	v_cndmask_b32_e64 v37, 0, 1, s8
	s_and_b32 s8, s9, vcc_lo
	v_cmp_eq_u32_e32 vcc_lo, 3, v27
	v_cndmask_b32_e64 v38, 0, 1, s8
	s_and_b32 s8, s9, s10
	v_cmp_ne_u32_e64 s11, 0, v37
	v_cndmask_b32_e64 v27, 0, 1, s8
	s_and_b32 s8, s9, vcc_lo
	v_cmp_ne_u32_e64 s10, 0, v38
	v_cndmask_b32_e64 v37, 0, 1, s8
	s_bcnt1_i32_b32 s22, s11
	v_cmp_ne_u32_e32 vcc_lo, 0, v27
	v_add_nc_u64_e32 v[4:5], s[22:23], v[4:5]
	s_bcnt1_i32_b32 s22, s10
	v_cmp_ne_u32_e64 s9, 0, v37
	v_add_nc_u64_e32 v[6:7], s[22:23], v[6:7]
	s_bcnt1_i32_b32 s22, vcc_lo
	v_mov_b32_e32 v27, v26
	v_add_nc_u64_e32 v[8:9], s[22:23], v[8:9]
	s_bcnt1_i32_b32 s22, s9
	s_delay_alu instid0(SALU_CYCLE_1)
	v_add_nc_u64_e32 v[10:11], s[22:23], v[10:11]
	s_and_not1_b32 exec_lo, exec_lo, s13
	s_cbranch_execz .LBB207_66
.LBB207_64:                             ;   Parent Loop BB207_12 Depth=1
                                        ; =>  This Inner Loop Header: Depth=2
	v_add_nc_u64_e32 v[24:25], v[24:25], v[2:3]
	s_wait_xcnt 0x0
	v_mov_b32_e32 v26, 0
	s_mov_b32 s8, exec_lo
	s_delay_alu instid0(VALU_DEP_2)
	v_cmp_le_u64_e32 vcc_lo, s[28:29], v[24:25]
	v_cmpx_gt_u64_e64 s[28:29], v[24:25]
	s_cbranch_execz .LBB207_63
; %bb.65:                               ;   in Loop: Header=BB207_64 Depth=2
	v_mul_u64_e32 v[38:39], s[26:27], v[24:25]
	s_delay_alu instid0(VALU_DEP_1)
	v_lshl_add_u64 v[38:39], v[38:39], 1, s[24:25]
	global_load_u16 v26, v[38:39], off
	s_branch .LBB207_63
.LBB207_66:                             ;   in Loop: Header=BB207_12 Depth=1
	s_or_b32 exec_lo, exec_lo, s13
.LBB207_67:                             ;   in Loop: Header=BB207_12 Depth=1
	s_delay_alu instid0(SALU_CYCLE_1)
	s_or_b32 exec_lo, exec_lo, s12
	s_branch .LBB207_46
.LBB207_68:                             ;   in Loop: Header=BB207_12 Depth=1
	global_load_u16 v2, v3, s[70:71]
	s_mov_b32 s75, s23
	v_mov_b64_e32 v[6:7], 0
	v_mov_b64_e32 v[8:9], 0
	;; [unrolled: 1-line block ×3, first 2 shown]
	s_mov_b32 s37, exec_lo
	s_wait_loadcnt 0x0
	v_readfirstlane_b32 s8, v2
	v_and_b32_e32 v2, 0xffff, v2
	s_and_b32 s36, 0xffff, s8
	s_delay_alu instid0(SALU_CYCLE_1) | instskip(NEXT) | instid1(SALU_CYCLE_1)
	s_lshl_b32 s76, s36, 2
	s_cvt_f32_u32 s8, s76
	s_sub_co_i32 s9, 0, s76
	s_delay_alu instid0(SALU_CYCLE_2) | instskip(SKIP_1) | instid1(TRANS32_DEP_1)
	v_rcp_iflag_f32_e32 v4, s8
	v_nop
	v_readfirstlane_b32 s8, v4
	s_mul_f32 s8, s8, 0x4f7ffffe
	s_delay_alu instid0(SALU_CYCLE_3) | instskip(NEXT) | instid1(SALU_CYCLE_3)
	s_cvt_u32_f32 s8, s8
	s_mul_i32 s9, s9, s8
	s_delay_alu instid0(SALU_CYCLE_1) | instskip(NEXT) | instid1(SALU_CYCLE_1)
	s_mul_hi_u32 s9, s8, s9
	s_add_co_i32 s8, s8, s9
	s_delay_alu instid0(SALU_CYCLE_1) | instskip(NEXT) | instid1(SALU_CYCLE_1)
	s_mul_hi_u32 s8, s72, s8
	s_mul_i32 s9, s8, s76
	s_add_co_i32 s10, s8, 1
	s_sub_co_i32 s9, s72, s9
	s_delay_alu instid0(SALU_CYCLE_1)
	s_sub_co_i32 s11, s9, s76
	s_cmp_ge_u32 s9, s76
	s_cselect_b32 s8, s10, s8
	s_cselect_b32 s9, s11, s9
	s_add_co_i32 s10, s8, 1
	s_cmp_ge_u32 s9, s76
	s_cselect_b32 s74, s10, s8
	s_delay_alu instid0(SALU_CYCLE_1) | instskip(NEXT) | instid1(VALU_DEP_1)
	v_mul_u64_e32 v[4:5], s[74:75], v[2:3]
	v_lshlrev_b64_e32 v[24:25], 2, v[4:5]
	v_mov_b64_e32 v[4:5], 0
	s_wait_xcnt 0x0
	s_delay_alu instid0(VALU_DEP_2)
	v_cmpx_gt_u64_e64 v[24:25], v[16:17]
	s_cbranch_execz .LBB207_72
; %bb.69:                               ;   in Loop: Header=BB207_12 Depth=1
	v_mov_b64_e32 v[26:27], v[16:17]
	v_mov_b32_e32 v37, v32
	s_mov_b32 s77, s23
	s_lshl_b32 s38, s36, 3
	s_mov_b64 s[78:79], 0
	s_mov_b32 s39, 0
	s_mov_b64 s[80:81], 0
	s_mov_b64 s[82:83], 0
	s_mov_b64 s[84:85], 0
.LBB207_70:                             ;   Parent Loop BB207_12 Depth=1
                                        ; =>  This Inner Loop Header: Depth=2
	ds_load_b64 v[4:5], v37
	v_add_nc_u32_e32 v37, s38, v37
	v_add_nc_u64_e32 v[26:27], s[76:77], v[26:27]
	s_delay_alu instid0(VALU_DEP_1)
	v_cmp_ge_u64_e32 vcc_lo, v[26:27], v[24:25]
	s_wait_dscnt 0x0
	v_cmp_lt_i16_e64 s9, -1, v4
	v_lshrrev_b32_e32 v6, 16, v4
	v_cmp_lt_i16_e64 s10, -1, v5
	v_cmp_o_f16_e64 s12, v4, v4
	v_cmp_o_f16_e64 s11, v5, v5
	v_cndmask_b32_e64 v8, 0xffff, v34, s9
	v_cmp_lt_i16_e64 s9, -1, v6
	v_cndmask_b32_e64 v9, 0xffff, v34, s10
	v_cmp_o_f16_e64 s14, v6, v6
	s_delay_alu instid0(VALU_DEP_4) | instskip(NEXT) | instid1(VALU_DEP_4)
	v_bitop3_b32 v4, v8, v4, 0xffff bitop3:0x78
	v_cndmask_b32_e64 v10, 0xffff, v34, s9
	v_lshrrev_b32_e32 v7, 16, v5
	v_bitop3_b32 v5, v9, v5, 0xffff bitop3:0x78
	s_delay_alu instid0(VALU_DEP_4) | instskip(NEXT) | instid1(VALU_DEP_4)
	v_cndmask_b32_e64 v4, 0xffff, v4, s12
	v_xor_b32_e32 v6, v10, v6
	s_delay_alu instid0(VALU_DEP_4) | instskip(SKIP_2) | instid1(VALU_DEP_4)
	v_cmp_lt_i16_e64 s10, -1, v7
	v_cmp_o_f16_e64 s13, v7, v7
	v_cndmask_b32_e64 v5, 0xffff, v5, s11
	v_cndmask_b32_e64 v6, 0xffff, v6, s14
	s_delay_alu instid0(VALU_DEP_4) | instskip(NEXT) | instid1(VALU_DEP_3)
	v_cndmask_b32_e64 v8, 0xffff, v34, s10
	v_and_b32_e32 v9, v5, v35
	v_bfe_u32 v5, v5, s96, 2
	s_delay_alu instid0(VALU_DEP_3)
	v_xor_b32_e32 v7, v8, v7
	v_and_b32_e32 v8, v4, v35
	v_bfe_u32 v4, v4, s96, 2
	v_cmp_eq_u32_e64 s10, v9, v31
	v_cmp_eq_u32_e64 s12, 0, v5
	v_cndmask_b32_e64 v7, 0xffff, v7, s13
	v_cmp_eq_u32_e64 s9, v8, v31
	v_and_b32_e32 v8, v6, v35
	v_bfe_u32 v6, v6, s96, 2
	v_cmp_eq_u32_e64 s11, 0, v4
	v_cmp_eq_u32_e64 s13, 1, v4
	v_and_b32_e32 v9, v7, v35
	v_bfe_u32 v7, v7, s96, 2
	v_cmp_eq_u32_e64 s15, 2, v4
	v_cmp_eq_u32_e64 s17, 3, v4
	;; [unrolled: 1-line block ×4, first 2 shown]
	s_and_b32 s8, s9, s11
	v_cmp_eq_u32_e64 s14, 1, v5
	v_cmp_eq_u32_e64 s16, 2, v5
	;; [unrolled: 1-line block ×4, first 2 shown]
	s_and_b32 s41, s9, s13
	v_cndmask_b32_e64 v4, 0, 1, s8
	v_cmp_eq_u32_e64 s20, v9, v31
	v_cmp_eq_u32_e64 s22, 0, v7
	s_and_b32 s40, s10, s12
	v_cmp_eq_u32_e64 s13, 2, v6
	s_and_b32 s43, s9, s15
	;; [unrolled: 2-line block ×3, first 2 shown]
	v_cndmask_b32_e64 v6, 0, 1, s41
	s_and_b32 s8, s19, s21
	v_cmp_eq_u32_e64 s12, 1, v7
	s_and_b32 s42, s10, s14
	v_cndmask_b32_e64 v5, 0, 1, s40
	v_cndmask_b32_e64 v8, 0, 1, s43
	;; [unrolled: 1-line block ×3, first 2 shown]
	s_and_b32 s46, s10, s16
	s_and_b32 s10, s10, s18
	;; [unrolled: 1-line block ×3, first 2 shown]
	v_cmp_ne_u32_e64 s9, 0, v4
	v_cndmask_b32_e64 v4, 0, 1, s8
	v_cmp_eq_u32_e64 s14, 2, v7
	v_cmp_eq_u32_e64 s16, 3, v7
	v_cndmask_b32_e64 v7, 0, 1, s42
	s_and_b32 s17, s20, s22
	s_and_b32 s22, s19, s13
	;; [unrolled: 1-line block ×3, first 2 shown]
	v_cmp_ne_u32_e64 s11, 0, v6
	v_cndmask_b32_e64 v6, 0, 1, s18
	v_cndmask_b32_e64 v9, 0, 1, s46
	;; [unrolled: 1-line block ×3, first 2 shown]
	s_and_b32 s21, s20, s12
	v_cmp_ne_u32_e64 s10, 0, v5
	v_cndmask_b32_e64 v5, 0, 1, s17
	v_cmp_ne_u32_e64 s13, 0, v8
	v_cndmask_b32_e64 v8, 0, 1, s22
	;; [unrolled: 2-line block ×3, first 2 shown]
	s_bcnt1_i32_b32 s8, s9
	v_cmp_ne_u32_e64 s9, 0, v4
	s_and_b32 s40, s20, s14
	v_cmp_ne_u32_e64 s12, 0, v7
	v_cndmask_b32_e64 v7, 0, 1, s21
	s_and_b32 s20, s20, s16
	s_bcnt1_i32_b32 s18, s11
	v_cmp_ne_u32_e64 s11, 0, v6
	v_cmp_ne_u32_e64 s14, 0, v9
	v_cndmask_b32_e64 v9, 0, 1, s40
	v_cmp_ne_u32_e64 s16, 0, v11
	v_cndmask_b32_e64 v11, 0, 1, s20
	s_bcnt1_i32_b32 s17, s10
	v_cmp_ne_u32_e64 s10, 0, v5
	s_bcnt1_i32_b32 s20, s13
	v_cmp_ne_u32_e64 s13, 0, v8
	;; [unrolled: 2-line block ×3, first 2 shown]
	s_bcnt1_i32_b32 s9, s9
	s_bcnt1_i32_b32 s19, s12
	v_cmp_ne_u32_e64 s12, 0, v7
	s_bcnt1_i32_b32 s11, s11
	s_add_co_i32 s8, s9, s8
	s_bcnt1_i32_b32 s21, s14
	v_cmp_ne_u32_e64 s14, 0, v9
	s_bcnt1_i32_b32 s10, s10
	s_bcnt1_i32_b32 s13, s13
	;; [unrolled: 1-line block ×3, first 2 shown]
	s_add_co_i32 s9, s11, s18
	s_add_co_i32 s8, s8, s17
	s_bcnt1_i32_b32 s40, s16
	v_cmp_ne_u32_e64 s16, 0, v11
	s_bcnt1_i32_b32 s12, s12
	s_add_co_i32 s11, s13, s20
	s_add_co_i32 s13, s15, s22
	;; [unrolled: 1-line block ×4, first 2 shown]
	s_bcnt1_i32_b32 s14, s14
	s_add_co_i32 s11, s11, s21
	s_add_nc_u64 s[84:85], s[84:85], s[22:23]
	s_add_co_i32 s22, s9, s12
	s_bcnt1_i32_b32 s16, s16
	s_add_co_i32 s13, s13, s40
	s_add_nc_u64 s[82:83], s[82:83], s[22:23]
	s_add_co_i32 s22, s11, s14
	v_mov_b64_e32 v[4:5], s[84:85]
	s_add_nc_u64 s[80:81], s[80:81], s[22:23]
	s_add_co_i32 s22, s13, s16
	v_mov_b64_e32 v[6:7], s[82:83]
	s_add_nc_u64 s[78:79], s[78:79], s[22:23]
	v_mov_b64_e32 v[8:9], s[80:81]
	v_mov_b64_e32 v[10:11], s[78:79]
	s_or_b32 s39, vcc_lo, s39
	s_delay_alu instid0(SALU_CYCLE_1)
	s_and_not1_b32 exec_lo, exec_lo, s39
	s_cbranch_execnz .LBB207_70
; %bb.71:                               ;   in Loop: Header=BB207_12 Depth=1
	s_or_b32 exec_lo, exec_lo, s39
.LBB207_72:                             ;   in Loop: Header=BB207_12 Depth=1
	s_delay_alu instid0(SALU_CYCLE_1) | instskip(SKIP_3) | instid1(VALU_DEP_1)
	s_or_b32 exec_lo, exec_lo, s37
	v_add_nc_u64_e32 v[24:25], v[24:25], v[0:1]
	s_and_b64 s[14:15], s[72:73], 0x7fffffff
	s_mov_b32 s16, exec_lo
	v_cmpx_gt_u64_e64 s[14:15], v[24:25]
	s_cbranch_execz .LBB207_76
; %bb.73:                               ;   in Loop: Header=BB207_12 Depth=1
	s_mul_i32 s8, s74, s36
	s_lshl_b32 s18, s36, 1
	v_lshl_add_u32 v26, s8, 3, v28
	s_mov_b32 s17, 0
.LBB207_74:                             ;   Parent Loop BB207_12 Depth=1
                                        ; =>  This Inner Loop Header: Depth=2
	ds_load_u16 v27, v26
	v_add_nc_u64_e32 v[24:25], v[24:25], v[2:3]
	v_add_nc_u32_e32 v26, s18, v26
	s_delay_alu instid0(VALU_DEP_2) | instskip(SKIP_3) | instid1(VALU_DEP_2)
	v_cmp_le_u64_e32 vcc_lo, s[14:15], v[24:25]
	s_wait_dscnt 0x0
	v_cmp_lt_i16_e64 s9, -1, v27
	v_and_b32_e32 v37, 0xffff, v27
	v_cndmask_b32_e64 v38, 0xffff, v34, s9
	v_cmp_o_f16_e64 s9, v27, v27
	s_delay_alu instid0(VALU_DEP_2) | instskip(NEXT) | instid1(VALU_DEP_1)
	v_xor_b32_e32 v37, v38, v37
	v_cndmask_b32_e64 v27, 0xffff, v37, s9
	s_delay_alu instid0(VALU_DEP_1) | instskip(SKIP_1) | instid1(VALU_DEP_2)
	v_and_b32_e32 v37, v27, v35
	v_bfe_u32 v27, v27, s96, 2
	v_cmp_eq_u32_e64 s9, v37, v31
	s_delay_alu instid0(VALU_DEP_2) | instskip(SKIP_4) | instid1(SALU_CYCLE_1)
	v_cmp_eq_u32_e64 s10, 0, v27
	v_cmp_eq_u32_e64 s11, 1, v27
	;; [unrolled: 1-line block ×4, first 2 shown]
	s_and_b32 s8, s9, s10
	v_cndmask_b32_e64 v27, 0, 1, s8
	s_and_b32 s8, s9, s11
	s_delay_alu instid0(SALU_CYCLE_1) | instskip(SKIP_1) | instid1(SALU_CYCLE_1)
	v_cndmask_b32_e64 v37, 0, 1, s8
	s_and_b32 s8, s9, s12
	v_cndmask_b32_e64 v38, 0, 1, s8
	s_and_b32 s8, s9, s13
	v_cmp_ne_u32_e64 s9, 0, v27
	v_cndmask_b32_e64 v39, 0, 1, s8
	v_cmp_ne_u32_e64 s10, 0, v37
	v_cmp_ne_u32_e64 s11, 0, v38
	s_bcnt1_i32_b32 s22, s9
	v_cmp_ne_u32_e64 s12, 0, v39
	v_add_nc_u64_e32 v[4:5], s[22:23], v[4:5]
	s_bcnt1_i32_b32 s22, s10
	s_delay_alu instid0(SALU_CYCLE_1) | instskip(SKIP_1) | instid1(SALU_CYCLE_1)
	v_add_nc_u64_e32 v[6:7], s[22:23], v[6:7]
	s_bcnt1_i32_b32 s22, s11
	v_add_nc_u64_e32 v[8:9], s[22:23], v[8:9]
	s_bcnt1_i32_b32 s22, s12
	s_or_b32 s17, vcc_lo, s17
	v_add_nc_u64_e32 v[10:11], s[22:23], v[10:11]
	s_and_not1_b32 exec_lo, exec_lo, s17
	s_cbranch_execnz .LBB207_74
; %bb.75:                               ;   in Loop: Header=BB207_12 Depth=1
	s_or_b32 exec_lo, exec_lo, s17
.LBB207_76:                             ;   in Loop: Header=BB207_12 Depth=1
	s_delay_alu instid0(SALU_CYCLE_1)
	s_or_b32 exec_lo, exec_lo, s16
	s_lshl_b32 s9, s99, 7
	s_and_saveexec_b32 s8, s2
	s_cbranch_execnz .LBB207_47
	s_branch .LBB207_48
.LBB207_77:                             ;   in Loop: Header=BB207_12 Depth=1
                                        ; implicit-def: $sgpr10_sgpr11
	s_branch .LBB207_56
.LBB207_78:                             ;   in Loop: Header=BB207_12 Depth=1
	s_mov_b32 s8, 0
	s_and_not1_b32 vcc_lo, exec_lo, s92
	s_cbranch_vccnz .LBB207_81
.LBB207_79:                             ;   in Loop: Header=BB207_12 Depth=1
	s_lshl_b32 s11, s99, 10
	s_lshl_b32 s8, s8, 5
	s_delay_alu instid0(SALU_CYCLE_1)
	v_add3_u32 v2, s11, s8, v33
	s_mov_b32 s8, s89
.LBB207_80:                             ;   Parent Loop BB207_12 Depth=1
                                        ; =>  This Inner Loop Header: Depth=2
	ds_load_b64 v[6:7], v2
	v_add_nc_u32_e32 v2, 32, v2
	s_add_co_i32 s8, s8, -1
	s_delay_alu instid0(SALU_CYCLE_1)
	s_cmp_lg_u32 s8, 0
	s_wait_dscnt 0x0
	v_add_nc_u64_e32 v[4:5], v[6:7], v[4:5]
	s_cbranch_scc1 .LBB207_80
.LBB207_81:                             ;   in Loop: Header=BB207_12 Depth=1
	v_add_lshl_u32 v2, s9, v13, 3
	ds_store_b64 v2, v[4:5] offset:3072
.LBB207_82:                             ;   in Loop: Header=BB207_12 Depth=1
	s_or_b32 exec_lo, exec_lo, s10
	s_lshl_b32 s8, s9, 3
	s_wait_dscnt 0x0
	v_mov_b32_e32 v2, s8
	s_barrier_signal -1
	s_barrier_wait -1
	v_cmp_eq_u64_e64 s9, 1, v[22:23]
	ds_load_b128 v[4:7], v2 offset:3072
	ds_load_b128 v[8:11], v2 offset:3088
	s_lshl_b32 s57, 3, s96
	s_mov_b32 s80, -1
	s_not_b32 s74, s57
	s_mov_b32 s75, 0
	s_and_not1_b32 vcc_lo, exec_lo, s87
	s_mov_b32 s77, 0
	s_mov_b32 s76, 0
                                        ; implicit-def: $sgpr78
                                        ; implicit-def: $sgpr79
                                        ; implicit-def: $vgpr2
	s_wait_dscnt 0x1
	v_readfirstlane_b32 s13, v5
	v_readfirstlane_b32 s12, v4
	;; [unrolled: 1-line block ×4, first 2 shown]
	s_wait_dscnt 0x0
	v_readfirstlane_b32 s17, v9
	v_readfirstlane_b32 s16, v8
	;; [unrolled: 1-line block ×4, first 2 shown]
                                        ; implicit-def: $vgpr4_vgpr5
                                        ; implicit-def: $vgpr8
                                        ; implicit-def: $vgpr9
                                        ; implicit-def: $vgpr10
	s_cbranch_vccnz .LBB207_285
; %bb.83:                               ;   in Loop: Header=BB207_12 Depth=1
	s_cmp_eq_u64 s[12:13], 1
	v_dual_mov_b32 v8, v31 :: v_dual_mov_b32 v9, v35
	v_mov_b32_e32 v10, v36
	s_cselect_b32 s8, -1, 0
	s_mov_b32 s10, -1
	s_and_b32 s36, s8, s9
                                        ; implicit-def: $sgpr79
                                        ; implicit-def: $sgpr78
	s_delay_alu instid0(SALU_CYCLE_1)
	s_and_saveexec_b32 s37, s36
	s_cbranch_execz .LBB207_120
; %bb.84:                               ;   in Loop: Header=BB207_12 Depth=1
	ds_load_b64 v[4:5], v3 offset:5120
	s_wait_dscnt 0x0
	s_barrier_signal -1
	s_barrier_wait -1
	v_readfirstlane_b32 s10, v4
	v_readfirstlane_b32 s11, v5
	s_and_saveexec_b32 s8, s6
; %bb.85:                               ;   in Loop: Header=BB207_12 Depth=1
	ds_store_b16 v29, v3
; %bb.86:                               ;   in Loop: Header=BB207_12 Depth=1
	s_or_b32 exec_lo, exec_lo, s8
	v_and_b32_e32 v8, s74, v31
	v_or_b32_e32 v9, s57, v35
	s_mov_b32 s78, -1
	s_mov_b32 s79, 0
	s_cmp_eq_u64 s[10:11], 0
	s_mov_b32 s38, 0
	s_mov_b32 s22, -1
	s_wait_dscnt 0x0
	s_barrier_signal -1
	s_barrier_wait -1
                                        ; implicit-def: $vgpr10
	s_cbranch_scc1 .LBB207_104
; %bb.87:                               ;   in Loop: Header=BB207_12 Depth=1
	s_add_nc_u64 s[20:21], s[10:11], s[58:59]
	s_delay_alu instid0(SALU_CYCLE_1) | instskip(NEXT) | instid1(SALU_CYCLE_1)
	s_and_b64 s[38:39], s[20:21], 0xffffffff00000000
	s_cmp_lg_u64 s[38:39], 0
	s_cbranch_scc0 .LBB207_147
; %bb.88:                               ;   in Loop: Header=BB207_12 Depth=1
	s_cvt_f32_u32 s8, s34
	s_sub_nc_u64 s[40:41], 0, s[34:35]
	s_delay_alu instid0(SALU_CYCLE_2) | instskip(NEXT) | instid1(SALU_CYCLE_3)
	s_fmamk_f32 s8, s94, 0x0, s8
	v_s_rcp_f32 s8, s8
	s_delay_alu instid0(TRANS32_DEP_1) | instskip(NEXT) | instid1(SALU_CYCLE_3)
	s_mul_f32 s8, s8, 0x5f7ffffc
	s_mul_f32 s22, s8, 0x2f800000
	s_delay_alu instid0(SALU_CYCLE_3) | instskip(NEXT) | instid1(SALU_CYCLE_3)
	s_trunc_f32 s22, s22
	s_fmamk_f32 s8, s22, 0xcf800000, s8
	s_cvt_u32_f32 s39, s22
	s_delay_alu instid0(SALU_CYCLE_2) | instskip(NEXT) | instid1(SALU_CYCLE_3)
	s_cvt_u32_f32 s38, s8
	s_mul_u64 s[42:43], s[40:41], s[38:39]
	s_delay_alu instid0(SALU_CYCLE_1)
	s_mul_hi_u32 s47, s38, s43
	s_mul_i32 s46, s38, s43
	s_mul_hi_u32 s22, s38, s42
	s_mul_i32 s48, s39, s42
	s_add_nc_u64 s[46:47], s[22:23], s[46:47]
	s_mul_hi_u32 s8, s39, s42
	s_mul_hi_u32 s49, s39, s43
	s_add_co_u32 s22, s46, s48
	s_add_co_ci_u32 s22, s47, s8
	s_mul_i32 s42, s39, s43
	s_add_co_ci_u32 s43, s49, 0
	s_delay_alu instid0(SALU_CYCLE_1) | instskip(NEXT) | instid1(SALU_CYCLE_1)
	s_add_nc_u64 s[42:43], s[22:23], s[42:43]
	s_add_co_u32 s38, s38, s42
	s_cselect_b32 s8, -1, 0
	s_delay_alu instid0(SALU_CYCLE_1) | instskip(SKIP_1) | instid1(SALU_CYCLE_1)
	s_cmp_lg_u32 s8, 0
	s_add_co_ci_u32 s39, s39, s43
	s_mul_u64 s[40:41], s[40:41], s[38:39]
	s_delay_alu instid0(SALU_CYCLE_1)
	s_mul_hi_u32 s43, s38, s41
	s_mul_i32 s42, s38, s41
	s_mul_hi_u32 s22, s38, s40
	s_mul_i32 s46, s39, s40
	s_add_nc_u64 s[42:43], s[22:23], s[42:43]
	s_mul_hi_u32 s8, s39, s40
	s_mul_hi_u32 s47, s39, s41
	s_add_co_u32 s22, s42, s46
	s_add_co_ci_u32 s22, s43, s8
	s_mul_i32 s40, s39, s41
	s_add_co_ci_u32 s41, s47, 0
	s_delay_alu instid0(SALU_CYCLE_1) | instskip(NEXT) | instid1(SALU_CYCLE_1)
	s_add_nc_u64 s[40:41], s[22:23], s[40:41]
	s_add_co_u32 s8, s38, s40
	s_cselect_b32 s38, -1, 0
	s_mul_hi_u32 s22, s20, s8
	s_cmp_lg_u32 s38, 0
	s_mul_hi_u32 s42, s21, s8
	s_add_co_ci_u32 s40, s39, s41
	s_mul_i32 s8, s21, s8
	s_mul_hi_u32 s39, s20, s40
	s_mul_i32 s38, s20, s40
	s_mul_hi_u32 s41, s21, s40
	s_add_nc_u64 s[38:39], s[22:23], s[38:39]
	s_mul_i32 s40, s21, s40
	s_add_co_u32 s8, s38, s8
	s_add_co_ci_u32 s22, s39, s42
	s_add_co_ci_u32 s41, s41, 0
	s_delay_alu instid0(SALU_CYCLE_1) | instskip(NEXT) | instid1(SALU_CYCLE_1)
	s_add_nc_u64 s[38:39], s[22:23], s[40:41]
	s_and_b64 s[40:41], s[38:39], 0xffffffff00000000
	s_delay_alu instid0(SALU_CYCLE_1) | instskip(NEXT) | instid1(SALU_CYCLE_1)
	s_or_b32 s40, s40, s38
	s_mul_u64 s[38:39], s[34:35], s[40:41]
	s_delay_alu instid0(SALU_CYCLE_1) | instskip(SKIP_1) | instid1(SALU_CYCLE_1)
	s_sub_co_u32 s8, s20, s38
	s_cselect_b32 s22, -1, 0
	s_cmp_lg_u32 s22, 0
	s_sub_co_ci_u32 s22, s21, s39
	s_sub_co_u32 s38, s8, s34
	s_cselect_b32 s39, -1, 0
	s_delay_alu instid0(SALU_CYCLE_1) | instskip(SKIP_3) | instid1(SALU_CYCLE_1)
	s_cmp_lg_u32 s39, 0
	s_sub_co_ci_u32 s39, s22, 0
	s_sub_co_u32 s40, s38, s34
	s_cselect_b32 s41, -1, 0
	s_cmp_lg_u32 s41, 0
	s_sub_co_ci_u32 s41, s39, 0
	s_cmp_ge_u32 s38, s34
	s_cselect_b32 s42, -1, 0
	s_cmp_eq_u32 s39, 0
	s_cselect_b32 s42, s42, -1
	s_delay_alu instid0(SALU_CYCLE_1)
	s_cmp_lg_u32 s42, 0
	s_cselect_b32 s39, s41, s39
	s_cselect_b32 s38, s40, s38
	s_cmp_ge_u32 s8, s34
	s_cselect_b32 s40, -1, 0
	s_cmp_eq_u32 s22, 0
	s_cselect_b32 s40, s40, -1
	s_delay_alu instid0(SALU_CYCLE_1)
	s_cmp_lg_u32 s40, 0
	s_cselect_b32 s73, s39, s22
	s_cselect_b32 s72, s38, s8
	s_cbranch_execnz .LBB207_90
.LBB207_89:                             ;   in Loop: Header=BB207_12 Depth=1
	v_cvt_f32_u32_e32 v2, s34
	s_sub_co_i32 s22, 0, s34
	s_delay_alu instid0(VALU_DEP_1) | instskip(SKIP_1) | instid1(TRANS32_DEP_1)
	v_rcp_iflag_f32_e32 v2, v2
	v_nop
	v_mul_f32_e32 v2, 0x4f7ffffe, v2
	s_delay_alu instid0(VALU_DEP_1) | instskip(NEXT) | instid1(VALU_DEP_1)
	v_cvt_u32_f32_e32 v2, v2
	v_readfirstlane_b32 s8, v2
	s_mul_i32 s22, s22, s8
	s_delay_alu instid0(SALU_CYCLE_1) | instskip(NEXT) | instid1(SALU_CYCLE_1)
	s_mul_hi_u32 s22, s8, s22
	s_add_co_i32 s8, s8, s22
	s_delay_alu instid0(SALU_CYCLE_1) | instskip(NEXT) | instid1(SALU_CYCLE_1)
	s_mul_hi_u32 s8, s20, s8
	s_mul_i32 s8, s8, s34
	s_delay_alu instid0(SALU_CYCLE_1) | instskip(NEXT) | instid1(SALU_CYCLE_1)
	s_sub_co_i32 s8, s20, s8
	s_sub_co_i32 s22, s8, s34
	s_cmp_ge_u32 s8, s34
	s_cselect_b32 s8, s22, s8
	s_delay_alu instid0(SALU_CYCLE_1) | instskip(SKIP_2) | instid1(SALU_CYCLE_1)
	s_sub_co_i32 s22, s8, s34
	s_cmp_ge_u32 s8, s34
	s_cselect_b32 s22, s22, s8
	s_mov_b64 s[72:73], s[22:23]
.LBB207_90:                             ;   in Loop: Header=BB207_12 Depth=1
	s_delay_alu instid0(SALU_CYCLE_1)
	s_sub_nc_u64 s[20:21], s[20:21], s[72:73]
	s_mov_b32 s22, 0
	s_mov_b32 s38, 0
	s_mov_b32 s39, exec_lo
                                        ; implicit-def: $vgpr10
	v_cmpx_gt_u64_e64 s[20:21], v[0:1]
	s_cbranch_execz .LBB207_103
; %bb.91:                               ;   in Loop: Header=BB207_12 Depth=1
	v_mov_b64_e32 v[4:5], v[0:1]
	v_mov_b32_e32 v2, v28
                                        ; implicit-def: $sgpr40
	s_branch .LBB207_95
.LBB207_92:                             ;   in Loop: Header=BB207_95 Depth=2
	s_or_b32 exec_lo, exec_lo, s8
	s_wait_dscnt 0x0
	s_barrier_signal -1
	s_barrier_wait -1
	ds_load_b32 v6, v3 offset:3072
	s_wait_dscnt 0x0
	s_barrier_signal -1
	s_barrier_wait -1
	v_cmp_neq_f16_e32 vcc_lo, 0, v6
	s_cbranch_vccnz .LBB207_98
; %bb.93:                               ;   in Loop: Header=BB207_95 Depth=2
	v_add_nc_u64_e32 v[4:5], s[34:35], v[4:5]
	v_add_nc_u32_e32 v2, s93, v2
	s_mov_b32 s8, 0
	s_delay_alu instid0(VALU_DEP_2)
	v_cmp_le_u64_e32 vcc_lo, s[20:21], v[4:5]
	s_or_not1_b32 s41, vcc_lo, exec_lo
.LBB207_94:                             ;   in Loop: Header=BB207_95 Depth=2
	s_delay_alu instid0(SALU_CYCLE_1) | instskip(NEXT) | instid1(SALU_CYCLE_1)
	s_and_b32 s41, exec_lo, s41
	s_or_b32 s38, s41, s38
	s_and_not1_b32 s40, s40, exec_lo
	s_and_b32 s8, s8, exec_lo
	s_delay_alu instid0(SALU_CYCLE_1)
	s_or_b32 s40, s40, s8
	s_and_not1_b32 exec_lo, exec_lo, s38
	s_cbranch_execz .LBB207_102
.LBB207_95:                             ;   Parent Loop BB207_12 Depth=1
                                        ; =>  This Inner Loop Header: Depth=2
	s_mov_b32 s8, exec_lo
	s_delay_alu instid0(VALU_DEP_2)
	v_cmpx_gt_u64_e64 s[10:11], v[4:5]
	s_cbranch_execz .LBB207_92
; %bb.96:                               ;   in Loop: Header=BB207_95 Depth=2
	ds_load_u16 v6, v2
	s_wait_dscnt 0x0
	v_cmp_lt_i16_e32 vcc_lo, -1, v6
	v_and_b32_e32 v7, 0xffff, v6
	v_cndmask_b32_e32 v10, 0xffff, v34, vcc_lo
	v_cmp_o_f16_e32 vcc_lo, v6, v6
	s_delay_alu instid0(VALU_DEP_2) | instskip(NEXT) | instid1(VALU_DEP_1)
	v_xor_b32_e32 v7, v10, v7
	v_cndmask_b32_e32 v7, 0xffff, v7, vcc_lo
	s_delay_alu instid0(VALU_DEP_1) | instskip(NEXT) | instid1(VALU_DEP_1)
	v_and_b32_e32 v7, v7, v9
	v_cmp_eq_u32_e32 vcc_lo, v7, v8
	s_and_b32 exec_lo, exec_lo, vcc_lo
	s_cbranch_execz .LBB207_92
; %bb.97:                               ;   in Loop: Header=BB207_95 Depth=2
	v_perm_b32 v6, v6, s95, 0x5040100
	ds_store_b32 v3, v6 offset:3072
	s_branch .LBB207_92
.LBB207_98:                             ;   in Loop: Header=BB207_95 Depth=2
	s_mov_b32 s41, -1
	s_mov_b32 s8, -1
                                        ; implicit-def: $vgpr4_vgpr5
                                        ; implicit-def: $vgpr2
	s_branch .LBB207_94
.LBB207_99:                             ;   in Loop: Header=BB207_12 Depth=1
	s_or_b32 exec_lo, exec_lo, s12
	s_wait_dscnt 0x0
	s_barrier_signal -1
	s_barrier_wait -1
	s_and_saveexec_b32 s8, s5
	s_cbranch_execz .LBB207_101
; %bb.100:                              ;   in Loop: Header=BB207_12 Depth=1
	ds_load_b32 v4, v3 offset:5144
	s_wait_dscnt 0x0
	v_ashrrev_i32_e32 v5, 31, v4
	ds_store_b64 v3, v[4:5] offset:5120
.LBB207_101:                            ;   in Loop: Header=BB207_12 Depth=1
	s_or_b32 exec_lo, exec_lo, s8
	s_wait_dscnt 0x0
	s_barrier_signal -1
	s_mov_b32 s9, -1
	s_barrier_wait -1
	s_and_b32 vcc_lo, exec_lo, s11
	s_cbranch_vccnz .LBB207_27
	s_branch .LBB207_42
.LBB207_102:                            ;   in Loop: Header=BB207_12 Depth=1
	s_or_b32 exec_lo, exec_lo, s38
	v_lshrrev_b32_e32 v10, 16, v6
	s_and_b32 s38, s40, exec_lo
.LBB207_103:                            ;   in Loop: Header=BB207_12 Depth=1
	s_or_b32 exec_lo, exec_lo, s39
.LBB207_104:                            ;   in Loop: Header=BB207_12 Depth=1
	s_delay_alu instid0(SALU_CYCLE_1)
	s_and_b32 vcc_lo, exec_lo, s22
	s_cbranch_vccz .LBB207_119
; %bb.105:                              ;   in Loop: Header=BB207_12 Depth=1
	s_and_b64 s[10:11], s[60:61], 0xffffffff00000000
	s_delay_alu instid0(SALU_CYCLE_1)
	s_cmp_lg_u64 s[10:11], 0
	s_cbranch_scc0 .LBB207_148
; %bb.106:                              ;   in Loop: Header=BB207_12 Depth=1
	s_cvt_f32_u32 s8, s34
	s_sub_nc_u64 s[20:21], 0, s[34:35]
	s_delay_alu instid0(SALU_CYCLE_2) | instskip(NEXT) | instid1(SALU_CYCLE_3)
	s_fmamk_f32 s8, s94, 0x0, s8
	v_s_rcp_f32 s8, s8
	s_delay_alu instid0(TRANS32_DEP_1) | instskip(NEXT) | instid1(SALU_CYCLE_3)
	s_mul_f32 s8, s8, 0x5f7ffffc
	s_mul_f32 s10, s8, 0x2f800000
	s_delay_alu instid0(SALU_CYCLE_3) | instskip(NEXT) | instid1(SALU_CYCLE_3)
	s_trunc_f32 s10, s10
	s_fmamk_f32 s8, s10, 0xcf800000, s8
	s_cvt_u32_f32 s11, s10
	s_delay_alu instid0(SALU_CYCLE_2) | instskip(NEXT) | instid1(SALU_CYCLE_3)
	s_cvt_u32_f32 s10, s8
	s_mul_u64 s[40:41], s[20:21], s[10:11]
	s_delay_alu instid0(SALU_CYCLE_1)
	s_mul_hi_u32 s43, s10, s41
	s_mul_i32 s42, s10, s41
	s_mul_hi_u32 s22, s10, s40
	s_mul_i32 s39, s11, s40
	s_add_nc_u64 s[42:43], s[22:23], s[42:43]
	s_mul_hi_u32 s8, s11, s40
	s_mul_hi_u32 s46, s11, s41
	s_add_co_u32 s22, s42, s39
	s_add_co_ci_u32 s22, s43, s8
	s_mul_i32 s40, s11, s41
	s_add_co_ci_u32 s41, s46, 0
	s_delay_alu instid0(SALU_CYCLE_1) | instskip(NEXT) | instid1(SALU_CYCLE_1)
	s_add_nc_u64 s[40:41], s[22:23], s[40:41]
	s_add_co_u32 s10, s10, s40
	s_cselect_b32 s8, -1, 0
	s_delay_alu instid0(SALU_CYCLE_1) | instskip(SKIP_1) | instid1(SALU_CYCLE_1)
	s_cmp_lg_u32 s8, 0
	s_add_co_ci_u32 s11, s11, s41
	s_mul_u64 s[20:21], s[20:21], s[10:11]
	s_delay_alu instid0(SALU_CYCLE_1)
	s_mul_hi_u32 s41, s10, s21
	s_mul_i32 s40, s10, s21
	s_mul_hi_u32 s22, s10, s20
	s_mul_i32 s39, s11, s20
	s_add_nc_u64 s[40:41], s[22:23], s[40:41]
	s_mul_hi_u32 s8, s11, s20
	s_mul_hi_u32 s42, s11, s21
	s_mul_i32 s20, s11, s21
	s_add_co_u32 s21, s40, s39
	s_add_co_ci_u32 s22, s41, s8
	s_add_co_ci_u32 s21, s42, 0
	s_delay_alu instid0(SALU_CYCLE_1) | instskip(NEXT) | instid1(SALU_CYCLE_1)
	s_add_nc_u64 s[20:21], s[22:23], s[20:21]
	s_add_co_u32 s8, s10, s20
	s_cselect_b32 s10, -1, 0
	s_mul_hi_u32 s22, s60, s8
	s_cmp_lg_u32 s10, 0
	s_mul_hi_u32 s39, s61, s8
	s_add_co_ci_u32 s20, s11, s21
	s_mul_i32 s8, s61, s8
	s_mul_hi_u32 s11, s60, s20
	s_mul_i32 s10, s60, s20
	s_mul_hi_u32 s21, s61, s20
	s_add_nc_u64 s[10:11], s[22:23], s[10:11]
	s_mul_i32 s20, s61, s20
	s_add_co_u32 s8, s10, s8
	s_add_co_ci_u32 s22, s11, s39
	s_add_co_ci_u32 s21, s21, 0
	s_delay_alu instid0(SALU_CYCLE_1) | instskip(NEXT) | instid1(SALU_CYCLE_1)
	s_add_nc_u64 s[10:11], s[22:23], s[20:21]
	s_and_b64 s[20:21], s[10:11], 0xffffffff00000000
	s_delay_alu instid0(SALU_CYCLE_1) | instskip(NEXT) | instid1(SALU_CYCLE_1)
	s_or_b32 s20, s20, s10
	s_mul_u64 s[10:11], s[34:35], s[20:21]
	s_delay_alu instid0(SALU_CYCLE_1) | instskip(SKIP_1) | instid1(SALU_CYCLE_1)
	s_sub_co_u32 s8, s60, s10
	s_cselect_b32 s10, -1, 0
	s_cmp_lg_u32 s10, 0
	s_sub_co_ci_u32 s10, s61, s11
	s_sub_co_u32 s11, s8, s34
	s_cselect_b32 s20, -1, 0
	s_delay_alu instid0(SALU_CYCLE_1) | instskip(SKIP_3) | instid1(SALU_CYCLE_1)
	s_cmp_lg_u32 s20, 0
	s_sub_co_ci_u32 s20, s10, 0
	s_sub_co_u32 s21, s11, s34
	s_cselect_b32 s22, -1, 0
	s_cmp_lg_u32 s22, 0
	s_sub_co_ci_u32 s22, s20, 0
	s_cmp_ge_u32 s11, s34
	s_cselect_b32 s39, -1, 0
	s_cmp_eq_u32 s20, 0
	s_cselect_b32 s39, s39, -1
	s_delay_alu instid0(SALU_CYCLE_1)
	s_cmp_lg_u32 s39, 0
	s_cselect_b32 s20, s22, s20
	s_cselect_b32 s21, s21, s11
	s_cmp_ge_u32 s8, s34
	s_cselect_b32 s11, -1, 0
	s_cmp_eq_u32 s10, 0
	s_cselect_b32 s11, s11, -1
	s_delay_alu instid0(SALU_CYCLE_1)
	s_cmp_lg_u32 s11, 0
	s_cselect_b32 s11, s20, s10
	s_cselect_b32 s10, s21, s8
	s_cbranch_execnz .LBB207_108
.LBB207_107:                            ;   in Loop: Header=BB207_12 Depth=1
	v_cvt_f32_u32_e32 v2, s34
	s_sub_co_i32 s10, 0, s34
	s_delay_alu instid0(VALU_DEP_1) | instskip(SKIP_1) | instid1(TRANS32_DEP_1)
	v_rcp_iflag_f32_e32 v2, v2
	v_nop
	v_mul_f32_e32 v2, 0x4f7ffffe, v2
	s_delay_alu instid0(VALU_DEP_1) | instskip(NEXT) | instid1(VALU_DEP_1)
	v_cvt_u32_f32_e32 v2, v2
	v_readfirstlane_b32 s8, v2
	s_mul_i32 s10, s10, s8
	s_delay_alu instid0(SALU_CYCLE_1) | instskip(NEXT) | instid1(SALU_CYCLE_1)
	s_mul_hi_u32 s10, s8, s10
	s_add_co_i32 s8, s8, s10
	s_delay_alu instid0(SALU_CYCLE_1) | instskip(NEXT) | instid1(SALU_CYCLE_1)
	s_mul_hi_u32 s8, s60, s8
	s_mul_i32 s8, s8, s34
	s_delay_alu instid0(SALU_CYCLE_1) | instskip(NEXT) | instid1(SALU_CYCLE_1)
	s_sub_co_i32 s8, s60, s8
	s_sub_co_i32 s10, s8, s34
	s_cmp_ge_u32 s8, s34
	s_cselect_b32 s8, s10, s8
	s_delay_alu instid0(SALU_CYCLE_1) | instskip(SKIP_2) | instid1(SALU_CYCLE_1)
	s_sub_co_i32 s10, s8, s34
	s_cmp_ge_u32 s8, s34
	s_cselect_b32 s22, s10, s8
	s_mov_b64 s[10:11], s[22:23]
.LBB207_108:                            ;   in Loop: Header=BB207_12 Depth=1
	s_delay_alu instid0(SALU_CYCLE_1)
	s_sub_nc_u64 s[10:11], s[60:61], s[10:11]
	s_mov_b32 s20, exec_lo
                                        ; implicit-def: $vgpr10
	v_cmpx_gt_u64_e64 s[10:11], v[0:1]
	s_cbranch_execz .LBB207_118
; %bb.109:                              ;   in Loop: Header=BB207_12 Depth=1
	v_mov_b64_e32 v[4:5], v[0:1]
	s_mov_b32 s21, 0
                                        ; implicit-def: $sgpr22
	s_branch .LBB207_113
.LBB207_110:                            ;   in Loop: Header=BB207_113 Depth=2
	s_or_b32 exec_lo, exec_lo, s39
	s_wait_dscnt 0x0
	s_barrier_signal -1
	s_barrier_wait -1
	ds_load_b32 v2, v3 offset:3072
	s_wait_dscnt 0x0
	s_barrier_signal -1
	s_barrier_wait -1
	v_cmp_neq_f16_e32 vcc_lo, 0, v2
	s_cbranch_vccnz .LBB207_116
; %bb.111:                              ;   in Loop: Header=BB207_113 Depth=2
	v_add_nc_u64_e32 v[4:5], s[34:35], v[4:5]
	s_mov_b32 s8, 0
	s_delay_alu instid0(VALU_DEP_1)
	v_cmp_le_u64_e32 vcc_lo, s[10:11], v[4:5]
	s_or_not1_b32 s39, vcc_lo, exec_lo
.LBB207_112:                            ;   in Loop: Header=BB207_113 Depth=2
	s_delay_alu instid0(SALU_CYCLE_1) | instskip(NEXT) | instid1(SALU_CYCLE_1)
	s_and_b32 s39, exec_lo, s39
	s_or_b32 s21, s39, s21
	s_and_not1_b32 s22, s22, exec_lo
	s_and_b32 s8, s8, exec_lo
	s_delay_alu instid0(SALU_CYCLE_1)
	s_or_b32 s22, s22, s8
	s_and_not1_b32 exec_lo, exec_lo, s21
	s_cbranch_execz .LBB207_117
.LBB207_113:                            ;   Parent Loop BB207_12 Depth=1
                                        ; =>  This Inner Loop Header: Depth=2
	s_mov_b32 s39, exec_lo
	s_delay_alu instid0(VALU_DEP_1)
	v_cmpx_gt_u64_e64 s[28:29], v[4:5]
	s_cbranch_execz .LBB207_110
; %bb.114:                              ;   in Loop: Header=BB207_113 Depth=2
	v_mul_u64_e32 v[6:7], s[26:27], v[4:5]
	s_delay_alu instid0(VALU_DEP_1)
	v_lshl_add_u64 v[6:7], v[6:7], 1, s[24:25]
	global_load_u16 v2, v[6:7], off
	s_wait_loadcnt 0x0
	v_cmp_lt_i16_e32 vcc_lo, -1, v2
	s_wait_xcnt 0x0
	v_and_b32_e32 v6, 0xffff, v2
	v_cndmask_b32_e32 v7, 0xffff, v34, vcc_lo
	v_cmp_o_f16_e32 vcc_lo, v2, v2
	s_delay_alu instid0(VALU_DEP_2) | instskip(NEXT) | instid1(VALU_DEP_1)
	v_xor_b32_e32 v6, v7, v6
	v_cndmask_b32_e32 v6, 0xffff, v6, vcc_lo
	s_delay_alu instid0(VALU_DEP_1) | instskip(NEXT) | instid1(VALU_DEP_1)
	v_and_b32_e32 v6, v6, v9
	v_cmp_eq_u32_e32 vcc_lo, v6, v8
	s_and_b32 exec_lo, exec_lo, vcc_lo
	s_cbranch_execz .LBB207_110
; %bb.115:                              ;   in Loop: Header=BB207_113 Depth=2
	v_perm_b32 v2, v2, s95, 0x5040100
	ds_store_b32 v3, v2 offset:3072
	s_branch .LBB207_110
.LBB207_116:                            ;   in Loop: Header=BB207_113 Depth=2
	s_mov_b32 s39, -1
	s_mov_b32 s8, -1
                                        ; implicit-def: $vgpr4_vgpr5
	s_branch .LBB207_112
.LBB207_117:                            ;   in Loop: Header=BB207_12 Depth=1
	s_or_b32 exec_lo, exec_lo, s21
	v_lshrrev_b32_e32 v10, 16, v2
	s_and_not1_b32 s8, s38, exec_lo
	s_and_b32 s10, s22, exec_lo
	s_delay_alu instid0(SALU_CYCLE_1)
	s_or_b32 s38, s8, s10
.LBB207_118:                            ;   in Loop: Header=BB207_12 Depth=1
	s_or_b32 exec_lo, exec_lo, s20
	s_mov_b32 s78, 0
	s_mov_b32 s79, -1
.LBB207_119:                            ;   in Loop: Header=BB207_12 Depth=1
	s_or_not1_b32 s10, s38, exec_lo
.LBB207_120:                            ;   in Loop: Header=BB207_12 Depth=1
	s_or_b32 exec_lo, exec_lo, s37
	s_mov_b32 s80, 0
	s_mov_b32 s77, 0
	s_mov_b32 s76, 0
                                        ; implicit-def: $vgpr4_vgpr5
                                        ; implicit-def: $vgpr2
	s_and_saveexec_b32 s81, s10
	s_cbranch_execz .LBB207_284
; %bb.121:                              ;   in Loop: Header=BB207_12 Depth=1
	v_mov_b64_e32 v[4:5], 1
	v_mov_b32_e32 v2, 1
	s_xor_b32 s8, s36, -1
	s_mov_b32 s11, 0
	s_and_saveexec_b32 s10, s8
	s_cbranch_execz .LBB207_130
; %bb.122:                              ;   in Loop: Header=BB207_12 Depth=1
	s_mov_b32 s8, exec_lo
	v_cmpx_ge_u64_e64 s[12:13], v[22:23]
	s_xor_b32 s11, exec_lo, s8
	s_cbranch_execz .LBB207_127
; %bb.123:                              ;   in Loop: Header=BB207_12 Depth=1
	ds_load_b64 v[4:5], v3 offset:5120
	v_and_b32_e32 v8, s74, v8
	v_or_b32_e32 v9, s57, v9
	s_wait_dscnt 0x0
	v_cmp_ne_u64_e32 vcc_lo, 0, v[4:5]
	s_cbranch_vccnz .LBB207_127
; %bb.124:                              ;   in Loop: Header=BB207_12 Depth=1
	s_and_saveexec_b32 s8, s5
; %bb.125:                              ;   in Loop: Header=BB207_12 Depth=1
	v_mov_b64_e32 v[4:5], s[12:13]
	ds_store_b64 v3, v[4:5] offset:5128
; %bb.126:                              ;   in Loop: Header=BB207_12 Depth=1
	s_or_b32 exec_lo, exec_lo, s8
	s_wait_dscnt 0x0
	s_barrier_signal -1
	s_barrier_wait -1
.LBB207_127:                            ;   in Loop: Header=BB207_12 Depth=1
	s_or_saveexec_b32 s11, s11
	v_mov_b64_e32 v[4:5], v[22:23]
	v_mov_b32_e32 v2, 8
	s_mov_b32 s8, 0
	s_xor_b32 exec_lo, exec_lo, s11
; %bb.128:                              ;   in Loop: Header=BB207_12 Depth=1
	v_sub_nc_u64_e64 v[4:5], v[22:23], s[12:13]
	v_mov_b32_e32 v2, 0
	s_mov_b32 s8, exec_lo
; %bb.129:                              ;   in Loop: Header=BB207_12 Depth=1
	s_or_b32 exec_lo, exec_lo, s11
	s_delay_alu instid0(SALU_CYCLE_1)
	s_and_b32 s11, s8, exec_lo
.LBB207_130:                            ;   in Loop: Header=BB207_12 Depth=1
	s_or_b32 exec_lo, exec_lo, s10
	s_mov_b32 s10, -1
                                        ; implicit-def: $sgpr77
                                        ; implicit-def: $sgpr82
	s_and_saveexec_b32 s8, s11
	s_delay_alu instid0(SALU_CYCLE_1)
	s_xor_b32 s76, exec_lo, s8
	s_cbranch_execz .LBB207_281
; %bb.131:                              ;   in Loop: Header=BB207_12 Depth=1
	v_cmp_eq_u64_e32 vcc_lo, 1, v[4:5]
	s_cmp_eq_u64 s[14:15], 1
                                        ; implicit-def: $sgpr82
                                        ; implicit-def: $sgpr77
	s_cselect_b32 s8, -1, 0
	s_delay_alu instid0(SALU_CYCLE_1) | instskip(NEXT) | instid1(SALU_CYCLE_1)
	s_and_b32 s36, s8, vcc_lo
	s_and_saveexec_b32 s37, s36
	s_cbranch_execz .LBB207_167
; %bb.132:                              ;   in Loop: Header=BB207_12 Depth=1
	ds_load_b64 v[6:7], v3 offset:5120
	s_wait_dscnt 0x0
	s_barrier_signal -1
	s_barrier_wait -1
	v_readfirstlane_b32 s10, v6
	v_readfirstlane_b32 s11, v7
	s_and_saveexec_b32 s8, s6
; %bb.133:                              ;   in Loop: Header=BB207_12 Depth=1
	ds_store_b16 v29, v3
; %bb.134:                              ;   in Loop: Header=BB207_12 Depth=1
	s_or_b32 exec_lo, exec_lo, s8
	s_lshl_b32 s8, 1, s96
	v_or_b32_e32 v9, s57, v9
	v_and_or_b32 v8, v8, s74, s8
	s_mov_b32 s77, -1
	s_mov_b32 s82, 0
	s_cmp_eq_u64 s[10:11], 0
	s_mov_b32 s38, 0
	s_mov_b32 s22, -1
	s_wait_dscnt 0x0
	s_barrier_signal -1
	s_barrier_wait -1
                                        ; implicit-def: $vgpr10
	s_cbranch_scc1 .LBB207_151
; %bb.135:                              ;   in Loop: Header=BB207_12 Depth=1
	s_add_nc_u64 s[20:21], s[10:11], s[58:59]
	s_delay_alu instid0(SALU_CYCLE_1) | instskip(NEXT) | instid1(SALU_CYCLE_1)
	s_and_b64 s[38:39], s[20:21], 0xffffffff00000000
	s_cmp_lg_u64 s[38:39], 0
	s_cbranch_scc0 .LBB207_194
; %bb.136:                              ;   in Loop: Header=BB207_12 Depth=1
	s_cvt_f32_u32 s8, s34
	s_sub_nc_u64 s[40:41], 0, s[34:35]
	s_delay_alu instid0(SALU_CYCLE_2) | instskip(NEXT) | instid1(SALU_CYCLE_3)
	s_fmamk_f32 s8, s94, 0x0, s8
	v_s_rcp_f32 s8, s8
	s_delay_alu instid0(TRANS32_DEP_1) | instskip(NEXT) | instid1(SALU_CYCLE_3)
	s_mul_f32 s8, s8, 0x5f7ffffc
	s_mul_f32 s22, s8, 0x2f800000
	s_delay_alu instid0(SALU_CYCLE_3) | instskip(NEXT) | instid1(SALU_CYCLE_3)
	s_trunc_f32 s22, s22
	s_fmamk_f32 s8, s22, 0xcf800000, s8
	s_cvt_u32_f32 s39, s22
	s_delay_alu instid0(SALU_CYCLE_2) | instskip(NEXT) | instid1(SALU_CYCLE_3)
	s_cvt_u32_f32 s38, s8
	s_mul_u64 s[42:43], s[40:41], s[38:39]
	s_delay_alu instid0(SALU_CYCLE_1)
	s_mul_hi_u32 s73, s38, s43
	s_mul_i32 s72, s38, s43
	s_mul_hi_u32 s22, s38, s42
	s_mul_i32 s46, s39, s42
	s_add_nc_u64 s[72:73], s[22:23], s[72:73]
	s_mul_hi_u32 s8, s39, s42
	s_mul_hi_u32 s47, s39, s43
	s_add_co_u32 s22, s72, s46
	s_add_co_ci_u32 s22, s73, s8
	s_mul_i32 s42, s39, s43
	s_add_co_ci_u32 s43, s47, 0
	s_delay_alu instid0(SALU_CYCLE_1) | instskip(NEXT) | instid1(SALU_CYCLE_1)
	s_add_nc_u64 s[42:43], s[22:23], s[42:43]
	s_add_co_u32 s38, s38, s42
	s_cselect_b32 s8, -1, 0
	s_delay_alu instid0(SALU_CYCLE_1) | instskip(SKIP_1) | instid1(SALU_CYCLE_1)
	s_cmp_lg_u32 s8, 0
	s_add_co_ci_u32 s39, s39, s43
	s_mul_u64 s[40:41], s[40:41], s[38:39]
	s_delay_alu instid0(SALU_CYCLE_1)
	s_mul_hi_u32 s43, s38, s41
	s_mul_i32 s42, s38, s41
	s_mul_hi_u32 s22, s38, s40
	s_mul_i32 s46, s39, s40
	s_add_nc_u64 s[42:43], s[22:23], s[42:43]
	s_mul_hi_u32 s8, s39, s40
	s_mul_hi_u32 s47, s39, s41
	s_add_co_u32 s22, s42, s46
	s_add_co_ci_u32 s22, s43, s8
	s_mul_i32 s40, s39, s41
	s_add_co_ci_u32 s41, s47, 0
	s_delay_alu instid0(SALU_CYCLE_1) | instskip(NEXT) | instid1(SALU_CYCLE_1)
	s_add_nc_u64 s[40:41], s[22:23], s[40:41]
	s_add_co_u32 s8, s38, s40
	s_cselect_b32 s38, -1, 0
	s_mul_hi_u32 s22, s20, s8
	s_cmp_lg_u32 s38, 0
	s_mul_hi_u32 s42, s21, s8
	s_add_co_ci_u32 s40, s39, s41
	s_mul_i32 s8, s21, s8
	s_mul_hi_u32 s39, s20, s40
	s_mul_i32 s38, s20, s40
	s_mul_hi_u32 s41, s21, s40
	s_add_nc_u64 s[38:39], s[22:23], s[38:39]
	s_mul_i32 s40, s21, s40
	s_add_co_u32 s8, s38, s8
	s_add_co_ci_u32 s22, s39, s42
	s_add_co_ci_u32 s41, s41, 0
	s_delay_alu instid0(SALU_CYCLE_1) | instskip(NEXT) | instid1(SALU_CYCLE_1)
	s_add_nc_u64 s[38:39], s[22:23], s[40:41]
	s_and_b64 s[40:41], s[38:39], 0xffffffff00000000
	s_delay_alu instid0(SALU_CYCLE_1) | instskip(NEXT) | instid1(SALU_CYCLE_1)
	s_or_b32 s40, s40, s38
	s_mul_u64 s[38:39], s[34:35], s[40:41]
	s_delay_alu instid0(SALU_CYCLE_1) | instskip(SKIP_1) | instid1(SALU_CYCLE_1)
	s_sub_co_u32 s8, s20, s38
	s_cselect_b32 s22, -1, 0
	s_cmp_lg_u32 s22, 0
	s_sub_co_ci_u32 s22, s21, s39
	s_sub_co_u32 s38, s8, s34
	s_cselect_b32 s39, -1, 0
	s_delay_alu instid0(SALU_CYCLE_1) | instskip(SKIP_3) | instid1(SALU_CYCLE_1)
	s_cmp_lg_u32 s39, 0
	s_sub_co_ci_u32 s39, s22, 0
	s_sub_co_u32 s40, s38, s34
	s_cselect_b32 s41, -1, 0
	s_cmp_lg_u32 s41, 0
	s_sub_co_ci_u32 s41, s39, 0
	s_cmp_ge_u32 s38, s34
	s_cselect_b32 s42, -1, 0
	s_cmp_eq_u32 s39, 0
	s_cselect_b32 s42, s42, -1
	s_delay_alu instid0(SALU_CYCLE_1)
	s_cmp_lg_u32 s42, 0
	s_cselect_b32 s39, s41, s39
	s_cselect_b32 s38, s40, s38
	s_cmp_ge_u32 s8, s34
	s_cselect_b32 s40, -1, 0
	s_cmp_eq_u32 s22, 0
	s_cselect_b32 s40, s40, -1
	s_delay_alu instid0(SALU_CYCLE_1)
	s_cmp_lg_u32 s40, 0
	s_cselect_b32 s73, s39, s22
	s_cselect_b32 s72, s38, s8
	s_cbranch_execnz .LBB207_138
.LBB207_137:                            ;   in Loop: Header=BB207_12 Depth=1
	v_cvt_f32_u32_e32 v6, s34
	s_sub_co_i32 s22, 0, s34
	s_delay_alu instid0(VALU_DEP_1) | instskip(SKIP_1) | instid1(TRANS32_DEP_1)
	v_rcp_iflag_f32_e32 v6, v6
	v_nop
	v_mul_f32_e32 v6, 0x4f7ffffe, v6
	s_delay_alu instid0(VALU_DEP_1) | instskip(NEXT) | instid1(VALU_DEP_1)
	v_cvt_u32_f32_e32 v6, v6
	v_readfirstlane_b32 s8, v6
	s_mul_i32 s22, s22, s8
	s_delay_alu instid0(SALU_CYCLE_1) | instskip(NEXT) | instid1(SALU_CYCLE_1)
	s_mul_hi_u32 s22, s8, s22
	s_add_co_i32 s8, s8, s22
	s_delay_alu instid0(SALU_CYCLE_1) | instskip(NEXT) | instid1(SALU_CYCLE_1)
	s_mul_hi_u32 s8, s20, s8
	s_mul_i32 s8, s8, s34
	s_delay_alu instid0(SALU_CYCLE_1) | instskip(NEXT) | instid1(SALU_CYCLE_1)
	s_sub_co_i32 s8, s20, s8
	s_sub_co_i32 s22, s8, s34
	s_cmp_ge_u32 s8, s34
	s_cselect_b32 s8, s22, s8
	s_delay_alu instid0(SALU_CYCLE_1) | instskip(SKIP_2) | instid1(SALU_CYCLE_1)
	s_sub_co_i32 s22, s8, s34
	s_cmp_ge_u32 s8, s34
	s_cselect_b32 s22, s22, s8
	s_mov_b64 s[72:73], s[22:23]
.LBB207_138:                            ;   in Loop: Header=BB207_12 Depth=1
	s_delay_alu instid0(SALU_CYCLE_1)
	s_sub_nc_u64 s[20:21], s[20:21], s[72:73]
	s_mov_b32 s22, 0
	s_mov_b32 s38, 0
	s_mov_b32 s39, exec_lo
                                        ; implicit-def: $vgpr10
	v_cmpx_gt_u64_e64 s[20:21], v[0:1]
	s_cbranch_execz .LBB207_150
; %bb.139:                              ;   in Loop: Header=BB207_12 Depth=1
	v_mov_b64_e32 v[6:7], v[0:1]
	v_mov_b32_e32 v10, v28
                                        ; implicit-def: $sgpr40
	s_branch .LBB207_143
.LBB207_140:                            ;   in Loop: Header=BB207_143 Depth=2
	s_or_b32 exec_lo, exec_lo, s41
	s_wait_dscnt 0x0
	s_barrier_signal -1
	s_barrier_wait -1
	ds_load_b32 v11, v3 offset:3072
	s_wait_dscnt 0x0
	s_barrier_signal -1
	s_barrier_wait -1
	v_cmp_neq_f16_e32 vcc_lo, 0, v11
	s_cbranch_vccnz .LBB207_146
; %bb.141:                              ;   in Loop: Header=BB207_143 Depth=2
	v_add_nc_u64_e32 v[6:7], s[34:35], v[6:7]
	v_add_nc_u32_e32 v10, s93, v10
	s_mov_b32 s8, 0
	s_delay_alu instid0(VALU_DEP_2)
	v_cmp_le_u64_e32 vcc_lo, s[20:21], v[6:7]
	s_or_not1_b32 s41, vcc_lo, exec_lo
.LBB207_142:                            ;   in Loop: Header=BB207_143 Depth=2
	s_delay_alu instid0(SALU_CYCLE_1) | instskip(NEXT) | instid1(SALU_CYCLE_1)
	s_and_b32 s41, exec_lo, s41
	s_or_b32 s38, s41, s38
	s_and_not1_b32 s40, s40, exec_lo
	s_and_b32 s8, s8, exec_lo
	s_delay_alu instid0(SALU_CYCLE_1)
	s_or_b32 s40, s40, s8
	s_and_not1_b32 exec_lo, exec_lo, s38
	s_cbranch_execz .LBB207_149
.LBB207_143:                            ;   Parent Loop BB207_12 Depth=1
                                        ; =>  This Inner Loop Header: Depth=2
	s_mov_b32 s41, exec_lo
	s_delay_alu instid0(VALU_DEP_2)
	v_cmpx_gt_u64_e64 s[10:11], v[6:7]
	s_cbranch_execz .LBB207_140
; %bb.144:                              ;   in Loop: Header=BB207_143 Depth=2
	ds_load_u16 v11, v10
	s_wait_dscnt 0x0
	v_cmp_lt_i16_e32 vcc_lo, -1, v11
	v_and_b32_e32 v24, 0xffff, v11
	v_cndmask_b32_e32 v25, 0xffff, v34, vcc_lo
	v_cmp_o_f16_e32 vcc_lo, v11, v11
	s_delay_alu instid0(VALU_DEP_2) | instskip(NEXT) | instid1(VALU_DEP_1)
	v_xor_b32_e32 v24, v25, v24
	v_cndmask_b32_e32 v24, 0xffff, v24, vcc_lo
	s_delay_alu instid0(VALU_DEP_1) | instskip(NEXT) | instid1(VALU_DEP_1)
	v_and_b32_e32 v24, v24, v9
	v_cmp_eq_u32_e32 vcc_lo, v24, v8
	s_and_b32 exec_lo, exec_lo, vcc_lo
	s_cbranch_execz .LBB207_140
; %bb.145:                              ;   in Loop: Header=BB207_143 Depth=2
	v_perm_b32 v11, v11, s95, 0x5040100
	ds_store_b32 v3, v11 offset:3072
	s_branch .LBB207_140
.LBB207_146:                            ;   in Loop: Header=BB207_143 Depth=2
	s_mov_b32 s41, -1
	s_mov_b32 s8, -1
                                        ; implicit-def: $vgpr6_vgpr7
                                        ; implicit-def: $vgpr10
	s_branch .LBB207_142
.LBB207_147:                            ;   in Loop: Header=BB207_12 Depth=1
                                        ; implicit-def: $sgpr72_sgpr73
	s_branch .LBB207_89
.LBB207_148:                            ;   in Loop: Header=BB207_12 Depth=1
                                        ; implicit-def: $sgpr10_sgpr11
	s_branch .LBB207_107
.LBB207_149:                            ;   in Loop: Header=BB207_12 Depth=1
	s_or_b32 exec_lo, exec_lo, s38
	v_lshrrev_b32_e32 v10, 16, v11
	s_and_b32 s38, s40, exec_lo
.LBB207_150:                            ;   in Loop: Header=BB207_12 Depth=1
	s_or_b32 exec_lo, exec_lo, s39
.LBB207_151:                            ;   in Loop: Header=BB207_12 Depth=1
	s_delay_alu instid0(SALU_CYCLE_1)
	s_and_b32 vcc_lo, exec_lo, s22
	s_cbranch_vccz .LBB207_166
; %bb.152:                              ;   in Loop: Header=BB207_12 Depth=1
	s_and_b64 s[10:11], s[60:61], 0xffffffff00000000
	s_delay_alu instid0(SALU_CYCLE_1)
	s_cmp_lg_u64 s[10:11], 0
	s_cbranch_scc0 .LBB207_195
; %bb.153:                              ;   in Loop: Header=BB207_12 Depth=1
	s_cvt_f32_u32 s8, s34
	s_sub_nc_u64 s[20:21], 0, s[34:35]
	s_delay_alu instid0(SALU_CYCLE_2) | instskip(NEXT) | instid1(SALU_CYCLE_3)
	s_fmamk_f32 s8, s94, 0x0, s8
	v_s_rcp_f32 s8, s8
	s_delay_alu instid0(TRANS32_DEP_1) | instskip(NEXT) | instid1(SALU_CYCLE_3)
	s_mul_f32 s8, s8, 0x5f7ffffc
	s_mul_f32 s10, s8, 0x2f800000
	s_delay_alu instid0(SALU_CYCLE_3) | instskip(NEXT) | instid1(SALU_CYCLE_3)
	s_trunc_f32 s10, s10
	s_fmamk_f32 s8, s10, 0xcf800000, s8
	s_cvt_u32_f32 s11, s10
	s_delay_alu instid0(SALU_CYCLE_2) | instskip(NEXT) | instid1(SALU_CYCLE_3)
	s_cvt_u32_f32 s10, s8
	s_mul_u64 s[40:41], s[20:21], s[10:11]
	s_delay_alu instid0(SALU_CYCLE_1)
	s_mul_hi_u32 s43, s10, s41
	s_mul_i32 s42, s10, s41
	s_mul_hi_u32 s22, s10, s40
	s_mul_i32 s39, s11, s40
	s_add_nc_u64 s[42:43], s[22:23], s[42:43]
	s_mul_hi_u32 s8, s11, s40
	s_mul_hi_u32 s46, s11, s41
	s_add_co_u32 s22, s42, s39
	s_add_co_ci_u32 s22, s43, s8
	s_mul_i32 s40, s11, s41
	s_add_co_ci_u32 s41, s46, 0
	s_delay_alu instid0(SALU_CYCLE_1) | instskip(NEXT) | instid1(SALU_CYCLE_1)
	s_add_nc_u64 s[40:41], s[22:23], s[40:41]
	s_add_co_u32 s10, s10, s40
	s_cselect_b32 s8, -1, 0
	s_delay_alu instid0(SALU_CYCLE_1) | instskip(SKIP_1) | instid1(SALU_CYCLE_1)
	s_cmp_lg_u32 s8, 0
	s_add_co_ci_u32 s11, s11, s41
	s_mul_u64 s[20:21], s[20:21], s[10:11]
	s_delay_alu instid0(SALU_CYCLE_1)
	s_mul_hi_u32 s41, s10, s21
	s_mul_i32 s40, s10, s21
	s_mul_hi_u32 s22, s10, s20
	s_mul_i32 s39, s11, s20
	s_add_nc_u64 s[40:41], s[22:23], s[40:41]
	s_mul_hi_u32 s8, s11, s20
	s_mul_hi_u32 s42, s11, s21
	s_mul_i32 s20, s11, s21
	s_add_co_u32 s21, s40, s39
	s_add_co_ci_u32 s22, s41, s8
	s_add_co_ci_u32 s21, s42, 0
	s_delay_alu instid0(SALU_CYCLE_1) | instskip(NEXT) | instid1(SALU_CYCLE_1)
	s_add_nc_u64 s[20:21], s[22:23], s[20:21]
	s_add_co_u32 s8, s10, s20
	s_cselect_b32 s10, -1, 0
	s_mul_hi_u32 s22, s60, s8
	s_cmp_lg_u32 s10, 0
	s_mul_hi_u32 s39, s61, s8
	s_add_co_ci_u32 s20, s11, s21
	s_mul_i32 s8, s61, s8
	s_mul_hi_u32 s11, s60, s20
	s_mul_i32 s10, s60, s20
	s_mul_hi_u32 s21, s61, s20
	s_add_nc_u64 s[10:11], s[22:23], s[10:11]
	s_mul_i32 s20, s61, s20
	s_add_co_u32 s8, s10, s8
	s_add_co_ci_u32 s22, s11, s39
	s_add_co_ci_u32 s21, s21, 0
	s_delay_alu instid0(SALU_CYCLE_1) | instskip(NEXT) | instid1(SALU_CYCLE_1)
	s_add_nc_u64 s[10:11], s[22:23], s[20:21]
	s_and_b64 s[20:21], s[10:11], 0xffffffff00000000
	s_delay_alu instid0(SALU_CYCLE_1) | instskip(NEXT) | instid1(SALU_CYCLE_1)
	s_or_b32 s20, s20, s10
	s_mul_u64 s[10:11], s[34:35], s[20:21]
	s_delay_alu instid0(SALU_CYCLE_1) | instskip(SKIP_1) | instid1(SALU_CYCLE_1)
	s_sub_co_u32 s8, s60, s10
	s_cselect_b32 s10, -1, 0
	s_cmp_lg_u32 s10, 0
	s_sub_co_ci_u32 s10, s61, s11
	s_sub_co_u32 s11, s8, s34
	s_cselect_b32 s20, -1, 0
	s_delay_alu instid0(SALU_CYCLE_1) | instskip(SKIP_3) | instid1(SALU_CYCLE_1)
	s_cmp_lg_u32 s20, 0
	s_sub_co_ci_u32 s20, s10, 0
	s_sub_co_u32 s21, s11, s34
	s_cselect_b32 s22, -1, 0
	s_cmp_lg_u32 s22, 0
	s_sub_co_ci_u32 s22, s20, 0
	s_cmp_ge_u32 s11, s34
	s_cselect_b32 s39, -1, 0
	s_cmp_eq_u32 s20, 0
	s_cselect_b32 s39, s39, -1
	s_delay_alu instid0(SALU_CYCLE_1)
	s_cmp_lg_u32 s39, 0
	s_cselect_b32 s20, s22, s20
	s_cselect_b32 s21, s21, s11
	s_cmp_ge_u32 s8, s34
	s_cselect_b32 s11, -1, 0
	s_cmp_eq_u32 s10, 0
	s_cselect_b32 s11, s11, -1
	s_delay_alu instid0(SALU_CYCLE_1)
	s_cmp_lg_u32 s11, 0
	s_cselect_b32 s11, s20, s10
	s_cselect_b32 s10, s21, s8
	s_cbranch_execnz .LBB207_155
.LBB207_154:                            ;   in Loop: Header=BB207_12 Depth=1
	v_cvt_f32_u32_e32 v6, s34
	s_sub_co_i32 s10, 0, s34
	s_delay_alu instid0(VALU_DEP_1) | instskip(SKIP_1) | instid1(TRANS32_DEP_1)
	v_rcp_iflag_f32_e32 v6, v6
	v_nop
	v_mul_f32_e32 v6, 0x4f7ffffe, v6
	s_delay_alu instid0(VALU_DEP_1) | instskip(NEXT) | instid1(VALU_DEP_1)
	v_cvt_u32_f32_e32 v6, v6
	v_readfirstlane_b32 s8, v6
	s_mul_i32 s10, s10, s8
	s_delay_alu instid0(SALU_CYCLE_1) | instskip(NEXT) | instid1(SALU_CYCLE_1)
	s_mul_hi_u32 s10, s8, s10
	s_add_co_i32 s8, s8, s10
	s_delay_alu instid0(SALU_CYCLE_1) | instskip(NEXT) | instid1(SALU_CYCLE_1)
	s_mul_hi_u32 s8, s60, s8
	s_mul_i32 s8, s8, s34
	s_delay_alu instid0(SALU_CYCLE_1) | instskip(NEXT) | instid1(SALU_CYCLE_1)
	s_sub_co_i32 s8, s60, s8
	s_sub_co_i32 s10, s8, s34
	s_cmp_ge_u32 s8, s34
	s_cselect_b32 s8, s10, s8
	s_delay_alu instid0(SALU_CYCLE_1) | instskip(SKIP_2) | instid1(SALU_CYCLE_1)
	s_sub_co_i32 s10, s8, s34
	s_cmp_ge_u32 s8, s34
	s_cselect_b32 s22, s10, s8
	s_mov_b64 s[10:11], s[22:23]
.LBB207_155:                            ;   in Loop: Header=BB207_12 Depth=1
	s_delay_alu instid0(SALU_CYCLE_1)
	s_sub_nc_u64 s[10:11], s[60:61], s[10:11]
	s_mov_b32 s20, exec_lo
                                        ; implicit-def: $vgpr10
	v_cmpx_gt_u64_e64 s[10:11], v[0:1]
	s_cbranch_execz .LBB207_165
; %bb.156:                              ;   in Loop: Header=BB207_12 Depth=1
	v_mov_b64_e32 v[6:7], v[0:1]
	s_mov_b32 s21, 0
                                        ; implicit-def: $sgpr22
	s_branch .LBB207_160
.LBB207_157:                            ;   in Loop: Header=BB207_160 Depth=2
	s_or_b32 exec_lo, exec_lo, s39
	s_wait_dscnt 0x0
	s_barrier_signal -1
	s_barrier_wait -1
	ds_load_b32 v10, v3 offset:3072
	s_wait_dscnt 0x0
	s_barrier_signal -1
	s_barrier_wait -1
	v_cmp_eq_f16_e32 vcc_lo, 0, v10
	s_cbranch_vccz .LBB207_163
; %bb.158:                              ;   in Loop: Header=BB207_160 Depth=2
	v_add_nc_u64_e32 v[6:7], s[34:35], v[6:7]
	s_mov_b32 s8, 0
	s_delay_alu instid0(VALU_DEP_1)
	v_cmp_le_u64_e32 vcc_lo, s[10:11], v[6:7]
	s_or_not1_b32 s39, vcc_lo, exec_lo
.LBB207_159:                            ;   in Loop: Header=BB207_160 Depth=2
	s_delay_alu instid0(SALU_CYCLE_1) | instskip(NEXT) | instid1(SALU_CYCLE_1)
	s_and_b32 s39, exec_lo, s39
	s_or_b32 s21, s39, s21
	s_and_not1_b32 s22, s22, exec_lo
	s_and_b32 s8, s8, exec_lo
	s_delay_alu instid0(SALU_CYCLE_1)
	s_or_b32 s22, s22, s8
	s_and_not1_b32 exec_lo, exec_lo, s21
	s_cbranch_execz .LBB207_164
.LBB207_160:                            ;   Parent Loop BB207_12 Depth=1
                                        ; =>  This Inner Loop Header: Depth=2
	s_mov_b32 s39, exec_lo
	s_delay_alu instid0(VALU_DEP_1)
	v_cmpx_gt_u64_e64 s[28:29], v[6:7]
	s_cbranch_execz .LBB207_157
; %bb.161:                              ;   in Loop: Header=BB207_160 Depth=2
	v_mul_u64_e32 v[10:11], s[26:27], v[6:7]
	s_delay_alu instid0(VALU_DEP_1)
	v_lshl_add_u64 v[10:11], v[10:11], 1, s[24:25]
	global_load_u16 v10, v[10:11], off
	s_wait_loadcnt 0x0
	v_cmp_lt_i16_e32 vcc_lo, -1, v10
	s_wait_xcnt 0x0
	v_and_b32_e32 v11, 0xffff, v10
	v_cndmask_b32_e32 v24, 0xffff, v34, vcc_lo
	v_cmp_o_f16_e32 vcc_lo, v10, v10
	s_delay_alu instid0(VALU_DEP_2) | instskip(NEXT) | instid1(VALU_DEP_1)
	v_xor_b32_e32 v11, v24, v11
	v_cndmask_b32_e32 v11, 0xffff, v11, vcc_lo
	s_delay_alu instid0(VALU_DEP_1) | instskip(NEXT) | instid1(VALU_DEP_1)
	v_and_b32_e32 v11, v11, v9
	v_cmp_eq_u32_e32 vcc_lo, v11, v8
	s_and_b32 exec_lo, exec_lo, vcc_lo
	s_cbranch_execz .LBB207_157
; %bb.162:                              ;   in Loop: Header=BB207_160 Depth=2
	v_perm_b32 v10, v10, s95, 0x5040100
	ds_store_b32 v3, v10 offset:3072
	s_branch .LBB207_157
.LBB207_163:                            ;   in Loop: Header=BB207_160 Depth=2
	s_mov_b32 s39, -1
	s_mov_b32 s8, -1
                                        ; implicit-def: $vgpr6_vgpr7
	s_branch .LBB207_159
.LBB207_164:                            ;   in Loop: Header=BB207_12 Depth=1
	s_or_b32 exec_lo, exec_lo, s21
	v_lshrrev_b32_e32 v10, 16, v10
	s_and_not1_b32 s8, s38, exec_lo
	s_and_b32 s10, s22, exec_lo
	s_delay_alu instid0(SALU_CYCLE_1)
	s_or_b32 s38, s8, s10
.LBB207_165:                            ;   in Loop: Header=BB207_12 Depth=1
	s_or_b32 exec_lo, exec_lo, s20
	s_mov_b32 s77, 0
	s_mov_b32 s82, -1
.LBB207_166:                            ;   in Loop: Header=BB207_12 Depth=1
	s_or_not1_b32 s10, s38, exec_lo
.LBB207_167:                            ;   in Loop: Header=BB207_12 Depth=1
	s_or_b32 exec_lo, exec_lo, s37
	s_mov_b32 s11, 0
	s_and_saveexec_b32 s83, s10
	s_cbranch_execz .LBB207_280
; %bb.168:                              ;   in Loop: Header=BB207_12 Depth=1
	v_mov_b64_e32 v[6:7], 1
	v_mov_b32_e32 v2, 1
	s_xor_b32 s8, s36, -1
	s_delay_alu instid0(SALU_CYCLE_1)
	s_and_saveexec_b32 s10, s8
	s_cbranch_execz .LBB207_177
; %bb.169:                              ;   in Loop: Header=BB207_12 Depth=1
	s_mov_b32 s8, exec_lo
	v_cmpx_ge_u64_e64 s[14:15], v[4:5]
	s_xor_b32 s11, exec_lo, s8
	s_cbranch_execz .LBB207_174
; %bb.170:                              ;   in Loop: Header=BB207_12 Depth=1
	ds_load_b64 v[6:7], v3 offset:5120
	s_lshl_b32 s8, 1, s96
	v_or_b32_e32 v9, s57, v9
	v_and_or_b32 v8, v8, s74, s8
	s_wait_dscnt 0x0
	v_cmp_ne_u64_e32 vcc_lo, 0, v[6:7]
	s_cbranch_vccnz .LBB207_174
; %bb.171:                              ;   in Loop: Header=BB207_12 Depth=1
	s_and_saveexec_b32 s8, s5
; %bb.172:                              ;   in Loop: Header=BB207_12 Depth=1
	v_mov_b64_e32 v[6:7], s[14:15]
	ds_store_b64 v3, v[6:7] offset:5128
; %bb.173:                              ;   in Loop: Header=BB207_12 Depth=1
	s_or_b32 exec_lo, exec_lo, s8
	s_wait_dscnt 0x0
	s_barrier_signal -1
	s_barrier_wait -1
.LBB207_174:                            ;   in Loop: Header=BB207_12 Depth=1
	s_or_saveexec_b32 s11, s11
	v_mov_b32_e32 v2, 8
	s_mov_b32 s8, 0
	s_xor_b32 exec_lo, exec_lo, s11
; %bb.175:                              ;   in Loop: Header=BB207_12 Depth=1
	v_sub_nc_u64_e64 v[4:5], v[4:5], s[14:15]
	v_mov_b32_e32 v2, 0
	s_mov_b32 s8, exec_lo
; %bb.176:                              ;   in Loop: Header=BB207_12 Depth=1
	s_or_b32 exec_lo, exec_lo, s11
	s_delay_alu instid0(VALU_DEP_2)
	v_mov_b64_e32 v[6:7], v[4:5]
	s_and_b32 s11, s8, exec_lo
.LBB207_177:                            ;   in Loop: Header=BB207_12 Depth=1
	s_or_b32 exec_lo, exec_lo, s10
	s_mov_b32 s10, -1
                                        ; implicit-def: $sgpr85
                                        ; implicit-def: $sgpr36
	s_and_saveexec_b32 s84, s11
	s_cbranch_execz .LBB207_279
; %bb.178:                              ;   in Loop: Header=BB207_12 Depth=1
	s_delay_alu instid0(VALU_DEP_1) | instskip(SKIP_2) | instid1(SALU_CYCLE_1)
	v_cmp_eq_u64_e32 vcc_lo, 1, v[6:7]
	s_cmp_eq_u64 s[16:17], 1
                                        ; implicit-def: $sgpr36
                                        ; implicit-def: $sgpr85
	s_cselect_b32 s8, -1, 0
	s_and_b32 s38, s8, vcc_lo
	s_delay_alu instid0(SALU_CYCLE_1)
	s_and_saveexec_b32 s37, s38
	s_cbranch_execz .LBB207_214
; %bb.179:                              ;   in Loop: Header=BB207_12 Depth=1
	ds_load_b64 v[4:5], v3 offset:5120
	s_wait_dscnt 0x0
	s_barrier_signal -1
	s_barrier_wait -1
	v_readfirstlane_b32 s10, v4
	v_readfirstlane_b32 s11, v5
	s_and_saveexec_b32 s8, s6
; %bb.180:                              ;   in Loop: Header=BB207_12 Depth=1
	ds_store_b16 v29, v3
; %bb.181:                              ;   in Loop: Header=BB207_12 Depth=1
	s_or_b32 exec_lo, exec_lo, s8
	s_lshl_b32 s8, 2, s96
	v_or_b32_e32 v9, s57, v9
	v_and_or_b32 v8, v8, s74, s8
	s_mov_b32 s85, -1
	s_mov_b32 s36, 0
	s_cmp_eq_u64 s[10:11], 0
	s_mov_b32 s39, 0
	s_mov_b32 s22, -1
	s_wait_dscnt 0x0
	s_barrier_signal -1
	s_barrier_wait -1
                                        ; implicit-def: $vgpr10
	s_cbranch_scc1 .LBB207_198
; %bb.182:                              ;   in Loop: Header=BB207_12 Depth=1
	s_add_nc_u64 s[20:21], s[10:11], s[58:59]
	s_delay_alu instid0(SALU_CYCLE_1) | instskip(NEXT) | instid1(SALU_CYCLE_1)
	s_and_b64 s[40:41], s[20:21], 0xffffffff00000000
	s_cmp_lg_u64 s[40:41], 0
	s_cbranch_scc0 .LBB207_231
; %bb.183:                              ;   in Loop: Header=BB207_12 Depth=1
	s_cvt_f32_u32 s8, s34
	s_sub_nc_u64 s[42:43], 0, s[34:35]
	s_delay_alu instid0(SALU_CYCLE_2) | instskip(NEXT) | instid1(SALU_CYCLE_3)
	s_fmamk_f32 s8, s94, 0x0, s8
	v_s_rcp_f32 s8, s8
	s_delay_alu instid0(TRANS32_DEP_1) | instskip(NEXT) | instid1(SALU_CYCLE_3)
	s_mul_f32 s8, s8, 0x5f7ffffc
	s_mul_f32 s22, s8, 0x2f800000
	s_delay_alu instid0(SALU_CYCLE_3) | instskip(NEXT) | instid1(SALU_CYCLE_3)
	s_trunc_f32 s22, s22
	s_fmamk_f32 s8, s22, 0xcf800000, s8
	s_cvt_u32_f32 s41, s22
	s_delay_alu instid0(SALU_CYCLE_2) | instskip(NEXT) | instid1(SALU_CYCLE_3)
	s_cvt_u32_f32 s40, s8
	s_mul_u64 s[72:73], s[42:43], s[40:41]
	s_delay_alu instid0(SALU_CYCLE_1)
	s_mul_hi_u32 s49, s40, s73
	s_mul_i32 s48, s40, s73
	s_mul_hi_u32 s22, s40, s72
	s_mul_i32 s39, s41, s72
	s_add_nc_u64 s[48:49], s[22:23], s[48:49]
	s_mul_hi_u32 s8, s41, s72
	s_mul_hi_u32 s46, s41, s73
	s_add_co_u32 s22, s48, s39
	s_add_co_ci_u32 s22, s49, s8
	s_mul_i32 s72, s41, s73
	s_add_co_ci_u32 s73, s46, 0
	s_delay_alu instid0(SALU_CYCLE_1) | instskip(NEXT) | instid1(SALU_CYCLE_1)
	s_add_nc_u64 s[48:49], s[22:23], s[72:73]
	s_add_co_u32 s40, s40, s48
	s_cselect_b32 s8, -1, 0
	s_delay_alu instid0(SALU_CYCLE_1) | instskip(SKIP_1) | instid1(SALU_CYCLE_1)
	s_cmp_lg_u32 s8, 0
	s_add_co_ci_u32 s41, s41, s49
	s_mul_u64 s[42:43], s[42:43], s[40:41]
	s_delay_alu instid0(SALU_CYCLE_1)
	s_mul_hi_u32 s49, s40, s43
	s_mul_i32 s48, s40, s43
	s_mul_hi_u32 s22, s40, s42
	s_mul_i32 s39, s41, s42
	s_add_nc_u64 s[48:49], s[22:23], s[48:49]
	s_mul_hi_u32 s8, s41, s42
	s_mul_hi_u32 s46, s41, s43
	s_add_co_u32 s22, s48, s39
	s_add_co_ci_u32 s22, s49, s8
	s_mul_i32 s42, s41, s43
	s_add_co_ci_u32 s43, s46, 0
	s_delay_alu instid0(SALU_CYCLE_1) | instskip(NEXT) | instid1(SALU_CYCLE_1)
	s_add_nc_u64 s[42:43], s[22:23], s[42:43]
	s_add_co_u32 s8, s40, s42
	s_cselect_b32 s39, -1, 0
	s_mul_hi_u32 s22, s20, s8
	s_cmp_lg_u32 s39, 0
	s_mul_hi_u32 s39, s21, s8
	s_add_co_ci_u32 s42, s41, s43
	s_mul_i32 s8, s21, s8
	s_mul_hi_u32 s41, s20, s42
	s_mul_i32 s40, s20, s42
	s_mul_hi_u32 s43, s21, s42
	s_add_nc_u64 s[40:41], s[22:23], s[40:41]
	s_mul_i32 s42, s21, s42
	s_add_co_u32 s8, s40, s8
	s_add_co_ci_u32 s22, s41, s39
	s_add_co_ci_u32 s43, s43, 0
	s_delay_alu instid0(SALU_CYCLE_1) | instskip(NEXT) | instid1(SALU_CYCLE_1)
	s_add_nc_u64 s[40:41], s[22:23], s[42:43]
	s_and_b64 s[42:43], s[40:41], 0xffffffff00000000
	s_delay_alu instid0(SALU_CYCLE_1) | instskip(NEXT) | instid1(SALU_CYCLE_1)
	s_or_b32 s42, s42, s40
	s_mul_u64 s[40:41], s[34:35], s[42:43]
	s_delay_alu instid0(SALU_CYCLE_1) | instskip(SKIP_1) | instid1(SALU_CYCLE_1)
	s_sub_co_u32 s8, s20, s40
	s_cselect_b32 s22, -1, 0
	s_cmp_lg_u32 s22, 0
	s_sub_co_ci_u32 s22, s21, s41
	s_sub_co_u32 s39, s8, s34
	s_cselect_b32 s40, -1, 0
	s_delay_alu instid0(SALU_CYCLE_1) | instskip(SKIP_3) | instid1(SALU_CYCLE_1)
	s_cmp_lg_u32 s40, 0
	s_sub_co_ci_u32 s40, s22, 0
	s_sub_co_u32 s41, s39, s34
	s_cselect_b32 s42, -1, 0
	s_cmp_lg_u32 s42, 0
	s_sub_co_ci_u32 s42, s40, 0
	s_cmp_ge_u32 s39, s34
	s_cselect_b32 s43, -1, 0
	s_cmp_eq_u32 s40, 0
	s_cselect_b32 s43, s43, -1
	s_delay_alu instid0(SALU_CYCLE_1)
	s_cmp_lg_u32 s43, 0
	s_cselect_b32 s40, s42, s40
	s_cselect_b32 s39, s41, s39
	s_cmp_ge_u32 s8, s34
	s_cselect_b32 s41, -1, 0
	s_cmp_eq_u32 s22, 0
	s_cselect_b32 s41, s41, -1
	s_delay_alu instid0(SALU_CYCLE_1)
	s_cmp_lg_u32 s41, 0
	s_cselect_b32 s73, s40, s22
	s_cselect_b32 s72, s39, s8
	s_cbranch_execnz .LBB207_185
.LBB207_184:                            ;   in Loop: Header=BB207_12 Depth=1
	v_cvt_f32_u32_e32 v4, s34
	s_sub_co_i32 s22, 0, s34
	s_delay_alu instid0(VALU_DEP_1) | instskip(SKIP_1) | instid1(TRANS32_DEP_1)
	v_rcp_iflag_f32_e32 v4, v4
	v_nop
	v_mul_f32_e32 v4, 0x4f7ffffe, v4
	s_delay_alu instid0(VALU_DEP_1) | instskip(NEXT) | instid1(VALU_DEP_1)
	v_cvt_u32_f32_e32 v4, v4
	v_readfirstlane_b32 s8, v4
	s_mul_i32 s22, s22, s8
	s_delay_alu instid0(SALU_CYCLE_1) | instskip(NEXT) | instid1(SALU_CYCLE_1)
	s_mul_hi_u32 s22, s8, s22
	s_add_co_i32 s8, s8, s22
	s_delay_alu instid0(SALU_CYCLE_1) | instskip(NEXT) | instid1(SALU_CYCLE_1)
	s_mul_hi_u32 s8, s20, s8
	s_mul_i32 s8, s8, s34
	s_delay_alu instid0(SALU_CYCLE_1) | instskip(NEXT) | instid1(SALU_CYCLE_1)
	s_sub_co_i32 s8, s20, s8
	s_sub_co_i32 s22, s8, s34
	s_cmp_ge_u32 s8, s34
	s_cselect_b32 s8, s22, s8
	s_delay_alu instid0(SALU_CYCLE_1) | instskip(SKIP_2) | instid1(SALU_CYCLE_1)
	s_sub_co_i32 s22, s8, s34
	s_cmp_ge_u32 s8, s34
	s_cselect_b32 s22, s22, s8
	s_mov_b64 s[72:73], s[22:23]
.LBB207_185:                            ;   in Loop: Header=BB207_12 Depth=1
	s_delay_alu instid0(SALU_CYCLE_1)
	s_sub_nc_u64 s[20:21], s[20:21], s[72:73]
	s_mov_b32 s22, 0
	s_mov_b32 s39, 0
	s_mov_b32 s40, exec_lo
                                        ; implicit-def: $vgpr10
	v_cmpx_gt_u64_e64 s[20:21], v[0:1]
	s_cbranch_execz .LBB207_197
; %bb.186:                              ;   in Loop: Header=BB207_12 Depth=1
	v_mov_b64_e32 v[4:5], v[0:1]
	v_mov_b32_e32 v10, v28
                                        ; implicit-def: $sgpr41
	s_branch .LBB207_190
.LBB207_187:                            ;   in Loop: Header=BB207_190 Depth=2
	s_or_b32 exec_lo, exec_lo, s42
	s_wait_dscnt 0x0
	s_barrier_signal -1
	s_barrier_wait -1
	ds_load_b32 v11, v3 offset:3072
	s_wait_dscnt 0x0
	s_barrier_signal -1
	s_barrier_wait -1
	v_cmp_neq_f16_e32 vcc_lo, 0, v11
	s_cbranch_vccnz .LBB207_193
; %bb.188:                              ;   in Loop: Header=BB207_190 Depth=2
	v_add_nc_u64_e32 v[4:5], s[34:35], v[4:5]
	v_add_nc_u32_e32 v10, s93, v10
	s_mov_b32 s8, 0
	s_delay_alu instid0(VALU_DEP_2)
	v_cmp_le_u64_e32 vcc_lo, s[20:21], v[4:5]
	s_or_not1_b32 s42, vcc_lo, exec_lo
.LBB207_189:                            ;   in Loop: Header=BB207_190 Depth=2
	s_delay_alu instid0(SALU_CYCLE_1) | instskip(NEXT) | instid1(SALU_CYCLE_1)
	s_and_b32 s42, exec_lo, s42
	s_or_b32 s39, s42, s39
	s_and_not1_b32 s41, s41, exec_lo
	s_and_b32 s8, s8, exec_lo
	s_delay_alu instid0(SALU_CYCLE_1)
	s_or_b32 s41, s41, s8
	s_and_not1_b32 exec_lo, exec_lo, s39
	s_cbranch_execz .LBB207_196
.LBB207_190:                            ;   Parent Loop BB207_12 Depth=1
                                        ; =>  This Inner Loop Header: Depth=2
	s_mov_b32 s42, exec_lo
	s_delay_alu instid0(VALU_DEP_2)
	v_cmpx_gt_u64_e64 s[10:11], v[4:5]
	s_cbranch_execz .LBB207_187
; %bb.191:                              ;   in Loop: Header=BB207_190 Depth=2
	ds_load_u16 v11, v10
	s_wait_dscnt 0x0
	v_cmp_lt_i16_e32 vcc_lo, -1, v11
	v_and_b32_e32 v24, 0xffff, v11
	v_cndmask_b32_e32 v25, 0xffff, v34, vcc_lo
	v_cmp_o_f16_e32 vcc_lo, v11, v11
	s_delay_alu instid0(VALU_DEP_2) | instskip(NEXT) | instid1(VALU_DEP_1)
	v_xor_b32_e32 v24, v25, v24
	v_cndmask_b32_e32 v24, 0xffff, v24, vcc_lo
	s_delay_alu instid0(VALU_DEP_1) | instskip(NEXT) | instid1(VALU_DEP_1)
	v_and_b32_e32 v24, v24, v9
	v_cmp_eq_u32_e32 vcc_lo, v24, v8
	s_and_b32 exec_lo, exec_lo, vcc_lo
	s_cbranch_execz .LBB207_187
; %bb.192:                              ;   in Loop: Header=BB207_190 Depth=2
	v_perm_b32 v11, v11, s95, 0x5040100
	ds_store_b32 v3, v11 offset:3072
	s_branch .LBB207_187
.LBB207_193:                            ;   in Loop: Header=BB207_190 Depth=2
	s_mov_b32 s42, -1
	s_mov_b32 s8, -1
                                        ; implicit-def: $vgpr4_vgpr5
                                        ; implicit-def: $vgpr10
	s_branch .LBB207_189
.LBB207_194:                            ;   in Loop: Header=BB207_12 Depth=1
                                        ; implicit-def: $sgpr72_sgpr73
	s_branch .LBB207_137
.LBB207_195:                            ;   in Loop: Header=BB207_12 Depth=1
                                        ; implicit-def: $sgpr10_sgpr11
	s_branch .LBB207_154
.LBB207_196:                            ;   in Loop: Header=BB207_12 Depth=1
	s_or_b32 exec_lo, exec_lo, s39
	v_lshrrev_b32_e32 v10, 16, v11
	s_and_b32 s39, s41, exec_lo
.LBB207_197:                            ;   in Loop: Header=BB207_12 Depth=1
	s_or_b32 exec_lo, exec_lo, s40
.LBB207_198:                            ;   in Loop: Header=BB207_12 Depth=1
	s_delay_alu instid0(SALU_CYCLE_1)
	s_and_b32 vcc_lo, exec_lo, s22
	s_cbranch_vccz .LBB207_213
; %bb.199:                              ;   in Loop: Header=BB207_12 Depth=1
	s_and_b64 s[10:11], s[60:61], 0xffffffff00000000
	s_delay_alu instid0(SALU_CYCLE_1)
	s_cmp_lg_u64 s[10:11], 0
	s_cbranch_scc0 .LBB207_232
; %bb.200:                              ;   in Loop: Header=BB207_12 Depth=1
	s_cvt_f32_u32 s8, s34
	s_sub_nc_u64 s[20:21], 0, s[34:35]
	s_delay_alu instid0(SALU_CYCLE_2) | instskip(NEXT) | instid1(SALU_CYCLE_3)
	s_fmamk_f32 s8, s94, 0x0, s8
	v_s_rcp_f32 s8, s8
	s_delay_alu instid0(TRANS32_DEP_1) | instskip(NEXT) | instid1(SALU_CYCLE_3)
	s_mul_f32 s8, s8, 0x5f7ffffc
	s_mul_f32 s10, s8, 0x2f800000
	s_delay_alu instid0(SALU_CYCLE_3) | instskip(NEXT) | instid1(SALU_CYCLE_3)
	s_trunc_f32 s10, s10
	s_fmamk_f32 s8, s10, 0xcf800000, s8
	s_cvt_u32_f32 s11, s10
	s_delay_alu instid0(SALU_CYCLE_2) | instskip(NEXT) | instid1(SALU_CYCLE_3)
	s_cvt_u32_f32 s10, s8
	s_mul_u64 s[40:41], s[20:21], s[10:11]
	s_delay_alu instid0(SALU_CYCLE_1)
	s_mul_hi_u32 s43, s10, s41
	s_mul_i32 s42, s10, s41
	s_mul_hi_u32 s22, s10, s40
	s_mul_i32 s36, s11, s40
	s_add_nc_u64 s[42:43], s[22:23], s[42:43]
	s_mul_hi_u32 s8, s11, s40
	s_mul_hi_u32 s46, s11, s41
	s_add_co_u32 s22, s42, s36
	s_add_co_ci_u32 s22, s43, s8
	s_mul_i32 s40, s11, s41
	s_add_co_ci_u32 s41, s46, 0
	s_delay_alu instid0(SALU_CYCLE_1) | instskip(NEXT) | instid1(SALU_CYCLE_1)
	s_add_nc_u64 s[40:41], s[22:23], s[40:41]
	s_add_co_u32 s10, s10, s40
	s_cselect_b32 s8, -1, 0
	s_delay_alu instid0(SALU_CYCLE_1) | instskip(SKIP_1) | instid1(SALU_CYCLE_1)
	s_cmp_lg_u32 s8, 0
	s_add_co_ci_u32 s11, s11, s41
	s_mul_u64 s[20:21], s[20:21], s[10:11]
	s_delay_alu instid0(SALU_CYCLE_1)
	s_mul_hi_u32 s41, s10, s21
	s_mul_i32 s40, s10, s21
	s_mul_hi_u32 s22, s10, s20
	s_mul_i32 s36, s11, s20
	s_add_nc_u64 s[40:41], s[22:23], s[40:41]
	s_mul_hi_u32 s8, s11, s20
	s_mul_hi_u32 s42, s11, s21
	s_mul_i32 s20, s11, s21
	s_add_co_u32 s21, s40, s36
	s_add_co_ci_u32 s22, s41, s8
	s_add_co_ci_u32 s21, s42, 0
	s_delay_alu instid0(SALU_CYCLE_1) | instskip(NEXT) | instid1(SALU_CYCLE_1)
	s_add_nc_u64 s[20:21], s[22:23], s[20:21]
	s_add_co_u32 s8, s10, s20
	s_cselect_b32 s10, -1, 0
	s_mul_hi_u32 s22, s60, s8
	s_cmp_lg_u32 s10, 0
	s_mul_hi_u32 s36, s61, s8
	s_add_co_ci_u32 s20, s11, s21
	s_mul_i32 s8, s61, s8
	s_mul_hi_u32 s11, s60, s20
	s_mul_i32 s10, s60, s20
	s_mul_hi_u32 s21, s61, s20
	s_add_nc_u64 s[10:11], s[22:23], s[10:11]
	s_mul_i32 s20, s61, s20
	s_add_co_u32 s8, s10, s8
	s_add_co_ci_u32 s22, s11, s36
	s_add_co_ci_u32 s21, s21, 0
	s_delay_alu instid0(SALU_CYCLE_1) | instskip(NEXT) | instid1(SALU_CYCLE_1)
	s_add_nc_u64 s[10:11], s[22:23], s[20:21]
	s_and_b64 s[20:21], s[10:11], 0xffffffff00000000
	s_delay_alu instid0(SALU_CYCLE_1) | instskip(NEXT) | instid1(SALU_CYCLE_1)
	s_or_b32 s20, s20, s10
	s_mul_u64 s[10:11], s[34:35], s[20:21]
	s_delay_alu instid0(SALU_CYCLE_1) | instskip(SKIP_1) | instid1(SALU_CYCLE_1)
	s_sub_co_u32 s8, s60, s10
	s_cselect_b32 s10, -1, 0
	s_cmp_lg_u32 s10, 0
	s_sub_co_ci_u32 s10, s61, s11
	s_sub_co_u32 s11, s8, s34
	s_cselect_b32 s20, -1, 0
	s_delay_alu instid0(SALU_CYCLE_1) | instskip(SKIP_3) | instid1(SALU_CYCLE_1)
	s_cmp_lg_u32 s20, 0
	s_sub_co_ci_u32 s20, s10, 0
	s_sub_co_u32 s21, s11, s34
	s_cselect_b32 s22, -1, 0
	s_cmp_lg_u32 s22, 0
	s_sub_co_ci_u32 s22, s20, 0
	s_cmp_ge_u32 s11, s34
	s_cselect_b32 s36, -1, 0
	s_cmp_eq_u32 s20, 0
	s_cselect_b32 s36, s36, -1
	s_delay_alu instid0(SALU_CYCLE_1)
	s_cmp_lg_u32 s36, 0
	s_cselect_b32 s20, s22, s20
	s_cselect_b32 s21, s21, s11
	s_cmp_ge_u32 s8, s34
	s_cselect_b32 s11, -1, 0
	s_cmp_eq_u32 s10, 0
	s_cselect_b32 s11, s11, -1
	s_delay_alu instid0(SALU_CYCLE_1)
	s_cmp_lg_u32 s11, 0
	s_cselect_b32 s11, s20, s10
	s_cselect_b32 s10, s21, s8
	s_cbranch_execnz .LBB207_202
.LBB207_201:                            ;   in Loop: Header=BB207_12 Depth=1
	v_cvt_f32_u32_e32 v4, s34
	s_sub_co_i32 s10, 0, s34
	s_delay_alu instid0(VALU_DEP_1) | instskip(SKIP_1) | instid1(TRANS32_DEP_1)
	v_rcp_iflag_f32_e32 v4, v4
	v_nop
	v_mul_f32_e32 v4, 0x4f7ffffe, v4
	s_delay_alu instid0(VALU_DEP_1) | instskip(NEXT) | instid1(VALU_DEP_1)
	v_cvt_u32_f32_e32 v4, v4
	v_readfirstlane_b32 s8, v4
	s_mul_i32 s10, s10, s8
	s_delay_alu instid0(SALU_CYCLE_1) | instskip(NEXT) | instid1(SALU_CYCLE_1)
	s_mul_hi_u32 s10, s8, s10
	s_add_co_i32 s8, s8, s10
	s_delay_alu instid0(SALU_CYCLE_1) | instskip(NEXT) | instid1(SALU_CYCLE_1)
	s_mul_hi_u32 s8, s60, s8
	s_mul_i32 s8, s8, s34
	s_delay_alu instid0(SALU_CYCLE_1) | instskip(NEXT) | instid1(SALU_CYCLE_1)
	s_sub_co_i32 s8, s60, s8
	s_sub_co_i32 s10, s8, s34
	s_cmp_ge_u32 s8, s34
	s_cselect_b32 s8, s10, s8
	s_delay_alu instid0(SALU_CYCLE_1) | instskip(SKIP_2) | instid1(SALU_CYCLE_1)
	s_sub_co_i32 s10, s8, s34
	s_cmp_ge_u32 s8, s34
	s_cselect_b32 s22, s10, s8
	s_mov_b64 s[10:11], s[22:23]
.LBB207_202:                            ;   in Loop: Header=BB207_12 Depth=1
	s_delay_alu instid0(SALU_CYCLE_1)
	s_sub_nc_u64 s[10:11], s[60:61], s[10:11]
	s_mov_b32 s20, exec_lo
                                        ; implicit-def: $vgpr10
	v_cmpx_gt_u64_e64 s[10:11], v[0:1]
	s_cbranch_execz .LBB207_212
; %bb.203:                              ;   in Loop: Header=BB207_12 Depth=1
	v_mov_b64_e32 v[4:5], v[0:1]
	s_mov_b32 s21, 0
                                        ; implicit-def: $sgpr22
	s_branch .LBB207_207
.LBB207_204:                            ;   in Loop: Header=BB207_207 Depth=2
	s_or_b32 exec_lo, exec_lo, s36
	s_wait_dscnt 0x0
	s_barrier_signal -1
	s_barrier_wait -1
	ds_load_b32 v10, v3 offset:3072
	s_wait_dscnt 0x0
	s_barrier_signal -1
	s_barrier_wait -1
	v_cmp_eq_f16_e32 vcc_lo, 0, v10
	s_cbranch_vccz .LBB207_210
; %bb.205:                              ;   in Loop: Header=BB207_207 Depth=2
	v_add_nc_u64_e32 v[4:5], s[34:35], v[4:5]
	s_mov_b32 s8, 0
	s_delay_alu instid0(VALU_DEP_1)
	v_cmp_le_u64_e32 vcc_lo, s[10:11], v[4:5]
	s_or_not1_b32 s36, vcc_lo, exec_lo
.LBB207_206:                            ;   in Loop: Header=BB207_207 Depth=2
	s_delay_alu instid0(SALU_CYCLE_1) | instskip(NEXT) | instid1(SALU_CYCLE_1)
	s_and_b32 s36, exec_lo, s36
	s_or_b32 s21, s36, s21
	s_and_not1_b32 s22, s22, exec_lo
	s_and_b32 s8, s8, exec_lo
	s_delay_alu instid0(SALU_CYCLE_1)
	s_or_b32 s22, s22, s8
	s_and_not1_b32 exec_lo, exec_lo, s21
	s_cbranch_execz .LBB207_211
.LBB207_207:                            ;   Parent Loop BB207_12 Depth=1
                                        ; =>  This Inner Loop Header: Depth=2
	s_mov_b32 s36, exec_lo
	s_delay_alu instid0(VALU_DEP_1)
	v_cmpx_gt_u64_e64 s[28:29], v[4:5]
	s_cbranch_execz .LBB207_204
; %bb.208:                              ;   in Loop: Header=BB207_207 Depth=2
	v_mul_u64_e32 v[10:11], s[26:27], v[4:5]
	s_delay_alu instid0(VALU_DEP_1)
	v_lshl_add_u64 v[10:11], v[10:11], 1, s[24:25]
	global_load_u16 v10, v[10:11], off
	s_wait_loadcnt 0x0
	v_cmp_lt_i16_e32 vcc_lo, -1, v10
	s_wait_xcnt 0x0
	v_and_b32_e32 v11, 0xffff, v10
	v_cndmask_b32_e32 v24, 0xffff, v34, vcc_lo
	v_cmp_o_f16_e32 vcc_lo, v10, v10
	s_delay_alu instid0(VALU_DEP_2) | instskip(NEXT) | instid1(VALU_DEP_1)
	v_xor_b32_e32 v11, v24, v11
	v_cndmask_b32_e32 v11, 0xffff, v11, vcc_lo
	s_delay_alu instid0(VALU_DEP_1) | instskip(NEXT) | instid1(VALU_DEP_1)
	v_and_b32_e32 v11, v11, v9
	v_cmp_eq_u32_e32 vcc_lo, v11, v8
	s_and_b32 exec_lo, exec_lo, vcc_lo
	s_cbranch_execz .LBB207_204
; %bb.209:                              ;   in Loop: Header=BB207_207 Depth=2
	v_perm_b32 v10, v10, s95, 0x5040100
	ds_store_b32 v3, v10 offset:3072
	s_branch .LBB207_204
.LBB207_210:                            ;   in Loop: Header=BB207_207 Depth=2
	s_mov_b32 s36, -1
	s_mov_b32 s8, -1
                                        ; implicit-def: $vgpr4_vgpr5
	s_branch .LBB207_206
.LBB207_211:                            ;   in Loop: Header=BB207_12 Depth=1
	s_or_b32 exec_lo, exec_lo, s21
	v_lshrrev_b32_e32 v10, 16, v10
	s_and_not1_b32 s8, s39, exec_lo
	s_and_b32 s10, s22, exec_lo
	s_delay_alu instid0(SALU_CYCLE_1)
	s_or_b32 s39, s8, s10
.LBB207_212:                            ;   in Loop: Header=BB207_12 Depth=1
	s_or_b32 exec_lo, exec_lo, s20
	s_mov_b32 s85, 0
	s_mov_b32 s36, -1
.LBB207_213:                            ;   in Loop: Header=BB207_12 Depth=1
	s_or_not1_b32 s10, s39, exec_lo
.LBB207_214:                            ;   in Loop: Header=BB207_12 Depth=1
	s_or_b32 exec_lo, exec_lo, s37
	s_mov_b32 s11, 0
	s_and_saveexec_b32 s37, s10
	s_cbranch_execz .LBB207_278
; %bb.215:                              ;   in Loop: Header=BB207_12 Depth=1
	v_mov_b64_e32 v[4:5], 1
	v_mov_b32_e32 v2, 1
	s_xor_b32 s8, s38, -1
	s_delay_alu instid0(SALU_CYCLE_1)
	s_and_saveexec_b32 s10, s8
	s_cbranch_execz .LBB207_224
; %bb.216:                              ;   in Loop: Header=BB207_12 Depth=1
	s_mov_b32 s8, exec_lo
	v_cmpx_ge_u64_e64 s[16:17], v[6:7]
	s_xor_b32 s11, exec_lo, s8
	s_cbranch_execz .LBB207_221
; %bb.217:                              ;   in Loop: Header=BB207_12 Depth=1
	ds_load_b64 v[4:5], v3 offset:5120
	s_lshl_b32 s8, 2, s96
	v_or_b32_e32 v9, s57, v9
	v_and_or_b32 v8, v8, s74, s8
	s_wait_dscnt 0x0
	v_cmp_ne_u64_e32 vcc_lo, 0, v[4:5]
	s_cbranch_vccnz .LBB207_221
; %bb.218:                              ;   in Loop: Header=BB207_12 Depth=1
	s_and_saveexec_b32 s8, s5
; %bb.219:                              ;   in Loop: Header=BB207_12 Depth=1
	v_mov_b64_e32 v[4:5], s[16:17]
	ds_store_b64 v3, v[4:5] offset:5128
; %bb.220:                              ;   in Loop: Header=BB207_12 Depth=1
	s_or_b32 exec_lo, exec_lo, s8
	s_wait_dscnt 0x0
	s_barrier_signal -1
	s_barrier_wait -1
.LBB207_221:                            ;   in Loop: Header=BB207_12 Depth=1
	s_or_saveexec_b32 s11, s11
	v_mov_b32_e32 v2, 8
	s_mov_b32 s8, 0
	s_xor_b32 exec_lo, exec_lo, s11
; %bb.222:                              ;   in Loop: Header=BB207_12 Depth=1
	v_sub_nc_u64_e64 v[6:7], v[6:7], s[16:17]
	v_mov_b32_e32 v2, 0
	s_mov_b32 s8, exec_lo
; %bb.223:                              ;   in Loop: Header=BB207_12 Depth=1
	s_or_b32 exec_lo, exec_lo, s11
	s_delay_alu instid0(VALU_DEP_2)
	v_mov_b64_e32 v[4:5], v[6:7]
	s_and_b32 s11, s8, exec_lo
.LBB207_224:                            ;   in Loop: Header=BB207_12 Depth=1
	s_or_b32 exec_lo, exec_lo, s10
	s_mov_b32 s10, -1
                                        ; implicit-def: $sgpr42
                                        ; implicit-def: $sgpr41
	s_and_saveexec_b32 s38, s11
	s_cbranch_execz .LBB207_277
; %bb.225:                              ;   in Loop: Header=BB207_12 Depth=1
	s_delay_alu instid0(VALU_DEP_1) | instskip(SKIP_3) | instid1(SALU_CYCLE_1)
	v_cmp_eq_u64_e32 vcc_lo, 1, v[4:5]
	s_cmp_eq_u64 s[18:19], 1
	s_mov_b32 s11, -1
	s_cselect_b32 s8, -1, 0
                                        ; implicit-def: $sgpr42
                                        ; implicit-def: $sgpr41
	s_and_b32 s39, s8, vcc_lo
	s_delay_alu instid0(SALU_CYCLE_1)
	s_and_saveexec_b32 s40, s39
	s_cbranch_execz .LBB207_265
; %bb.226:                              ;   in Loop: Header=BB207_12 Depth=1
	ds_load_b64 v[6:7], v3 offset:5120
	s_wait_dscnt 0x0
	s_barrier_signal -1
	s_barrier_wait -1
	v_readfirstlane_b32 s10, v6
	v_readfirstlane_b32 s11, v7
	s_and_saveexec_b32 s8, s6
; %bb.227:                              ;   in Loop: Header=BB207_12 Depth=1
	ds_store_b16 v29, v3
; %bb.228:                              ;   in Loop: Header=BB207_12 Depth=1
	s_or_b32 exec_lo, exec_lo, s8
	v_or_b32_e32 v8, s57, v8
	v_or_b32_e32 v9, s57, v9
	s_mov_b32 s41, -1
	s_mov_b32 s42, 0
	s_cmp_eq_u64 s[10:11], 0
	s_mov_b32 s43, 0
	s_mov_b32 s22, -1
	s_wait_dscnt 0x0
	s_barrier_signal -1
	s_barrier_wait -1
                                        ; implicit-def: $vgpr10
	s_cbranch_scc1 .LBB207_247
; %bb.229:                              ;   in Loop: Header=BB207_12 Depth=1
	s_add_nc_u64 s[20:21], s[10:11], s[58:59]
	s_wait_kmcnt 0x0
	s_mov_b64 s[50:51], s[52:53]
	s_and_b64 s[48:49], s[20:21], 0xffffffff00000000
	s_delay_alu instid0(SALU_CYCLE_1)
	s_cmp_lg_u64 s[48:49], 0
	s_cbranch_scc0 .LBB207_233
; %bb.230:                              ;   in Loop: Header=BB207_12 Depth=1
	s_cvt_f32_u32 s8, s34
	s_sub_nc_u64 s[72:73], 0, s[34:35]
	s_delay_alu instid0(SALU_CYCLE_2) | instskip(NEXT) | instid1(SALU_CYCLE_3)
	s_fmamk_f32 s8, s94, 0x0, s8
	v_s_rcp_f32 s8, s8
	s_delay_alu instid0(TRANS32_DEP_1) | instskip(NEXT) | instid1(SALU_CYCLE_3)
	s_mul_f32 s8, s8, 0x5f7ffffc
	s_mul_f32 s22, s8, 0x2f800000
	s_delay_alu instid0(SALU_CYCLE_3) | instskip(NEXT) | instid1(SALU_CYCLE_3)
	s_trunc_f32 s22, s22
	s_fmamk_f32 s8, s22, 0xcf800000, s8
	s_cvt_u32_f32 s49, s22
	s_delay_alu instid0(SALU_CYCLE_2) | instskip(NEXT) | instid1(SALU_CYCLE_3)
	s_cvt_u32_f32 s48, s8
	s_mul_u64 s[46:47], s[72:73], s[48:49]
	s_delay_alu instid0(SALU_CYCLE_1)
	s_mul_hi_u32 s53, s48, s47
	s_mul_i32 s52, s48, s47
	s_mul_hi_u32 s22, s48, s46
	s_mul_i32 s43, s49, s46
	s_add_nc_u64 s[52:53], s[22:23], s[52:53]
	s_mul_hi_u32 s8, s49, s46
	s_mul_hi_u32 vcc_lo, s49, s47
	s_add_co_u32 s22, s52, s43
	s_add_co_ci_u32 s22, s53, s8
	s_mul_i32 s46, s49, s47
	s_add_co_ci_u32 s47, vcc_lo, 0
	s_delay_alu instid0(SALU_CYCLE_1) | instskip(NEXT) | instid1(SALU_CYCLE_1)
	s_add_nc_u64 s[46:47], s[22:23], s[46:47]
	s_add_co_u32 s46, s48, s46
	s_cselect_b32 s8, -1, 0
	s_delay_alu instid0(SALU_CYCLE_1) | instskip(SKIP_1) | instid1(SALU_CYCLE_1)
	s_cmp_lg_u32 s8, 0
	s_add_co_ci_u32 s47, s49, s47
	s_mul_u64 s[48:49], s[72:73], s[46:47]
	s_delay_alu instid0(SALU_CYCLE_1)
	s_mul_hi_u32 s53, s46, s49
	s_mul_i32 s52, s46, s49
	s_mul_hi_u32 s22, s46, s48
	s_mul_i32 s43, s47, s48
	s_add_nc_u64 s[52:53], s[22:23], s[52:53]
	s_mul_hi_u32 s8, s47, s48
	s_mul_hi_u32 s72, s47, s49
	s_add_co_u32 s22, s52, s43
	s_add_co_ci_u32 s22, s53, s8
	s_mul_i32 s48, s47, s49
	s_add_co_ci_u32 s49, s72, 0
	s_delay_alu instid0(SALU_CYCLE_1) | instskip(NEXT) | instid1(SALU_CYCLE_1)
	s_add_nc_u64 s[48:49], s[22:23], s[48:49]
	s_add_co_u32 s8, s46, s48
	s_cselect_b32 s43, -1, 0
	s_mul_hi_u32 s22, s20, s8
	s_cmp_lg_u32 s43, 0
	s_mul_hi_u32 s43, s21, s8
	s_add_co_ci_u32 s48, s47, s49
	s_mul_i32 s8, s21, s8
	s_mul_hi_u32 s47, s20, s48
	s_mul_i32 s46, s20, s48
	s_mul_hi_u32 s49, s21, s48
	s_add_nc_u64 s[46:47], s[22:23], s[46:47]
	s_mul_i32 s48, s21, s48
	s_add_co_u32 s8, s46, s8
	s_add_co_ci_u32 s22, s47, s43
	s_add_co_ci_u32 s49, s49, 0
	s_delay_alu instid0(SALU_CYCLE_1) | instskip(NEXT) | instid1(SALU_CYCLE_1)
	s_add_nc_u64 s[46:47], s[22:23], s[48:49]
	s_and_b64 s[48:49], s[46:47], 0xffffffff00000000
	s_delay_alu instid0(SALU_CYCLE_1) | instskip(NEXT) | instid1(SALU_CYCLE_1)
	s_or_b32 s48, s48, s46
	s_mul_u64 s[46:47], s[34:35], s[48:49]
	s_delay_alu instid0(SALU_CYCLE_1) | instskip(SKIP_1) | instid1(SALU_CYCLE_1)
	s_sub_co_u32 s8, s20, s46
	s_cselect_b32 s22, -1, 0
	s_cmp_lg_u32 s22, 0
	s_sub_co_ci_u32 s22, s21, s47
	s_sub_co_u32 s43, s8, s34
	s_cselect_b32 s46, -1, 0
	s_delay_alu instid0(SALU_CYCLE_1) | instskip(SKIP_3) | instid1(SALU_CYCLE_1)
	s_cmp_lg_u32 s46, 0
	s_sub_co_ci_u32 s46, s22, 0
	s_sub_co_u32 s47, s43, s34
	s_cselect_b32 s48, -1, 0
	s_cmp_lg_u32 s48, 0
	s_sub_co_ci_u32 s48, s46, 0
	s_cmp_ge_u32 s43, s34
	s_cselect_b32 s49, -1, 0
	s_cmp_eq_u32 s46, 0
	s_cselect_b32 s49, s49, -1
	s_delay_alu instid0(SALU_CYCLE_1)
	s_cmp_lg_u32 s49, 0
	s_cselect_b32 s46, s48, s46
	s_cselect_b32 s43, s47, s43
	s_cmp_ge_u32 s8, s34
	s_cselect_b32 s47, -1, 0
	s_cmp_eq_u32 s22, 0
	s_cselect_b32 s47, s47, -1
	s_delay_alu instid0(SALU_CYCLE_1)
	s_cmp_lg_u32 s47, 0
	s_cselect_b32 s73, s46, s22
	s_cselect_b32 s72, s43, s8
	s_mov_b32 s8, 0
	s_branch .LBB207_234
.LBB207_231:                            ;   in Loop: Header=BB207_12 Depth=1
                                        ; implicit-def: $sgpr72_sgpr73
	s_branch .LBB207_184
.LBB207_232:                            ;   in Loop: Header=BB207_12 Depth=1
                                        ; implicit-def: $sgpr10_sgpr11
	s_branch .LBB207_201
.LBB207_233:                            ;   in Loop: Header=BB207_12 Depth=1
	s_mov_b32 s8, -1
                                        ; implicit-def: $sgpr72_sgpr73
.LBB207_234:                            ;   in Loop: Header=BB207_12 Depth=1
	s_delay_alu instid0(SALU_CYCLE_1)
	s_and_not1_b32 vcc_lo, exec_lo, s8
	s_cbranch_vccnz .LBB207_236
; %bb.235:                              ;   in Loop: Header=BB207_12 Depth=1
	v_cvt_f32_u32_e32 v6, s34
	s_sub_co_i32 s22, 0, s34
	s_delay_alu instid0(VALU_DEP_1) | instskip(SKIP_1) | instid1(TRANS32_DEP_1)
	v_rcp_iflag_f32_e32 v6, v6
	v_nop
	v_mul_f32_e32 v6, 0x4f7ffffe, v6
	s_delay_alu instid0(VALU_DEP_1) | instskip(NEXT) | instid1(VALU_DEP_1)
	v_cvt_u32_f32_e32 v6, v6
	v_readfirstlane_b32 s8, v6
	s_mul_i32 s22, s22, s8
	s_delay_alu instid0(SALU_CYCLE_1) | instskip(NEXT) | instid1(SALU_CYCLE_1)
	s_mul_hi_u32 s22, s8, s22
	s_add_co_i32 s8, s8, s22
	s_delay_alu instid0(SALU_CYCLE_1) | instskip(NEXT) | instid1(SALU_CYCLE_1)
	s_mul_hi_u32 s8, s20, s8
	s_mul_i32 s8, s8, s34
	s_delay_alu instid0(SALU_CYCLE_1) | instskip(NEXT) | instid1(SALU_CYCLE_1)
	s_sub_co_i32 s8, s20, s8
	s_sub_co_i32 s22, s8, s34
	s_cmp_ge_u32 s8, s34
	s_cselect_b32 s8, s22, s8
	s_delay_alu instid0(SALU_CYCLE_1) | instskip(SKIP_2) | instid1(SALU_CYCLE_1)
	s_sub_co_i32 s22, s8, s34
	s_cmp_ge_u32 s8, s34
	s_cselect_b32 s22, s22, s8
	s_mov_b64 s[72:73], s[22:23]
.LBB207_236:                            ;   in Loop: Header=BB207_12 Depth=1
	s_delay_alu instid0(SALU_CYCLE_1)
	s_sub_nc_u64 s[20:21], s[20:21], s[72:73]
	s_mov_b32 s22, 0
	s_mov_b32 s43, 0
	s_mov_b32 s72, exec_lo
                                        ; implicit-def: $vgpr10
	v_cmpx_gt_u64_e64 s[20:21], v[0:1]
	s_mov_b64 s[52:53], s[50:51]
	s_load_b64 s[50:51], s[0:1], 0x1d8
	s_cbranch_execz .LBB207_246
; %bb.237:                              ;   in Loop: Header=BB207_12 Depth=1
	v_mov_b64_e32 v[6:7], v[0:1]
	v_mov_b32_e32 v10, v28
                                        ; implicit-def: $sgpr73
	s_branch .LBB207_241
.LBB207_238:                            ;   in Loop: Header=BB207_241 Depth=2
	s_or_b32 exec_lo, exec_lo, s8
	s_wait_dscnt 0x0
	s_barrier_signal -1
	s_barrier_wait -1
	ds_load_b32 v11, v3 offset:3072
	s_wait_dscnt 0x0
	s_barrier_signal -1
	s_barrier_wait -1
	v_cmp_neq_f16_e32 vcc_lo, 0, v11
	s_cbranch_vccnz .LBB207_244
; %bb.239:                              ;   in Loop: Header=BB207_241 Depth=2
	v_add_nc_u64_e32 v[6:7], s[34:35], v[6:7]
	v_add_nc_u32_e32 v10, s93, v10
	s_mov_b32 s8, 0
	s_delay_alu instid0(VALU_DEP_2)
	v_cmp_le_u64_e32 vcc_lo, s[20:21], v[6:7]
	s_or_not1_b32 vcc_lo, vcc_lo, exec_lo
.LBB207_240:                            ;   in Loop: Header=BB207_241 Depth=2
	s_delay_alu instid0(SALU_CYCLE_1) | instskip(NEXT) | instid1(SALU_CYCLE_1)
	s_and_b32 s46, exec_lo, vcc_lo
	s_or_b32 s43, s46, s43
	s_and_not1_b32 s46, s73, exec_lo
	s_and_b32 s8, s8, exec_lo
	s_delay_alu instid0(SALU_CYCLE_1)
	s_or_b32 s73, s46, s8
	s_and_not1_b32 exec_lo, exec_lo, s43
	s_cbranch_execz .LBB207_245
.LBB207_241:                            ;   Parent Loop BB207_12 Depth=1
                                        ; =>  This Inner Loop Header: Depth=2
	s_mov_b32 s8, exec_lo
	s_delay_alu instid0(VALU_DEP_2)
	v_cmpx_gt_u64_e64 s[10:11], v[6:7]
	s_cbranch_execz .LBB207_238
; %bb.242:                              ;   in Loop: Header=BB207_241 Depth=2
	ds_load_u16 v11, v10
	s_wait_dscnt 0x0
	v_cmp_lt_i16_e32 vcc_lo, -1, v11
	v_and_b32_e32 v24, 0xffff, v11
	v_cndmask_b32_e32 v25, 0xffff, v34, vcc_lo
	v_cmp_o_f16_e32 vcc_lo, v11, v11
	s_delay_alu instid0(VALU_DEP_2) | instskip(NEXT) | instid1(VALU_DEP_1)
	v_xor_b32_e32 v24, v25, v24
	v_cndmask_b32_e32 v24, 0xffff, v24, vcc_lo
	s_delay_alu instid0(VALU_DEP_1) | instskip(NEXT) | instid1(VALU_DEP_1)
	v_and_b32_e32 v24, v24, v9
	v_cmp_eq_u32_e32 vcc_lo, v24, v8
	s_and_b32 exec_lo, exec_lo, vcc_lo
	s_cbranch_execz .LBB207_238
; %bb.243:                              ;   in Loop: Header=BB207_241 Depth=2
	v_perm_b32 v11, v11, s95, 0x5040100
	ds_store_b32 v3, v11 offset:3072
	s_branch .LBB207_238
.LBB207_244:                            ;   in Loop: Header=BB207_241 Depth=2
	s_mov_b32 vcc_lo, -1
	s_mov_b32 s8, -1
                                        ; implicit-def: $vgpr6_vgpr7
                                        ; implicit-def: $vgpr10
	s_branch .LBB207_240
.LBB207_245:                            ;   in Loop: Header=BB207_12 Depth=1
	s_or_b32 exec_lo, exec_lo, s43
	v_lshrrev_b32_e32 v10, 16, v11
	s_and_b32 s43, s73, exec_lo
.LBB207_246:                            ;   in Loop: Header=BB207_12 Depth=1
	s_or_b32 exec_lo, exec_lo, s72
.LBB207_247:                            ;   in Loop: Header=BB207_12 Depth=1
	s_delay_alu instid0(SALU_CYCLE_1)
	s_and_b32 vcc_lo, exec_lo, s22
	s_cbranch_vccz .LBB207_264
; %bb.248:                              ;   in Loop: Header=BB207_12 Depth=1
	s_and_b64 s[10:11], s[60:61], 0xffffffff00000000
	s_delay_alu instid0(SALU_CYCLE_1)
	s_cmp_lg_u64 s[10:11], 0
	s_cbranch_scc0 .LBB207_250
; %bb.249:                              ;   in Loop: Header=BB207_12 Depth=1
	s_cvt_f32_u32 s8, s34
	s_sub_nc_u64 s[20:21], 0, s[34:35]
	s_delay_alu instid0(SALU_CYCLE_2) | instskip(NEXT) | instid1(SALU_CYCLE_3)
	s_fmamk_f32 s8, s94, 0x0, s8
	v_s_rcp_f32 s8, s8
	s_delay_alu instid0(TRANS32_DEP_1) | instskip(NEXT) | instid1(SALU_CYCLE_3)
	s_mul_f32 s8, s8, 0x5f7ffffc
	s_mul_f32 s10, s8, 0x2f800000
	s_delay_alu instid0(SALU_CYCLE_3) | instskip(NEXT) | instid1(SALU_CYCLE_3)
	s_trunc_f32 s10, s10
	s_fmamk_f32 s8, s10, 0xcf800000, s8
	s_cvt_u32_f32 s11, s10
	s_delay_alu instid0(SALU_CYCLE_2) | instskip(NEXT) | instid1(SALU_CYCLE_3)
	s_cvt_u32_f32 s10, s8
	s_mul_u64 s[46:47], s[20:21], s[10:11]
	s_delay_alu instid0(SALU_CYCLE_1)
	s_mul_hi_u32 s49, s10, s47
	s_mul_i32 s48, s10, s47
	s_mul_hi_u32 s22, s10, s46
	s_mul_i32 s41, s11, s46
	s_add_nc_u64 s[48:49], s[22:23], s[48:49]
	s_mul_hi_u32 s8, s11, s46
	s_mul_hi_u32 s42, s11, s47
	s_add_co_u32 s22, s48, s41
	s_add_co_ci_u32 s22, s49, s8
	s_mul_i32 s46, s11, s47
	s_add_co_ci_u32 s47, s42, 0
	s_delay_alu instid0(SALU_CYCLE_1) | instskip(NEXT) | instid1(SALU_CYCLE_1)
	s_add_nc_u64 s[46:47], s[22:23], s[46:47]
	s_add_co_u32 s10, s10, s46
	s_cselect_b32 s8, -1, 0
	s_delay_alu instid0(SALU_CYCLE_1) | instskip(SKIP_1) | instid1(SALU_CYCLE_1)
	s_cmp_lg_u32 s8, 0
	s_add_co_ci_u32 s11, s11, s47
	s_mul_u64 s[20:21], s[20:21], s[10:11]
	s_delay_alu instid0(SALU_CYCLE_1)
	s_mul_hi_u32 s47, s10, s21
	s_mul_i32 s46, s10, s21
	s_mul_hi_u32 s22, s10, s20
	s_mul_i32 s41, s11, s20
	s_add_nc_u64 s[46:47], s[22:23], s[46:47]
	s_mul_hi_u32 s8, s11, s20
	s_mul_hi_u32 s42, s11, s21
	s_mul_i32 s20, s11, s21
	s_add_co_u32 s21, s46, s41
	s_add_co_ci_u32 s22, s47, s8
	s_add_co_ci_u32 s21, s42, 0
	s_delay_alu instid0(SALU_CYCLE_1) | instskip(NEXT) | instid1(SALU_CYCLE_1)
	s_add_nc_u64 s[20:21], s[22:23], s[20:21]
	s_add_co_u32 s8, s10, s20
	s_cselect_b32 s10, -1, 0
	s_mul_hi_u32 s22, s60, s8
	s_cmp_lg_u32 s10, 0
	s_mul_hi_u32 s41, s61, s8
	s_add_co_ci_u32 s20, s11, s21
	s_mul_i32 s8, s61, s8
	s_mul_hi_u32 s11, s60, s20
	s_mul_i32 s10, s60, s20
	s_mul_hi_u32 s21, s61, s20
	s_add_nc_u64 s[10:11], s[22:23], s[10:11]
	s_mul_i32 s20, s61, s20
	s_add_co_u32 s8, s10, s8
	s_add_co_ci_u32 s22, s11, s41
	s_add_co_ci_u32 s21, s21, 0
	s_delay_alu instid0(SALU_CYCLE_1) | instskip(NEXT) | instid1(SALU_CYCLE_1)
	s_add_nc_u64 s[10:11], s[22:23], s[20:21]
	s_and_b64 s[20:21], s[10:11], 0xffffffff00000000
	s_delay_alu instid0(SALU_CYCLE_1) | instskip(NEXT) | instid1(SALU_CYCLE_1)
	s_or_b32 s20, s20, s10
	s_mul_u64 s[10:11], s[34:35], s[20:21]
	s_delay_alu instid0(SALU_CYCLE_1) | instskip(SKIP_1) | instid1(SALU_CYCLE_1)
	s_sub_co_u32 s8, s60, s10
	s_cselect_b32 s10, -1, 0
	s_cmp_lg_u32 s10, 0
	s_sub_co_ci_u32 s10, s61, s11
	s_sub_co_u32 s11, s8, s34
	s_cselect_b32 s20, -1, 0
	s_delay_alu instid0(SALU_CYCLE_1) | instskip(SKIP_3) | instid1(SALU_CYCLE_1)
	s_cmp_lg_u32 s20, 0
	s_sub_co_ci_u32 s20, s10, 0
	s_sub_co_u32 s21, s11, s34
	s_cselect_b32 s22, -1, 0
	s_cmp_lg_u32 s22, 0
	s_sub_co_ci_u32 s22, s20, 0
	s_cmp_ge_u32 s11, s34
	s_cselect_b32 s41, -1, 0
	s_cmp_eq_u32 s20, 0
	s_cselect_b32 s41, s41, -1
	s_delay_alu instid0(SALU_CYCLE_1)
	s_cmp_lg_u32 s41, 0
	s_cselect_b32 s20, s22, s20
	s_cselect_b32 s21, s21, s11
	s_cmp_ge_u32 s8, s34
	s_cselect_b32 s11, -1, 0
	s_cmp_eq_u32 s10, 0
	s_cselect_b32 s11, s11, -1
	s_delay_alu instid0(SALU_CYCLE_1)
	s_cmp_lg_u32 s11, 0
	s_cselect_b32 s11, s20, s10
	s_cselect_b32 s10, s21, s8
	s_mov_b32 s8, 0
	s_branch .LBB207_251
.LBB207_250:                            ;   in Loop: Header=BB207_12 Depth=1
	s_mov_b32 s8, -1
                                        ; implicit-def: $sgpr10_sgpr11
.LBB207_251:                            ;   in Loop: Header=BB207_12 Depth=1
	s_delay_alu instid0(SALU_CYCLE_1)
	s_and_not1_b32 vcc_lo, exec_lo, s8
	s_cbranch_vccnz .LBB207_253
; %bb.252:                              ;   in Loop: Header=BB207_12 Depth=1
	v_cvt_f32_u32_e32 v6, s34
	s_sub_co_i32 s10, 0, s34
	s_delay_alu instid0(VALU_DEP_1) | instskip(SKIP_1) | instid1(TRANS32_DEP_1)
	v_rcp_iflag_f32_e32 v6, v6
	v_nop
	v_mul_f32_e32 v6, 0x4f7ffffe, v6
	s_delay_alu instid0(VALU_DEP_1) | instskip(NEXT) | instid1(VALU_DEP_1)
	v_cvt_u32_f32_e32 v6, v6
	v_readfirstlane_b32 s8, v6
	s_mul_i32 s10, s10, s8
	s_delay_alu instid0(SALU_CYCLE_1) | instskip(NEXT) | instid1(SALU_CYCLE_1)
	s_mul_hi_u32 s10, s8, s10
	s_add_co_i32 s8, s8, s10
	s_delay_alu instid0(SALU_CYCLE_1) | instskip(NEXT) | instid1(SALU_CYCLE_1)
	s_mul_hi_u32 s8, s60, s8
	s_mul_i32 s8, s8, s34
	s_delay_alu instid0(SALU_CYCLE_1) | instskip(NEXT) | instid1(SALU_CYCLE_1)
	s_sub_co_i32 s8, s60, s8
	s_sub_co_i32 s10, s8, s34
	s_cmp_ge_u32 s8, s34
	s_cselect_b32 s8, s10, s8
	s_delay_alu instid0(SALU_CYCLE_1) | instskip(SKIP_2) | instid1(SALU_CYCLE_1)
	s_sub_co_i32 s10, s8, s34
	s_cmp_ge_u32 s8, s34
	s_cselect_b32 s22, s10, s8
	s_mov_b64 s[10:11], s[22:23]
.LBB207_253:                            ;   in Loop: Header=BB207_12 Depth=1
	s_delay_alu instid0(SALU_CYCLE_1)
	s_sub_nc_u64 s[10:11], s[60:61], s[10:11]
	s_mov_b32 s20, exec_lo
                                        ; implicit-def: $vgpr10
	v_cmpx_gt_u64_e64 s[10:11], v[0:1]
	s_cbranch_execz .LBB207_263
; %bb.254:                              ;   in Loop: Header=BB207_12 Depth=1
	v_mov_b64_e32 v[6:7], v[0:1]
	s_mov_b32 s21, 0
                                        ; implicit-def: $sgpr22
	s_branch .LBB207_258
.LBB207_255:                            ;   in Loop: Header=BB207_258 Depth=2
	s_or_b32 exec_lo, exec_lo, s41
	s_wait_dscnt 0x0
	s_barrier_signal -1
	s_barrier_wait -1
	ds_load_b32 v10, v3 offset:3072
	s_wait_dscnt 0x0
	s_barrier_signal -1
	s_barrier_wait -1
	v_cmp_eq_f16_e32 vcc_lo, 0, v10
	s_cbranch_vccz .LBB207_261
; %bb.256:                              ;   in Loop: Header=BB207_258 Depth=2
	v_add_nc_u64_e32 v[6:7], s[34:35], v[6:7]
	s_mov_b32 s8, 0
	s_delay_alu instid0(VALU_DEP_1)
	v_cmp_le_u64_e32 vcc_lo, s[10:11], v[6:7]
	s_or_not1_b32 s41, vcc_lo, exec_lo
.LBB207_257:                            ;   in Loop: Header=BB207_258 Depth=2
	s_delay_alu instid0(SALU_CYCLE_1) | instskip(NEXT) | instid1(SALU_CYCLE_1)
	s_and_b32 s41, exec_lo, s41
	s_or_b32 s21, s41, s21
	s_and_not1_b32 s22, s22, exec_lo
	s_and_b32 s8, s8, exec_lo
	s_delay_alu instid0(SALU_CYCLE_1)
	s_or_b32 s22, s22, s8
	s_and_not1_b32 exec_lo, exec_lo, s21
	s_cbranch_execz .LBB207_262
.LBB207_258:                            ;   Parent Loop BB207_12 Depth=1
                                        ; =>  This Inner Loop Header: Depth=2
	s_mov_b32 s41, exec_lo
	s_delay_alu instid0(VALU_DEP_1)
	v_cmpx_gt_u64_e64 s[28:29], v[6:7]
	s_cbranch_execz .LBB207_255
; %bb.259:                              ;   in Loop: Header=BB207_258 Depth=2
	v_mul_u64_e32 v[10:11], s[26:27], v[6:7]
	s_delay_alu instid0(VALU_DEP_1)
	v_lshl_add_u64 v[10:11], v[10:11], 1, s[24:25]
	global_load_u16 v10, v[10:11], off
	s_wait_loadcnt 0x0
	v_cmp_lt_i16_e32 vcc_lo, -1, v10
	v_and_b32_e32 v11, 0xffff, v10
	v_cndmask_b32_e32 v24, 0xffff, v34, vcc_lo
	v_cmp_o_f16_e32 vcc_lo, v10, v10
	s_delay_alu instid0(VALU_DEP_2) | instskip(NEXT) | instid1(VALU_DEP_1)
	v_xor_b32_e32 v11, v24, v11
	v_cndmask_b32_e32 v11, 0xffff, v11, vcc_lo
	s_delay_alu instid0(VALU_DEP_1) | instskip(NEXT) | instid1(VALU_DEP_1)
	v_and_b32_e32 v11, v11, v9
	v_cmp_eq_u32_e32 vcc_lo, v11, v8
	s_and_b32 exec_lo, exec_lo, vcc_lo
	s_cbranch_execz .LBB207_255
; %bb.260:                              ;   in Loop: Header=BB207_258 Depth=2
	v_perm_b32 v10, v10, s95, 0x5040100
	ds_store_b32 v3, v10 offset:3072
	s_branch .LBB207_255
.LBB207_261:                            ;   in Loop: Header=BB207_258 Depth=2
	s_mov_b32 s41, -1
	s_mov_b32 s8, -1
                                        ; implicit-def: $vgpr6_vgpr7
	s_branch .LBB207_257
.LBB207_262:                            ;   in Loop: Header=BB207_12 Depth=1
	s_or_b32 exec_lo, exec_lo, s21
	v_lshrrev_b32_e32 v10, 16, v10
	s_and_not1_b32 s8, s43, exec_lo
	s_and_b32 s10, s22, exec_lo
	s_delay_alu instid0(SALU_CYCLE_1)
	s_or_b32 s43, s8, s10
.LBB207_263:                            ;   in Loop: Header=BB207_12 Depth=1
	s_or_b32 exec_lo, exec_lo, s20
	s_mov_b32 s41, 0
	s_mov_b32 s42, -1
.LBB207_264:                            ;   in Loop: Header=BB207_12 Depth=1
	s_or_not1_b32 s11, s43, exec_lo
.LBB207_265:                            ;   in Loop: Header=BB207_12 Depth=1
	s_or_b32 exec_lo, exec_lo, s40
	s_mov_b32 s8, 0
	s_and_saveexec_b32 s10, s11
	s_cbranch_execz .LBB207_276
; %bb.266:                              ;   in Loop: Header=BB207_12 Depth=1
	v_mov_b64_e32 v[6:7], 1
	v_mov_b32_e32 v2, 1
	s_xor_b32 s8, s39, -1
	s_delay_alu instid0(SALU_CYCLE_1)
	s_and_saveexec_b32 s11, s8
	s_cbranch_execz .LBB207_275
; %bb.267:                              ;   in Loop: Header=BB207_12 Depth=1
	s_mov_b32 s8, exec_lo
	v_cmpx_ge_u64_e64 s[18:19], v[4:5]
	s_xor_b32 s20, exec_lo, s8
	s_cbranch_execz .LBB207_272
; %bb.268:                              ;   in Loop: Header=BB207_12 Depth=1
	ds_load_b64 v[6:7], v3 offset:5120
	v_or_b32_e32 v8, s57, v8
	v_or_b32_e32 v9, s57, v9
	s_wait_dscnt 0x0
	v_cmp_ne_u64_e32 vcc_lo, 0, v[6:7]
	s_cbranch_vccnz .LBB207_272
; %bb.269:                              ;   in Loop: Header=BB207_12 Depth=1
	s_and_saveexec_b32 s8, s5
; %bb.270:                              ;   in Loop: Header=BB207_12 Depth=1
	v_mov_b64_e32 v[6:7], s[18:19]
	ds_store_b64 v3, v[6:7] offset:5128
; %bb.271:                              ;   in Loop: Header=BB207_12 Depth=1
	s_or_b32 exec_lo, exec_lo, s8
	s_wait_dscnt 0x0
	s_barrier_signal -1
	s_barrier_wait -1
.LBB207_272:                            ;   in Loop: Header=BB207_12 Depth=1
	s_and_not1_saveexec_b32 s8, s20
; %bb.273:                              ;   in Loop: Header=BB207_12 Depth=1
	v_sub_nc_u64_e64 v[4:5], v[4:5], s[18:19]
; %bb.274:                              ;   in Loop: Header=BB207_12 Depth=1
	s_or_b32 exec_lo, exec_lo, s8
	s_delay_alu instid0(VALU_DEP_1)
	v_mov_b64_e32 v[6:7], v[4:5]
	v_mov_b32_e32 v2, 8
.LBB207_275:                            ;   in Loop: Header=BB207_12 Depth=1
	s_or_b32 exec_lo, exec_lo, s11
	s_delay_alu instid0(VALU_DEP_2)
	v_mov_b64_e32 v[4:5], v[6:7]
	s_mov_b32 s8, exec_lo
.LBB207_276:                            ;   in Loop: Header=BB207_12 Depth=1
	s_or_b32 exec_lo, exec_lo, s10
	s_delay_alu instid0(SALU_CYCLE_1)
	s_or_not1_b32 s10, s8, exec_lo
.LBB207_277:                            ;   in Loop: Header=BB207_12 Depth=1
	s_or_b32 exec_lo, exec_lo, s38
	s_delay_alu instid0(VALU_DEP_1)
	v_mov_b64_e32 v[6:7], v[4:5]
	s_and_not1_b32 s8, s36, exec_lo
	s_and_b32 s11, s42, exec_lo
	s_and_not1_b32 s20, s85, exec_lo
	s_and_b32 s21, s41, exec_lo
	s_or_b32 s36, s8, s11
	s_or_b32 s85, s20, s21
	s_and_b32 s11, s10, exec_lo
.LBB207_278:                            ;   in Loop: Header=BB207_12 Depth=1
	s_or_b32 exec_lo, exec_lo, s37
	s_delay_alu instid0(SALU_CYCLE_1)
	s_or_not1_b32 s10, s11, exec_lo
.LBB207_279:                            ;   in Loop: Header=BB207_12 Depth=1
	s_or_b32 exec_lo, exec_lo, s84
	v_mov_b64_e32 v[4:5], v[6:7]
	s_and_not1_b32 s8, s82, exec_lo
	s_and_b32 s11, s36, exec_lo
	s_and_not1_b32 s20, s77, exec_lo
	s_and_b32 s21, s85, exec_lo
	s_or_b32 s82, s8, s11
	s_or_b32 s77, s20, s21
	s_and_b32 s11, s10, exec_lo
.LBB207_280:                            ;   in Loop: Header=BB207_12 Depth=1
	s_or_b32 exec_lo, exec_lo, s83
	s_delay_alu instid0(SALU_CYCLE_1)
	s_or_not1_b32 s10, s11, exec_lo
.LBB207_281:                            ;   in Loop: Header=BB207_12 Depth=1
	s_or_b32 exec_lo, exec_lo, s76
	s_mov_b32 s11, 0
	s_mov_b32 s8, 0
	s_and_saveexec_b32 s20, s10
	s_delay_alu instid0(SALU_CYCLE_1)
	s_xor_b32 s20, exec_lo, s20
; %bb.282:                              ;   in Loop: Header=BB207_12 Depth=1
	v_cmp_ne_u32_e32 vcc_lo, 8, v2
	v_cmp_eq_u32_e64 s10, 8, v2
	s_and_b32 s8, vcc_lo, exec_lo
	s_and_b32 s11, s10, exec_lo
; %bb.283:                              ;   in Loop: Header=BB207_12 Depth=1
	s_or_b32 exec_lo, exec_lo, s20
	s_delay_alu instid0(SALU_CYCLE_1)
	s_and_not1_b32 s10, s79, exec_lo
	s_and_b32 s20, s82, exec_lo
	s_and_not1_b32 s21, s78, exec_lo
	s_and_b32 s22, s77, exec_lo
	s_or_b32 s79, s10, s20
	s_or_b32 s78, s21, s22
	s_and_b32 s76, s8, exec_lo
	s_and_b32 s77, s11, exec_lo
.LBB207_284:                            ;   in Loop: Header=BB207_12 Depth=1
	s_or_b32 exec_lo, exec_lo, s81
.LBB207_285:                            ;   in Loop: Header=BB207_12 Depth=1
	s_delay_alu instid0(SALU_CYCLE_1)
	s_and_b32 vcc_lo, exec_lo, s80
	s_cbranch_vccz .LBB207_302
; %bb.286:                              ;   in Loop: Header=BB207_12 Depth=1
	s_cmp_eq_u64 s[18:19], 1
	s_mov_b32 s10, -1
	s_cselect_b32 s8, -1, 0
                                        ; implicit-def: $sgpr80
                                        ; implicit-def: $sgpr75
	s_delay_alu instid0(SALU_CYCLE_1) | instskip(NEXT) | instid1(SALU_CYCLE_1)
	s_and_b32 s9, s8, s9
	s_and_saveexec_b32 s36, s9
	s_cbranch_execz .LBB207_321
; %bb.287:                              ;   in Loop: Header=BB207_12 Depth=1
	ds_load_b64 v[4:5], v3 offset:5120
	s_wait_dscnt 0x0
	s_barrier_signal -1
	s_barrier_wait -1
	v_readfirstlane_b32 s10, v4
	v_readfirstlane_b32 s11, v5
	s_and_saveexec_b32 s8, s6
; %bb.288:                              ;   in Loop: Header=BB207_12 Depth=1
	ds_store_b16 v29, v3
; %bb.289:                              ;   in Loop: Header=BB207_12 Depth=1
	s_or_b32 exec_lo, exec_lo, s8
	v_or_b32_e32 v31, s57, v31
	v_or_b32_e32 v35, s57, v35
	s_mov_b32 s75, -1
	s_mov_b32 s80, 0
	s_cmp_eq_u64 s[10:11], 0
	s_mov_b32 s37, 0
	s_mov_b32 s22, -1
	s_wait_dscnt 0x0
	s_barrier_signal -1
	s_barrier_wait -1
                                        ; implicit-def: $vgpr36
	s_cbranch_scc1 .LBB207_305
; %bb.290:                              ;   in Loop: Header=BB207_12 Depth=1
	s_add_nc_u64 s[20:21], s[10:11], s[58:59]
	s_delay_alu instid0(SALU_CYCLE_1) | instskip(NEXT) | instid1(SALU_CYCLE_1)
	s_and_b64 s[38:39], s[20:21], 0xffffffff00000000
	s_cmp_lg_u64 s[38:39], 0
	s_cbranch_scc0 .LBB207_348
; %bb.291:                              ;   in Loop: Header=BB207_12 Depth=1
	s_cvt_f32_u32 s8, s34
	s_sub_nc_u64 s[40:41], 0, s[34:35]
	s_delay_alu instid0(SALU_CYCLE_2) | instskip(NEXT) | instid1(SALU_CYCLE_3)
	s_fmamk_f32 s8, s94, 0x0, s8
	v_s_rcp_f32 s8, s8
	s_delay_alu instid0(TRANS32_DEP_1) | instskip(NEXT) | instid1(SALU_CYCLE_3)
	s_mul_f32 s8, s8, 0x5f7ffffc
	s_mul_f32 s22, s8, 0x2f800000
	s_delay_alu instid0(SALU_CYCLE_3) | instskip(NEXT) | instid1(SALU_CYCLE_3)
	s_trunc_f32 s22, s22
	s_fmamk_f32 s8, s22, 0xcf800000, s8
	s_cvt_u32_f32 s39, s22
	s_delay_alu instid0(SALU_CYCLE_2) | instskip(NEXT) | instid1(SALU_CYCLE_3)
	s_cvt_u32_f32 s38, s8
	s_mul_u64 s[42:43], s[40:41], s[38:39]
	s_delay_alu instid0(SALU_CYCLE_1)
	s_mul_hi_u32 s73, s38, s43
	s_mul_i32 s72, s38, s43
	s_mul_hi_u32 s22, s38, s42
	s_mul_i32 s37, s39, s42
	s_add_nc_u64 s[72:73], s[22:23], s[72:73]
	s_mul_hi_u32 s8, s39, s42
	s_mul_hi_u32 s46, s39, s43
	s_add_co_u32 s22, s72, s37
	s_add_co_ci_u32 s22, s73, s8
	s_mul_i32 s42, s39, s43
	s_add_co_ci_u32 s43, s46, 0
	s_delay_alu instid0(SALU_CYCLE_1) | instskip(NEXT) | instid1(SALU_CYCLE_1)
	s_add_nc_u64 s[42:43], s[22:23], s[42:43]
	s_add_co_u32 s38, s38, s42
	s_cselect_b32 s8, -1, 0
	s_delay_alu instid0(SALU_CYCLE_1) | instskip(SKIP_1) | instid1(SALU_CYCLE_1)
	s_cmp_lg_u32 s8, 0
	s_add_co_ci_u32 s39, s39, s43
	s_mul_u64 s[40:41], s[40:41], s[38:39]
	s_delay_alu instid0(SALU_CYCLE_1)
	s_mul_hi_u32 s43, s38, s41
	s_mul_i32 s42, s38, s41
	s_mul_hi_u32 s22, s38, s40
	s_mul_i32 s37, s39, s40
	s_add_nc_u64 s[42:43], s[22:23], s[42:43]
	s_mul_hi_u32 s8, s39, s40
	s_mul_hi_u32 s46, s39, s41
	s_add_co_u32 s22, s42, s37
	s_add_co_ci_u32 s22, s43, s8
	s_mul_i32 s40, s39, s41
	s_add_co_ci_u32 s41, s46, 0
	s_delay_alu instid0(SALU_CYCLE_1) | instskip(NEXT) | instid1(SALU_CYCLE_1)
	s_add_nc_u64 s[40:41], s[22:23], s[40:41]
	s_add_co_u32 s8, s38, s40
	s_cselect_b32 s37, -1, 0
	s_mul_hi_u32 s22, s20, s8
	s_cmp_lg_u32 s37, 0
	s_mul_hi_u32 s37, s21, s8
	s_add_co_ci_u32 s40, s39, s41
	s_mul_i32 s8, s21, s8
	s_mul_hi_u32 s39, s20, s40
	s_mul_i32 s38, s20, s40
	s_mul_hi_u32 s41, s21, s40
	s_add_nc_u64 s[38:39], s[22:23], s[38:39]
	s_mul_i32 s40, s21, s40
	s_add_co_u32 s8, s38, s8
	s_add_co_ci_u32 s22, s39, s37
	s_add_co_ci_u32 s41, s41, 0
	s_delay_alu instid0(SALU_CYCLE_1) | instskip(NEXT) | instid1(SALU_CYCLE_1)
	s_add_nc_u64 s[38:39], s[22:23], s[40:41]
	s_and_b64 s[40:41], s[38:39], 0xffffffff00000000
	s_delay_alu instid0(SALU_CYCLE_1) | instskip(NEXT) | instid1(SALU_CYCLE_1)
	s_or_b32 s40, s40, s38
	s_mul_u64 s[38:39], s[34:35], s[40:41]
	s_delay_alu instid0(SALU_CYCLE_1) | instskip(SKIP_1) | instid1(SALU_CYCLE_1)
	s_sub_co_u32 s8, s20, s38
	s_cselect_b32 s22, -1, 0
	s_cmp_lg_u32 s22, 0
	s_sub_co_ci_u32 s22, s21, s39
	s_sub_co_u32 s37, s8, s34
	s_cselect_b32 s38, -1, 0
	s_delay_alu instid0(SALU_CYCLE_1) | instskip(SKIP_3) | instid1(SALU_CYCLE_1)
	s_cmp_lg_u32 s38, 0
	s_sub_co_ci_u32 s38, s22, 0
	s_sub_co_u32 s39, s37, s34
	s_cselect_b32 s40, -1, 0
	s_cmp_lg_u32 s40, 0
	s_sub_co_ci_u32 s40, s38, 0
	s_cmp_ge_u32 s37, s34
	s_cselect_b32 s41, -1, 0
	s_cmp_eq_u32 s38, 0
	s_cselect_b32 s41, s41, -1
	s_delay_alu instid0(SALU_CYCLE_1)
	s_cmp_lg_u32 s41, 0
	s_cselect_b32 s38, s40, s38
	s_cselect_b32 s37, s39, s37
	s_cmp_ge_u32 s8, s34
	s_cselect_b32 s39, -1, 0
	s_cmp_eq_u32 s22, 0
	s_cselect_b32 s39, s39, -1
	s_delay_alu instid0(SALU_CYCLE_1)
	s_cmp_lg_u32 s39, 0
	s_cselect_b32 s73, s38, s22
	s_cselect_b32 s72, s37, s8
	s_cbranch_execnz .LBB207_293
.LBB207_292:                            ;   in Loop: Header=BB207_12 Depth=1
	v_cvt_f32_u32_e32 v2, s34
	s_sub_co_i32 s22, 0, s34
	s_delay_alu instid0(VALU_DEP_1) | instskip(SKIP_1) | instid1(TRANS32_DEP_1)
	v_rcp_iflag_f32_e32 v2, v2
	v_nop
	v_mul_f32_e32 v2, 0x4f7ffffe, v2
	s_delay_alu instid0(VALU_DEP_1) | instskip(NEXT) | instid1(VALU_DEP_1)
	v_cvt_u32_f32_e32 v2, v2
	v_readfirstlane_b32 s8, v2
	s_mul_i32 s22, s22, s8
	s_delay_alu instid0(SALU_CYCLE_1) | instskip(NEXT) | instid1(SALU_CYCLE_1)
	s_mul_hi_u32 s22, s8, s22
	s_add_co_i32 s8, s8, s22
	s_delay_alu instid0(SALU_CYCLE_1) | instskip(NEXT) | instid1(SALU_CYCLE_1)
	s_mul_hi_u32 s8, s20, s8
	s_mul_i32 s8, s8, s34
	s_delay_alu instid0(SALU_CYCLE_1) | instskip(NEXT) | instid1(SALU_CYCLE_1)
	s_sub_co_i32 s8, s20, s8
	s_sub_co_i32 s22, s8, s34
	s_cmp_ge_u32 s8, s34
	s_cselect_b32 s8, s22, s8
	s_delay_alu instid0(SALU_CYCLE_1) | instskip(SKIP_2) | instid1(SALU_CYCLE_1)
	s_sub_co_i32 s22, s8, s34
	s_cmp_ge_u32 s8, s34
	s_cselect_b32 s22, s22, s8
	s_mov_b64 s[72:73], s[22:23]
.LBB207_293:                            ;   in Loop: Header=BB207_12 Depth=1
	s_delay_alu instid0(SALU_CYCLE_1)
	s_sub_nc_u64 s[20:21], s[20:21], s[72:73]
	s_mov_b32 s22, 0
	s_mov_b32 s37, 0
	s_mov_b32 s38, exec_lo
                                        ; implicit-def: $vgpr36
	v_cmpx_gt_u64_e64 s[20:21], v[0:1]
	s_cbranch_execz .LBB207_304
; %bb.294:                              ;   in Loop: Header=BB207_12 Depth=1
	v_mov_b64_e32 v[4:5], v[0:1]
	v_mov_b32_e32 v2, v28
                                        ; implicit-def: $sgpr39
	s_branch .LBB207_298
.LBB207_295:                            ;   in Loop: Header=BB207_298 Depth=2
	s_or_b32 exec_lo, exec_lo, s8
	s_wait_dscnt 0x0
	s_barrier_signal -1
	s_barrier_wait -1
	ds_load_b32 v6, v3 offset:3072
	s_wait_dscnt 0x0
	s_barrier_signal -1
	s_barrier_wait -1
	v_cmp_neq_f16_e32 vcc_lo, 0, v6
	s_cbranch_vccnz .LBB207_301
; %bb.296:                              ;   in Loop: Header=BB207_298 Depth=2
	v_add_nc_u64_e32 v[4:5], s[34:35], v[4:5]
	v_add_nc_u32_e32 v2, s93, v2
	s_mov_b32 s8, 0
	s_delay_alu instid0(VALU_DEP_2)
	v_cmp_le_u64_e32 vcc_lo, s[20:21], v[4:5]
	s_or_not1_b32 s40, vcc_lo, exec_lo
.LBB207_297:                            ;   in Loop: Header=BB207_298 Depth=2
	s_delay_alu instid0(SALU_CYCLE_1) | instskip(NEXT) | instid1(SALU_CYCLE_1)
	s_and_b32 s40, exec_lo, s40
	s_or_b32 s37, s40, s37
	s_and_not1_b32 s39, s39, exec_lo
	s_and_b32 s8, s8, exec_lo
	s_delay_alu instid0(SALU_CYCLE_1)
	s_or_b32 s39, s39, s8
	s_and_not1_b32 exec_lo, exec_lo, s37
	s_cbranch_execz .LBB207_303
.LBB207_298:                            ;   Parent Loop BB207_12 Depth=1
                                        ; =>  This Inner Loop Header: Depth=2
	s_mov_b32 s8, exec_lo
	s_delay_alu instid0(VALU_DEP_2)
	v_cmpx_gt_u64_e64 s[10:11], v[4:5]
	s_cbranch_execz .LBB207_295
; %bb.299:                              ;   in Loop: Header=BB207_298 Depth=2
	ds_load_u16 v6, v2
	s_wait_dscnt 0x0
	v_cmp_lt_i16_e32 vcc_lo, -1, v6
	v_and_b32_e32 v7, 0xffff, v6
	v_cndmask_b32_e32 v8, 0xffff, v34, vcc_lo
	v_cmp_o_f16_e32 vcc_lo, v6, v6
	s_delay_alu instid0(VALU_DEP_2) | instskip(NEXT) | instid1(VALU_DEP_1)
	v_xor_b32_e32 v7, v8, v7
	v_cndmask_b32_e32 v7, 0xffff, v7, vcc_lo
	s_delay_alu instid0(VALU_DEP_1) | instskip(NEXT) | instid1(VALU_DEP_1)
	v_and_b32_e32 v7, v7, v35
	v_cmp_eq_u32_e32 vcc_lo, v7, v31
	s_and_b32 exec_lo, exec_lo, vcc_lo
	s_cbranch_execz .LBB207_295
; %bb.300:                              ;   in Loop: Header=BB207_298 Depth=2
	v_perm_b32 v6, v6, s95, 0x5040100
	ds_store_b32 v3, v6 offset:3072
	s_branch .LBB207_295
.LBB207_301:                            ;   in Loop: Header=BB207_298 Depth=2
	s_mov_b32 s40, -1
	s_mov_b32 s8, -1
                                        ; implicit-def: $vgpr4_vgpr5
                                        ; implicit-def: $vgpr2
	s_branch .LBB207_297
.LBB207_302:                            ;   in Loop: Header=BB207_12 Depth=1
	v_dual_mov_b32 v31, v8 :: v_dual_mov_b32 v35, v9
	v_mov_b32_e32 v36, v10
	s_mov_b32 s80, 0
	s_and_saveexec_b32 s8, s77
	s_cbranch_execnz .LBB207_486
	s_branch .LBB207_487
.LBB207_303:                            ;   in Loop: Header=BB207_12 Depth=1
	s_or_b32 exec_lo, exec_lo, s37
	v_lshrrev_b32_e32 v36, 16, v6
	s_and_b32 s37, s39, exec_lo
.LBB207_304:                            ;   in Loop: Header=BB207_12 Depth=1
	s_or_b32 exec_lo, exec_lo, s38
.LBB207_305:                            ;   in Loop: Header=BB207_12 Depth=1
	s_delay_alu instid0(SALU_CYCLE_1)
	s_and_b32 vcc_lo, exec_lo, s22
	s_cbranch_vccz .LBB207_320
; %bb.306:                              ;   in Loop: Header=BB207_12 Depth=1
	s_and_b64 s[10:11], s[60:61], 0xffffffff00000000
	s_delay_alu instid0(SALU_CYCLE_1)
	s_cmp_lg_u64 s[10:11], 0
	s_cbranch_scc0 .LBB207_349
; %bb.307:                              ;   in Loop: Header=BB207_12 Depth=1
	s_cvt_f32_u32 s8, s34
	s_sub_nc_u64 s[20:21], 0, s[34:35]
	s_delay_alu instid0(SALU_CYCLE_2) | instskip(NEXT) | instid1(SALU_CYCLE_3)
	s_fmamk_f32 s8, s94, 0x0, s8
	v_s_rcp_f32 s8, s8
	s_delay_alu instid0(TRANS32_DEP_1) | instskip(NEXT) | instid1(SALU_CYCLE_3)
	s_mul_f32 s8, s8, 0x5f7ffffc
	s_mul_f32 s10, s8, 0x2f800000
	s_delay_alu instid0(SALU_CYCLE_3) | instskip(NEXT) | instid1(SALU_CYCLE_3)
	s_trunc_f32 s10, s10
	s_fmamk_f32 s8, s10, 0xcf800000, s8
	s_cvt_u32_f32 s11, s10
	s_delay_alu instid0(SALU_CYCLE_2) | instskip(NEXT) | instid1(SALU_CYCLE_3)
	s_cvt_u32_f32 s10, s8
	s_mul_u64 s[38:39], s[20:21], s[10:11]
	s_delay_alu instid0(SALU_CYCLE_1)
	s_mul_hi_u32 s41, s10, s39
	s_mul_i32 s40, s10, s39
	s_mul_hi_u32 s22, s10, s38
	s_mul_i32 s42, s11, s38
	s_add_nc_u64 s[40:41], s[22:23], s[40:41]
	s_mul_hi_u32 s8, s11, s38
	s_mul_hi_u32 s43, s11, s39
	s_add_co_u32 s22, s40, s42
	s_add_co_ci_u32 s22, s41, s8
	s_mul_i32 s38, s11, s39
	s_add_co_ci_u32 s39, s43, 0
	s_delay_alu instid0(SALU_CYCLE_1) | instskip(NEXT) | instid1(SALU_CYCLE_1)
	s_add_nc_u64 s[38:39], s[22:23], s[38:39]
	s_add_co_u32 s10, s10, s38
	s_cselect_b32 s8, -1, 0
	s_delay_alu instid0(SALU_CYCLE_1) | instskip(SKIP_1) | instid1(SALU_CYCLE_1)
	s_cmp_lg_u32 s8, 0
	s_add_co_ci_u32 s11, s11, s39
	s_mul_u64 s[20:21], s[20:21], s[10:11]
	s_delay_alu instid0(SALU_CYCLE_1)
	s_mul_hi_u32 s39, s10, s21
	s_mul_i32 s38, s10, s21
	s_mul_hi_u32 s22, s10, s20
	s_mul_i32 s40, s11, s20
	s_add_nc_u64 s[38:39], s[22:23], s[38:39]
	s_mul_hi_u32 s8, s11, s20
	s_mul_hi_u32 s41, s11, s21
	s_mul_i32 s20, s11, s21
	s_add_co_u32 s21, s38, s40
	s_add_co_ci_u32 s22, s39, s8
	s_add_co_ci_u32 s21, s41, 0
	s_delay_alu instid0(SALU_CYCLE_1) | instskip(NEXT) | instid1(SALU_CYCLE_1)
	s_add_nc_u64 s[20:21], s[22:23], s[20:21]
	s_add_co_u32 s8, s10, s20
	s_cselect_b32 s10, -1, 0
	s_mul_hi_u32 s22, s60, s8
	s_cmp_lg_u32 s10, 0
	s_mul_hi_u32 s38, s61, s8
	s_add_co_ci_u32 s20, s11, s21
	s_mul_i32 s8, s61, s8
	s_mul_hi_u32 s11, s60, s20
	s_mul_i32 s10, s60, s20
	s_mul_hi_u32 s21, s61, s20
	s_add_nc_u64 s[10:11], s[22:23], s[10:11]
	s_mul_i32 s20, s61, s20
	s_add_co_u32 s8, s10, s8
	s_add_co_ci_u32 s22, s11, s38
	s_add_co_ci_u32 s21, s21, 0
	s_delay_alu instid0(SALU_CYCLE_1) | instskip(NEXT) | instid1(SALU_CYCLE_1)
	s_add_nc_u64 s[10:11], s[22:23], s[20:21]
	s_and_b64 s[20:21], s[10:11], 0xffffffff00000000
	s_delay_alu instid0(SALU_CYCLE_1) | instskip(NEXT) | instid1(SALU_CYCLE_1)
	s_or_b32 s20, s20, s10
	s_mul_u64 s[10:11], s[34:35], s[20:21]
	s_delay_alu instid0(SALU_CYCLE_1) | instskip(SKIP_1) | instid1(SALU_CYCLE_1)
	s_sub_co_u32 s8, s60, s10
	s_cselect_b32 s10, -1, 0
	s_cmp_lg_u32 s10, 0
	s_sub_co_ci_u32 s10, s61, s11
	s_sub_co_u32 s11, s8, s34
	s_cselect_b32 s20, -1, 0
	s_delay_alu instid0(SALU_CYCLE_1) | instskip(SKIP_3) | instid1(SALU_CYCLE_1)
	s_cmp_lg_u32 s20, 0
	s_sub_co_ci_u32 s20, s10, 0
	s_sub_co_u32 s21, s11, s34
	s_cselect_b32 s22, -1, 0
	s_cmp_lg_u32 s22, 0
	s_sub_co_ci_u32 s22, s20, 0
	s_cmp_ge_u32 s11, s34
	s_cselect_b32 s38, -1, 0
	s_cmp_eq_u32 s20, 0
	s_cselect_b32 s38, s38, -1
	s_delay_alu instid0(SALU_CYCLE_1)
	s_cmp_lg_u32 s38, 0
	s_cselect_b32 s20, s22, s20
	s_cselect_b32 s21, s21, s11
	s_cmp_ge_u32 s8, s34
	s_cselect_b32 s11, -1, 0
	s_cmp_eq_u32 s10, 0
	s_cselect_b32 s11, s11, -1
	s_delay_alu instid0(SALU_CYCLE_1)
	s_cmp_lg_u32 s11, 0
	s_cselect_b32 s11, s20, s10
	s_cselect_b32 s10, s21, s8
	s_cbranch_execnz .LBB207_309
.LBB207_308:                            ;   in Loop: Header=BB207_12 Depth=1
	v_cvt_f32_u32_e32 v2, s34
	s_sub_co_i32 s10, 0, s34
	s_delay_alu instid0(VALU_DEP_1) | instskip(SKIP_1) | instid1(TRANS32_DEP_1)
	v_rcp_iflag_f32_e32 v2, v2
	v_nop
	v_mul_f32_e32 v2, 0x4f7ffffe, v2
	s_delay_alu instid0(VALU_DEP_1) | instskip(NEXT) | instid1(VALU_DEP_1)
	v_cvt_u32_f32_e32 v2, v2
	v_readfirstlane_b32 s8, v2
	s_mul_i32 s10, s10, s8
	s_delay_alu instid0(SALU_CYCLE_1) | instskip(NEXT) | instid1(SALU_CYCLE_1)
	s_mul_hi_u32 s10, s8, s10
	s_add_co_i32 s8, s8, s10
	s_delay_alu instid0(SALU_CYCLE_1) | instskip(NEXT) | instid1(SALU_CYCLE_1)
	s_mul_hi_u32 s8, s60, s8
	s_mul_i32 s8, s8, s34
	s_delay_alu instid0(SALU_CYCLE_1) | instskip(NEXT) | instid1(SALU_CYCLE_1)
	s_sub_co_i32 s8, s60, s8
	s_sub_co_i32 s10, s8, s34
	s_cmp_ge_u32 s8, s34
	s_cselect_b32 s8, s10, s8
	s_delay_alu instid0(SALU_CYCLE_1) | instskip(SKIP_2) | instid1(SALU_CYCLE_1)
	s_sub_co_i32 s10, s8, s34
	s_cmp_ge_u32 s8, s34
	s_cselect_b32 s22, s10, s8
	s_mov_b64 s[10:11], s[22:23]
.LBB207_309:                            ;   in Loop: Header=BB207_12 Depth=1
	s_delay_alu instid0(SALU_CYCLE_1)
	s_sub_nc_u64 s[10:11], s[60:61], s[10:11]
	s_mov_b32 s20, exec_lo
                                        ; implicit-def: $vgpr36
	v_cmpx_gt_u64_e64 s[10:11], v[0:1]
	s_cbranch_execz .LBB207_319
; %bb.310:                              ;   in Loop: Header=BB207_12 Depth=1
	v_mov_b64_e32 v[4:5], v[0:1]
	s_mov_b32 s21, 0
                                        ; implicit-def: $sgpr22
	s_branch .LBB207_314
.LBB207_311:                            ;   in Loop: Header=BB207_314 Depth=2
	s_or_b32 exec_lo, exec_lo, s38
	s_wait_dscnt 0x0
	s_barrier_signal -1
	s_barrier_wait -1
	ds_load_b32 v2, v3 offset:3072
	s_wait_dscnt 0x0
	s_barrier_signal -1
	s_barrier_wait -1
	v_cmp_neq_f16_e32 vcc_lo, 0, v2
	s_cbranch_vccnz .LBB207_317
; %bb.312:                              ;   in Loop: Header=BB207_314 Depth=2
	v_add_nc_u64_e32 v[4:5], s[34:35], v[4:5]
	s_mov_b32 s8, 0
	s_delay_alu instid0(VALU_DEP_1)
	v_cmp_le_u64_e32 vcc_lo, s[10:11], v[4:5]
	s_or_not1_b32 s38, vcc_lo, exec_lo
.LBB207_313:                            ;   in Loop: Header=BB207_314 Depth=2
	s_delay_alu instid0(SALU_CYCLE_1) | instskip(NEXT) | instid1(SALU_CYCLE_1)
	s_and_b32 s38, exec_lo, s38
	s_or_b32 s21, s38, s21
	s_and_not1_b32 s22, s22, exec_lo
	s_and_b32 s8, s8, exec_lo
	s_delay_alu instid0(SALU_CYCLE_1)
	s_or_b32 s22, s22, s8
	s_and_not1_b32 exec_lo, exec_lo, s21
	s_cbranch_execz .LBB207_318
.LBB207_314:                            ;   Parent Loop BB207_12 Depth=1
                                        ; =>  This Inner Loop Header: Depth=2
	s_mov_b32 s38, exec_lo
	s_delay_alu instid0(VALU_DEP_1)
	v_cmpx_gt_u64_e64 s[28:29], v[4:5]
	s_cbranch_execz .LBB207_311
; %bb.315:                              ;   in Loop: Header=BB207_314 Depth=2
	v_mul_u64_e32 v[6:7], s[26:27], v[4:5]
	s_delay_alu instid0(VALU_DEP_1)
	v_lshl_add_u64 v[6:7], v[6:7], 1, s[24:25]
	global_load_u16 v2, v[6:7], off
	s_wait_loadcnt 0x0
	v_cmp_lt_i16_e32 vcc_lo, -1, v2
	v_and_b32_e32 v6, 0xffff, v2
	v_cndmask_b32_e32 v7, 0xffff, v34, vcc_lo
	v_cmp_o_f16_e32 vcc_lo, v2, v2
	s_delay_alu instid0(VALU_DEP_2) | instskip(NEXT) | instid1(VALU_DEP_1)
	v_xor_b32_e32 v6, v7, v6
	v_cndmask_b32_e32 v6, 0xffff, v6, vcc_lo
	s_delay_alu instid0(VALU_DEP_1) | instskip(NEXT) | instid1(VALU_DEP_1)
	v_and_b32_e32 v6, v6, v35
	v_cmp_eq_u32_e32 vcc_lo, v6, v31
	s_and_b32 exec_lo, exec_lo, vcc_lo
	s_cbranch_execz .LBB207_311
; %bb.316:                              ;   in Loop: Header=BB207_314 Depth=2
	v_perm_b32 v2, v2, s95, 0x5040100
	ds_store_b32 v3, v2 offset:3072
	s_branch .LBB207_311
.LBB207_317:                            ;   in Loop: Header=BB207_314 Depth=2
	s_mov_b32 s38, -1
	s_mov_b32 s8, -1
                                        ; implicit-def: $vgpr4_vgpr5
	s_branch .LBB207_313
.LBB207_318:                            ;   in Loop: Header=BB207_12 Depth=1
	s_or_b32 exec_lo, exec_lo, s21
	s_delay_alu instid0(SALU_CYCLE_1)
	s_and_not1_b32 s8, s37, exec_lo
	s_and_b32 s10, s22, exec_lo
	v_lshrrev_b32_e32 v36, 16, v2
	s_or_b32 s37, s8, s10
.LBB207_319:                            ;   in Loop: Header=BB207_12 Depth=1
	s_or_b32 exec_lo, exec_lo, s20
	s_mov_b32 s75, 0
	s_mov_b32 s80, -1
.LBB207_320:                            ;   in Loop: Header=BB207_12 Depth=1
	s_or_not1_b32 s10, s37, exec_lo
.LBB207_321:                            ;   in Loop: Header=BB207_12 Depth=1
	s_or_b32 exec_lo, exec_lo, s36
                                        ; implicit-def: $vgpr4_vgpr5
                                        ; implicit-def: $vgpr2
	s_and_saveexec_b32 s72, s10
	s_cbranch_execz .LBB207_485
; %bb.322:                              ;   in Loop: Header=BB207_12 Depth=1
	v_mov_b64_e32 v[4:5], 1
	v_mov_b32_e32 v2, 1
	s_xor_b32 s8, s9, -1
	s_mov_b32 s11, 0
	s_and_saveexec_b32 s9, s8
	s_cbranch_execz .LBB207_331
; %bb.323:                              ;   in Loop: Header=BB207_12 Depth=1
	s_mov_b32 s8, exec_lo
	v_cmpx_ge_u64_e64 s[18:19], v[22:23]
	s_xor_b32 s10, exec_lo, s8
	s_cbranch_execz .LBB207_328
; %bb.324:                              ;   in Loop: Header=BB207_12 Depth=1
	ds_load_b64 v[4:5], v3 offset:5120
	v_or_b32_e32 v31, s57, v31
	v_or_b32_e32 v35, s57, v35
	s_wait_dscnt 0x0
	v_cmp_ne_u64_e32 vcc_lo, 0, v[4:5]
	s_cbranch_vccnz .LBB207_328
; %bb.325:                              ;   in Loop: Header=BB207_12 Depth=1
	s_and_saveexec_b32 s8, s5
; %bb.326:                              ;   in Loop: Header=BB207_12 Depth=1
	v_mov_b64_e32 v[4:5], s[18:19]
	ds_store_b64 v3, v[4:5] offset:5128
; %bb.327:                              ;   in Loop: Header=BB207_12 Depth=1
	s_or_b32 exec_lo, exec_lo, s8
	s_wait_dscnt 0x0
	s_barrier_signal -1
	s_barrier_wait -1
.LBB207_328:                            ;   in Loop: Header=BB207_12 Depth=1
	s_or_saveexec_b32 s10, s10
	v_mov_b32_e32 v2, 5
	s_mov_b32 s8, 0
	s_xor_b32 exec_lo, exec_lo, s10
; %bb.329:                              ;   in Loop: Header=BB207_12 Depth=1
	v_sub_nc_u64_e64 v[22:23], v[22:23], s[18:19]
	v_mov_b32_e32 v2, 0
	s_mov_b32 s8, exec_lo
; %bb.330:                              ;   in Loop: Header=BB207_12 Depth=1
	s_or_b32 exec_lo, exec_lo, s10
	s_delay_alu instid0(VALU_DEP_2)
	v_mov_b64_e32 v[4:5], v[22:23]
	s_and_b32 s11, s8, exec_lo
.LBB207_331:                            ;   in Loop: Header=BB207_12 Depth=1
	s_or_b32 exec_lo, exec_lo, s9
	s_mov_b32 s10, -1
                                        ; implicit-def: $sgpr73
                                        ; implicit-def: $sgpr78
	s_and_saveexec_b32 s8, s11
	s_delay_alu instid0(SALU_CYCLE_1)
	s_xor_b32 s9, exec_lo, s8
	s_cbranch_execz .LBB207_482
; %bb.332:                              ;   in Loop: Header=BB207_12 Depth=1
	v_cmp_eq_u64_e32 vcc_lo, 1, v[4:5]
	s_cmp_eq_u64 s[16:17], 1
                                        ; implicit-def: $sgpr78
                                        ; implicit-def: $sgpr73
	s_cselect_b32 s8, -1, 0
	s_delay_alu instid0(SALU_CYCLE_1) | instskip(NEXT) | instid1(SALU_CYCLE_1)
	s_and_b32 s36, s8, vcc_lo
	s_and_saveexec_b32 s37, s36
	s_cbranch_execz .LBB207_368
; %bb.333:                              ;   in Loop: Header=BB207_12 Depth=1
	ds_load_b64 v[6:7], v3 offset:5120
	s_wait_dscnt 0x0
	s_barrier_signal -1
	s_barrier_wait -1
	v_readfirstlane_b32 s10, v6
	v_readfirstlane_b32 s11, v7
	s_and_saveexec_b32 s8, s6
; %bb.334:                              ;   in Loop: Header=BB207_12 Depth=1
	ds_store_b16 v29, v3
; %bb.335:                              ;   in Loop: Header=BB207_12 Depth=1
	s_or_b32 exec_lo, exec_lo, s8
	s_lshl_b32 s8, 2, s96
	v_or_b32_e32 v35, s57, v35
	v_and_or_b32 v31, v31, s74, s8
	s_mov_b32 s73, -1
	s_mov_b32 s78, 0
	s_cmp_eq_u64 s[10:11], 0
	s_mov_b32 s20, 0
	s_mov_b32 s21, -1
	s_wait_dscnt 0x0
	s_barrier_signal -1
	s_barrier_wait -1
                                        ; implicit-def: $vgpr36
	s_cbranch_scc1 .LBB207_352
; %bb.336:                              ;   in Loop: Header=BB207_12 Depth=1
	s_add_nc_u64 s[18:19], s[10:11], s[58:59]
	s_delay_alu instid0(SALU_CYCLE_1) | instskip(NEXT) | instid1(SALU_CYCLE_1)
	s_and_b64 s[20:21], s[18:19], 0xffffffff00000000
	s_cmp_lg_u64 s[20:21], 0
	s_cbranch_scc0 .LBB207_395
; %bb.337:                              ;   in Loop: Header=BB207_12 Depth=1
	s_cvt_f32_u32 s8, s34
	s_sub_nc_u64 s[38:39], 0, s[34:35]
	s_delay_alu instid0(SALU_CYCLE_2) | instskip(NEXT) | instid1(SALU_CYCLE_3)
	s_fmamk_f32 s8, s94, 0x0, s8
	v_s_rcp_f32 s8, s8
	s_delay_alu instid0(TRANS32_DEP_1) | instskip(NEXT) | instid1(SALU_CYCLE_3)
	s_mul_f32 s8, s8, 0x5f7ffffc
	s_mul_f32 s20, s8, 0x2f800000
	s_delay_alu instid0(SALU_CYCLE_3) | instskip(NEXT) | instid1(SALU_CYCLE_3)
	s_trunc_f32 s20, s20
	s_fmamk_f32 s8, s20, 0xcf800000, s8
	s_cvt_u32_f32 s21, s20
	s_delay_alu instid0(SALU_CYCLE_2) | instskip(NEXT) | instid1(SALU_CYCLE_3)
	s_cvt_u32_f32 s20, s8
	s_mul_u64 s[40:41], s[38:39], s[20:21]
	s_delay_alu instid0(SALU_CYCLE_1)
	s_mul_hi_u32 s43, s20, s41
	s_mul_i32 s42, s20, s41
	s_mul_hi_u32 s22, s20, s40
	s_mul_i32 s46, s21, s40
	s_add_nc_u64 s[42:43], s[22:23], s[42:43]
	s_mul_hi_u32 s8, s21, s40
	s_mul_hi_u32 s47, s21, s41
	s_add_co_u32 s22, s42, s46
	s_add_co_ci_u32 s22, s43, s8
	s_mul_i32 s40, s21, s41
	s_add_co_ci_u32 s41, s47, 0
	s_delay_alu instid0(SALU_CYCLE_1) | instskip(NEXT) | instid1(SALU_CYCLE_1)
	s_add_nc_u64 s[40:41], s[22:23], s[40:41]
	s_add_co_u32 s20, s20, s40
	s_cselect_b32 s8, -1, 0
	s_delay_alu instid0(SALU_CYCLE_1) | instskip(SKIP_1) | instid1(SALU_CYCLE_1)
	s_cmp_lg_u32 s8, 0
	s_add_co_ci_u32 s21, s21, s41
	s_mul_u64 s[38:39], s[38:39], s[20:21]
	s_delay_alu instid0(SALU_CYCLE_1)
	s_mul_hi_u32 s41, s20, s39
	s_mul_i32 s40, s20, s39
	s_mul_hi_u32 s22, s20, s38
	s_mul_i32 s42, s21, s38
	s_add_nc_u64 s[40:41], s[22:23], s[40:41]
	s_mul_hi_u32 s8, s21, s38
	s_mul_hi_u32 s43, s21, s39
	s_add_co_u32 s22, s40, s42
	s_add_co_ci_u32 s22, s41, s8
	s_mul_i32 s38, s21, s39
	s_add_co_ci_u32 s39, s43, 0
	s_delay_alu instid0(SALU_CYCLE_1) | instskip(NEXT) | instid1(SALU_CYCLE_1)
	s_add_nc_u64 s[38:39], s[22:23], s[38:39]
	s_add_co_u32 s8, s20, s38
	s_cselect_b32 s20, -1, 0
	s_mul_hi_u32 s22, s18, s8
	s_cmp_lg_u32 s20, 0
	s_mul_hi_u32 s40, s19, s8
	s_add_co_ci_u32 s38, s21, s39
	s_mul_i32 s8, s19, s8
	s_mul_hi_u32 s21, s18, s38
	s_mul_i32 s20, s18, s38
	s_mul_hi_u32 s39, s19, s38
	s_add_nc_u64 s[20:21], s[22:23], s[20:21]
	s_mul_i32 s38, s19, s38
	s_add_co_u32 s8, s20, s8
	s_add_co_ci_u32 s22, s21, s40
	s_add_co_ci_u32 s39, s39, 0
	s_delay_alu instid0(SALU_CYCLE_1) | instskip(NEXT) | instid1(SALU_CYCLE_1)
	s_add_nc_u64 s[20:21], s[22:23], s[38:39]
	s_and_b64 s[38:39], s[20:21], 0xffffffff00000000
	s_delay_alu instid0(SALU_CYCLE_1) | instskip(NEXT) | instid1(SALU_CYCLE_1)
	s_or_b32 s38, s38, s20
	s_mul_u64 s[20:21], s[34:35], s[38:39]
	s_delay_alu instid0(SALU_CYCLE_1) | instskip(SKIP_1) | instid1(SALU_CYCLE_1)
	s_sub_co_u32 s8, s18, s20
	s_cselect_b32 s20, -1, 0
	s_cmp_lg_u32 s20, 0
	s_sub_co_ci_u32 s20, s19, s21
	s_sub_co_u32 s21, s8, s34
	s_cselect_b32 s22, -1, 0
	s_delay_alu instid0(SALU_CYCLE_1) | instskip(SKIP_3) | instid1(SALU_CYCLE_1)
	s_cmp_lg_u32 s22, 0
	s_sub_co_ci_u32 s22, s20, 0
	s_sub_co_u32 s38, s21, s34
	s_cselect_b32 s39, -1, 0
	s_cmp_lg_u32 s39, 0
	s_sub_co_ci_u32 s39, s22, 0
	s_cmp_ge_u32 s21, s34
	s_cselect_b32 s40, -1, 0
	s_cmp_eq_u32 s22, 0
	s_cselect_b32 s40, s40, -1
	s_delay_alu instid0(SALU_CYCLE_1)
	s_cmp_lg_u32 s40, 0
	s_cselect_b32 s22, s39, s22
	s_cselect_b32 s38, s38, s21
	s_cmp_ge_u32 s8, s34
	s_cselect_b32 s21, -1, 0
	s_cmp_eq_u32 s20, 0
	s_cselect_b32 s21, s21, -1
	s_delay_alu instid0(SALU_CYCLE_1)
	s_cmp_lg_u32 s21, 0
	s_cselect_b32 s21, s22, s20
	s_cselect_b32 s20, s38, s8
	s_cbranch_execnz .LBB207_339
.LBB207_338:                            ;   in Loop: Header=BB207_12 Depth=1
	v_cvt_f32_u32_e32 v6, s34
	s_sub_co_i32 s20, 0, s34
	s_delay_alu instid0(VALU_DEP_1) | instskip(SKIP_1) | instid1(TRANS32_DEP_1)
	v_rcp_iflag_f32_e32 v6, v6
	v_nop
	v_mul_f32_e32 v6, 0x4f7ffffe, v6
	s_delay_alu instid0(VALU_DEP_1) | instskip(NEXT) | instid1(VALU_DEP_1)
	v_cvt_u32_f32_e32 v6, v6
	v_readfirstlane_b32 s8, v6
	s_mul_i32 s20, s20, s8
	s_delay_alu instid0(SALU_CYCLE_1) | instskip(NEXT) | instid1(SALU_CYCLE_1)
	s_mul_hi_u32 s20, s8, s20
	s_add_co_i32 s8, s8, s20
	s_delay_alu instid0(SALU_CYCLE_1) | instskip(NEXT) | instid1(SALU_CYCLE_1)
	s_mul_hi_u32 s8, s18, s8
	s_mul_i32 s8, s8, s34
	s_delay_alu instid0(SALU_CYCLE_1) | instskip(NEXT) | instid1(SALU_CYCLE_1)
	s_sub_co_i32 s8, s18, s8
	s_sub_co_i32 s20, s8, s34
	s_cmp_ge_u32 s8, s34
	s_cselect_b32 s8, s20, s8
	s_delay_alu instid0(SALU_CYCLE_1) | instskip(SKIP_2) | instid1(SALU_CYCLE_1)
	s_sub_co_i32 s20, s8, s34
	s_cmp_ge_u32 s8, s34
	s_cselect_b32 s22, s20, s8
	s_mov_b64 s[20:21], s[22:23]
.LBB207_339:                            ;   in Loop: Header=BB207_12 Depth=1
	s_delay_alu instid0(SALU_CYCLE_1)
	s_sub_nc_u64 s[18:19], s[18:19], s[20:21]
	s_mov_b32 s21, 0
	s_mov_b32 s20, 0
	s_mov_b32 s22, exec_lo
                                        ; implicit-def: $vgpr36
	v_cmpx_gt_u64_e64 s[18:19], v[0:1]
	s_cbranch_execz .LBB207_351
; %bb.340:                              ;   in Loop: Header=BB207_12 Depth=1
	v_mov_b64_e32 v[6:7], v[0:1]
	v_mov_b32_e32 v8, v28
                                        ; implicit-def: $sgpr38
	s_branch .LBB207_344
.LBB207_341:                            ;   in Loop: Header=BB207_344 Depth=2
	s_or_b32 exec_lo, exec_lo, s39
	s_wait_dscnt 0x0
	s_barrier_signal -1
	s_barrier_wait -1
	ds_load_b32 v9, v3 offset:3072
	s_wait_dscnt 0x0
	s_barrier_signal -1
	s_barrier_wait -1
	v_cmp_neq_f16_e32 vcc_lo, 0, v9
	s_cbranch_vccnz .LBB207_347
; %bb.342:                              ;   in Loop: Header=BB207_344 Depth=2
	v_add_nc_u64_e32 v[6:7], s[34:35], v[6:7]
	v_add_nc_u32_e32 v8, s93, v8
	s_mov_b32 s8, 0
	s_delay_alu instid0(VALU_DEP_2)
	v_cmp_le_u64_e32 vcc_lo, s[18:19], v[6:7]
	s_or_not1_b32 s39, vcc_lo, exec_lo
.LBB207_343:                            ;   in Loop: Header=BB207_344 Depth=2
	s_delay_alu instid0(SALU_CYCLE_1) | instskip(NEXT) | instid1(SALU_CYCLE_1)
	s_and_b32 s39, exec_lo, s39
	s_or_b32 s20, s39, s20
	s_and_not1_b32 s38, s38, exec_lo
	s_and_b32 s8, s8, exec_lo
	s_delay_alu instid0(SALU_CYCLE_1)
	s_or_b32 s38, s38, s8
	s_and_not1_b32 exec_lo, exec_lo, s20
	s_cbranch_execz .LBB207_350
.LBB207_344:                            ;   Parent Loop BB207_12 Depth=1
                                        ; =>  This Inner Loop Header: Depth=2
	s_mov_b32 s39, exec_lo
	s_delay_alu instid0(VALU_DEP_2)
	v_cmpx_gt_u64_e64 s[10:11], v[6:7]
	s_cbranch_execz .LBB207_341
; %bb.345:                              ;   in Loop: Header=BB207_344 Depth=2
	ds_load_u16 v9, v8
	s_wait_dscnt 0x0
	v_cmp_lt_i16_e32 vcc_lo, -1, v9
	v_and_b32_e32 v10, 0xffff, v9
	v_cndmask_b32_e32 v11, 0xffff, v34, vcc_lo
	v_cmp_o_f16_e32 vcc_lo, v9, v9
	s_delay_alu instid0(VALU_DEP_2) | instskip(NEXT) | instid1(VALU_DEP_1)
	v_xor_b32_e32 v10, v11, v10
	v_cndmask_b32_e32 v10, 0xffff, v10, vcc_lo
	s_delay_alu instid0(VALU_DEP_1) | instskip(NEXT) | instid1(VALU_DEP_1)
	v_and_b32_e32 v10, v10, v35
	v_cmp_eq_u32_e32 vcc_lo, v10, v31
	s_and_b32 exec_lo, exec_lo, vcc_lo
	s_cbranch_execz .LBB207_341
; %bb.346:                              ;   in Loop: Header=BB207_344 Depth=2
	v_perm_b32 v9, v9, s95, 0x5040100
	ds_store_b32 v3, v9 offset:3072
	s_branch .LBB207_341
.LBB207_347:                            ;   in Loop: Header=BB207_344 Depth=2
	s_mov_b32 s39, -1
	s_mov_b32 s8, -1
                                        ; implicit-def: $vgpr6_vgpr7
                                        ; implicit-def: $vgpr8
	s_branch .LBB207_343
.LBB207_348:                            ;   in Loop: Header=BB207_12 Depth=1
                                        ; implicit-def: $sgpr72_sgpr73
	s_branch .LBB207_292
.LBB207_349:                            ;   in Loop: Header=BB207_12 Depth=1
                                        ; implicit-def: $sgpr10_sgpr11
	s_branch .LBB207_308
.LBB207_350:                            ;   in Loop: Header=BB207_12 Depth=1
	s_or_b32 exec_lo, exec_lo, s20
	v_lshrrev_b32_e32 v36, 16, v9
	s_and_b32 s20, s38, exec_lo
.LBB207_351:                            ;   in Loop: Header=BB207_12 Depth=1
	s_or_b32 exec_lo, exec_lo, s22
.LBB207_352:                            ;   in Loop: Header=BB207_12 Depth=1
	s_delay_alu instid0(SALU_CYCLE_1)
	s_and_b32 vcc_lo, exec_lo, s21
	s_cbranch_vccz .LBB207_367
; %bb.353:                              ;   in Loop: Header=BB207_12 Depth=1
	s_and_b64 s[10:11], s[60:61], 0xffffffff00000000
	s_delay_alu instid0(SALU_CYCLE_1)
	s_cmp_lg_u64 s[10:11], 0
	s_cbranch_scc0 .LBB207_396
; %bb.354:                              ;   in Loop: Header=BB207_12 Depth=1
	s_cvt_f32_u32 s8, s34
	s_sub_nc_u64 s[18:19], 0, s[34:35]
	s_delay_alu instid0(SALU_CYCLE_2) | instskip(NEXT) | instid1(SALU_CYCLE_3)
	s_fmamk_f32 s8, s94, 0x0, s8
	v_s_rcp_f32 s8, s8
	s_delay_alu instid0(TRANS32_DEP_1) | instskip(NEXT) | instid1(SALU_CYCLE_3)
	s_mul_f32 s8, s8, 0x5f7ffffc
	s_mul_f32 s10, s8, 0x2f800000
	s_delay_alu instid0(SALU_CYCLE_3) | instskip(NEXT) | instid1(SALU_CYCLE_3)
	s_trunc_f32 s10, s10
	s_fmamk_f32 s8, s10, 0xcf800000, s8
	s_cvt_u32_f32 s11, s10
	s_delay_alu instid0(SALU_CYCLE_2) | instskip(NEXT) | instid1(SALU_CYCLE_3)
	s_cvt_u32_f32 s10, s8
	s_mul_u64 s[38:39], s[18:19], s[10:11]
	s_delay_alu instid0(SALU_CYCLE_1)
	s_mul_hi_u32 s41, s10, s39
	s_mul_i32 s40, s10, s39
	s_mul_hi_u32 s22, s10, s38
	s_mul_i32 s21, s11, s38
	s_add_nc_u64 s[40:41], s[22:23], s[40:41]
	s_mul_hi_u32 s8, s11, s38
	s_mul_hi_u32 s42, s11, s39
	s_add_co_u32 s21, s40, s21
	s_add_co_ci_u32 s22, s41, s8
	s_mul_i32 s38, s11, s39
	s_add_co_ci_u32 s39, s42, 0
	s_delay_alu instid0(SALU_CYCLE_1) | instskip(NEXT) | instid1(SALU_CYCLE_1)
	s_add_nc_u64 s[38:39], s[22:23], s[38:39]
	s_add_co_u32 s10, s10, s38
	s_cselect_b32 s8, -1, 0
	s_delay_alu instid0(SALU_CYCLE_1) | instskip(SKIP_1) | instid1(SALU_CYCLE_1)
	s_cmp_lg_u32 s8, 0
	s_add_co_ci_u32 s11, s11, s39
	s_mul_u64 s[18:19], s[18:19], s[10:11]
	s_delay_alu instid0(SALU_CYCLE_1)
	s_mul_hi_u32 s39, s10, s19
	s_mul_i32 s38, s10, s19
	s_mul_hi_u32 s22, s10, s18
	s_mul_i32 s21, s11, s18
	s_add_nc_u64 s[38:39], s[22:23], s[38:39]
	s_mul_hi_u32 s8, s11, s18
	s_mul_hi_u32 s40, s11, s19
	s_mul_i32 s18, s11, s19
	s_add_co_u32 s19, s38, s21
	s_add_co_ci_u32 s22, s39, s8
	s_add_co_ci_u32 s19, s40, 0
	s_delay_alu instid0(SALU_CYCLE_1) | instskip(NEXT) | instid1(SALU_CYCLE_1)
	s_add_nc_u64 s[18:19], s[22:23], s[18:19]
	s_add_co_u32 s8, s10, s18
	s_cselect_b32 s10, -1, 0
	s_mul_hi_u32 s22, s60, s8
	s_cmp_lg_u32 s10, 0
	s_mul_hi_u32 s21, s61, s8
	s_add_co_ci_u32 s18, s11, s19
	s_mul_i32 s8, s61, s8
	s_mul_hi_u32 s11, s60, s18
	s_mul_i32 s10, s60, s18
	s_mul_hi_u32 s19, s61, s18
	s_add_nc_u64 s[10:11], s[22:23], s[10:11]
	s_mul_i32 s18, s61, s18
	s_add_co_u32 s8, s10, s8
	s_add_co_ci_u32 s22, s11, s21
	s_add_co_ci_u32 s19, s19, 0
	s_delay_alu instid0(SALU_CYCLE_1) | instskip(NEXT) | instid1(SALU_CYCLE_1)
	s_add_nc_u64 s[10:11], s[22:23], s[18:19]
	s_and_b64 s[18:19], s[10:11], 0xffffffff00000000
	s_delay_alu instid0(SALU_CYCLE_1) | instskip(NEXT) | instid1(SALU_CYCLE_1)
	s_or_b32 s18, s18, s10
	s_mul_u64 s[10:11], s[34:35], s[18:19]
	s_delay_alu instid0(SALU_CYCLE_1) | instskip(SKIP_1) | instid1(SALU_CYCLE_1)
	s_sub_co_u32 s8, s60, s10
	s_cselect_b32 s10, -1, 0
	s_cmp_lg_u32 s10, 0
	s_sub_co_ci_u32 s10, s61, s11
	s_sub_co_u32 s11, s8, s34
	s_cselect_b32 s18, -1, 0
	s_delay_alu instid0(SALU_CYCLE_1) | instskip(SKIP_3) | instid1(SALU_CYCLE_1)
	s_cmp_lg_u32 s18, 0
	s_sub_co_ci_u32 s18, s10, 0
	s_sub_co_u32 s19, s11, s34
	s_cselect_b32 s21, -1, 0
	s_cmp_lg_u32 s21, 0
	s_sub_co_ci_u32 s21, s18, 0
	s_cmp_ge_u32 s11, s34
	s_cselect_b32 s22, -1, 0
	s_cmp_eq_u32 s18, 0
	s_cselect_b32 s22, s22, -1
	s_delay_alu instid0(SALU_CYCLE_1)
	s_cmp_lg_u32 s22, 0
	s_cselect_b32 s18, s21, s18
	s_cselect_b32 s19, s19, s11
	s_cmp_ge_u32 s8, s34
	s_cselect_b32 s11, -1, 0
	s_cmp_eq_u32 s10, 0
	s_cselect_b32 s11, s11, -1
	s_delay_alu instid0(SALU_CYCLE_1)
	s_cmp_lg_u32 s11, 0
	s_cselect_b32 s11, s18, s10
	s_cselect_b32 s10, s19, s8
	s_cbranch_execnz .LBB207_356
.LBB207_355:                            ;   in Loop: Header=BB207_12 Depth=1
	v_cvt_f32_u32_e32 v6, s34
	s_sub_co_i32 s10, 0, s34
	s_delay_alu instid0(VALU_DEP_1) | instskip(SKIP_1) | instid1(TRANS32_DEP_1)
	v_rcp_iflag_f32_e32 v6, v6
	v_nop
	v_mul_f32_e32 v6, 0x4f7ffffe, v6
	s_delay_alu instid0(VALU_DEP_1) | instskip(NEXT) | instid1(VALU_DEP_1)
	v_cvt_u32_f32_e32 v6, v6
	v_readfirstlane_b32 s8, v6
	s_mul_i32 s10, s10, s8
	s_delay_alu instid0(SALU_CYCLE_1) | instskip(NEXT) | instid1(SALU_CYCLE_1)
	s_mul_hi_u32 s10, s8, s10
	s_add_co_i32 s8, s8, s10
	s_delay_alu instid0(SALU_CYCLE_1) | instskip(NEXT) | instid1(SALU_CYCLE_1)
	s_mul_hi_u32 s8, s60, s8
	s_mul_i32 s8, s8, s34
	s_delay_alu instid0(SALU_CYCLE_1) | instskip(NEXT) | instid1(SALU_CYCLE_1)
	s_sub_co_i32 s8, s60, s8
	s_sub_co_i32 s10, s8, s34
	s_cmp_ge_u32 s8, s34
	s_cselect_b32 s8, s10, s8
	s_delay_alu instid0(SALU_CYCLE_1) | instskip(SKIP_2) | instid1(SALU_CYCLE_1)
	s_sub_co_i32 s10, s8, s34
	s_cmp_ge_u32 s8, s34
	s_cselect_b32 s22, s10, s8
	s_mov_b64 s[10:11], s[22:23]
.LBB207_356:                            ;   in Loop: Header=BB207_12 Depth=1
	s_delay_alu instid0(SALU_CYCLE_1)
	s_sub_nc_u64 s[10:11], s[60:61], s[10:11]
	s_mov_b32 s18, exec_lo
                                        ; implicit-def: $vgpr36
	v_cmpx_gt_u64_e64 s[10:11], v[0:1]
	s_cbranch_execz .LBB207_366
; %bb.357:                              ;   in Loop: Header=BB207_12 Depth=1
	v_mov_b64_e32 v[6:7], v[0:1]
	s_mov_b32 s19, 0
                                        ; implicit-def: $sgpr21
	s_branch .LBB207_361
.LBB207_358:                            ;   in Loop: Header=BB207_361 Depth=2
	s_or_b32 exec_lo, exec_lo, s22
	s_wait_dscnt 0x0
	s_barrier_signal -1
	s_barrier_wait -1
	ds_load_b32 v8, v3 offset:3072
	s_wait_dscnt 0x0
	s_barrier_signal -1
	s_barrier_wait -1
	v_cmp_eq_f16_e32 vcc_lo, 0, v8
	s_cbranch_vccz .LBB207_364
; %bb.359:                              ;   in Loop: Header=BB207_361 Depth=2
	v_add_nc_u64_e32 v[6:7], s[34:35], v[6:7]
	s_mov_b32 s8, 0
	s_delay_alu instid0(VALU_DEP_1)
	v_cmp_le_u64_e32 vcc_lo, s[10:11], v[6:7]
	s_or_not1_b32 s22, vcc_lo, exec_lo
.LBB207_360:                            ;   in Loop: Header=BB207_361 Depth=2
	s_delay_alu instid0(SALU_CYCLE_1) | instskip(NEXT) | instid1(SALU_CYCLE_1)
	s_and_b32 s22, exec_lo, s22
	s_or_b32 s19, s22, s19
	s_and_not1_b32 s21, s21, exec_lo
	s_and_b32 s8, s8, exec_lo
	s_delay_alu instid0(SALU_CYCLE_1)
	s_or_b32 s21, s21, s8
	s_and_not1_b32 exec_lo, exec_lo, s19
	s_cbranch_execz .LBB207_365
.LBB207_361:                            ;   Parent Loop BB207_12 Depth=1
                                        ; =>  This Inner Loop Header: Depth=2
	s_mov_b32 s22, exec_lo
	s_delay_alu instid0(VALU_DEP_1)
	v_cmpx_gt_u64_e64 s[28:29], v[6:7]
	s_cbranch_execz .LBB207_358
; %bb.362:                              ;   in Loop: Header=BB207_361 Depth=2
	v_mul_u64_e32 v[8:9], s[26:27], v[6:7]
	s_delay_alu instid0(VALU_DEP_1)
	v_lshl_add_u64 v[8:9], v[8:9], 1, s[24:25]
	global_load_u16 v8, v[8:9], off
	s_wait_loadcnt 0x0
	v_cmp_lt_i16_e32 vcc_lo, -1, v8
	v_and_b32_e32 v9, 0xffff, v8
	v_cndmask_b32_e32 v10, 0xffff, v34, vcc_lo
	v_cmp_o_f16_e32 vcc_lo, v8, v8
	s_delay_alu instid0(VALU_DEP_2) | instskip(NEXT) | instid1(VALU_DEP_1)
	v_xor_b32_e32 v9, v10, v9
	v_cndmask_b32_e32 v9, 0xffff, v9, vcc_lo
	s_delay_alu instid0(VALU_DEP_1) | instskip(NEXT) | instid1(VALU_DEP_1)
	v_and_b32_e32 v9, v9, v35
	v_cmp_eq_u32_e32 vcc_lo, v9, v31
	s_and_b32 exec_lo, exec_lo, vcc_lo
	s_cbranch_execz .LBB207_358
; %bb.363:                              ;   in Loop: Header=BB207_361 Depth=2
	v_perm_b32 v8, v8, s95, 0x5040100
	ds_store_b32 v3, v8 offset:3072
	s_branch .LBB207_358
.LBB207_364:                            ;   in Loop: Header=BB207_361 Depth=2
	s_mov_b32 s22, -1
	s_mov_b32 s8, -1
                                        ; implicit-def: $vgpr6_vgpr7
	s_branch .LBB207_360
.LBB207_365:                            ;   in Loop: Header=BB207_12 Depth=1
	s_or_b32 exec_lo, exec_lo, s19
	v_lshrrev_b32_e32 v36, 16, v8
	s_and_not1_b32 s8, s20, exec_lo
	s_and_b32 s10, s21, exec_lo
	s_delay_alu instid0(SALU_CYCLE_1)
	s_or_b32 s20, s8, s10
.LBB207_366:                            ;   in Loop: Header=BB207_12 Depth=1
	s_or_b32 exec_lo, exec_lo, s18
	s_mov_b32 s73, 0
	s_mov_b32 s78, -1
.LBB207_367:                            ;   in Loop: Header=BB207_12 Depth=1
	s_or_not1_b32 s10, s20, exec_lo
.LBB207_368:                            ;   in Loop: Header=BB207_12 Depth=1
	s_or_b32 exec_lo, exec_lo, s37
	s_mov_b32 s11, 0
	s_and_saveexec_b32 s20, s10
	s_cbranch_execz .LBB207_481
; %bb.369:                              ;   in Loop: Header=BB207_12 Depth=1
	v_mov_b64_e32 v[6:7], 1
	v_mov_b32_e32 v2, 1
	s_xor_b32 s8, s36, -1
	s_delay_alu instid0(SALU_CYCLE_1)
	s_and_saveexec_b32 s10, s8
	s_cbranch_execz .LBB207_378
; %bb.370:                              ;   in Loop: Header=BB207_12 Depth=1
	s_mov_b32 s8, exec_lo
	v_cmpx_ge_u64_e64 s[16:17], v[4:5]
	s_xor_b32 s11, exec_lo, s8
	s_cbranch_execz .LBB207_375
; %bb.371:                              ;   in Loop: Header=BB207_12 Depth=1
	ds_load_b64 v[6:7], v3 offset:5120
	s_lshl_b32 s8, 2, s96
	v_or_b32_e32 v35, s57, v35
	v_and_or_b32 v31, v31, s74, s8
	s_wait_dscnt 0x0
	v_cmp_ne_u64_e32 vcc_lo, 0, v[6:7]
	s_cbranch_vccnz .LBB207_375
; %bb.372:                              ;   in Loop: Header=BB207_12 Depth=1
	s_and_saveexec_b32 s8, s5
; %bb.373:                              ;   in Loop: Header=BB207_12 Depth=1
	v_mov_b64_e32 v[6:7], s[16:17]
	ds_store_b64 v3, v[6:7] offset:5128
; %bb.374:                              ;   in Loop: Header=BB207_12 Depth=1
	s_or_b32 exec_lo, exec_lo, s8
	s_wait_dscnt 0x0
	s_barrier_signal -1
	s_barrier_wait -1
.LBB207_375:                            ;   in Loop: Header=BB207_12 Depth=1
	s_or_saveexec_b32 s11, s11
	v_mov_b32_e32 v2, 5
	s_mov_b32 s8, 0
	s_xor_b32 exec_lo, exec_lo, s11
; %bb.376:                              ;   in Loop: Header=BB207_12 Depth=1
	v_sub_nc_u64_e64 v[4:5], v[4:5], s[16:17]
	v_mov_b32_e32 v2, 0
	s_mov_b32 s8, exec_lo
; %bb.377:                              ;   in Loop: Header=BB207_12 Depth=1
	s_or_b32 exec_lo, exec_lo, s11
	s_delay_alu instid0(VALU_DEP_2)
	v_mov_b64_e32 v[6:7], v[4:5]
	s_and_b32 s11, s8, exec_lo
.LBB207_378:                            ;   in Loop: Header=BB207_12 Depth=1
	s_or_b32 exec_lo, exec_lo, s10
	s_mov_b32 s10, -1
                                        ; implicit-def: $sgpr79
                                        ; implicit-def: $sgpr81
	s_and_saveexec_b32 s21, s11
	s_cbranch_execz .LBB207_480
; %bb.379:                              ;   in Loop: Header=BB207_12 Depth=1
	s_delay_alu instid0(VALU_DEP_1) | instskip(SKIP_2) | instid1(SALU_CYCLE_1)
	v_cmp_eq_u64_e32 vcc_lo, 1, v[6:7]
	s_cmp_eq_u64 s[14:15], 1
                                        ; implicit-def: $sgpr81
                                        ; implicit-def: $sgpr79
	s_cselect_b32 s8, -1, 0
	s_and_b32 s36, s8, vcc_lo
	s_delay_alu instid0(SALU_CYCLE_1)
	s_and_saveexec_b32 s37, s36
	s_cbranch_execz .LBB207_415
; %bb.380:                              ;   in Loop: Header=BB207_12 Depth=1
	ds_load_b64 v[4:5], v3 offset:5120
	s_wait_dscnt 0x0
	s_barrier_signal -1
	s_barrier_wait -1
	v_readfirstlane_b32 s10, v4
	v_readfirstlane_b32 s11, v5
	s_and_saveexec_b32 s8, s6
; %bb.381:                              ;   in Loop: Header=BB207_12 Depth=1
	ds_store_b16 v29, v3
; %bb.382:                              ;   in Loop: Header=BB207_12 Depth=1
	s_or_b32 exec_lo, exec_lo, s8
	s_lshl_b32 s8, 1, s96
	v_or_b32_e32 v35, s57, v35
	v_and_or_b32 v31, v31, s74, s8
	s_mov_b32 s79, -1
	s_mov_b32 s81, 0
	s_cmp_eq_u64 s[10:11], 0
	s_mov_b32 s18, 0
	s_mov_b32 s19, -1
	s_wait_dscnt 0x0
	s_barrier_signal -1
	s_barrier_wait -1
                                        ; implicit-def: $vgpr36
	s_cbranch_scc1 .LBB207_399
; %bb.383:                              ;   in Loop: Header=BB207_12 Depth=1
	s_add_nc_u64 s[16:17], s[10:11], s[58:59]
	s_delay_alu instid0(SALU_CYCLE_1) | instskip(NEXT) | instid1(SALU_CYCLE_1)
	s_and_b64 s[18:19], s[16:17], 0xffffffff00000000
	s_cmp_lg_u64 s[18:19], 0
	s_cbranch_scc0 .LBB207_432
; %bb.384:                              ;   in Loop: Header=BB207_12 Depth=1
	s_cvt_f32_u32 s8, s34
	s_sub_nc_u64 s[38:39], 0, s[34:35]
	s_delay_alu instid0(SALU_CYCLE_2) | instskip(NEXT) | instid1(SALU_CYCLE_3)
	s_fmamk_f32 s8, s94, 0x0, s8
	v_s_rcp_f32 s8, s8
	s_delay_alu instid0(TRANS32_DEP_1) | instskip(NEXT) | instid1(SALU_CYCLE_3)
	s_mul_f32 s8, s8, 0x5f7ffffc
	s_mul_f32 s18, s8, 0x2f800000
	s_delay_alu instid0(SALU_CYCLE_3) | instskip(NEXT) | instid1(SALU_CYCLE_3)
	s_trunc_f32 s18, s18
	s_fmamk_f32 s8, s18, 0xcf800000, s8
	s_cvt_u32_f32 s19, s18
	s_delay_alu instid0(SALU_CYCLE_2) | instskip(NEXT) | instid1(SALU_CYCLE_3)
	s_cvt_u32_f32 s18, s8
	s_mul_u64 s[40:41], s[38:39], s[18:19]
	s_delay_alu instid0(SALU_CYCLE_1)
	s_mul_hi_u32 s43, s18, s41
	s_mul_i32 s42, s18, s41
	s_mul_hi_u32 s22, s18, s40
	s_mul_i32 s46, s19, s40
	s_add_nc_u64 s[42:43], s[22:23], s[42:43]
	s_mul_hi_u32 s8, s19, s40
	s_mul_hi_u32 s47, s19, s41
	s_add_co_u32 s22, s42, s46
	s_add_co_ci_u32 s22, s43, s8
	s_mul_i32 s40, s19, s41
	s_add_co_ci_u32 s41, s47, 0
	s_delay_alu instid0(SALU_CYCLE_1) | instskip(NEXT) | instid1(SALU_CYCLE_1)
	s_add_nc_u64 s[40:41], s[22:23], s[40:41]
	s_add_co_u32 s18, s18, s40
	s_cselect_b32 s8, -1, 0
	s_delay_alu instid0(SALU_CYCLE_1) | instskip(SKIP_1) | instid1(SALU_CYCLE_1)
	s_cmp_lg_u32 s8, 0
	s_add_co_ci_u32 s19, s19, s41
	s_mul_u64 s[38:39], s[38:39], s[18:19]
	s_delay_alu instid0(SALU_CYCLE_1)
	s_mul_hi_u32 s41, s18, s39
	s_mul_i32 s40, s18, s39
	s_mul_hi_u32 s22, s18, s38
	s_mul_i32 s42, s19, s38
	s_add_nc_u64 s[40:41], s[22:23], s[40:41]
	s_mul_hi_u32 s8, s19, s38
	s_mul_hi_u32 s43, s19, s39
	s_add_co_u32 s22, s40, s42
	s_add_co_ci_u32 s22, s41, s8
	s_mul_i32 s38, s19, s39
	s_add_co_ci_u32 s39, s43, 0
	s_delay_alu instid0(SALU_CYCLE_1) | instskip(NEXT) | instid1(SALU_CYCLE_1)
	s_add_nc_u64 s[38:39], s[22:23], s[38:39]
	s_add_co_u32 s8, s18, s38
	s_cselect_b32 s18, -1, 0
	s_mul_hi_u32 s22, s16, s8
	s_cmp_lg_u32 s18, 0
	s_mul_hi_u32 s40, s17, s8
	s_add_co_ci_u32 s38, s19, s39
	s_mul_i32 s8, s17, s8
	s_mul_hi_u32 s19, s16, s38
	s_mul_i32 s18, s16, s38
	s_mul_hi_u32 s39, s17, s38
	s_add_nc_u64 s[18:19], s[22:23], s[18:19]
	s_mul_i32 s38, s17, s38
	s_add_co_u32 s8, s18, s8
	s_add_co_ci_u32 s22, s19, s40
	s_add_co_ci_u32 s39, s39, 0
	s_delay_alu instid0(SALU_CYCLE_1) | instskip(NEXT) | instid1(SALU_CYCLE_1)
	s_add_nc_u64 s[18:19], s[22:23], s[38:39]
	s_and_b64 s[38:39], s[18:19], 0xffffffff00000000
	s_delay_alu instid0(SALU_CYCLE_1) | instskip(NEXT) | instid1(SALU_CYCLE_1)
	s_or_b32 s38, s38, s18
	s_mul_u64 s[18:19], s[34:35], s[38:39]
	s_delay_alu instid0(SALU_CYCLE_1) | instskip(SKIP_1) | instid1(SALU_CYCLE_1)
	s_sub_co_u32 s8, s16, s18
	s_cselect_b32 s18, -1, 0
	s_cmp_lg_u32 s18, 0
	s_sub_co_ci_u32 s18, s17, s19
	s_sub_co_u32 s19, s8, s34
	s_cselect_b32 s22, -1, 0
	s_delay_alu instid0(SALU_CYCLE_1) | instskip(SKIP_3) | instid1(SALU_CYCLE_1)
	s_cmp_lg_u32 s22, 0
	s_sub_co_ci_u32 s22, s18, 0
	s_sub_co_u32 s38, s19, s34
	s_cselect_b32 s39, -1, 0
	s_cmp_lg_u32 s39, 0
	s_sub_co_ci_u32 s39, s22, 0
	s_cmp_ge_u32 s19, s34
	s_cselect_b32 s40, -1, 0
	s_cmp_eq_u32 s22, 0
	s_cselect_b32 s40, s40, -1
	s_delay_alu instid0(SALU_CYCLE_1)
	s_cmp_lg_u32 s40, 0
	s_cselect_b32 s22, s39, s22
	s_cselect_b32 s38, s38, s19
	s_cmp_ge_u32 s8, s34
	s_cselect_b32 s19, -1, 0
	s_cmp_eq_u32 s18, 0
	s_cselect_b32 s19, s19, -1
	s_delay_alu instid0(SALU_CYCLE_1)
	s_cmp_lg_u32 s19, 0
	s_cselect_b32 s19, s22, s18
	s_cselect_b32 s18, s38, s8
	s_cbranch_execnz .LBB207_386
.LBB207_385:                            ;   in Loop: Header=BB207_12 Depth=1
	v_cvt_f32_u32_e32 v4, s34
	s_sub_co_i32 s18, 0, s34
	s_delay_alu instid0(VALU_DEP_1) | instskip(SKIP_1) | instid1(TRANS32_DEP_1)
	v_rcp_iflag_f32_e32 v4, v4
	v_nop
	v_mul_f32_e32 v4, 0x4f7ffffe, v4
	s_delay_alu instid0(VALU_DEP_1) | instskip(NEXT) | instid1(VALU_DEP_1)
	v_cvt_u32_f32_e32 v4, v4
	v_readfirstlane_b32 s8, v4
	s_mul_i32 s18, s18, s8
	s_delay_alu instid0(SALU_CYCLE_1) | instskip(NEXT) | instid1(SALU_CYCLE_1)
	s_mul_hi_u32 s18, s8, s18
	s_add_co_i32 s8, s8, s18
	s_delay_alu instid0(SALU_CYCLE_1) | instskip(NEXT) | instid1(SALU_CYCLE_1)
	s_mul_hi_u32 s8, s16, s8
	s_mul_i32 s8, s8, s34
	s_delay_alu instid0(SALU_CYCLE_1) | instskip(NEXT) | instid1(SALU_CYCLE_1)
	s_sub_co_i32 s8, s16, s8
	s_sub_co_i32 s18, s8, s34
	s_cmp_ge_u32 s8, s34
	s_cselect_b32 s8, s18, s8
	s_delay_alu instid0(SALU_CYCLE_1) | instskip(SKIP_2) | instid1(SALU_CYCLE_1)
	s_sub_co_i32 s18, s8, s34
	s_cmp_ge_u32 s8, s34
	s_cselect_b32 s22, s18, s8
	s_mov_b64 s[18:19], s[22:23]
.LBB207_386:                            ;   in Loop: Header=BB207_12 Depth=1
	s_delay_alu instid0(SALU_CYCLE_1)
	s_sub_nc_u64 s[16:17], s[16:17], s[18:19]
	s_mov_b32 s19, 0
	s_mov_b32 s18, 0
	s_mov_b32 s22, exec_lo
                                        ; implicit-def: $vgpr36
	v_cmpx_gt_u64_e64 s[16:17], v[0:1]
	s_cbranch_execz .LBB207_398
; %bb.387:                              ;   in Loop: Header=BB207_12 Depth=1
	v_mov_b64_e32 v[4:5], v[0:1]
	v_mov_b32_e32 v8, v28
                                        ; implicit-def: $sgpr38
	s_branch .LBB207_391
.LBB207_388:                            ;   in Loop: Header=BB207_391 Depth=2
	s_or_b32 exec_lo, exec_lo, s39
	s_wait_dscnt 0x0
	s_barrier_signal -1
	s_barrier_wait -1
	ds_load_b32 v9, v3 offset:3072
	s_wait_dscnt 0x0
	s_barrier_signal -1
	s_barrier_wait -1
	v_cmp_neq_f16_e32 vcc_lo, 0, v9
	s_cbranch_vccnz .LBB207_394
; %bb.389:                              ;   in Loop: Header=BB207_391 Depth=2
	v_add_nc_u64_e32 v[4:5], s[34:35], v[4:5]
	v_add_nc_u32_e32 v8, s93, v8
	s_mov_b32 s8, 0
	s_delay_alu instid0(VALU_DEP_2)
	v_cmp_le_u64_e32 vcc_lo, s[16:17], v[4:5]
	s_or_not1_b32 s39, vcc_lo, exec_lo
.LBB207_390:                            ;   in Loop: Header=BB207_391 Depth=2
	s_delay_alu instid0(SALU_CYCLE_1) | instskip(NEXT) | instid1(SALU_CYCLE_1)
	s_and_b32 s39, exec_lo, s39
	s_or_b32 s18, s39, s18
	s_and_not1_b32 s38, s38, exec_lo
	s_and_b32 s8, s8, exec_lo
	s_delay_alu instid0(SALU_CYCLE_1)
	s_or_b32 s38, s38, s8
	s_and_not1_b32 exec_lo, exec_lo, s18
	s_cbranch_execz .LBB207_397
.LBB207_391:                            ;   Parent Loop BB207_12 Depth=1
                                        ; =>  This Inner Loop Header: Depth=2
	s_mov_b32 s39, exec_lo
	s_delay_alu instid0(VALU_DEP_2)
	v_cmpx_gt_u64_e64 s[10:11], v[4:5]
	s_cbranch_execz .LBB207_388
; %bb.392:                              ;   in Loop: Header=BB207_391 Depth=2
	ds_load_u16 v9, v8
	s_wait_dscnt 0x0
	v_cmp_lt_i16_e32 vcc_lo, -1, v9
	v_and_b32_e32 v10, 0xffff, v9
	v_cndmask_b32_e32 v11, 0xffff, v34, vcc_lo
	v_cmp_o_f16_e32 vcc_lo, v9, v9
	s_delay_alu instid0(VALU_DEP_2) | instskip(NEXT) | instid1(VALU_DEP_1)
	v_xor_b32_e32 v10, v11, v10
	v_cndmask_b32_e32 v10, 0xffff, v10, vcc_lo
	s_delay_alu instid0(VALU_DEP_1) | instskip(NEXT) | instid1(VALU_DEP_1)
	v_and_b32_e32 v10, v10, v35
	v_cmp_eq_u32_e32 vcc_lo, v10, v31
	s_and_b32 exec_lo, exec_lo, vcc_lo
	s_cbranch_execz .LBB207_388
; %bb.393:                              ;   in Loop: Header=BB207_391 Depth=2
	v_perm_b32 v9, v9, s95, 0x5040100
	ds_store_b32 v3, v9 offset:3072
	s_branch .LBB207_388
.LBB207_394:                            ;   in Loop: Header=BB207_391 Depth=2
	s_mov_b32 s39, -1
	s_mov_b32 s8, -1
                                        ; implicit-def: $vgpr4_vgpr5
                                        ; implicit-def: $vgpr8
	s_branch .LBB207_390
.LBB207_395:                            ;   in Loop: Header=BB207_12 Depth=1
                                        ; implicit-def: $sgpr20_sgpr21
	s_branch .LBB207_338
.LBB207_396:                            ;   in Loop: Header=BB207_12 Depth=1
                                        ; implicit-def: $sgpr10_sgpr11
	s_branch .LBB207_355
.LBB207_397:                            ;   in Loop: Header=BB207_12 Depth=1
	s_or_b32 exec_lo, exec_lo, s18
	v_lshrrev_b32_e32 v36, 16, v9
	s_and_b32 s18, s38, exec_lo
.LBB207_398:                            ;   in Loop: Header=BB207_12 Depth=1
	s_or_b32 exec_lo, exec_lo, s22
.LBB207_399:                            ;   in Loop: Header=BB207_12 Depth=1
	s_delay_alu instid0(SALU_CYCLE_1)
	s_and_b32 vcc_lo, exec_lo, s19
	s_cbranch_vccz .LBB207_414
; %bb.400:                              ;   in Loop: Header=BB207_12 Depth=1
	s_and_b64 s[10:11], s[60:61], 0xffffffff00000000
	s_delay_alu instid0(SALU_CYCLE_1)
	s_cmp_lg_u64 s[10:11], 0
	s_cbranch_scc0 .LBB207_433
; %bb.401:                              ;   in Loop: Header=BB207_12 Depth=1
	s_cvt_f32_u32 s8, s34
	s_sub_nc_u64 s[16:17], 0, s[34:35]
	s_delay_alu instid0(SALU_CYCLE_2) | instskip(NEXT) | instid1(SALU_CYCLE_3)
	s_fmamk_f32 s8, s94, 0x0, s8
	v_s_rcp_f32 s8, s8
	s_delay_alu instid0(TRANS32_DEP_1) | instskip(NEXT) | instid1(SALU_CYCLE_3)
	s_mul_f32 s8, s8, 0x5f7ffffc
	s_mul_f32 s10, s8, 0x2f800000
	s_delay_alu instid0(SALU_CYCLE_3) | instskip(NEXT) | instid1(SALU_CYCLE_3)
	s_trunc_f32 s10, s10
	s_fmamk_f32 s8, s10, 0xcf800000, s8
	s_cvt_u32_f32 s11, s10
	s_delay_alu instid0(SALU_CYCLE_2) | instskip(NEXT) | instid1(SALU_CYCLE_3)
	s_cvt_u32_f32 s10, s8
	s_mul_u64 s[38:39], s[16:17], s[10:11]
	s_delay_alu instid0(SALU_CYCLE_1)
	s_mul_hi_u32 s41, s10, s39
	s_mul_i32 s40, s10, s39
	s_mul_hi_u32 s22, s10, s38
	s_mul_i32 s19, s11, s38
	s_add_nc_u64 s[40:41], s[22:23], s[40:41]
	s_mul_hi_u32 s8, s11, s38
	s_mul_hi_u32 s42, s11, s39
	s_add_co_u32 s19, s40, s19
	s_add_co_ci_u32 s22, s41, s8
	s_mul_i32 s38, s11, s39
	s_add_co_ci_u32 s39, s42, 0
	s_delay_alu instid0(SALU_CYCLE_1) | instskip(NEXT) | instid1(SALU_CYCLE_1)
	s_add_nc_u64 s[38:39], s[22:23], s[38:39]
	s_add_co_u32 s10, s10, s38
	s_cselect_b32 s8, -1, 0
	s_delay_alu instid0(SALU_CYCLE_1) | instskip(SKIP_1) | instid1(SALU_CYCLE_1)
	s_cmp_lg_u32 s8, 0
	s_add_co_ci_u32 s11, s11, s39
	s_mul_u64 s[16:17], s[16:17], s[10:11]
	s_delay_alu instid0(SALU_CYCLE_1)
	s_mul_hi_u32 s39, s10, s17
	s_mul_i32 s38, s10, s17
	s_mul_hi_u32 s22, s10, s16
	s_mul_i32 s19, s11, s16
	s_add_nc_u64 s[38:39], s[22:23], s[38:39]
	s_mul_hi_u32 s8, s11, s16
	s_mul_hi_u32 s40, s11, s17
	s_mul_i32 s16, s11, s17
	s_add_co_u32 s17, s38, s19
	s_add_co_ci_u32 s22, s39, s8
	s_add_co_ci_u32 s17, s40, 0
	s_delay_alu instid0(SALU_CYCLE_1) | instskip(NEXT) | instid1(SALU_CYCLE_1)
	s_add_nc_u64 s[16:17], s[22:23], s[16:17]
	s_add_co_u32 s8, s10, s16
	s_cselect_b32 s10, -1, 0
	s_mul_hi_u32 s22, s60, s8
	s_cmp_lg_u32 s10, 0
	s_mul_hi_u32 s19, s61, s8
	s_add_co_ci_u32 s16, s11, s17
	s_mul_i32 s8, s61, s8
	s_mul_hi_u32 s11, s60, s16
	s_mul_i32 s10, s60, s16
	s_mul_hi_u32 s17, s61, s16
	s_add_nc_u64 s[10:11], s[22:23], s[10:11]
	s_mul_i32 s16, s61, s16
	s_add_co_u32 s8, s10, s8
	s_add_co_ci_u32 s22, s11, s19
	s_add_co_ci_u32 s17, s17, 0
	s_delay_alu instid0(SALU_CYCLE_1) | instskip(NEXT) | instid1(SALU_CYCLE_1)
	s_add_nc_u64 s[10:11], s[22:23], s[16:17]
	s_and_b64 s[16:17], s[10:11], 0xffffffff00000000
	s_delay_alu instid0(SALU_CYCLE_1) | instskip(NEXT) | instid1(SALU_CYCLE_1)
	s_or_b32 s16, s16, s10
	s_mul_u64 s[10:11], s[34:35], s[16:17]
	s_delay_alu instid0(SALU_CYCLE_1) | instskip(SKIP_1) | instid1(SALU_CYCLE_1)
	s_sub_co_u32 s8, s60, s10
	s_cselect_b32 s10, -1, 0
	s_cmp_lg_u32 s10, 0
	s_sub_co_ci_u32 s10, s61, s11
	s_sub_co_u32 s11, s8, s34
	s_cselect_b32 s16, -1, 0
	s_delay_alu instid0(SALU_CYCLE_1) | instskip(SKIP_3) | instid1(SALU_CYCLE_1)
	s_cmp_lg_u32 s16, 0
	s_sub_co_ci_u32 s16, s10, 0
	s_sub_co_u32 s17, s11, s34
	s_cselect_b32 s19, -1, 0
	s_cmp_lg_u32 s19, 0
	s_sub_co_ci_u32 s19, s16, 0
	s_cmp_ge_u32 s11, s34
	s_cselect_b32 s22, -1, 0
	s_cmp_eq_u32 s16, 0
	s_cselect_b32 s22, s22, -1
	s_delay_alu instid0(SALU_CYCLE_1)
	s_cmp_lg_u32 s22, 0
	s_cselect_b32 s16, s19, s16
	s_cselect_b32 s17, s17, s11
	s_cmp_ge_u32 s8, s34
	s_cselect_b32 s11, -1, 0
	s_cmp_eq_u32 s10, 0
	s_cselect_b32 s11, s11, -1
	s_delay_alu instid0(SALU_CYCLE_1)
	s_cmp_lg_u32 s11, 0
	s_cselect_b32 s11, s16, s10
	s_cselect_b32 s10, s17, s8
	s_cbranch_execnz .LBB207_403
.LBB207_402:                            ;   in Loop: Header=BB207_12 Depth=1
	v_cvt_f32_u32_e32 v4, s34
	s_sub_co_i32 s10, 0, s34
	s_delay_alu instid0(VALU_DEP_1) | instskip(SKIP_1) | instid1(TRANS32_DEP_1)
	v_rcp_iflag_f32_e32 v4, v4
	v_nop
	v_mul_f32_e32 v4, 0x4f7ffffe, v4
	s_delay_alu instid0(VALU_DEP_1) | instskip(NEXT) | instid1(VALU_DEP_1)
	v_cvt_u32_f32_e32 v4, v4
	v_readfirstlane_b32 s8, v4
	s_mul_i32 s10, s10, s8
	s_delay_alu instid0(SALU_CYCLE_1) | instskip(NEXT) | instid1(SALU_CYCLE_1)
	s_mul_hi_u32 s10, s8, s10
	s_add_co_i32 s8, s8, s10
	s_delay_alu instid0(SALU_CYCLE_1) | instskip(NEXT) | instid1(SALU_CYCLE_1)
	s_mul_hi_u32 s8, s60, s8
	s_mul_i32 s8, s8, s34
	s_delay_alu instid0(SALU_CYCLE_1) | instskip(NEXT) | instid1(SALU_CYCLE_1)
	s_sub_co_i32 s8, s60, s8
	s_sub_co_i32 s10, s8, s34
	s_cmp_ge_u32 s8, s34
	s_cselect_b32 s8, s10, s8
	s_delay_alu instid0(SALU_CYCLE_1) | instskip(SKIP_2) | instid1(SALU_CYCLE_1)
	s_sub_co_i32 s10, s8, s34
	s_cmp_ge_u32 s8, s34
	s_cselect_b32 s22, s10, s8
	s_mov_b64 s[10:11], s[22:23]
.LBB207_403:                            ;   in Loop: Header=BB207_12 Depth=1
	s_delay_alu instid0(SALU_CYCLE_1)
	s_sub_nc_u64 s[10:11], s[60:61], s[10:11]
	s_mov_b32 s16, exec_lo
                                        ; implicit-def: $vgpr36
	v_cmpx_gt_u64_e64 s[10:11], v[0:1]
	s_cbranch_execz .LBB207_413
; %bb.404:                              ;   in Loop: Header=BB207_12 Depth=1
	v_mov_b64_e32 v[4:5], v[0:1]
	s_mov_b32 s17, 0
                                        ; implicit-def: $sgpr19
	s_branch .LBB207_408
.LBB207_405:                            ;   in Loop: Header=BB207_408 Depth=2
	s_or_b32 exec_lo, exec_lo, s22
	s_wait_dscnt 0x0
	s_barrier_signal -1
	s_barrier_wait -1
	ds_load_b32 v8, v3 offset:3072
	s_wait_dscnt 0x0
	s_barrier_signal -1
	s_barrier_wait -1
	v_cmp_eq_f16_e32 vcc_lo, 0, v8
	s_cbranch_vccz .LBB207_411
; %bb.406:                              ;   in Loop: Header=BB207_408 Depth=2
	v_add_nc_u64_e32 v[4:5], s[34:35], v[4:5]
	s_mov_b32 s8, 0
	s_delay_alu instid0(VALU_DEP_1)
	v_cmp_le_u64_e32 vcc_lo, s[10:11], v[4:5]
	s_or_not1_b32 s22, vcc_lo, exec_lo
.LBB207_407:                            ;   in Loop: Header=BB207_408 Depth=2
	s_delay_alu instid0(SALU_CYCLE_1) | instskip(NEXT) | instid1(SALU_CYCLE_1)
	s_and_b32 s22, exec_lo, s22
	s_or_b32 s17, s22, s17
	s_and_not1_b32 s19, s19, exec_lo
	s_and_b32 s8, s8, exec_lo
	s_delay_alu instid0(SALU_CYCLE_1)
	s_or_b32 s19, s19, s8
	s_and_not1_b32 exec_lo, exec_lo, s17
	s_cbranch_execz .LBB207_412
.LBB207_408:                            ;   Parent Loop BB207_12 Depth=1
                                        ; =>  This Inner Loop Header: Depth=2
	s_mov_b32 s22, exec_lo
	s_delay_alu instid0(VALU_DEP_1)
	v_cmpx_gt_u64_e64 s[28:29], v[4:5]
	s_cbranch_execz .LBB207_405
; %bb.409:                              ;   in Loop: Header=BB207_408 Depth=2
	v_mul_u64_e32 v[8:9], s[26:27], v[4:5]
	s_delay_alu instid0(VALU_DEP_1)
	v_lshl_add_u64 v[8:9], v[8:9], 1, s[24:25]
	global_load_u16 v8, v[8:9], off
	s_wait_loadcnt 0x0
	v_cmp_lt_i16_e32 vcc_lo, -1, v8
	v_and_b32_e32 v9, 0xffff, v8
	v_cndmask_b32_e32 v10, 0xffff, v34, vcc_lo
	v_cmp_o_f16_e32 vcc_lo, v8, v8
	s_delay_alu instid0(VALU_DEP_2) | instskip(NEXT) | instid1(VALU_DEP_1)
	v_xor_b32_e32 v9, v10, v9
	v_cndmask_b32_e32 v9, 0xffff, v9, vcc_lo
	s_delay_alu instid0(VALU_DEP_1) | instskip(NEXT) | instid1(VALU_DEP_1)
	v_and_b32_e32 v9, v9, v35
	v_cmp_eq_u32_e32 vcc_lo, v9, v31
	s_and_b32 exec_lo, exec_lo, vcc_lo
	s_cbranch_execz .LBB207_405
; %bb.410:                              ;   in Loop: Header=BB207_408 Depth=2
	v_perm_b32 v8, v8, s95, 0x5040100
	ds_store_b32 v3, v8 offset:3072
	s_branch .LBB207_405
.LBB207_411:                            ;   in Loop: Header=BB207_408 Depth=2
	s_mov_b32 s22, -1
	s_mov_b32 s8, -1
                                        ; implicit-def: $vgpr4_vgpr5
	s_branch .LBB207_407
.LBB207_412:                            ;   in Loop: Header=BB207_12 Depth=1
	s_or_b32 exec_lo, exec_lo, s17
	v_lshrrev_b32_e32 v36, 16, v8
	s_and_not1_b32 s8, s18, exec_lo
	s_and_b32 s10, s19, exec_lo
	s_delay_alu instid0(SALU_CYCLE_1)
	s_or_b32 s18, s8, s10
.LBB207_413:                            ;   in Loop: Header=BB207_12 Depth=1
	s_or_b32 exec_lo, exec_lo, s16
	s_mov_b32 s79, 0
	s_mov_b32 s81, -1
.LBB207_414:                            ;   in Loop: Header=BB207_12 Depth=1
	s_or_not1_b32 s10, s18, exec_lo
.LBB207_415:                            ;   in Loop: Header=BB207_12 Depth=1
	s_or_b32 exec_lo, exec_lo, s37
	s_mov_b32 s11, 0
	s_and_saveexec_b32 s18, s10
	s_cbranch_execz .LBB207_479
; %bb.416:                              ;   in Loop: Header=BB207_12 Depth=1
	v_mov_b64_e32 v[4:5], 1
	v_mov_b32_e32 v2, 1
	s_xor_b32 s8, s36, -1
	s_delay_alu instid0(SALU_CYCLE_1)
	s_and_saveexec_b32 s10, s8
	s_cbranch_execz .LBB207_425
; %bb.417:                              ;   in Loop: Header=BB207_12 Depth=1
	s_mov_b32 s8, exec_lo
	v_cmpx_ge_u64_e64 s[14:15], v[6:7]
	s_xor_b32 s11, exec_lo, s8
	s_cbranch_execz .LBB207_422
; %bb.418:                              ;   in Loop: Header=BB207_12 Depth=1
	ds_load_b64 v[4:5], v3 offset:5120
	s_lshl_b32 s8, 1, s96
	v_or_b32_e32 v35, s57, v35
	v_and_or_b32 v31, v31, s74, s8
	s_wait_dscnt 0x0
	v_cmp_ne_u64_e32 vcc_lo, 0, v[4:5]
	s_cbranch_vccnz .LBB207_422
; %bb.419:                              ;   in Loop: Header=BB207_12 Depth=1
	s_and_saveexec_b32 s8, s5
; %bb.420:                              ;   in Loop: Header=BB207_12 Depth=1
	v_mov_b64_e32 v[4:5], s[14:15]
	ds_store_b64 v3, v[4:5] offset:5128
; %bb.421:                              ;   in Loop: Header=BB207_12 Depth=1
	s_or_b32 exec_lo, exec_lo, s8
	s_wait_dscnt 0x0
	s_barrier_signal -1
	s_barrier_wait -1
.LBB207_422:                            ;   in Loop: Header=BB207_12 Depth=1
	s_or_saveexec_b32 s11, s11
	v_mov_b32_e32 v2, 5
	s_mov_b32 s8, 0
	s_xor_b32 exec_lo, exec_lo, s11
; %bb.423:                              ;   in Loop: Header=BB207_12 Depth=1
	v_sub_nc_u64_e64 v[6:7], v[6:7], s[14:15]
	v_mov_b32_e32 v2, 0
	s_mov_b32 s8, exec_lo
; %bb.424:                              ;   in Loop: Header=BB207_12 Depth=1
	s_or_b32 exec_lo, exec_lo, s11
	s_delay_alu instid0(VALU_DEP_2)
	v_mov_b64_e32 v[4:5], v[6:7]
	s_and_b32 s11, s8, exec_lo
.LBB207_425:                            ;   in Loop: Header=BB207_12 Depth=1
	s_or_b32 exec_lo, exec_lo, s10
	s_mov_b32 s10, -1
                                        ; implicit-def: $sgpr39
                                        ; implicit-def: $sgpr38
	s_and_saveexec_b32 s19, s11
	s_cbranch_execz .LBB207_478
; %bb.426:                              ;   in Loop: Header=BB207_12 Depth=1
	s_delay_alu instid0(VALU_DEP_1) | instskip(SKIP_3) | instid1(SALU_CYCLE_1)
	v_cmp_eq_u64_e32 vcc_lo, 1, v[4:5]
	s_cmp_eq_u64 s[12:13], 1
	s_mov_b32 s11, -1
	s_cselect_b32 s8, -1, 0
                                        ; implicit-def: $sgpr39
                                        ; implicit-def: $sgpr38
	s_and_b32 s36, s8, vcc_lo
	s_delay_alu instid0(SALU_CYCLE_1)
	s_and_saveexec_b32 s37, s36
	s_cbranch_execz .LBB207_466
; %bb.427:                              ;   in Loop: Header=BB207_12 Depth=1
	ds_load_b64 v[6:7], v3 offset:5120
	s_wait_dscnt 0x0
	s_barrier_signal -1
	s_barrier_wait -1
	v_readfirstlane_b32 s10, v6
	v_readfirstlane_b32 s11, v7
	s_and_saveexec_b32 s8, s6
; %bb.428:                              ;   in Loop: Header=BB207_12 Depth=1
	ds_store_b16 v29, v3
; %bb.429:                              ;   in Loop: Header=BB207_12 Depth=1
	s_or_b32 exec_lo, exec_lo, s8
	v_and_b32_e32 v31, s74, v31
	v_or_b32_e32 v35, s57, v35
	s_mov_b32 s38, -1
	s_mov_b32 s39, 0
	s_cmp_eq_u64 s[10:11], 0
	s_mov_b32 s16, 0
	s_mov_b32 s17, -1
	s_wait_dscnt 0x0
	s_barrier_signal -1
	s_barrier_wait -1
                                        ; implicit-def: $vgpr36
	s_cbranch_scc1 .LBB207_448
; %bb.430:                              ;   in Loop: Header=BB207_12 Depth=1
	s_add_nc_u64 s[14:15], s[10:11], s[58:59]
	s_delay_alu instid0(SALU_CYCLE_1) | instskip(NEXT) | instid1(SALU_CYCLE_1)
	s_and_b64 s[16:17], s[14:15], 0xffffffff00000000
	s_cmp_lg_u64 s[16:17], 0
	s_cbranch_scc0 .LBB207_434
; %bb.431:                              ;   in Loop: Header=BB207_12 Depth=1
	s_cvt_f32_u32 s8, s34
	s_sub_nc_u64 s[40:41], 0, s[34:35]
	s_delay_alu instid0(SALU_CYCLE_2) | instskip(NEXT) | instid1(SALU_CYCLE_3)
	s_fmamk_f32 s8, s94, 0x0, s8
	v_s_rcp_f32 s8, s8
	s_delay_alu instid0(TRANS32_DEP_1) | instskip(NEXT) | instid1(SALU_CYCLE_3)
	s_mul_f32 s8, s8, 0x5f7ffffc
	s_mul_f32 s16, s8, 0x2f800000
	s_delay_alu instid0(SALU_CYCLE_3) | instskip(NEXT) | instid1(SALU_CYCLE_3)
	s_trunc_f32 s16, s16
	s_fmamk_f32 s8, s16, 0xcf800000, s8
	s_cvt_u32_f32 s17, s16
	s_delay_alu instid0(SALU_CYCLE_2) | instskip(NEXT) | instid1(SALU_CYCLE_3)
	s_cvt_u32_f32 s16, s8
	s_mul_u64 s[42:43], s[40:41], s[16:17]
	s_delay_alu instid0(SALU_CYCLE_1)
	s_mul_hi_u32 s83, s16, s43
	s_mul_i32 s82, s16, s43
	s_mul_hi_u32 s22, s16, s42
	s_mul_i32 s46, s17, s42
	s_add_nc_u64 s[82:83], s[22:23], s[82:83]
	s_mul_hi_u32 s8, s17, s42
	s_mul_hi_u32 s47, s17, s43
	s_add_co_u32 s22, s82, s46
	s_add_co_ci_u32 s22, s83, s8
	s_mul_i32 s42, s17, s43
	s_add_co_ci_u32 s43, s47, 0
	s_delay_alu instid0(SALU_CYCLE_1) | instskip(NEXT) | instid1(SALU_CYCLE_1)
	s_add_nc_u64 s[42:43], s[22:23], s[42:43]
	s_add_co_u32 s16, s16, s42
	s_cselect_b32 s8, -1, 0
	s_delay_alu instid0(SALU_CYCLE_1) | instskip(SKIP_1) | instid1(SALU_CYCLE_1)
	s_cmp_lg_u32 s8, 0
	s_add_co_ci_u32 s17, s17, s43
	s_mul_u64 s[40:41], s[40:41], s[16:17]
	s_delay_alu instid0(SALU_CYCLE_1)
	s_mul_hi_u32 s43, s16, s41
	s_mul_i32 s42, s16, s41
	s_mul_hi_u32 s22, s16, s40
	s_mul_i32 s46, s17, s40
	s_add_nc_u64 s[42:43], s[22:23], s[42:43]
	s_mul_hi_u32 s8, s17, s40
	s_mul_hi_u32 s47, s17, s41
	s_add_co_u32 s22, s42, s46
	s_add_co_ci_u32 s22, s43, s8
	s_mul_i32 s40, s17, s41
	s_add_co_ci_u32 s41, s47, 0
	s_delay_alu instid0(SALU_CYCLE_1) | instskip(NEXT) | instid1(SALU_CYCLE_1)
	s_add_nc_u64 s[40:41], s[22:23], s[40:41]
	s_add_co_u32 s8, s16, s40
	s_cselect_b32 s16, -1, 0
	s_mul_hi_u32 s22, s14, s8
	s_cmp_lg_u32 s16, 0
	s_mul_hi_u32 s42, s15, s8
	s_add_co_ci_u32 s40, s17, s41
	s_mul_i32 s8, s15, s8
	s_mul_hi_u32 s17, s14, s40
	s_mul_i32 s16, s14, s40
	s_mul_hi_u32 s41, s15, s40
	s_add_nc_u64 s[16:17], s[22:23], s[16:17]
	s_mul_i32 s40, s15, s40
	s_add_co_u32 s8, s16, s8
	s_add_co_ci_u32 s22, s17, s42
	s_add_co_ci_u32 s41, s41, 0
	s_delay_alu instid0(SALU_CYCLE_1) | instskip(NEXT) | instid1(SALU_CYCLE_1)
	s_add_nc_u64 s[16:17], s[22:23], s[40:41]
	s_and_b64 s[40:41], s[16:17], 0xffffffff00000000
	s_delay_alu instid0(SALU_CYCLE_1) | instskip(NEXT) | instid1(SALU_CYCLE_1)
	s_or_b32 s40, s40, s16
	s_mul_u64 s[16:17], s[34:35], s[40:41]
	s_delay_alu instid0(SALU_CYCLE_1) | instskip(SKIP_1) | instid1(SALU_CYCLE_1)
	s_sub_co_u32 s8, s14, s16
	s_cselect_b32 s16, -1, 0
	s_cmp_lg_u32 s16, 0
	s_sub_co_ci_u32 s16, s15, s17
	s_sub_co_u32 s17, s8, s34
	s_cselect_b32 s22, -1, 0
	s_delay_alu instid0(SALU_CYCLE_1) | instskip(SKIP_3) | instid1(SALU_CYCLE_1)
	s_cmp_lg_u32 s22, 0
	s_sub_co_ci_u32 s22, s16, 0
	s_sub_co_u32 s40, s17, s34
	s_cselect_b32 s41, -1, 0
	s_cmp_lg_u32 s41, 0
	s_sub_co_ci_u32 s41, s22, 0
	s_cmp_ge_u32 s17, s34
	s_cselect_b32 s42, -1, 0
	s_cmp_eq_u32 s22, 0
	s_cselect_b32 s42, s42, -1
	s_delay_alu instid0(SALU_CYCLE_1)
	s_cmp_lg_u32 s42, 0
	s_cselect_b32 s22, s41, s22
	s_cselect_b32 s40, s40, s17
	s_cmp_ge_u32 s8, s34
	s_cselect_b32 s17, -1, 0
	s_cmp_eq_u32 s16, 0
	s_cselect_b32 s17, s17, -1
	s_delay_alu instid0(SALU_CYCLE_1)
	s_cmp_lg_u32 s17, 0
	s_cselect_b32 s17, s22, s16
	s_cselect_b32 s16, s40, s8
	s_mov_b32 s8, 0
	s_branch .LBB207_435
.LBB207_432:                            ;   in Loop: Header=BB207_12 Depth=1
                                        ; implicit-def: $sgpr18_sgpr19
	s_branch .LBB207_385
.LBB207_433:                            ;   in Loop: Header=BB207_12 Depth=1
                                        ; implicit-def: $sgpr10_sgpr11
	s_branch .LBB207_402
.LBB207_434:                            ;   in Loop: Header=BB207_12 Depth=1
	s_mov_b32 s8, -1
                                        ; implicit-def: $sgpr16_sgpr17
.LBB207_435:                            ;   in Loop: Header=BB207_12 Depth=1
	s_delay_alu instid0(SALU_CYCLE_1)
	s_and_not1_b32 vcc_lo, exec_lo, s8
	s_cbranch_vccnz .LBB207_437
; %bb.436:                              ;   in Loop: Header=BB207_12 Depth=1
	v_cvt_f32_u32_e32 v6, s34
	s_sub_co_i32 s16, 0, s34
	s_delay_alu instid0(VALU_DEP_1) | instskip(SKIP_1) | instid1(TRANS32_DEP_1)
	v_rcp_iflag_f32_e32 v6, v6
	v_nop
	v_mul_f32_e32 v6, 0x4f7ffffe, v6
	s_delay_alu instid0(VALU_DEP_1) | instskip(NEXT) | instid1(VALU_DEP_1)
	v_cvt_u32_f32_e32 v6, v6
	v_readfirstlane_b32 s8, v6
	s_mul_i32 s16, s16, s8
	s_delay_alu instid0(SALU_CYCLE_1) | instskip(NEXT) | instid1(SALU_CYCLE_1)
	s_mul_hi_u32 s16, s8, s16
	s_add_co_i32 s8, s8, s16
	s_delay_alu instid0(SALU_CYCLE_1) | instskip(NEXT) | instid1(SALU_CYCLE_1)
	s_mul_hi_u32 s8, s14, s8
	s_mul_i32 s8, s8, s34
	s_delay_alu instid0(SALU_CYCLE_1) | instskip(NEXT) | instid1(SALU_CYCLE_1)
	s_sub_co_i32 s8, s14, s8
	s_sub_co_i32 s16, s8, s34
	s_cmp_ge_u32 s8, s34
	s_cselect_b32 s8, s16, s8
	s_delay_alu instid0(SALU_CYCLE_1) | instskip(SKIP_2) | instid1(SALU_CYCLE_1)
	s_sub_co_i32 s16, s8, s34
	s_cmp_ge_u32 s8, s34
	s_cselect_b32 s22, s16, s8
	s_mov_b64 s[16:17], s[22:23]
.LBB207_437:                            ;   in Loop: Header=BB207_12 Depth=1
	s_delay_alu instid0(SALU_CYCLE_1)
	s_sub_nc_u64 s[14:15], s[14:15], s[16:17]
	s_mov_b32 s17, 0
	s_mov_b32 s16, 0
	s_mov_b32 s22, exec_lo
                                        ; implicit-def: $vgpr36
	v_cmpx_gt_u64_e64 s[14:15], v[0:1]
	s_cbranch_execz .LBB207_447
; %bb.438:                              ;   in Loop: Header=BB207_12 Depth=1
	v_mov_b64_e32 v[6:7], v[0:1]
	v_mov_b32_e32 v8, v28
                                        ; implicit-def: $sgpr40
	s_branch .LBB207_442
.LBB207_439:                            ;   in Loop: Header=BB207_442 Depth=2
	s_or_b32 exec_lo, exec_lo, s41
	s_wait_dscnt 0x0
	s_barrier_signal -1
	s_barrier_wait -1
	ds_load_b32 v9, v3 offset:3072
	s_wait_dscnt 0x0
	s_barrier_signal -1
	s_barrier_wait -1
	v_cmp_neq_f16_e32 vcc_lo, 0, v9
	s_cbranch_vccnz .LBB207_445
; %bb.440:                              ;   in Loop: Header=BB207_442 Depth=2
	v_add_nc_u64_e32 v[6:7], s[34:35], v[6:7]
	v_add_nc_u32_e32 v8, s93, v8
	s_mov_b32 s8, 0
	s_delay_alu instid0(VALU_DEP_2)
	v_cmp_le_u64_e32 vcc_lo, s[14:15], v[6:7]
	s_or_not1_b32 s41, vcc_lo, exec_lo
.LBB207_441:                            ;   in Loop: Header=BB207_442 Depth=2
	s_delay_alu instid0(SALU_CYCLE_1) | instskip(NEXT) | instid1(SALU_CYCLE_1)
	s_and_b32 s41, exec_lo, s41
	s_or_b32 s16, s41, s16
	s_and_not1_b32 s40, s40, exec_lo
	s_and_b32 s8, s8, exec_lo
	s_delay_alu instid0(SALU_CYCLE_1)
	s_or_b32 s40, s40, s8
	s_and_not1_b32 exec_lo, exec_lo, s16
	s_cbranch_execz .LBB207_446
.LBB207_442:                            ;   Parent Loop BB207_12 Depth=1
                                        ; =>  This Inner Loop Header: Depth=2
	s_mov_b32 s41, exec_lo
	s_delay_alu instid0(VALU_DEP_2)
	v_cmpx_gt_u64_e64 s[10:11], v[6:7]
	s_cbranch_execz .LBB207_439
; %bb.443:                              ;   in Loop: Header=BB207_442 Depth=2
	ds_load_u16 v9, v8
	s_wait_dscnt 0x0
	v_cmp_lt_i16_e32 vcc_lo, -1, v9
	v_and_b32_e32 v10, 0xffff, v9
	v_cndmask_b32_e32 v11, 0xffff, v34, vcc_lo
	v_cmp_o_f16_e32 vcc_lo, v9, v9
	s_delay_alu instid0(VALU_DEP_2) | instskip(NEXT) | instid1(VALU_DEP_1)
	v_xor_b32_e32 v10, v11, v10
	v_cndmask_b32_e32 v10, 0xffff, v10, vcc_lo
	s_delay_alu instid0(VALU_DEP_1) | instskip(NEXT) | instid1(VALU_DEP_1)
	v_and_b32_e32 v10, v10, v35
	v_cmp_eq_u32_e32 vcc_lo, v10, v31
	s_and_b32 exec_lo, exec_lo, vcc_lo
	s_cbranch_execz .LBB207_439
; %bb.444:                              ;   in Loop: Header=BB207_442 Depth=2
	v_perm_b32 v9, v9, s95, 0x5040100
	ds_store_b32 v3, v9 offset:3072
	s_branch .LBB207_439
.LBB207_445:                            ;   in Loop: Header=BB207_442 Depth=2
	s_mov_b32 s41, -1
	s_mov_b32 s8, -1
                                        ; implicit-def: $vgpr6_vgpr7
                                        ; implicit-def: $vgpr8
	s_branch .LBB207_441
.LBB207_446:                            ;   in Loop: Header=BB207_12 Depth=1
	s_or_b32 exec_lo, exec_lo, s16
	v_lshrrev_b32_e32 v36, 16, v9
	s_and_b32 s16, s40, exec_lo
.LBB207_447:                            ;   in Loop: Header=BB207_12 Depth=1
	s_or_b32 exec_lo, exec_lo, s22
.LBB207_448:                            ;   in Loop: Header=BB207_12 Depth=1
	s_delay_alu instid0(SALU_CYCLE_1)
	s_and_b32 vcc_lo, exec_lo, s17
	s_cbranch_vccz .LBB207_465
; %bb.449:                              ;   in Loop: Header=BB207_12 Depth=1
	s_and_b64 s[10:11], s[60:61], 0xffffffff00000000
	s_delay_alu instid0(SALU_CYCLE_1)
	s_cmp_lg_u64 s[10:11], 0
	s_cbranch_scc0 .LBB207_451
; %bb.450:                              ;   in Loop: Header=BB207_12 Depth=1
	s_cvt_f32_u32 s8, s34
	s_sub_nc_u64 s[14:15], 0, s[34:35]
	s_delay_alu instid0(SALU_CYCLE_2) | instskip(NEXT) | instid1(SALU_CYCLE_3)
	s_fmamk_f32 s8, s94, 0x0, s8
	v_s_rcp_f32 s8, s8
	s_delay_alu instid0(TRANS32_DEP_1) | instskip(NEXT) | instid1(SALU_CYCLE_3)
	s_mul_f32 s8, s8, 0x5f7ffffc
	s_mul_f32 s10, s8, 0x2f800000
	s_delay_alu instid0(SALU_CYCLE_3) | instskip(NEXT) | instid1(SALU_CYCLE_3)
	s_trunc_f32 s10, s10
	s_fmamk_f32 s8, s10, 0xcf800000, s8
	s_cvt_u32_f32 s11, s10
	s_delay_alu instid0(SALU_CYCLE_2) | instskip(NEXT) | instid1(SALU_CYCLE_3)
	s_cvt_u32_f32 s10, s8
	s_mul_u64 s[38:39], s[14:15], s[10:11]
	s_delay_alu instid0(SALU_CYCLE_1)
	s_mul_hi_u32 s41, s10, s39
	s_mul_i32 s40, s10, s39
	s_mul_hi_u32 s22, s10, s38
	s_mul_i32 s17, s11, s38
	s_add_nc_u64 s[40:41], s[22:23], s[40:41]
	s_mul_hi_u32 s8, s11, s38
	s_mul_hi_u32 s42, s11, s39
	s_add_co_u32 s17, s40, s17
	s_add_co_ci_u32 s22, s41, s8
	s_mul_i32 s38, s11, s39
	s_add_co_ci_u32 s39, s42, 0
	s_delay_alu instid0(SALU_CYCLE_1) | instskip(NEXT) | instid1(SALU_CYCLE_1)
	s_add_nc_u64 s[38:39], s[22:23], s[38:39]
	s_add_co_u32 s10, s10, s38
	s_cselect_b32 s8, -1, 0
	s_delay_alu instid0(SALU_CYCLE_1) | instskip(SKIP_1) | instid1(SALU_CYCLE_1)
	s_cmp_lg_u32 s8, 0
	s_add_co_ci_u32 s11, s11, s39
	s_mul_u64 s[14:15], s[14:15], s[10:11]
	s_delay_alu instid0(SALU_CYCLE_1)
	s_mul_hi_u32 s39, s10, s15
	s_mul_i32 s38, s10, s15
	s_mul_hi_u32 s22, s10, s14
	s_mul_i32 s17, s11, s14
	s_add_nc_u64 s[38:39], s[22:23], s[38:39]
	s_mul_hi_u32 s8, s11, s14
	s_mul_hi_u32 s40, s11, s15
	s_mul_i32 s14, s11, s15
	s_add_co_u32 s15, s38, s17
	s_add_co_ci_u32 s22, s39, s8
	s_add_co_ci_u32 s15, s40, 0
	s_delay_alu instid0(SALU_CYCLE_1) | instskip(NEXT) | instid1(SALU_CYCLE_1)
	s_add_nc_u64 s[14:15], s[22:23], s[14:15]
	s_add_co_u32 s8, s10, s14
	s_cselect_b32 s10, -1, 0
	s_mul_hi_u32 s22, s60, s8
	s_cmp_lg_u32 s10, 0
	s_mul_hi_u32 s17, s61, s8
	s_add_co_ci_u32 s14, s11, s15
	s_mul_i32 s8, s61, s8
	s_mul_hi_u32 s11, s60, s14
	s_mul_i32 s10, s60, s14
	s_mul_hi_u32 s15, s61, s14
	s_add_nc_u64 s[10:11], s[22:23], s[10:11]
	s_mul_i32 s14, s61, s14
	s_add_co_u32 s8, s10, s8
	s_add_co_ci_u32 s22, s11, s17
	s_add_co_ci_u32 s15, s15, 0
	s_delay_alu instid0(SALU_CYCLE_1) | instskip(NEXT) | instid1(SALU_CYCLE_1)
	s_add_nc_u64 s[10:11], s[22:23], s[14:15]
	s_and_b64 s[14:15], s[10:11], 0xffffffff00000000
	s_delay_alu instid0(SALU_CYCLE_1) | instskip(NEXT) | instid1(SALU_CYCLE_1)
	s_or_b32 s14, s14, s10
	s_mul_u64 s[10:11], s[34:35], s[14:15]
	s_delay_alu instid0(SALU_CYCLE_1) | instskip(SKIP_1) | instid1(SALU_CYCLE_1)
	s_sub_co_u32 s8, s60, s10
	s_cselect_b32 s10, -1, 0
	s_cmp_lg_u32 s10, 0
	s_sub_co_ci_u32 s10, s61, s11
	s_sub_co_u32 s11, s8, s34
	s_cselect_b32 s14, -1, 0
	s_delay_alu instid0(SALU_CYCLE_1) | instskip(SKIP_3) | instid1(SALU_CYCLE_1)
	s_cmp_lg_u32 s14, 0
	s_sub_co_ci_u32 s14, s10, 0
	s_sub_co_u32 s15, s11, s34
	s_cselect_b32 s17, -1, 0
	s_cmp_lg_u32 s17, 0
	s_sub_co_ci_u32 s17, s14, 0
	s_cmp_ge_u32 s11, s34
	s_cselect_b32 s22, -1, 0
	s_cmp_eq_u32 s14, 0
	s_cselect_b32 s22, s22, -1
	s_delay_alu instid0(SALU_CYCLE_1)
	s_cmp_lg_u32 s22, 0
	s_cselect_b32 s14, s17, s14
	s_cselect_b32 s15, s15, s11
	s_cmp_ge_u32 s8, s34
	s_cselect_b32 s11, -1, 0
	s_cmp_eq_u32 s10, 0
	s_cselect_b32 s11, s11, -1
	s_delay_alu instid0(SALU_CYCLE_1)
	s_cmp_lg_u32 s11, 0
	s_cselect_b32 s11, s14, s10
	s_cselect_b32 s10, s15, s8
	s_mov_b32 s8, 0
	s_branch .LBB207_452
.LBB207_451:                            ;   in Loop: Header=BB207_12 Depth=1
	s_mov_b32 s8, -1
                                        ; implicit-def: $sgpr10_sgpr11
.LBB207_452:                            ;   in Loop: Header=BB207_12 Depth=1
	s_delay_alu instid0(SALU_CYCLE_1)
	s_and_not1_b32 vcc_lo, exec_lo, s8
	s_cbranch_vccnz .LBB207_454
; %bb.453:                              ;   in Loop: Header=BB207_12 Depth=1
	v_cvt_f32_u32_e32 v6, s34
	s_sub_co_i32 s10, 0, s34
	s_delay_alu instid0(VALU_DEP_1) | instskip(SKIP_1) | instid1(TRANS32_DEP_1)
	v_rcp_iflag_f32_e32 v6, v6
	v_nop
	v_mul_f32_e32 v6, 0x4f7ffffe, v6
	s_delay_alu instid0(VALU_DEP_1) | instskip(NEXT) | instid1(VALU_DEP_1)
	v_cvt_u32_f32_e32 v6, v6
	v_readfirstlane_b32 s8, v6
	s_mul_i32 s10, s10, s8
	s_delay_alu instid0(SALU_CYCLE_1) | instskip(NEXT) | instid1(SALU_CYCLE_1)
	s_mul_hi_u32 s10, s8, s10
	s_add_co_i32 s8, s8, s10
	s_delay_alu instid0(SALU_CYCLE_1) | instskip(NEXT) | instid1(SALU_CYCLE_1)
	s_mul_hi_u32 s8, s60, s8
	s_mul_i32 s8, s8, s34
	s_delay_alu instid0(SALU_CYCLE_1) | instskip(NEXT) | instid1(SALU_CYCLE_1)
	s_sub_co_i32 s8, s60, s8
	s_sub_co_i32 s10, s8, s34
	s_cmp_ge_u32 s8, s34
	s_cselect_b32 s8, s10, s8
	s_delay_alu instid0(SALU_CYCLE_1) | instskip(SKIP_2) | instid1(SALU_CYCLE_1)
	s_sub_co_i32 s10, s8, s34
	s_cmp_ge_u32 s8, s34
	s_cselect_b32 s22, s10, s8
	s_mov_b64 s[10:11], s[22:23]
.LBB207_454:                            ;   in Loop: Header=BB207_12 Depth=1
	s_delay_alu instid0(SALU_CYCLE_1)
	s_sub_nc_u64 s[10:11], s[60:61], s[10:11]
	s_mov_b32 s14, exec_lo
                                        ; implicit-def: $vgpr36
	v_cmpx_gt_u64_e64 s[10:11], v[0:1]
	s_cbranch_execz .LBB207_464
; %bb.455:                              ;   in Loop: Header=BB207_12 Depth=1
	v_mov_b64_e32 v[6:7], v[0:1]
	s_mov_b32 s15, 0
                                        ; implicit-def: $sgpr17
	s_branch .LBB207_459
.LBB207_456:                            ;   in Loop: Header=BB207_459 Depth=2
	s_or_b32 exec_lo, exec_lo, s22
	s_wait_dscnt 0x0
	s_barrier_signal -1
	s_barrier_wait -1
	ds_load_b32 v8, v3 offset:3072
	s_wait_dscnt 0x0
	s_barrier_signal -1
	s_barrier_wait -1
	v_cmp_eq_f16_e32 vcc_lo, 0, v8
	s_cbranch_vccz .LBB207_462
; %bb.457:                              ;   in Loop: Header=BB207_459 Depth=2
	v_add_nc_u64_e32 v[6:7], s[34:35], v[6:7]
	s_mov_b32 s8, 0
	s_delay_alu instid0(VALU_DEP_1)
	v_cmp_le_u64_e32 vcc_lo, s[10:11], v[6:7]
	s_or_not1_b32 s22, vcc_lo, exec_lo
.LBB207_458:                            ;   in Loop: Header=BB207_459 Depth=2
	s_delay_alu instid0(SALU_CYCLE_1) | instskip(NEXT) | instid1(SALU_CYCLE_1)
	s_and_b32 s22, exec_lo, s22
	s_or_b32 s15, s22, s15
	s_and_not1_b32 s17, s17, exec_lo
	s_and_b32 s8, s8, exec_lo
	s_delay_alu instid0(SALU_CYCLE_1)
	s_or_b32 s17, s17, s8
	s_and_not1_b32 exec_lo, exec_lo, s15
	s_cbranch_execz .LBB207_463
.LBB207_459:                            ;   Parent Loop BB207_12 Depth=1
                                        ; =>  This Inner Loop Header: Depth=2
	s_mov_b32 s22, exec_lo
	s_delay_alu instid0(VALU_DEP_1)
	v_cmpx_gt_u64_e64 s[28:29], v[6:7]
	s_cbranch_execz .LBB207_456
; %bb.460:                              ;   in Loop: Header=BB207_459 Depth=2
	v_mul_u64_e32 v[8:9], s[26:27], v[6:7]
	s_delay_alu instid0(VALU_DEP_1)
	v_lshl_add_u64 v[8:9], v[8:9], 1, s[24:25]
	global_load_u16 v8, v[8:9], off
	s_wait_loadcnt 0x0
	v_cmp_lt_i16_e32 vcc_lo, -1, v8
	v_and_b32_e32 v9, 0xffff, v8
	v_cndmask_b32_e32 v10, 0xffff, v34, vcc_lo
	v_cmp_o_f16_e32 vcc_lo, v8, v8
	s_delay_alu instid0(VALU_DEP_2) | instskip(NEXT) | instid1(VALU_DEP_1)
	v_xor_b32_e32 v9, v10, v9
	v_cndmask_b32_e32 v9, 0xffff, v9, vcc_lo
	s_delay_alu instid0(VALU_DEP_1) | instskip(NEXT) | instid1(VALU_DEP_1)
	v_and_b32_e32 v9, v9, v35
	v_cmp_eq_u32_e32 vcc_lo, v9, v31
	s_and_b32 exec_lo, exec_lo, vcc_lo
	s_cbranch_execz .LBB207_456
; %bb.461:                              ;   in Loop: Header=BB207_459 Depth=2
	v_perm_b32 v8, v8, s95, 0x5040100
	ds_store_b32 v3, v8 offset:3072
	s_branch .LBB207_456
.LBB207_462:                            ;   in Loop: Header=BB207_459 Depth=2
	s_mov_b32 s22, -1
	s_mov_b32 s8, -1
                                        ; implicit-def: $vgpr6_vgpr7
	s_branch .LBB207_458
.LBB207_463:                            ;   in Loop: Header=BB207_12 Depth=1
	s_or_b32 exec_lo, exec_lo, s15
	v_lshrrev_b32_e32 v36, 16, v8
	s_and_not1_b32 s8, s16, exec_lo
	s_and_b32 s10, s17, exec_lo
	s_delay_alu instid0(SALU_CYCLE_1)
	s_or_b32 s16, s8, s10
.LBB207_464:                            ;   in Loop: Header=BB207_12 Depth=1
	s_or_b32 exec_lo, exec_lo, s14
	s_mov_b32 s38, 0
	s_mov_b32 s39, -1
.LBB207_465:                            ;   in Loop: Header=BB207_12 Depth=1
	s_or_not1_b32 s11, s16, exec_lo
.LBB207_466:                            ;   in Loop: Header=BB207_12 Depth=1
	s_or_b32 exec_lo, exec_lo, s37
	s_mov_b32 s8, 0
	s_and_saveexec_b32 s10, s11
	s_cbranch_execz .LBB207_477
; %bb.467:                              ;   in Loop: Header=BB207_12 Depth=1
	v_mov_b64_e32 v[6:7], 1
	v_mov_b32_e32 v2, 1
	s_xor_b32 s8, s36, -1
	s_delay_alu instid0(SALU_CYCLE_1)
	s_and_saveexec_b32 s11, s8
	s_cbranch_execz .LBB207_476
; %bb.468:                              ;   in Loop: Header=BB207_12 Depth=1
	s_mov_b32 s8, exec_lo
	v_cmpx_ge_u64_e64 s[12:13], v[4:5]
	s_xor_b32 s14, exec_lo, s8
	s_cbranch_execz .LBB207_473
; %bb.469:                              ;   in Loop: Header=BB207_12 Depth=1
	ds_load_b64 v[6:7], v3 offset:5120
	v_and_b32_e32 v31, s74, v31
	v_or_b32_e32 v35, s57, v35
	s_wait_dscnt 0x0
	v_cmp_ne_u64_e32 vcc_lo, 0, v[6:7]
	s_cbranch_vccnz .LBB207_473
; %bb.470:                              ;   in Loop: Header=BB207_12 Depth=1
	s_and_saveexec_b32 s8, s5
; %bb.471:                              ;   in Loop: Header=BB207_12 Depth=1
	v_mov_b64_e32 v[6:7], s[12:13]
	ds_store_b64 v3, v[6:7] offset:5128
; %bb.472:                              ;   in Loop: Header=BB207_12 Depth=1
	s_or_b32 exec_lo, exec_lo, s8
	s_wait_dscnt 0x0
	s_barrier_signal -1
	s_barrier_wait -1
.LBB207_473:                            ;   in Loop: Header=BB207_12 Depth=1
	s_and_not1_saveexec_b32 s8, s14
; %bb.474:                              ;   in Loop: Header=BB207_12 Depth=1
	v_sub_nc_u64_e64 v[4:5], v[4:5], s[12:13]
; %bb.475:                              ;   in Loop: Header=BB207_12 Depth=1
	s_or_b32 exec_lo, exec_lo, s8
	s_delay_alu instid0(VALU_DEP_1)
	v_mov_b64_e32 v[6:7], v[4:5]
	v_mov_b32_e32 v2, 5
.LBB207_476:                            ;   in Loop: Header=BB207_12 Depth=1
	s_or_b32 exec_lo, exec_lo, s11
	s_delay_alu instid0(VALU_DEP_2)
	v_mov_b64_e32 v[4:5], v[6:7]
	s_mov_b32 s8, exec_lo
.LBB207_477:                            ;   in Loop: Header=BB207_12 Depth=1
	s_or_b32 exec_lo, exec_lo, s10
	s_delay_alu instid0(SALU_CYCLE_1)
	s_or_not1_b32 s10, s8, exec_lo
.LBB207_478:                            ;   in Loop: Header=BB207_12 Depth=1
	s_or_b32 exec_lo, exec_lo, s19
	s_delay_alu instid0(SALU_CYCLE_1)
	s_and_not1_b32 s8, s81, exec_lo
	s_and_b32 s11, s39, exec_lo
	s_and_not1_b32 s12, s79, exec_lo
	s_and_b32 s13, s38, exec_lo
	v_mov_b64_e32 v[6:7], v[4:5]
	s_or_b32 s81, s8, s11
	s_or_b32 s79, s12, s13
	s_and_b32 s11, s10, exec_lo
.LBB207_479:                            ;   in Loop: Header=BB207_12 Depth=1
	s_or_b32 exec_lo, exec_lo, s18
	s_delay_alu instid0(SALU_CYCLE_1)
	s_or_not1_b32 s10, s11, exec_lo
.LBB207_480:                            ;   in Loop: Header=BB207_12 Depth=1
	s_or_b32 exec_lo, exec_lo, s21
	s_delay_alu instid0(SALU_CYCLE_1)
	s_and_not1_b32 s8, s78, exec_lo
	s_and_b32 s11, s81, exec_lo
	s_and_not1_b32 s12, s73, exec_lo
	s_and_b32 s13, s79, exec_lo
	v_mov_b64_e32 v[4:5], v[6:7]
	s_or_b32 s78, s8, s11
	s_or_b32 s73, s12, s13
	s_and_b32 s11, s10, exec_lo
.LBB207_481:                            ;   in Loop: Header=BB207_12 Depth=1
	s_or_b32 exec_lo, exec_lo, s20
	s_delay_alu instid0(SALU_CYCLE_1)
	s_or_not1_b32 s10, s11, exec_lo
.LBB207_482:                            ;   in Loop: Header=BB207_12 Depth=1
	s_or_b32 exec_lo, exec_lo, s9
	s_mov_b32 s8, s77
	s_mov_b32 s9, s76
	s_and_saveexec_b32 s11, s10
; %bb.483:                              ;   in Loop: Header=BB207_12 Depth=1
	v_cmp_ne_u32_e32 vcc_lo, 5, v2
	v_cmp_eq_u32_e64 s9, 5, v2
	s_and_not1_b32 s8, s76, exec_lo
	s_and_not1_b32 s10, s77, exec_lo
	s_and_b32 s12, vcc_lo, exec_lo
	s_and_b32 s13, s9, exec_lo
	s_or_b32 s9, s8, s12
	s_or_b32 s8, s10, s13
; %bb.484:                              ;   in Loop: Header=BB207_12 Depth=1
	s_or_b32 exec_lo, exec_lo, s11
	s_delay_alu instid0(SALU_CYCLE_1)
	s_and_not1_b32 s10, s80, exec_lo
	s_and_b32 s11, s78, exec_lo
	s_and_not1_b32 s12, s75, exec_lo
	s_and_b32 s13, s73, exec_lo
	s_or_b32 s80, s10, s11
	s_and_not1_b32 s10, s76, exec_lo
	s_and_b32 s9, s9, exec_lo
	s_and_not1_b32 s11, s77, exec_lo
	s_and_b32 s8, s8, exec_lo
	s_or_b32 s75, s12, s13
	s_or_b32 s76, s10, s9
	;; [unrolled: 1-line block ×3, first 2 shown]
.LBB207_485:                            ;   in Loop: Header=BB207_12 Depth=1
	s_or_b32 exec_lo, exec_lo, s72
	s_mov_b32 s78, 0
	s_mov_b32 s79, 0
	s_and_saveexec_b32 s8, s77
.LBB207_486:                            ;   in Loop: Header=BB207_12 Depth=1
	v_mov_b32_e32 v2, 0
	s_or_b32 s76, s76, exec_lo
.LBB207_487:                            ;   in Loop: Header=BB207_12 Depth=1
	s_or_b32 exec_lo, exec_lo, s8
	v_mov_b64_e32 v[22:23], v[4:5]
	s_and_not1_b32 s8, s54, exec_lo
	s_and_b32 s9, s80, exec_lo
	s_and_not1_b32 s11, s104, exec_lo
	s_and_b32 s12, s75, exec_lo
	s_or_b32 s54, s8, s9
	s_or_b32 s104, s11, s12
	s_and_not1_b32 s8, s56, exec_lo
	s_and_b32 s9, s79, exec_lo
	s_and_not1_b32 s11, s55, exec_lo
	s_and_b32 s12, s78, exec_lo
	s_mov_b32 s10, -1
	s_and_not1_b32 vcc_hi, vcc_hi, exec_lo
	s_or_b32 s56, s8, s9
	s_or_b32 s55, s11, s12
	s_and_saveexec_b32 s8, s76
	s_delay_alu instid0(SALU_CYCLE_1)
	s_xor_b32 s9, exec_lo, s8
	s_cbranch_execz .LBB207_11
; %bb.488:                              ;   in Loop: Header=BB207_12 Depth=1
	s_mov_b32 s8, -1
	s_mov_b32 s11, exec_lo
	v_cmpx_eq_u32_e32 0, v2
	s_cbranch_execz .LBB207_10
; %bb.489:                              ;   in Loop: Header=BB207_12 Depth=1
	s_xor_b32 s99, s99, 1
	s_add_co_i32 s12, s96, -2
	s_cmp_eq_u32 s96, 0
	s_mov_b32 s96, s12
	s_cselect_b32 s10, -1, 0
	s_xor_b32 s8, exec_lo, -1
	s_or_not1_b32 s10, s10, exec_lo
	s_branch .LBB207_10
.LBB207_490:
	s_or_b32 exec_lo, exec_lo, s97
	s_xor_b32 s7, s103, -1
	s_xor_b32 s9, s101, -1
	;; [unrolled: 1-line block ×5, first 2 shown]
	s_mov_b32 s8, 0
	s_and_saveexec_b32 s12, s11
	s_delay_alu instid0(SALU_CYCLE_1)
	s_xor_b32 s16, exec_lo, s12
	s_cbranch_execnz .LBB207_495
; %bb.491:
	s_wait_xcnt 0x0
	s_and_not1_saveexec_b32 s0, s16
	s_cbranch_execnz .LBB207_514
.LBB207_492:
	s_or_b32 exec_lo, exec_lo, s0
	s_and_saveexec_b32 s0, s8
.LBB207_493:
	; divergent unreachable
.LBB207_494:
	s_endpgm
.LBB207_495:
	s_and_saveexec_b32 s11, s10
	s_delay_alu instid0(SALU_CYCLE_1)
	s_xor_b32 s17, exec_lo, s11
	s_cbranch_execz .LBB207_512
; %bb.496:
	s_and_saveexec_b32 s10, s9
	s_delay_alu instid0(SALU_CYCLE_1)
	s_xor_b32 s18, exec_lo, s10
	s_cbranch_execz .LBB207_510
; %bb.497:
	s_and_saveexec_b32 s9, s7
	s_delay_alu instid0(SALU_CYCLE_1)
	s_xor_b32 s19, exec_lo, s9
	s_cbranch_execz .LBB207_508
; %bb.498:
	s_and_saveexec_b32 s7, s6
	s_delay_alu instid0(SALU_CYCLE_1)
	s_xor_b32 s6, exec_lo, s7
; %bb.499:
	v_and_b32_e32 v2, 0x8000, v31
	v_mov_b32_e32 v3, 0xffff
	s_delay_alu instid0(VALU_DEP_2) | instskip(NEXT) | instid1(VALU_DEP_2)
	v_cmp_eq_u32_e32 vcc_lo, 0, v2
	v_cndmask_b32_e32 v2, 0x8000, v3, vcc_lo
	s_delay_alu instid0(VALU_DEP_1)
	v_xor_b32_e32 v36, v2, v31
; %bb.500:
	s_or_b32 exec_lo, exec_lo, s6
	s_and_saveexec_b32 s6, s5
; %bb.501:
	v_mov_b64_e32 v[2:3], 0
	v_mov_b32_e32 v4, 0
	ds_store_b64 v4, v[2:3] offset:5136
; %bb.502:
	s_or_b32 exec_lo, exec_lo, s6
	v_mov_b32_e32 v17, 0
	s_wait_dscnt 0x0
	s_barrier_signal -1
	s_barrier_wait -1
	s_and_saveexec_b32 s5, s3
	s_cbranch_execz .LBB207_504
; %bb.503:
	global_load_u16 v17, v[14:15], off
.LBB207_504:
	s_wait_xcnt 0x0
	s_or_b32 exec_lo, exec_lo, s5
	v_readlane_b32 s36, v46, 10
	v_readlane_b32 s37, v46, 11
	;; [unrolled: 1-line block ×4, first 2 shown]
	s_wait_kmcnt 0x0
	s_mul_u64 s[14:15], s[52:53], s[50:51]
	s_add_nc_u64 s[10:11], s[28:29], 31
	s_mov_b64 s[12:13], 0xffffffffffffffe0
	s_clause 0x1
	s_load_b64 s[6:7], s[0:1], 0x368
	s_load_b64 s[8:9], s[0:1], 0x510
	s_wait_xcnt 0x0
	s_sub_nc_u64 s[0:1], s[44:45], s[14:15]
	v_mov_b32_e32 v16, 0x8000
	v_cmp_lt_i16_e32 vcc_lo, -1, v36
	s_and_b64 s[10:11], s[10:11], s[12:13]
	v_readlane_b32 s12, v46, 2
	v_readlane_b32 s22, v46, 0
	s_mul_u64 s[0:1], s[0:1], s[38:39]
	s_mul_u64 s[14:15], s[52:53], s[36:37]
	v_readlane_b32 s36, v46, 4
	v_readlane_b32 s13, v46, 3
	;; [unrolled: 1-line block ×4, first 2 shown]
	v_and_b32_e32 v2, 0xffff, v36
	v_cndmask_b32_e32 v3, 0xffff, v16, vcc_lo
	v_cmp_o_f16_e32 vcc_lo, v36, v36
	s_mul_u64 s[12:13], s[22:23], s[12:13]
	s_mul_u64 s[22:23], s[22:23], s[36:37]
	v_readlane_b32 s36, v46, 14
	v_readlane_b32 s37, v46, 15
	v_xor_b32_e32 v2, v3, v2
	s_lshl_b64 s[14:15], s[14:15], 1
	v_readlane_b32 s38, v46, 6
	v_readlane_b32 s39, v46, 7
	s_add_nc_u64 s[14:15], s[36:37], s[14:15]
	v_readlane_b32 s36, v46, 8
	v_readlane_b32 s37, v46, 9
	s_sub_nc_u64 s[12:13], s[44:45], s[12:13]
	v_cndmask_b32_e32 v13, 0xffff, v2, vcc_lo
	v_cmp_gt_u64_e32 vcc_lo, s[10:11], v[0:1]
	s_mul_u64 s[12:13], s[12:13], s[38:39]
	s_lshl_b64 s[22:23], s[22:23], 3
	s_lshl_b64 s[0:1], s[0:1], 1
	s_add_nc_u64 s[22:23], s[36:37], s[22:23]
	s_lshl_b64 s[36:37], s[12:13], 3
	s_mov_b32 s21, -1
	s_add_nc_u64 s[12:13], s[14:15], s[0:1]
	s_add_nc_u64 s[14:15], s[22:23], s[36:37]
	s_mov_b32 s5, 0
	s_mov_b32 s1, 0
	s_and_saveexec_b32 s20, vcc_lo
	s_cbranch_execnz .LBB207_515
; %bb.505:
	s_or_b32 exec_lo, exec_lo, s20
	s_and_saveexec_b32 s4, s21
	s_cbranch_execnz .LBB207_532
.LBB207_506:
	s_or_b32 exec_lo, exec_lo, s4
	s_and_saveexec_b32 s0, s1
	s_delay_alu instid0(SALU_CYCLE_1)
	s_xor_b32 s0, exec_lo, s0
	s_cbranch_execnz .LBB207_555
.LBB207_507:
	s_or_b32 exec_lo, exec_lo, s0
	s_wait_kmcnt 0x0
	s_and_b32 s8, s5, exec_lo
.LBB207_508:
	s_wait_xcnt 0x0
	s_and_not1_saveexec_b32 s0, s19
	s_cbranch_execnz .LBB207_557
.LBB207_509:
	s_or_b32 exec_lo, exec_lo, s0
	s_delay_alu instid0(SALU_CYCLE_1)
	s_and_b32 s8, s8, exec_lo
.LBB207_510:
	s_wait_xcnt 0x0
	s_and_not1_saveexec_b32 s0, s18
	s_cbranch_execnz .LBB207_556
.LBB207_511:
	s_or_b32 exec_lo, exec_lo, s0
	s_delay_alu instid0(SALU_CYCLE_1)
	s_and_b32 s8, s8, exec_lo
.LBB207_512:
	s_wait_xcnt 0x0
	s_and_not1_saveexec_b32 s0, s17
	s_cbranch_execnz .LBB207_551
.LBB207_513:
	s_or_b32 exec_lo, exec_lo, s0
	s_delay_alu instid0(SALU_CYCLE_1)
	s_and_b32 s8, s8, exec_lo
	s_and_not1_saveexec_b32 s0, s16
	s_cbranch_execz .LBB207_492
.LBB207_514:
	s_or_b32 s8, s8, exec_lo
	s_trap 2
	s_or_b32 exec_lo, exec_lo, s0
	s_and_saveexec_b32 s0, s8
	s_cbranch_execnz .LBB207_493
	s_branch .LBB207_494
.LBB207_515:
	v_mov_b64_e32 v[8:9], v[0:1]
	v_mov_b32_e32 v3, 0
	s_mov_b32 s21, 0
                                        ; implicit-def: $sgpr22
                                        ; implicit-def: $vgpr6_vgpr7
	s_branch .LBB207_517
.LBB207_516:                            ;   in Loop: Header=BB207_517 Depth=1
	s_or_b32 exec_lo, exec_lo, s33
	s_xor_b32 s0, s23, -1
	s_and_b32 s1, exec_lo, s1
	v_mov_b64_e32 v[8:9], v[4:5]
	s_or_b32 s21, s1, s21
	s_wait_loadcnt 0x0
	v_mov_b32_e32 v17, v18
	s_and_not1_b32 s1, s22, exec_lo
	s_and_b32 s0, s0, exec_lo
	s_delay_alu instid0(SALU_CYCLE_1)
	s_or_b32 s22, s1, s0
	s_and_not1_b32 exec_lo, exec_lo, s21
	s_cbranch_execz .LBB207_531
.LBB207_517:                            ; =>This Inner Loop Header: Depth=1
	s_delay_alu instid0(VALU_DEP_2) | instskip(SKIP_2) | instid1(VALU_DEP_2)
	v_add_nc_u64_e32 v[4:5], s[34:35], v[8:9]
	v_mov_b32_e32 v18, 0
	s_mov_b32 s1, exec_lo
	v_cmpx_gt_u64_e64 s[28:29], v[4:5]
	s_cbranch_execz .LBB207_519
; %bb.518:                              ;   in Loop: Header=BB207_517 Depth=1
	v_mul_u64_e32 v[10:11], s[26:27], v[4:5]
	s_delay_alu instid0(VALU_DEP_1)
	v_lshl_add_u64 v[10:11], v[10:11], 1, s[24:25]
	global_load_u16 v18, v[10:11], off
.LBB207_519:                            ;   in Loop: Header=BB207_517 Depth=1
	s_wait_xcnt 0x0
	s_or_b32 exec_lo, exec_lo, s1
	s_mov_b32 s23, 0
	s_mov_b32 s1, exec_lo
	v_cmpx_gt_u64_e64 s[28:29], v[8:9]
	s_cbranch_execz .LBB207_521
; %bb.520:                              ;   in Loop: Header=BB207_517 Depth=1
	s_wait_loadcnt 0x0
	v_cmp_lt_i16_e64 s0, -1, v17
	v_and_b32_e32 v2, 0xffff, v17
	s_delay_alu instid0(VALU_DEP_2) | instskip(SKIP_1) | instid1(VALU_DEP_2)
	v_cndmask_b32_e64 v10, 0xffff, v16, s0
	v_cmp_o_f16_e64 s0, v17, v17
	v_xor_b32_e32 v2, v10, v2
	s_delay_alu instid0(VALU_DEP_1) | instskip(NEXT) | instid1(VALU_DEP_1)
	v_cndmask_b32_e64 v2, 0xffff, v2, s0
	v_cmp_gt_u32_e64 s0, v2, v13
	s_delay_alu instid0(VALU_DEP_1) | instskip(SKIP_1) | instid1(VALU_DEP_1)
	v_cndmask_b32_e64 v10, 0, 1, s0
	v_cmp_lt_u32_e64 s0, v2, v13
	v_cndmask_b32_e64 v2, 0, 1, s0
	s_delay_alu instid0(VALU_DEP_1) | instskip(NEXT) | instid1(VALU_DEP_1)
	v_cndmask_b32_e64 v2, v2, v10, s4
	v_and_b32_e32 v2, 1, v2
	s_delay_alu instid0(VALU_DEP_1)
	v_cmp_eq_u32_e64 s0, 1, v2
	s_and_b32 s23, s0, exec_lo
.LBB207_521:                            ;   in Loop: Header=BB207_517 Depth=1
	s_or_b32 exec_lo, exec_lo, s1
	v_cndmask_b32_e64 v2, 0, 1, s23
	s_delay_alu instid0(VALU_DEP_1) | instskip(SKIP_2) | instid1(SALU_CYCLE_1)
	v_cmp_ne_u32_e64 s0, 0, v2
	s_cmp_lg_u32 s0, 0
	s_cselect_b32 s1, -1, 0
	s_and_b32 s1, s2, s1
	s_delay_alu instid0(SALU_CYCLE_1)
	s_and_saveexec_b32 s33, s1
	s_cbranch_execz .LBB207_525
; %bb.522:                              ;   in Loop: Header=BB207_517 Depth=1
	s_mov_b32 s38, exec_lo
	s_bcnt1_i32_b32 s36, s0
	v_mbcnt_lo_u32_b32 v10, s38, 0
	s_mov_b32 s37, exec_lo
                                        ; implicit-def: $vgpr6_vgpr7
	s_delay_alu instid0(VALU_DEP_1)
	v_cmpx_eq_u32_e32 0, v10
	s_cbranch_execz .LBB207_524
; %bb.523:                              ;   in Loop: Header=BB207_517 Depth=1
	s_bcnt1_i32_b32 s1, s38
	s_delay_alu instid0(SALU_CYCLE_1) | instskip(NEXT) | instid1(SALU_CYCLE_1)
	s_mul_i32 s1, s36, s1
	v_mov_b32_e32 v2, s1
	s_wait_dscnt 0x0
	ds_add_rtn_u64 v[6:7], v3, v[2:3] offset:5136
.LBB207_524:                            ;   in Loop: Header=BB207_517 Depth=1
	s_or_b32 exec_lo, exec_lo, s37
	s_wait_dscnt 0x0
	v_readfirstlane_b32 s39, v7
	v_readfirstlane_b32 s38, v6
	s_delay_alu instid0(VALU_DEP_1)
	v_mad_nc_u64_u32 v[6:7], s36, v10, s[38:39]
.LBB207_525:                            ;   in Loop: Header=BB207_517 Depth=1
	s_or_b32 exec_lo, exec_lo, s33
	s_wait_dscnt 0x1
	ds_bpermute_b32 v6, v3, v6
	s_wait_dscnt 0x1
	ds_bpermute_b32 v7, v3, v7
	s_mov_b32 s1, -1
	s_mov_b32 s36, -1
	s_and_saveexec_b32 s33, s23
	s_cbranch_execz .LBB207_529
; %bb.526:                              ;   in Loop: Header=BB207_517 Depth=1
	v_and_b32_e32 v2, s0, v12
	s_mov_b32 s23, 0
	s_mov_b32 s36, exec_lo
	s_delay_alu instid0(VALU_DEP_1) | instskip(SKIP_1) | instid1(VALU_DEP_1)
	v_bcnt_u32_b32 v2, v2, 0
	s_wait_dscnt 0x0
	v_add_nc_u64_e32 v[10:11], v[6:7], v[2:3]
	s_delay_alu instid0(VALU_DEP_1)
	v_cmpx_gt_u64_e64 s[30:31], v[10:11]
	s_cbranch_execz .LBB207_528
; %bb.527:                              ;   in Loop: Header=BB207_517 Depth=1
	s_wait_kmcnt 0x0
	v_mul_u64_e32 v[20:21], s[6:7], v[10:11]
	v_mul_u64_e32 v[10:11], s[8:9], v[10:11]
	s_mov_b32 s23, exec_lo
	s_delay_alu instid0(VALU_DEP_2) | instskip(NEXT) | instid1(VALU_DEP_2)
	v_lshl_add_u64 v[20:21], v[20:21], 1, s[12:13]
	v_lshl_add_u64 v[10:11], v[10:11], 3, s[14:15]
	s_wait_loadcnt 0x0
	global_store_b16 v[20:21], v17, off
	global_store_b64 v[10:11], v[8:9], off
.LBB207_528:                            ;   in Loop: Header=BB207_517 Depth=1
	s_wait_xcnt 0x0
	s_or_b32 exec_lo, exec_lo, s36
	s_delay_alu instid0(SALU_CYCLE_1)
	s_or_not1_b32 s36, s23, exec_lo
.LBB207_529:                            ;   in Loop: Header=BB207_517 Depth=1
	s_or_b32 exec_lo, exec_lo, s33
	s_mov_b32 s23, -1
	s_and_saveexec_b32 s33, s36
	s_cbranch_execz .LBB207_516
; %bb.530:                              ;   in Loop: Header=BB207_517 Depth=1
	v_cmp_le_u64_e64 s0, s[10:11], v[4:5]
	s_xor_b32 s23, exec_lo, -1
	s_or_not1_b32 s1, s0, exec_lo
	s_branch .LBB207_516
.LBB207_531:
	s_or_b32 exec_lo, exec_lo, s21
	s_delay_alu instid0(SALU_CYCLE_1)
	s_mov_b32 s1, exec_lo
	s_or_not1_b32 s21, s22, exec_lo
	s_or_b32 exec_lo, exec_lo, s20
	s_and_saveexec_b32 s4, s21
	s_cbranch_execz .LBB207_506
.LBB207_532:
	v_mov_b32_e32 v16, 0
	s_wait_storecnt 0x0
	s_wait_loadcnt_dscnt 0x0
	s_barrier_signal -1
	s_barrier_wait -1
	s_and_saveexec_b32 s0, s3
	s_cbranch_execz .LBB207_534
; %bb.533:
	global_load_u16 v16, v[14:15], off
.LBB207_534:
	s_wait_xcnt 0x0
	s_or_b32 exec_lo, exec_lo, s0
	s_mov_b32 s0, 0
	s_and_saveexec_b32 s3, vcc_lo
	s_cbranch_execz .LBB207_554
; %bb.535:
	v_dual_mov_b32 v10, 0x8000 :: v_dual_mov_b32 v3, 0
	s_mov_b32 s5, 0
                                        ; implicit-def: $sgpr20
                                        ; implicit-def: $vgpr6_vgpr7
	s_branch .LBB207_538
.LBB207_536:                            ;   in Loop: Header=BB207_538 Depth=1
	s_or_b32 exec_lo, exec_lo, s21
	s_delay_alu instid0(SALU_CYCLE_1)
	s_or_not1_b32 s23, s23, exec_lo
	s_or_not1_b32 s22, s22, exec_lo
.LBB207_537:                            ;   in Loop: Header=BB207_538 Depth=1
	s_or_b32 exec_lo, exec_lo, s0
	s_xor_b32 s0, s23, -1
	s_and_b32 s21, exec_lo, s22
	v_mov_b64_e32 v[0:1], v[4:5]
	s_or_b32 s5, s21, s5
	v_mov_b32_e32 v16, v11
	s_and_not1_b32 s20, s20, exec_lo
	s_and_b32 s0, s0, exec_lo
	s_delay_alu instid0(SALU_CYCLE_1)
	s_or_b32 s20, s20, s0
	s_and_not1_b32 exec_lo, exec_lo, s5
	s_cbranch_execz .LBB207_552
.LBB207_538:                            ; =>This Inner Loop Header: Depth=1
	v_add_nc_u64_e32 v[4:5], s[34:35], v[0:1]
	v_mov_b32_e32 v11, 0
	s_mov_b32 s0, exec_lo
	s_delay_alu instid0(VALU_DEP_2)
	v_cmpx_gt_u64_e64 s[28:29], v[4:5]
	s_cbranch_execz .LBB207_540
; %bb.539:                              ;   in Loop: Header=BB207_538 Depth=1
	v_mul_u64_e32 v[8:9], s[26:27], v[4:5]
	s_delay_alu instid0(VALU_DEP_1)
	v_lshl_add_u64 v[8:9], v[8:9], 1, s[24:25]
	global_load_u16 v11, v[8:9], off
.LBB207_540:                            ;   in Loop: Header=BB207_538 Depth=1
	s_wait_xcnt 0x0
	s_or_b32 exec_lo, exec_lo, s0
	s_wait_loadcnt 0x0
	v_cmp_lt_i16_e32 vcc_lo, -1, v16
	v_and_b32_e32 v2, 0xffff, v16
	v_cndmask_b32_e32 v8, 0xffff, v10, vcc_lo
	v_cmp_o_f16_e32 vcc_lo, v16, v16
	s_delay_alu instid0(VALU_DEP_2) | instskip(NEXT) | instid1(VALU_DEP_1)
	v_xor_b32_e32 v2, v8, v2
	v_cndmask_b32_e32 v2, 0xffff, v2, vcc_lo
	v_cmp_gt_u64_e32 vcc_lo, s[28:29], v[0:1]
	s_delay_alu instid0(VALU_DEP_2) | instskip(SKIP_1) | instid1(SALU_CYCLE_1)
	v_cmp_eq_u32_e64 s0, v2, v13
	s_and_b32 s21, vcc_lo, s0
	v_cndmask_b32_e64 v2, 0, 1, s21
	s_delay_alu instid0(VALU_DEP_1) | instskip(SKIP_2) | instid1(SALU_CYCLE_1)
	v_cmp_ne_u32_e32 vcc_lo, 0, v2
	s_cmp_lg_u32 vcc_lo, 0
	s_cselect_b32 s0, -1, 0
	s_and_b32 s0, s2, s0
	s_delay_alu instid0(SALU_CYCLE_1)
	s_and_saveexec_b32 s22, s0
	s_cbranch_execz .LBB207_544
; %bb.541:                              ;   in Loop: Header=BB207_538 Depth=1
	s_mov_b32 s36, exec_lo
	s_bcnt1_i32_b32 s23, vcc_lo
	v_mbcnt_lo_u32_b32 v8, s36, 0
	s_mov_b32 s33, exec_lo
                                        ; implicit-def: $vgpr6_vgpr7
	s_delay_alu instid0(VALU_DEP_1)
	v_cmpx_eq_u32_e32 0, v8
; %bb.542:                              ;   in Loop: Header=BB207_538 Depth=1
	s_bcnt1_i32_b32 s0, s36
	s_delay_alu instid0(SALU_CYCLE_1) | instskip(NEXT) | instid1(SALU_CYCLE_1)
	s_mul_i32 s0, s23, s0
	v_mov_b32_e32 v2, s0
	ds_add_rtn_u64 v[6:7], v3, v[2:3] offset:5136
; %bb.543:                              ;   in Loop: Header=BB207_538 Depth=1
	s_or_b32 exec_lo, exec_lo, s33
	s_wait_dscnt 0x0
	v_readfirstlane_b32 s37, v7
	v_readfirstlane_b32 s36, v6
	s_delay_alu instid0(VALU_DEP_1)
	v_mad_nc_u64_u32 v[6:7], s23, v8, s[36:37]
.LBB207_544:                            ;   in Loop: Header=BB207_538 Depth=1
	s_or_b32 exec_lo, exec_lo, s22
	ds_bpermute_b32 v6, v3, v6
	ds_bpermute_b32 v7, v3, v7
	s_cmp_eq_u32 vcc_lo, 0
	s_mov_b32 s22, -1
	s_cselect_b32 s23, -1, 0
	s_wait_dscnt 0x0
	v_cmp_gt_u64_e64 s0, s[30:31], v[6:7]
	s_or_b32 s33, s23, s0
	s_mov_b32 s23, -1
	s_and_saveexec_b32 s0, s33
	s_cbranch_execz .LBB207_537
; %bb.545:                              ;   in Loop: Header=BB207_538 Depth=1
	v_and_b32_e32 v2, vcc_lo, v12
	v_sub_nc_u64_e32 v[8:9], s[30:31], v[6:7]
	s_mov_b32 s33, -1
	s_delay_alu instid0(VALU_DEP_2) | instskip(NEXT) | instid1(VALU_DEP_1)
	v_bcnt_u32_b32 v2, v2, 0
	v_bcnt_u32_b32 v2, 0, v2
	s_delay_alu instid0(VALU_DEP_1) | instskip(SKIP_1) | instid1(SALU_CYCLE_1)
	v_cmp_gt_u64_e32 vcc_lo, v[8:9], v[2:3]
	s_and_b32 s36, s21, vcc_lo
	s_and_saveexec_b32 s21, s36
	s_cbranch_execz .LBB207_549
; %bb.546:                              ;   in Loop: Header=BB207_538 Depth=1
	v_add_nc_u64_e32 v[8:9], v[6:7], v[2:3]
	s_mov_b32 s33, 0
	s_mov_b32 s23, exec_lo
	s_delay_alu instid0(VALU_DEP_1)
	v_cmpx_gt_u64_e64 s[30:31], v[8:9]
	s_cbranch_execz .LBB207_548
; %bb.547:                              ;   in Loop: Header=BB207_538 Depth=1
	s_wait_kmcnt 0x0
	v_mul_u64_e32 v[14:15], s[6:7], v[8:9]
	v_mul_u64_e32 v[8:9], s[8:9], v[8:9]
	s_mov_b32 s33, exec_lo
	s_delay_alu instid0(VALU_DEP_2) | instskip(NEXT) | instid1(VALU_DEP_2)
	v_lshl_add_u64 v[14:15], v[14:15], 1, s[12:13]
	v_lshl_add_u64 v[8:9], v[8:9], 3, s[14:15]
	global_store_b16 v[14:15], v16, off
	global_store_b64 v[8:9], v[0:1], off
.LBB207_548:                            ;   in Loop: Header=BB207_538 Depth=1
	s_wait_xcnt 0x0
	s_or_b32 exec_lo, exec_lo, s23
	s_delay_alu instid0(SALU_CYCLE_1)
	s_xor_b32 s23, exec_lo, -1
	s_or_not1_b32 s33, s33, exec_lo
.LBB207_549:                            ;   in Loop: Header=BB207_538 Depth=1
	s_or_b32 exec_lo, exec_lo, s21
	s_and_saveexec_b32 s21, s33
	s_cbranch_execz .LBB207_536
; %bb.550:                              ;   in Loop: Header=BB207_538 Depth=1
	v_cmp_le_u64_e32 vcc_lo, s[10:11], v[4:5]
	s_or_b32 s23, s23, exec_lo
	s_or_not1_b32 s22, vcc_lo, exec_lo
	s_branch .LBB207_536
.LBB207_551:
	s_or_b32 s8, s8, exec_lo
	s_trap 2
	s_branch .LBB207_513
.LBB207_552:
	s_or_b32 exec_lo, exec_lo, s5
	s_mov_b32 s0, 0
	s_and_saveexec_b32 s2, s20
	s_delay_alu instid0(SALU_CYCLE_1)
	s_xor_b32 s2, exec_lo, s2
	s_cbranch_execnz .LBB207_558
.LBB207_553:
	s_or_b32 exec_lo, exec_lo, s2
	s_delay_alu instid0(SALU_CYCLE_1)
	s_and_b32 s0, s0, exec_lo
.LBB207_554:
	s_or_b32 exec_lo, exec_lo, s3
	s_delay_alu instid0(SALU_CYCLE_1) | instskip(SKIP_3) | instid1(SALU_CYCLE_1)
	s_and_b32 s5, s0, exec_lo
	s_and_not1_b32 s1, s1, exec_lo
	s_or_b32 exec_lo, exec_lo, s4
	s_and_saveexec_b32 s0, s1
	s_xor_b32 s0, exec_lo, s0
	s_cbranch_execz .LBB207_507
.LBB207_555:
	s_or_b32 s5, s5, exec_lo
	s_trap 2
	s_branch .LBB207_507
.LBB207_556:
	s_or_b32 s8, s8, exec_lo
	s_trap 2
	s_branch .LBB207_511
.LBB207_557:
	s_or_b32 s8, s8, exec_lo
	s_trap 2
	s_branch .LBB207_509
.LBB207_558:
	s_mov_b32 s0, exec_lo
	s_trap 2
	s_branch .LBB207_553
	.section	.rodata,"a",@progbits
	.p2align	6, 0x0
	.amdhsa_kernel _ZN2at6native6sbtopk10gatherTopKIN3c104HalfEmLi2ELb0EEEvNS_4cuda6detail10TensorInfoIKT_T0_EESA_SA_bSA_SA_NS7_IS8_SA_EESA_NS7_IlSA_EESA_PS8_
		.amdhsa_group_segment_fixed_size 5152
		.amdhsa_private_segment_fixed_size 0
		.amdhsa_kernarg_size 1568
		.amdhsa_user_sgpr_count 2
		.amdhsa_user_sgpr_dispatch_ptr 0
		.amdhsa_user_sgpr_queue_ptr 0
		.amdhsa_user_sgpr_kernarg_segment_ptr 1
		.amdhsa_user_sgpr_dispatch_id 0
		.amdhsa_user_sgpr_kernarg_preload_length 0
		.amdhsa_user_sgpr_kernarg_preload_offset 0
		.amdhsa_user_sgpr_private_segment_size 0
		.amdhsa_wavefront_size32 1
		.amdhsa_uses_dynamic_stack 0
		.amdhsa_enable_private_segment 0
		.amdhsa_system_sgpr_workgroup_id_x 1
		.amdhsa_system_sgpr_workgroup_id_y 1
		.amdhsa_system_sgpr_workgroup_id_z 1
		.amdhsa_system_sgpr_workgroup_info 0
		.amdhsa_system_vgpr_workitem_id 0
		.amdhsa_next_free_vgpr 47
		.amdhsa_next_free_sgpr 105
		.amdhsa_named_barrier_count 0
		.amdhsa_reserve_vcc 1
		.amdhsa_float_round_mode_32 0
		.amdhsa_float_round_mode_16_64 0
		.amdhsa_float_denorm_mode_32 3
		.amdhsa_float_denorm_mode_16_64 3
		.amdhsa_fp16_overflow 0
		.amdhsa_memory_ordered 1
		.amdhsa_forward_progress 1
		.amdhsa_inst_pref_size 206
		.amdhsa_round_robin_scheduling 0
		.amdhsa_exception_fp_ieee_invalid_op 0
		.amdhsa_exception_fp_denorm_src 0
		.amdhsa_exception_fp_ieee_div_zero 0
		.amdhsa_exception_fp_ieee_overflow 0
		.amdhsa_exception_fp_ieee_underflow 0
		.amdhsa_exception_fp_ieee_inexact 0
		.amdhsa_exception_int_div_zero 0
	.end_amdhsa_kernel
	.section	.text._ZN2at6native6sbtopk10gatherTopKIN3c104HalfEmLi2ELb0EEEvNS_4cuda6detail10TensorInfoIKT_T0_EESA_SA_bSA_SA_NS7_IS8_SA_EESA_NS7_IlSA_EESA_PS8_,"axG",@progbits,_ZN2at6native6sbtopk10gatherTopKIN3c104HalfEmLi2ELb0EEEvNS_4cuda6detail10TensorInfoIKT_T0_EESA_SA_bSA_SA_NS7_IS8_SA_EESA_NS7_IlSA_EESA_PS8_,comdat
.Lfunc_end207:
	.size	_ZN2at6native6sbtopk10gatherTopKIN3c104HalfEmLi2ELb0EEEvNS_4cuda6detail10TensorInfoIKT_T0_EESA_SA_bSA_SA_NS7_IS8_SA_EESA_NS7_IlSA_EESA_PS8_, .Lfunc_end207-_ZN2at6native6sbtopk10gatherTopKIN3c104HalfEmLi2ELb0EEEvNS_4cuda6detail10TensorInfoIKT_T0_EESA_SA_bSA_SA_NS7_IS8_SA_EESA_NS7_IlSA_EESA_PS8_
                                        ; -- End function
	.set _ZN2at6native6sbtopk10gatherTopKIN3c104HalfEmLi2ELb0EEEvNS_4cuda6detail10TensorInfoIKT_T0_EESA_SA_bSA_SA_NS7_IS8_SA_EESA_NS7_IlSA_EESA_PS8_.num_vgpr, 47
	.set _ZN2at6native6sbtopk10gatherTopKIN3c104HalfEmLi2ELb0EEEvNS_4cuda6detail10TensorInfoIKT_T0_EESA_SA_bSA_SA_NS7_IS8_SA_EESA_NS7_IlSA_EESA_PS8_.num_agpr, 0
	.set _ZN2at6native6sbtopk10gatherTopKIN3c104HalfEmLi2ELb0EEEvNS_4cuda6detail10TensorInfoIKT_T0_EESA_SA_bSA_SA_NS7_IS8_SA_EESA_NS7_IlSA_EESA_PS8_.numbered_sgpr, 105
	.set _ZN2at6native6sbtopk10gatherTopKIN3c104HalfEmLi2ELb0EEEvNS_4cuda6detail10TensorInfoIKT_T0_EESA_SA_bSA_SA_NS7_IS8_SA_EESA_NS7_IlSA_EESA_PS8_.num_named_barrier, 0
	.set _ZN2at6native6sbtopk10gatherTopKIN3c104HalfEmLi2ELb0EEEvNS_4cuda6detail10TensorInfoIKT_T0_EESA_SA_bSA_SA_NS7_IS8_SA_EESA_NS7_IlSA_EESA_PS8_.private_seg_size, 0
	.set _ZN2at6native6sbtopk10gatherTopKIN3c104HalfEmLi2ELb0EEEvNS_4cuda6detail10TensorInfoIKT_T0_EESA_SA_bSA_SA_NS7_IS8_SA_EESA_NS7_IlSA_EESA_PS8_.uses_vcc, 1
	.set _ZN2at6native6sbtopk10gatherTopKIN3c104HalfEmLi2ELb0EEEvNS_4cuda6detail10TensorInfoIKT_T0_EESA_SA_bSA_SA_NS7_IS8_SA_EESA_NS7_IlSA_EESA_PS8_.uses_flat_scratch, 0
	.set _ZN2at6native6sbtopk10gatherTopKIN3c104HalfEmLi2ELb0EEEvNS_4cuda6detail10TensorInfoIKT_T0_EESA_SA_bSA_SA_NS7_IS8_SA_EESA_NS7_IlSA_EESA_PS8_.has_dyn_sized_stack, 0
	.set _ZN2at6native6sbtopk10gatherTopKIN3c104HalfEmLi2ELb0EEEvNS_4cuda6detail10TensorInfoIKT_T0_EESA_SA_bSA_SA_NS7_IS8_SA_EESA_NS7_IlSA_EESA_PS8_.has_recursion, 0
	.set _ZN2at6native6sbtopk10gatherTopKIN3c104HalfEmLi2ELb0EEEvNS_4cuda6detail10TensorInfoIKT_T0_EESA_SA_bSA_SA_NS7_IS8_SA_EESA_NS7_IlSA_EESA_PS8_.has_indirect_call, 0
	.section	.AMDGPU.csdata,"",@progbits
; Kernel info:
; codeLenInByte = 26252
; TotalNumSgprs: 107
; NumVgprs: 47
; ScratchSize: 0
; MemoryBound: 0
; FloatMode: 240
; IeeeMode: 1
; LDSByteSize: 5152 bytes/workgroup (compile time only)
; SGPRBlocks: 0
; VGPRBlocks: 2
; NumSGPRsForWavesPerEU: 107
; NumVGPRsForWavesPerEU: 47
; NamedBarCnt: 0
; Occupancy: 16
; WaveLimiterHint : 1
; COMPUTE_PGM_RSRC2:SCRATCH_EN: 0
; COMPUTE_PGM_RSRC2:USER_SGPR: 2
; COMPUTE_PGM_RSRC2:TRAP_HANDLER: 0
; COMPUTE_PGM_RSRC2:TGID_X_EN: 1
; COMPUTE_PGM_RSRC2:TGID_Y_EN: 1
; COMPUTE_PGM_RSRC2:TGID_Z_EN: 1
; COMPUTE_PGM_RSRC2:TIDIG_COMP_CNT: 0
	.section	.text._ZN2at6native6mbtopk23computeBlockDigitCountsIN3c104HalfEmjLi3EEEvNS_4cuda6detail10TensorInfoIKT_T0_EEjPjjSA_iijT1_PSD_Ps,"axG",@progbits,_ZN2at6native6mbtopk23computeBlockDigitCountsIN3c104HalfEmjLi3EEEvNS_4cuda6detail10TensorInfoIKT_T0_EEjPjjSA_iijT1_PSD_Ps,comdat
	.protected	_ZN2at6native6mbtopk23computeBlockDigitCountsIN3c104HalfEmjLi3EEEvNS_4cuda6detail10TensorInfoIKT_T0_EEjPjjSA_iijT1_PSD_Ps ; -- Begin function _ZN2at6native6mbtopk23computeBlockDigitCountsIN3c104HalfEmjLi3EEEvNS_4cuda6detail10TensorInfoIKT_T0_EEjPjjSA_iijT1_PSD_Ps
	.globl	_ZN2at6native6mbtopk23computeBlockDigitCountsIN3c104HalfEmjLi3EEEvNS_4cuda6detail10TensorInfoIKT_T0_EEjPjjSA_iijT1_PSD_Ps
	.p2align	8
	.type	_ZN2at6native6mbtopk23computeBlockDigitCountsIN3c104HalfEmjLi3EEEvNS_4cuda6detail10TensorInfoIKT_T0_EEjPjjSA_iijT1_PSD_Ps,@function
_ZN2at6native6mbtopk23computeBlockDigitCountsIN3c104HalfEmjLi3EEEvNS_4cuda6detail10TensorInfoIKT_T0_EEjPjjSA_iijT1_PSD_Ps: ; @_ZN2at6native6mbtopk23computeBlockDigitCountsIN3c104HalfEmjLi3EEEvNS_4cuda6detail10TensorInfoIKT_T0_EEjPjjSA_iijT1_PSD_Ps
; %bb.0:
	s_load_b128 s[4:7], s[0:1], 0x1c0
	s_bfe_u32 s2, ttmp6, 0x40010
	s_and_b32 s8, ttmp7, 0xffff
	s_add_co_i32 s9, s2, 1
	s_bfe_u32 s10, ttmp6, 0x40004
	s_mul_i32 s9, s8, s9
	s_load_b64 s[2:3], s[0:1], 0x1e0
	s_add_co_i32 s10, s10, s9
	s_bfe_u32 s11, ttmp6, 0x4000c
	s_bfe_u32 s13, ttmp6, 0x40014
	s_add_co_i32 s11, s11, 1
	s_and_b32 s12, ttmp6, 15
	s_mul_i32 s11, ttmp9, s11
	s_add_co_i32 s13, s13, 1
	s_add_co_i32 s12, s12, s11
	s_getreg_b32 s14, hwreg(HW_REG_IB_STS2, 6, 4)
	s_wait_kmcnt 0x0
	s_cvt_f32_u32 s9, s6
	s_delay_alu instid0(SALU_CYCLE_3) | instskip(SKIP_1) | instid1(SALU_CYCLE_1)
	v_rcp_iflag_f32_e32 v1, s9
	s_lshr_b32 s9, ttmp7, 16
	s_mul_i32 s11, s9, s13
	s_bfe_u32 s13, ttmp6, 0x40008
	s_delay_alu instid0(SALU_CYCLE_1) | instskip(SKIP_1) | instid1(TRANS32_DEP_1)
	s_add_co_i32 s13, s13, s11
	v_nop
	v_readfirstlane_b32 s15, v1
	s_cmp_eq_u32 s14, 0
	s_cselect_b32 s9, s9, s13
	s_load_b32 s13, s[0:1], 0x1b0
	s_mul_f32 s11, s15, 0x4f7ffffe
	s_mul_i32 s3, s3, s9
	s_cselect_b32 s9, ttmp9, s12
	s_cselect_b32 s8, s8, s10
	s_cvt_u32_f32 s11, s11
	s_sub_co_i32 s10, 0, s6
	s_add_co_i32 s3, s3, s8
	s_delay_alu instid0(SALU_CYCLE_1) | instskip(SKIP_3) | instid1(SALU_CYCLE_1)
	s_mul_i32 s24, s3, s2
	s_mul_i32 s10, s10, s11
	s_add_co_i32 s24, s24, s9
	s_mul_hi_u32 s2, s11, s10
	s_add_co_i32 s11, s11, s2
	s_delay_alu instid0(SALU_CYCLE_1) | instskip(NEXT) | instid1(SALU_CYCLE_1)
	s_mul_hi_u32 s2, s24, s11
	s_mul_i32 s3, s2, s6
	s_add_co_i32 s8, s2, 1
	s_sub_co_i32 s3, s24, s3
	s_delay_alu instid0(SALU_CYCLE_1)
	s_sub_co_i32 s9, s3, s6
	s_cmp_ge_u32 s3, s6
	s_cselect_b32 s2, s8, s2
	s_cselect_b32 s3, s9, s3
	s_add_co_i32 s8, s2, 1
	s_cmp_ge_u32 s3, s6
	s_mov_b32 s3, 0
	s_cselect_b32 s2, s8, s2
	s_wait_kmcnt 0x0
	s_cmp_ge_u32 s2, s13
	s_cbranch_scc1 .LBB208_25
; %bb.1:
	s_load_b128 s[12:15], s[0:1], 0x10
	s_mov_b64 s[18:19], 0
	s_mov_b64 s[20:21], 0
	s_wait_kmcnt 0x0
	v_cmp_lt_u64_e64 s8, s[2:3], s[14:15]
	s_and_b32 vcc_lo, exec_lo, s8
	s_cbranch_vccz .LBB208_15
; %bb.2:
	v_cmp_lt_u64_e64 s8, s[20:21], s[12:13]
	s_and_b32 vcc_lo, exec_lo, s8
	s_cbranch_vccz .LBB208_16
.LBB208_3:
	v_cmp_gt_u32_e32 vcc_lo, 0x100, v0
	v_lshlrev_b32_e32 v1, 2, v0
	s_and_saveexec_b32 s8, vcc_lo
.LBB208_4:
	v_mov_b32_e32 v2, 0
	ds_store_b32 v1, v2
.LBB208_5:
	s_or_b32 exec_lo, exec_lo, s8
	s_clause 0x1
	s_load_b32 s25, s[0:1], 0x1a0
	s_load_b128 s[8:11], s[0:1], 0x1d0
	s_mul_i32 s16, s2, s6
	s_mov_b32 s23, 0
	s_sub_co_i32 s27, s24, s16
	s_wait_dscnt 0x0
	s_mul_i32 s16, s5, s27
	s_add_co_i32 s27, s27, 1
	s_lshl_b32 s26, s16, 8
	s_barrier_signal -1
	s_barrier_wait -1
	s_wait_kmcnt 0x0
	s_sub_co_i32 s22, s25, s26
	s_delay_alu instid0(SALU_CYCLE_1) | instskip(NEXT) | instid1(SALU_CYCLE_1)
	s_add_nc_u64 s[16:17], s[22:23], 0xff
	s_lshr_b64 s[16:17], s[16:17], 8
	s_cmp_lt_u32 s27, s6
	s_cselect_b32 s6, s5, s16
	s_delay_alu instid0(SALU_CYCLE_1)
	s_cmp_lt_i32 s6, 1
	s_cbranch_scc1 .LBB208_23
; %bb.6:
	s_clause 0x2
	s_load_b64 s[34:35], s[0:1], 0xe0
	s_load_b128 s[28:31], s[0:1], 0xd0
	s_load_b64 s[36:37], s[0:1], 0x0
	s_load_b32 s5, s[8:9], s2 offset:0x0 scale_offset
	s_load_b64 s[16:17], s[0:1], 0x1b8
	s_wait_xcnt 0x0
	s_mul_u64 s[0:1], s[20:21], s[14:15]
	s_mul_u64 s[8:9], s[18:19], s[12:13]
	s_sub_nc_u64 s[0:1], s[2:3], s[0:1]
	s_sub_nc_u64 s[2:3], s[20:21], s[8:9]
	v_add_nc_u32_e32 v6, s26, v0
	s_wait_kmcnt 0x0
	s_mul_u64 s[0:1], s[0:1], s[34:35]
	s_mul_u64 s[8:9], s[18:19], s[28:29]
	;; [unrolled: 1-line block ×3, first 2 shown]
	s_lshl_b64 s[8:9], s[8:9], 1
	s_lshl_b64 s[2:3], s[2:3], 1
	s_add_nc_u64 s[8:9], s[36:37], s[8:9]
	s_lshl_b64 s[12:13], s[0:1], 1
	s_add_nc_u64 s[2:3], s[8:9], s[2:3]
	s_and_b32 s1, s4, 0xff
	s_cmp_eq_u32 s6, 1
	s_add_nc_u64 s[2:3], s[2:3], s[12:13]
	s_cbranch_scc1 .LBB208_18
; %bb.7:
	v_dual_mov_b32 v3, 0 :: v_dual_mov_b32 v7, 1
	v_mov_b32_e32 v8, 0x8000
	v_mov_b32_e32 v2, v6
	s_and_b32 s4, s6, 0x7ffffffe
	s_mov_b32 s8, 0
	s_branch .LBB208_9
.LBB208_8:                              ;   in Loop: Header=BB208_9 Depth=1
	s_or_b32 exec_lo, exec_lo, s9
	v_add_nc_u32_e32 v2, 0x200, v2
	s_add_co_i32 s8, s8, 2
	s_delay_alu instid0(SALU_CYCLE_1)
	s_cmp_eq_u32 s4, s8
	s_cbranch_scc1 .LBB208_17
.LBB208_9:                              ; =>This Inner Loop Header: Depth=1
	s_mov_b32 s9, exec_lo
	v_cmpx_gt_u32_e64 s25, v2
	s_cbranch_execz .LBB208_12
; %bb.10:                               ;   in Loop: Header=BB208_9 Depth=1
	v_mul_u64_e32 v[4:5], s[16:17], v[2:3]
	s_delay_alu instid0(VALU_DEP_1)
	v_lshl_add_u64 v[4:5], v[4:5], 1, s[2:3]
	global_load_u16 v4, v[4:5], off
	s_wait_loadcnt 0x0
	v_cmp_lt_i16_e64 s0, -1, v4
	s_wait_xcnt 0x0
	v_and_b32_e32 v5, 0xffff, v4
	s_delay_alu instid0(VALU_DEP_2) | instskip(SKIP_1) | instid1(VALU_DEP_2)
	v_cndmask_b32_e64 v9, 0xffff, v8, s0
	v_cmp_o_f16_e64 s0, v4, v4
	v_xor_b32_e32 v5, v9, v5
	s_delay_alu instid0(VALU_DEP_1) | instskip(NEXT) | instid1(VALU_DEP_1)
	v_cndmask_b32_e64 v4, 0xffff, v5, s0
	v_bitop3_b32 v5, v4, s7, s5 bitop3:0x48
	s_delay_alu instid0(VALU_DEP_1)
	v_cmp_eq_u32_e64 s0, 0, v5
	s_and_b32 exec_lo, exec_lo, s0
; %bb.11:                               ;   in Loop: Header=BB208_9 Depth=1
	v_bfe_u32 v4, v4, s1, 8
	s_delay_alu instid0(VALU_DEP_1)
	v_lshlrev_b32_e32 v4, 2, v4
	ds_add_u32 v4, v7
.LBB208_12:                             ;   in Loop: Header=BB208_9 Depth=1
	s_or_b32 exec_lo, exec_lo, s9
	v_add_nc_u32_e32 v4, 0x100, v2
	s_mov_b32 s9, exec_lo
	s_delay_alu instid0(VALU_DEP_1)
	v_cmpx_gt_u32_e64 s25, v4
	s_cbranch_execz .LBB208_8
; %bb.13:                               ;   in Loop: Header=BB208_9 Depth=1
	v_mov_b32_e32 v5, v3
	s_delay_alu instid0(VALU_DEP_1) | instskip(NEXT) | instid1(VALU_DEP_1)
	v_mul_u64_e32 v[4:5], s[16:17], v[4:5]
	v_lshl_add_u64 v[4:5], v[4:5], 1, s[2:3]
	global_load_u16 v4, v[4:5], off
	s_wait_loadcnt 0x0
	v_cmp_lt_i16_e64 s0, -1, v4
	v_and_b32_e32 v5, 0xffff, v4
	s_delay_alu instid0(VALU_DEP_2) | instskip(SKIP_1) | instid1(VALU_DEP_2)
	v_cndmask_b32_e64 v9, 0xffff, v8, s0
	v_cmp_o_f16_e64 s0, v4, v4
	v_xor_b32_e32 v5, v9, v5
	s_delay_alu instid0(VALU_DEP_1) | instskip(NEXT) | instid1(VALU_DEP_1)
	v_cndmask_b32_e64 v4, 0xffff, v5, s0
	v_bitop3_b32 v5, v4, s7, s5 bitop3:0x48
	s_delay_alu instid0(VALU_DEP_1)
	v_cmp_eq_u32_e64 s0, 0, v5
	s_and_b32 exec_lo, exec_lo, s0
	s_cbranch_execz .LBB208_8
; %bb.14:                               ;   in Loop: Header=BB208_9 Depth=1
	v_bfe_u32 v4, v4, s1, 8
	s_delay_alu instid0(VALU_DEP_1)
	v_lshlrev_b32_e32 v4, 2, v4
	ds_add_u32 v4, v7
	s_branch .LBB208_8
.LBB208_15:
	v_cvt_f32_u32_e32 v1, s14
	s_sub_co_i32 s9, 0, s14
	s_mov_b32 s21, 0
	s_delay_alu instid0(VALU_DEP_1) | instskip(SKIP_1) | instid1(TRANS32_DEP_1)
	v_rcp_iflag_f32_e32 v1, v1
	v_nop
	v_mul_f32_e32 v1, 0x4f7ffffe, v1
	s_delay_alu instid0(VALU_DEP_1) | instskip(NEXT) | instid1(VALU_DEP_1)
	v_cvt_u32_f32_e32 v1, v1
	v_readfirstlane_b32 s8, v1
	s_mul_i32 s9, s9, s8
	s_delay_alu instid0(SALU_CYCLE_1) | instskip(NEXT) | instid1(SALU_CYCLE_1)
	s_mul_hi_u32 s9, s8, s9
	s_add_co_i32 s8, s8, s9
	s_delay_alu instid0(SALU_CYCLE_1) | instskip(NEXT) | instid1(SALU_CYCLE_1)
	s_mul_hi_u32 s8, s2, s8
	s_mul_i32 s9, s8, s14
	s_add_co_i32 s10, s8, 1
	s_sub_co_i32 s9, s2, s9
	s_delay_alu instid0(SALU_CYCLE_1)
	s_sub_co_i32 s11, s9, s14
	s_cmp_ge_u32 s9, s14
	s_cselect_b32 s8, s10, s8
	s_cselect_b32 s9, s11, s9
	s_add_co_i32 s10, s8, 1
	s_cmp_ge_u32 s9, s14
	s_cselect_b32 s20, s10, s8
	s_delay_alu instid0(SALU_CYCLE_1)
	v_cmp_lt_u64_e64 s8, s[20:21], s[12:13]
	s_and_b32 vcc_lo, exec_lo, s8
	s_cbranch_vccnz .LBB208_3
.LBB208_16:
	v_cvt_f32_u32_e32 v1, s12
	s_sub_co_i32 s9, 0, s12
	s_mov_b32 s19, 0
	s_delay_alu instid0(VALU_DEP_1) | instskip(SKIP_1) | instid1(TRANS32_DEP_1)
	v_rcp_iflag_f32_e32 v1, v1
	v_nop
	v_mul_f32_e32 v1, 0x4f7ffffe, v1
	s_delay_alu instid0(VALU_DEP_1) | instskip(NEXT) | instid1(VALU_DEP_1)
	v_cvt_u32_f32_e32 v1, v1
	v_readfirstlane_b32 s8, v1
	s_mul_i32 s9, s9, s8
	s_delay_alu instid0(SALU_CYCLE_1) | instskip(NEXT) | instid1(SALU_CYCLE_1)
	s_mul_hi_u32 s9, s8, s9
	s_add_co_i32 s8, s8, s9
	s_delay_alu instid0(SALU_CYCLE_1) | instskip(NEXT) | instid1(SALU_CYCLE_1)
	s_mul_hi_u32 s8, s20, s8
	s_mul_i32 s9, s8, s12
	s_add_co_i32 s10, s8, 1
	s_sub_co_i32 s9, s20, s9
	s_delay_alu instid0(SALU_CYCLE_1)
	s_sub_co_i32 s11, s9, s12
	s_cmp_ge_u32 s9, s12
	s_cselect_b32 s8, s10, s8
	s_cselect_b32 s9, s11, s9
	s_add_co_i32 s10, s8, 1
	s_cmp_ge_u32 s9, s12
	s_cselect_b32 s18, s10, s8
	v_cmp_gt_u32_e32 vcc_lo, 0x100, v0
	v_lshlrev_b32_e32 v1, 2, v0
	s_and_saveexec_b32 s8, vcc_lo
	s_cbranch_execnz .LBB208_4
	s_branch .LBB208_5
.LBB208_17:
	s_lshl_b32 s23, s4, 8
.LBB208_18:
	s_bitcmp0_b32 s6, 0
	s_cbranch_scc1 .LBB208_23
; %bb.19:
	v_add_nc_u32_e32 v2, s23, v6
	s_mov_b32 s4, exec_lo
	s_delay_alu instid0(VALU_DEP_1)
	v_cmpx_gt_u32_e64 s25, v2
	s_cbranch_execz .LBB208_22
; %bb.20:
	v_mov_b32_e32 v3, 0
	s_delay_alu instid0(VALU_DEP_1) | instskip(NEXT) | instid1(VALU_DEP_1)
	v_mul_u64_e32 v[2:3], s[16:17], v[2:3]
	v_lshl_add_u64 v[2:3], v[2:3], 1, s[2:3]
	global_load_u16 v2, v[2:3], off
	s_wait_xcnt 0x0
	v_mov_b32_e32 v3, 0x8000
	s_wait_loadcnt 0x0
	v_cmp_lt_i16_e64 s0, -1, v2
	v_and_b32_e32 v4, 0xffff, v2
	s_delay_alu instid0(VALU_DEP_2) | instskip(SKIP_1) | instid1(VALU_DEP_2)
	v_cndmask_b32_e64 v3, 0xffff, v3, s0
	v_cmp_o_f16_e64 s0, v2, v2
	v_xor_b32_e32 v3, v3, v4
	s_delay_alu instid0(VALU_DEP_1) | instskip(NEXT) | instid1(VALU_DEP_1)
	v_cndmask_b32_e64 v2, 0xffff, v3, s0
	v_bitop3_b32 v3, v2, s7, s5 bitop3:0x48
	s_delay_alu instid0(VALU_DEP_1)
	v_cmp_eq_u32_e64 s0, 0, v3
	s_and_b32 exec_lo, exec_lo, s0
; %bb.21:
	v_bfe_u32 v2, v2, s1, 8
	s_delay_alu instid0(VALU_DEP_1)
	v_dual_mov_b32 v3, 1 :: v_dual_lshlrev_b32 v2, 2, v2
	ds_add_u32 v2, v3
.LBB208_22:
	s_or_b32 exec_lo, exec_lo, s4
.LBB208_23:
	s_wait_dscnt 0x0
	s_barrier_signal -1
	s_barrier_wait -1
	s_and_saveexec_b32 s0, vcc_lo
	s_cbranch_execz .LBB208_25
; %bb.24:
	ds_load_b32 v1, v1
	v_lshl_or_b32 v0, s24, 8, v0
	s_wait_dscnt 0x0
	global_store_b16 v0, v1, s[10:11] scale_offset
.LBB208_25:
	s_endpgm
	.section	.rodata,"a",@progbits
	.p2align	6, 0x0
	.amdhsa_kernel _ZN2at6native6mbtopk23computeBlockDigitCountsIN3c104HalfEmjLi3EEEvNS_4cuda6detail10TensorInfoIKT_T0_EEjPjjSA_iijT1_PSD_Ps
		.amdhsa_group_segment_fixed_size 1024
		.amdhsa_private_segment_fixed_size 0
		.amdhsa_kernarg_size 736
		.amdhsa_user_sgpr_count 2
		.amdhsa_user_sgpr_dispatch_ptr 0
		.amdhsa_user_sgpr_queue_ptr 0
		.amdhsa_user_sgpr_kernarg_segment_ptr 1
		.amdhsa_user_sgpr_dispatch_id 0
		.amdhsa_user_sgpr_kernarg_preload_length 0
		.amdhsa_user_sgpr_kernarg_preload_offset 0
		.amdhsa_user_sgpr_private_segment_size 0
		.amdhsa_wavefront_size32 1
		.amdhsa_uses_dynamic_stack 0
		.amdhsa_enable_private_segment 0
		.amdhsa_system_sgpr_workgroup_id_x 1
		.amdhsa_system_sgpr_workgroup_id_y 1
		.amdhsa_system_sgpr_workgroup_id_z 1
		.amdhsa_system_sgpr_workgroup_info 0
		.amdhsa_system_vgpr_workitem_id 0
		.amdhsa_next_free_vgpr 10
		.amdhsa_next_free_sgpr 38
		.amdhsa_named_barrier_count 0
		.amdhsa_reserve_vcc 1
		.amdhsa_float_round_mode_32 0
		.amdhsa_float_round_mode_16_64 0
		.amdhsa_float_denorm_mode_32 3
		.amdhsa_float_denorm_mode_16_64 3
		.amdhsa_fp16_overflow 0
		.amdhsa_memory_ordered 1
		.amdhsa_forward_progress 1
		.amdhsa_inst_pref_size 12
		.amdhsa_round_robin_scheduling 0
		.amdhsa_exception_fp_ieee_invalid_op 0
		.amdhsa_exception_fp_denorm_src 0
		.amdhsa_exception_fp_ieee_div_zero 0
		.amdhsa_exception_fp_ieee_overflow 0
		.amdhsa_exception_fp_ieee_underflow 0
		.amdhsa_exception_fp_ieee_inexact 0
		.amdhsa_exception_int_div_zero 0
	.end_amdhsa_kernel
	.section	.text._ZN2at6native6mbtopk23computeBlockDigitCountsIN3c104HalfEmjLi3EEEvNS_4cuda6detail10TensorInfoIKT_T0_EEjPjjSA_iijT1_PSD_Ps,"axG",@progbits,_ZN2at6native6mbtopk23computeBlockDigitCountsIN3c104HalfEmjLi3EEEvNS_4cuda6detail10TensorInfoIKT_T0_EEjPjjSA_iijT1_PSD_Ps,comdat
.Lfunc_end208:
	.size	_ZN2at6native6mbtopk23computeBlockDigitCountsIN3c104HalfEmjLi3EEEvNS_4cuda6detail10TensorInfoIKT_T0_EEjPjjSA_iijT1_PSD_Ps, .Lfunc_end208-_ZN2at6native6mbtopk23computeBlockDigitCountsIN3c104HalfEmjLi3EEEvNS_4cuda6detail10TensorInfoIKT_T0_EEjPjjSA_iijT1_PSD_Ps
                                        ; -- End function
	.set _ZN2at6native6mbtopk23computeBlockDigitCountsIN3c104HalfEmjLi3EEEvNS_4cuda6detail10TensorInfoIKT_T0_EEjPjjSA_iijT1_PSD_Ps.num_vgpr, 10
	.set _ZN2at6native6mbtopk23computeBlockDigitCountsIN3c104HalfEmjLi3EEEvNS_4cuda6detail10TensorInfoIKT_T0_EEjPjjSA_iijT1_PSD_Ps.num_agpr, 0
	.set _ZN2at6native6mbtopk23computeBlockDigitCountsIN3c104HalfEmjLi3EEEvNS_4cuda6detail10TensorInfoIKT_T0_EEjPjjSA_iijT1_PSD_Ps.numbered_sgpr, 38
	.set _ZN2at6native6mbtopk23computeBlockDigitCountsIN3c104HalfEmjLi3EEEvNS_4cuda6detail10TensorInfoIKT_T0_EEjPjjSA_iijT1_PSD_Ps.num_named_barrier, 0
	.set _ZN2at6native6mbtopk23computeBlockDigitCountsIN3c104HalfEmjLi3EEEvNS_4cuda6detail10TensorInfoIKT_T0_EEjPjjSA_iijT1_PSD_Ps.private_seg_size, 0
	.set _ZN2at6native6mbtopk23computeBlockDigitCountsIN3c104HalfEmjLi3EEEvNS_4cuda6detail10TensorInfoIKT_T0_EEjPjjSA_iijT1_PSD_Ps.uses_vcc, 1
	.set _ZN2at6native6mbtopk23computeBlockDigitCountsIN3c104HalfEmjLi3EEEvNS_4cuda6detail10TensorInfoIKT_T0_EEjPjjSA_iijT1_PSD_Ps.uses_flat_scratch, 0
	.set _ZN2at6native6mbtopk23computeBlockDigitCountsIN3c104HalfEmjLi3EEEvNS_4cuda6detail10TensorInfoIKT_T0_EEjPjjSA_iijT1_PSD_Ps.has_dyn_sized_stack, 0
	.set _ZN2at6native6mbtopk23computeBlockDigitCountsIN3c104HalfEmjLi3EEEvNS_4cuda6detail10TensorInfoIKT_T0_EEjPjjSA_iijT1_PSD_Ps.has_recursion, 0
	.set _ZN2at6native6mbtopk23computeBlockDigitCountsIN3c104HalfEmjLi3EEEvNS_4cuda6detail10TensorInfoIKT_T0_EEjPjjSA_iijT1_PSD_Ps.has_indirect_call, 0
	.section	.AMDGPU.csdata,"",@progbits
; Kernel info:
; codeLenInByte = 1524
; TotalNumSgprs: 40
; NumVgprs: 10
; ScratchSize: 0
; MemoryBound: 0
; FloatMode: 240
; IeeeMode: 1
; LDSByteSize: 1024 bytes/workgroup (compile time only)
; SGPRBlocks: 0
; VGPRBlocks: 0
; NumSGPRsForWavesPerEU: 40
; NumVGPRsForWavesPerEU: 10
; NamedBarCnt: 0
; Occupancy: 16
; WaveLimiterHint : 1
; COMPUTE_PGM_RSRC2:SCRATCH_EN: 0
; COMPUTE_PGM_RSRC2:USER_SGPR: 2
; COMPUTE_PGM_RSRC2:TRAP_HANDLER: 0
; COMPUTE_PGM_RSRC2:TGID_X_EN: 1
; COMPUTE_PGM_RSRC2:TGID_Y_EN: 1
; COMPUTE_PGM_RSRC2:TGID_Z_EN: 1
; COMPUTE_PGM_RSRC2:TIDIG_COMP_CNT: 0
	.section	.text._ZN2at6native6mbtopk10gatherTopKIN3c104HalfEmLi3EEEvNS_4cuda6detail10TensorInfoIKT_T0_EESA_SA_bjSA_NS7_IS8_SA_EESA_NS7_IlSA_EESA_jjPS8_PjSF_j,"axG",@progbits,_ZN2at6native6mbtopk10gatherTopKIN3c104HalfEmLi3EEEvNS_4cuda6detail10TensorInfoIKT_T0_EESA_SA_bjSA_NS7_IS8_SA_EESA_NS7_IlSA_EESA_jjPS8_PjSF_j,comdat
	.protected	_ZN2at6native6mbtopk10gatherTopKIN3c104HalfEmLi3EEEvNS_4cuda6detail10TensorInfoIKT_T0_EESA_SA_bjSA_NS7_IS8_SA_EESA_NS7_IlSA_EESA_jjPS8_PjSF_j ; -- Begin function _ZN2at6native6mbtopk10gatherTopKIN3c104HalfEmLi3EEEvNS_4cuda6detail10TensorInfoIKT_T0_EESA_SA_bjSA_NS7_IS8_SA_EESA_NS7_IlSA_EESA_jjPS8_PjSF_j
	.globl	_ZN2at6native6mbtopk10gatherTopKIN3c104HalfEmLi3EEEvNS_4cuda6detail10TensorInfoIKT_T0_EESA_SA_bjSA_NS7_IS8_SA_EESA_NS7_IlSA_EESA_jjPS8_PjSF_j
	.p2align	8
	.type	_ZN2at6native6mbtopk10gatherTopKIN3c104HalfEmLi3EEEvNS_4cuda6detail10TensorInfoIKT_T0_EESA_SA_bjSA_NS7_IS8_SA_EESA_NS7_IlSA_EESA_jjPS8_PjSF_j,@function
_ZN2at6native6mbtopk10gatherTopKIN3c104HalfEmLi3EEEvNS_4cuda6detail10TensorInfoIKT_T0_EESA_SA_bjSA_NS7_IS8_SA_EESA_NS7_IlSA_EESA_jjPS8_PjSF_j: ; @_ZN2at6native6mbtopk10gatherTopKIN3c104HalfEmLi3EEEvNS_4cuda6detail10TensorInfoIKT_T0_EESA_SA_bjSA_NS7_IS8_SA_EESA_NS7_IlSA_EESA_jjPS8_PjSF_j
; %bb.0:
	s_bfe_u32 s2, ttmp6, 0x40010
	s_and_b32 s4, ttmp7, 0xffff
	s_add_co_i32 s5, s2, 1
	s_clause 0x1
	s_load_b32 s6, s[0:1], 0x530
	s_load_b64 s[2:3], s[0:1], 0x538
	s_bfe_u32 s8, ttmp6, 0x4000c
	s_mul_i32 s5, s4, s5
	s_bfe_u32 s7, ttmp6, 0x40004
	s_add_co_i32 s8, s8, 1
	s_bfe_u32 s9, ttmp6, 0x40014
	s_add_co_i32 s7, s7, s5
	s_and_b32 s5, ttmp6, 15
	s_mul_i32 s8, ttmp9, s8
	s_lshr_b32 s10, ttmp7, 16
	s_add_co_i32 s9, s9, 1
	s_add_co_i32 s5, s5, s8
	s_mul_i32 s8, s10, s9
	s_bfe_u32 s9, ttmp6, 0x40008
	s_getreg_b32 s11, hwreg(HW_REG_IB_STS2, 6, 4)
	s_add_co_i32 s9, s9, s8
	s_cmp_eq_u32 s11, 0
	s_cselect_b32 s8, s10, s9
	s_cselect_b32 s4, s4, s7
	s_wait_kmcnt 0x0
	s_mul_i32 s3, s3, s8
	s_cselect_b32 s5, ttmp9, s5
	s_add_co_i32 s3, s3, s4
	s_delay_alu instid0(SALU_CYCLE_1) | instskip(NEXT) | instid1(SALU_CYCLE_1)
	s_mul_i32 s2, s3, s2
	s_add_co_i32 s2, s2, s5
	s_delay_alu instid0(SALU_CYCLE_1)
	s_cmp_ge_u32 s2, s6
	s_cbranch_scc1 .LBB209_54
; %bb.1:
	s_load_b64 s[34:35], s[0:1], 0x510
	s_wait_kmcnt 0x0
	s_cvt_f32_u32 s3, s35
	s_sub_co_i32 s4, 0, s35
	s_lshl_b32 s33, s34, 8
	s_delay_alu instid0(SALU_CYCLE_1) | instskip(SKIP_1) | instid1(TRANS32_DEP_1)
	v_rcp_iflag_f32_e32 v1, s3
	v_nop
	v_readfirstlane_b32 s3, v1
	s_mul_f32 s3, s3, 0x4f7ffffe
	s_delay_alu instid0(SALU_CYCLE_3) | instskip(NEXT) | instid1(SALU_CYCLE_3)
	s_cvt_u32_f32 s3, s3
	s_mul_i32 s4, s4, s3
	s_delay_alu instid0(SALU_CYCLE_1) | instskip(NEXT) | instid1(SALU_CYCLE_1)
	s_mul_hi_u32 s4, s3, s4
	s_add_co_i32 s3, s3, s4
	s_clause 0x1
	s_load_b128 s[4:7], s[0:1], 0x1a0
	s_load_b128 s[8:11], s[0:1], 0x10
	s_mul_hi_u32 s3, s2, s3
	s_delay_alu instid0(SALU_CYCLE_1) | instskip(SKIP_2) | instid1(SALU_CYCLE_1)
	s_mul_i32 s12, s3, s35
	s_add_co_i32 s13, s3, 1
	s_sub_co_i32 s12, s2, s12
	s_sub_co_i32 s14, s12, s35
	s_cmp_ge_u32 s12, s35
	s_cselect_b32 s3, s13, s3
	s_cselect_b32 s12, s14, s12
	s_add_co_i32 s13, s3, 1
	s_cmp_ge_u32 s12, s35
	s_cselect_b32 s44, s13, s3
	s_delay_alu instid0(SALU_CYCLE_1) | instskip(NEXT) | instid1(SALU_CYCLE_1)
	s_mul_i32 s50, s44, s35
	s_sub_co_i32 s72, s2, s50
	s_delay_alu instid0(SALU_CYCLE_1) | instskip(NEXT) | instid1(SALU_CYCLE_1)
	s_add_co_i32 s2, s72, 1
	s_cmp_lt_u32 s2, s35
	s_cbranch_scc1 .LBB209_3
; %bb.2:
	s_mul_i32 s2, s72, s33
	s_mov_b32 s3, 0
	s_wait_kmcnt 0x0
	s_sub_nc_u64 s[12:13], s[4:5], s[2:3]
	s_delay_alu instid0(SALU_CYCLE_1) | instskip(NEXT) | instid1(SALU_CYCLE_1)
	s_add_nc_u64 s[12:13], s[12:13], 0xff
	s_ashr_i32 s2, s13, 31
	s_delay_alu instid0(SALU_CYCLE_1) | instskip(NEXT) | instid1(SALU_CYCLE_1)
	s_lshr_b32 s2, s2, 24
	s_add_nc_u64 s[2:3], s[12:13], s[2:3]
	s_delay_alu instid0(SALU_CYCLE_1) | instskip(NEXT) | instid1(SALU_CYCLE_1)
	s_lshr_b64 s[2:3], s[2:3], 8
	s_mov_b32 s34, s2
.LBB209_3:
	s_mov_b32 s45, 0
	s_mov_b64 s[46:47], 0
	s_wait_kmcnt 0x0
	v_cmp_lt_u64_e64 s2, s[44:45], s[10:11]
	s_mov_b64 s[48:49], 0
	s_and_b32 vcc_lo, exec_lo, s2
	s_cbranch_vccnz .LBB209_5
; %bb.4:
	v_cvt_f32_u32_e32 v1, s10
	s_sub_co_i32 s3, 0, s10
	s_mov_b32 s49, s45
	s_delay_alu instid0(VALU_DEP_1) | instskip(SKIP_1) | instid1(TRANS32_DEP_1)
	v_rcp_iflag_f32_e32 v1, v1
	v_nop
	v_mul_f32_e32 v1, 0x4f7ffffe, v1
	s_delay_alu instid0(VALU_DEP_1) | instskip(NEXT) | instid1(VALU_DEP_1)
	v_cvt_u32_f32_e32 v1, v1
	v_readfirstlane_b32 s2, v1
	s_mul_i32 s3, s3, s2
	s_delay_alu instid0(SALU_CYCLE_1) | instskip(NEXT) | instid1(SALU_CYCLE_1)
	s_mul_hi_u32 s3, s2, s3
	s_add_co_i32 s2, s2, s3
	s_delay_alu instid0(SALU_CYCLE_1) | instskip(NEXT) | instid1(SALU_CYCLE_1)
	s_mul_hi_u32 s2, s44, s2
	s_mul_i32 s3, s2, s10
	s_add_co_i32 s12, s2, 1
	s_sub_co_i32 s3, s44, s3
	s_delay_alu instid0(SALU_CYCLE_1)
	s_sub_co_i32 s13, s3, s10
	s_cmp_ge_u32 s3, s10
	s_cselect_b32 s2, s12, s2
	s_cselect_b32 s3, s13, s3
	s_add_co_i32 s12, s2, 1
	s_cmp_ge_u32 s3, s10
	s_cselect_b32 s48, s12, s2
.LBB209_5:
	s_load_b128 s[20:23], s[0:1], 0x1d0
	v_cmp_lt_u64_e64 s2, s[48:49], s[8:9]
	s_and_b32 vcc_lo, exec_lo, s2
	s_cbranch_vccnz .LBB209_7
; %bb.6:
	v_cvt_f32_u32_e32 v1, s8
	s_sub_co_i32 s3, 0, s8
	s_mov_b32 s47, 0
	s_delay_alu instid0(VALU_DEP_1) | instskip(SKIP_1) | instid1(TRANS32_DEP_1)
	v_rcp_iflag_f32_e32 v1, v1
	v_nop
	v_mul_f32_e32 v1, 0x4f7ffffe, v1
	s_delay_alu instid0(VALU_DEP_1) | instskip(NEXT) | instid1(VALU_DEP_1)
	v_cvt_u32_f32_e32 v1, v1
	v_readfirstlane_b32 s2, v1
	s_mul_i32 s3, s3, s2
	s_delay_alu instid0(SALU_CYCLE_1) | instskip(NEXT) | instid1(SALU_CYCLE_1)
	s_mul_hi_u32 s3, s2, s3
	s_add_co_i32 s2, s2, s3
	s_delay_alu instid0(SALU_CYCLE_1) | instskip(NEXT) | instid1(SALU_CYCLE_1)
	s_mul_hi_u32 s2, s48, s2
	s_mul_i32 s3, s2, s8
	s_add_co_i32 s12, s2, 1
	s_sub_co_i32 s3, s48, s3
	s_delay_alu instid0(SALU_CYCLE_1)
	s_sub_co_i32 s13, s3, s8
	s_cmp_ge_u32 s3, s8
	s_cselect_b32 s2, s12, s2
	s_cselect_b32 s3, s13, s3
	s_add_co_i32 s12, s2, 1
	s_cmp_ge_u32 s3, s8
	s_cselect_b32 s46, s12, s2
.LBB209_7:
	s_wait_kmcnt 0x0
	v_cmp_lt_u64_e64 s2, s[44:45], s[22:23]
	s_mov_b64 s[54:55], 0
	s_mov_b64 s[52:53], 0
	s_and_b32 vcc_lo, exec_lo, s2
	s_cbranch_vccnz .LBB209_9
; %bb.8:
	v_cvt_f32_u32_e32 v1, s22
	s_sub_co_i32 s3, 0, s22
	s_mov_b32 s53, 0
	s_delay_alu instid0(VALU_DEP_1) | instskip(SKIP_1) | instid1(TRANS32_DEP_1)
	v_rcp_iflag_f32_e32 v1, v1
	v_nop
	v_mul_f32_e32 v1, 0x4f7ffffe, v1
	s_delay_alu instid0(VALU_DEP_1) | instskip(NEXT) | instid1(VALU_DEP_1)
	v_cvt_u32_f32_e32 v1, v1
	v_readfirstlane_b32 s2, v1
	s_mul_i32 s3, s3, s2
	s_delay_alu instid0(SALU_CYCLE_1) | instskip(NEXT) | instid1(SALU_CYCLE_1)
	s_mul_hi_u32 s3, s2, s3
	s_add_co_i32 s2, s2, s3
	s_delay_alu instid0(SALU_CYCLE_1) | instskip(NEXT) | instid1(SALU_CYCLE_1)
	s_mul_hi_u32 s2, s44, s2
	s_mul_i32 s3, s2, s22
	s_add_co_i32 s12, s2, 1
	s_sub_co_i32 s3, s44, s3
	s_delay_alu instid0(SALU_CYCLE_1)
	s_sub_co_i32 s13, s3, s22
	s_cmp_ge_u32 s3, s22
	s_cselect_b32 s2, s12, s2
	s_cselect_b32 s3, s13, s3
	s_add_co_i32 s12, s2, 1
	s_cmp_ge_u32 s3, s22
	s_cselect_b32 s52, s12, s2
.LBB209_9:
	s_load_b128 s[24:27], s[0:1], 0x378
	v_cmp_lt_u64_e64 s2, s[52:53], s[20:21]
	s_and_b32 vcc_lo, exec_lo, s2
	s_cbranch_vccnz .LBB209_11
; %bb.10:
	v_cvt_f32_u32_e32 v1, s20
	s_sub_co_i32 s3, 0, s20
	s_mov_b32 s55, 0
	s_delay_alu instid0(VALU_DEP_1) | instskip(SKIP_1) | instid1(TRANS32_DEP_1)
	v_rcp_iflag_f32_e32 v1, v1
	v_nop
	v_mul_f32_e32 v1, 0x4f7ffffe, v1
	s_delay_alu instid0(VALU_DEP_1) | instskip(NEXT) | instid1(VALU_DEP_1)
	v_cvt_u32_f32_e32 v1, v1
	v_readfirstlane_b32 s2, v1
	s_mul_i32 s3, s3, s2
	s_delay_alu instid0(SALU_CYCLE_1) | instskip(NEXT) | instid1(SALU_CYCLE_1)
	s_mul_hi_u32 s3, s2, s3
	s_add_co_i32 s2, s2, s3
	s_delay_alu instid0(SALU_CYCLE_1) | instskip(NEXT) | instid1(SALU_CYCLE_1)
	s_mul_hi_u32 s2, s52, s2
	s_mul_i32 s3, s2, s20
	s_add_co_i32 s12, s2, 1
	s_sub_co_i32 s3, s52, s3
	s_delay_alu instid0(SALU_CYCLE_1)
	s_sub_co_i32 s13, s3, s20
	s_cmp_ge_u32 s3, s20
	s_cselect_b32 s2, s12, s2
	s_cselect_b32 s3, s13, s3
	s_add_co_i32 s12, s2, 1
	s_cmp_ge_u32 s3, s20
	s_cselect_b32 s54, s12, s2
.LBB209_11:
	s_wait_kmcnt 0x0
	v_cmp_lt_u64_e64 s2, s[44:45], s[26:27]
	s_mov_b64 s[56:57], 0
	s_mov_b64 s[58:59], 0
	s_and_b32 vcc_lo, exec_lo, s2
	s_cbranch_vccnz .LBB209_13
; %bb.12:
	v_cvt_f32_u32_e32 v1, s26
	s_sub_co_i32 s3, 0, s26
	s_mov_b32 s59, 0
	s_delay_alu instid0(VALU_DEP_1) | instskip(SKIP_1) | instid1(TRANS32_DEP_1)
	v_rcp_iflag_f32_e32 v1, v1
	v_nop
	v_mul_f32_e32 v1, 0x4f7ffffe, v1
	s_delay_alu instid0(VALU_DEP_1) | instskip(NEXT) | instid1(VALU_DEP_1)
	v_cvt_u32_f32_e32 v1, v1
	v_readfirstlane_b32 s2, v1
	s_mul_i32 s3, s3, s2
	s_delay_alu instid0(SALU_CYCLE_1) | instskip(NEXT) | instid1(SALU_CYCLE_1)
	s_mul_hi_u32 s3, s2, s3
	s_add_co_i32 s2, s2, s3
	s_delay_alu instid0(SALU_CYCLE_1) | instskip(NEXT) | instid1(SALU_CYCLE_1)
	s_mul_hi_u32 s2, s44, s2
	s_mul_i32 s3, s2, s26
	s_add_co_i32 s12, s2, 1
	s_sub_co_i32 s3, s44, s3
	s_delay_alu instid0(SALU_CYCLE_1)
	s_sub_co_i32 s13, s3, s26
	s_cmp_ge_u32 s3, s26
	s_cselect_b32 s2, s12, s2
	s_cselect_b32 s3, s13, s3
	s_add_co_i32 s12, s2, 1
	s_cmp_ge_u32 s3, s26
	s_cselect_b32 s58, s12, s2
.LBB209_13:
	s_clause 0x5
	s_load_b64 s[60:61], s[0:1], 0xe0
	s_load_b128 s[36:39], s[0:1], 0xd0
	s_load_b64 s[62:63], s[0:1], 0x2a0
	s_load_b128 s[40:43], s[0:1], 0x290
	;; [unrolled: 2-line block ×3, first 2 shown]
	v_cmp_lt_u64_e64 s2, s[58:59], s[24:25]
	s_and_b32 vcc_lo, exec_lo, s2
	s_cbranch_vccnz .LBB209_15
; %bb.14:
	v_cvt_f32_u32_e32 v1, s24
	s_sub_co_i32 s3, 0, s24
	s_mov_b32 s57, 0
	s_delay_alu instid0(VALU_DEP_1) | instskip(SKIP_1) | instid1(TRANS32_DEP_1)
	v_rcp_iflag_f32_e32 v1, v1
	v_nop
	v_mul_f32_e32 v1, 0x4f7ffffe, v1
	s_delay_alu instid0(VALU_DEP_1) | instskip(NEXT) | instid1(VALU_DEP_1)
	v_cvt_u32_f32_e32 v1, v1
	v_readfirstlane_b32 s2, v1
	s_mul_i32 s3, s3, s2
	s_delay_alu instid0(SALU_CYCLE_1) | instskip(NEXT) | instid1(SALU_CYCLE_1)
	s_mul_hi_u32 s3, s2, s3
	s_add_co_i32 s2, s2, s3
	s_delay_alu instid0(SALU_CYCLE_1) | instskip(NEXT) | instid1(SALU_CYCLE_1)
	s_mul_hi_u32 s2, s58, s2
	s_mul_i32 s3, s2, s24
	s_add_co_i32 s12, s2, 1
	s_sub_co_i32 s3, s58, s3
	s_delay_alu instid0(SALU_CYCLE_1)
	s_sub_co_i32 s13, s3, s24
	s_cmp_ge_u32 s3, s24
	s_cselect_b32 s2, s12, s2
	s_cselect_b32 s3, s13, s3
	s_add_co_i32 s12, s2, 1
	s_cmp_ge_u32 s3, s24
	s_cselect_b32 s56, s12, s2
.LBB209_15:
	s_load_b128 s[12:15], s[0:1], 0x518
	v_mov_b32_e32 v1, 0
	s_lshl_b64 s[2:3], s[44:45], 1
	s_mov_b32 s51, 0
	s_wait_kmcnt 0x0
	s_add_nc_u64 s[2:3], s[12:13], s[2:3]
	global_load_u16 v1, v1, s[2:3]
	s_wait_xcnt 0x0
	v_cmp_ne_u32_e64 s2, 0, v0
	v_cmp_eq_u32_e64 s3, 0, v0
	s_wait_loadcnt 0x0
	v_readfirstlane_b32 s73, v1
	s_and_saveexec_b32 s74, s3
	s_cbranch_execz .LBB209_31
; %bb.16:
	s_load_b64 s[66:67], s[0:1], 0x528
	s_lshl_b64 s[68:69], s[50:51], 2
	s_cmp_lt_u32 s35, 4
	s_cbranch_scc1 .LBB209_28
; %bb.17:
	s_mov_b64 s[12:13], 0
	s_mov_b32 s50, 0
.LBB209_18:                             ; =>This Inner Loop Header: Depth=1
	s_add_nc_u64 s[70:71], s[14:15], s[68:69]
	s_cmp_ge_u32 s50, s72
	s_load_b128 s[16:19], s[70:71], 0x0
	s_wait_kmcnt 0x0
	s_add_nc_u64 s[70:71], s[66:67], s[68:69]
	s_cbranch_scc0 .LBB209_25
; %bb.19:                               ;   in Loop: Header=BB209_18 Depth=1
	s_add_co_i32 s75, s50, 1
	s_delay_alu instid0(SALU_CYCLE_1)
	s_cmp_ge_u32 s75, s72
	s_cbranch_scc0 .LBB209_26
.LBB209_20:                             ;   in Loop: Header=BB209_18 Depth=1
	s_add_co_i32 s75, s75, 1
	s_delay_alu instid0(SALU_CYCLE_1)
	s_cmp_ge_u32 s75, s72
	s_cbranch_scc0 .LBB209_27
.LBB209_21:                             ;   in Loop: Header=BB209_18 Depth=1
	s_add_co_i32 s75, s75, 1
	s_delay_alu instid0(SALU_CYCLE_1)
	s_cmp_ge_u32 s75, s72
	s_cbranch_scc1 .LBB209_23
.LBB209_22:                             ;   in Loop: Header=BB209_18 Depth=1
	s_load_b32 s70, s[70:71], 0xc
	s_add_co_i32 s13, s19, s13
	s_wait_kmcnt 0x0
	s_add_co_i32 s12, s70, s12
.LBB209_23:                             ;   in Loop: Header=BB209_18 Depth=1
	s_add_co_i32 s16, s16, s51
	s_add_nc_u64 s[14:15], s[14:15], 16
	s_add_co_i32 s16, s16, s17
	s_add_co_i32 s17, s75, 4
	;; [unrolled: 1-line block ×3, first 2 shown]
	s_add_nc_u64 s[66:67], s[66:67], 16
	s_add_co_i32 s51, s16, s19
	s_add_co_i32 s16, s75, 1
	s_cmp_ge_u32 s17, s35
	s_cbranch_scc1 .LBB209_29
; %bb.24:                               ;   in Loop: Header=BB209_18 Depth=1
	s_mov_b32 s50, s16
	s_branch .LBB209_18
.LBB209_25:                             ;   in Loop: Header=BB209_18 Depth=1
	s_load_b32 s75, s[70:71], 0x0
	s_add_co_i32 s13, s16, s13
	s_wait_kmcnt 0x0
	s_add_co_i32 s12, s75, s12
	s_add_co_i32 s75, s50, 1
	s_delay_alu instid0(SALU_CYCLE_1)
	s_cmp_ge_u32 s75, s72
	s_cbranch_scc1 .LBB209_20
.LBB209_26:                             ;   in Loop: Header=BB209_18 Depth=1
	s_load_b32 s76, s[70:71], 0x4
	s_add_co_i32 s13, s17, s13
	s_wait_kmcnt 0x0
	s_add_co_i32 s12, s76, s12
	s_add_co_i32 s75, s75, 1
	s_delay_alu instid0(SALU_CYCLE_1)
	s_cmp_ge_u32 s75, s72
	s_cbranch_scc1 .LBB209_21
.LBB209_27:                             ;   in Loop: Header=BB209_18 Depth=1
	s_load_b32 s76, s[70:71], 0x8
	s_add_co_i32 s13, s18, s13
	s_wait_kmcnt 0x0
	s_add_co_i32 s12, s76, s12
	s_add_co_i32 s75, s75, 1
	s_delay_alu instid0(SALU_CYCLE_1)
	s_cmp_ge_u32 s75, s72
	s_cbranch_scc0 .LBB209_22
	s_branch .LBB209_23
.LBB209_28:
	s_mov_b64 s[12:13], 0
	s_add_nc_u64 s[14:15], s[14:15], s[68:69]
	s_wait_kmcnt 0x0
	s_add_nc_u64 s[16:17], s[66:67], s[68:69]
	s_mov_b32 s18, 0
	s_delay_alu instid0(SALU_CYCLE_1)
	s_cmp_ge_u32 s18, s35
	s_cbranch_scc0 .LBB209_52
	s_branch .LBB209_30
.LBB209_29:
	s_add_co_i32 s18, s50, 4
	s_add_nc_u64 s[16:17], s[66:67], s[68:69]
	s_add_nc_u64 s[14:15], s[14:15], s[68:69]
	s_cmp_ge_u32 s18, s35
	s_cbranch_scc0 .LBB209_52
.LBB209_30:
	v_dual_mov_b32 v2, s12 :: v_dual_mov_b32 v3, s51
	v_dual_mov_b32 v4, s13 :: v_dual_mov_b32 v1, 0
	ds_store_b96 v1, v[2:4] offset:1056
.LBB209_31:
	s_or_b32 exec_lo, exec_lo, s74
	s_clause 0x2
	s_load_b128 s[12:15], s[0:1], 0x360
	s_load_b128 s[16:19], s[0:1], 0x1b8
	s_load_b64 s[50:51], s[0:1], 0x0
	s_cmp_eq_u32 s34, 0
	s_wait_dscnt 0x0
	s_barrier_signal -1
	s_barrier_wait -1
	s_cbranch_scc1 .LBB209_54
; %bb.32:
	s_mul_u64 s[8:9], s[46:47], s[8:9]
	s_mul_u64 s[36:37], s[46:47], s[36:37]
	s_sub_nc_u64 s[8:9], s[48:49], s[8:9]
	s_mul_u64 s[24:25], s[56:57], s[24:25]
	s_mul_u64 s[20:21], s[54:55], s[20:21]
	;; [unrolled: 1-line block ×4, first 2 shown]
	s_sub_nc_u64 s[24:25], s[58:59], s[24:25]
	s_lshl_b64 s[36:37], s[36:37], 1
	s_sub_nc_u64 s[20:21], s[52:53], s[20:21]
	s_mul_u64 s[40:41], s[54:55], s[40:41]
	s_sub_nc_u64 s[10:11], s[44:45], s[10:11]
	s_mul_u64 s[24:25], s[24:25], s[30:31]
	s_wait_kmcnt 0x0
	s_add_nc_u64 s[30:31], s[50:51], s[36:37]
	s_lshl_b64 s[8:9], s[8:9], 1
	s_mul_u64 s[22:23], s[52:53], s[22:23]
	s_mul_u64 s[20:21], s[20:21], s[42:43]
	;; [unrolled: 1-line block ×3, first 2 shown]
	s_add_nc_u64 s[8:9], s[30:31], s[8:9]
	s_lshl_b64 s[30:31], s[40:41], 1
	v_dual_mov_b32 v1, 0 :: v_dual_lshrrev_b32 v5, 3, v0
	s_mul_u64 s[26:27], s[58:59], s[26:27]
	s_sub_nc_u64 s[22:23], s[44:45], s[22:23]
	s_mul_u64 s[28:29], s[56:57], s[28:29]
	s_lshl_b64 s[10:11], s[10:11], 1
	s_add_nc_u64 s[18:19], s[18:19], s[30:31]
	s_lshl_b64 s[20:21], s[20:21], 1
	s_sub_nc_u64 s[26:27], s[44:45], s[26:27]
	s_mul_u64 s[22:23], s[22:23], s[62:63]
	s_add_nc_u64 s[8:9], s[8:9], s[10:11]
	s_add_nc_u64 s[10:11], s[18:19], s[20:21]
	s_lshl_b64 s[20:21], s[28:29], 3
	s_mul_u64 s[26:27], s[26:27], s[64:65]
	s_lshl_b64 s[18:19], s[22:23], 1
	ds_load_b96 v[2:4], v1 offset:1056
	s_add_nc_u64 s[14:15], s[14:15], s[20:21]
	s_sext_i32_i16 s20, s73
	s_add_nc_u64 s[10:11], s[10:11], s[18:19]
	s_lshl_b64 s[18:19], s[24:25], 3
	s_lshl_b64 s[22:23], s[26:27], 3
	s_and_b32 s21, 0xffff, s73
	s_cmp_gt_i32 s20, -1
	s_mov_b32 s20, 0x8000
	s_add_nc_u64 s[18:19], s[14:15], s[18:19]
	s_cselect_b32 s14, s20, 0xffff
	v_dual_add_nc_u32 v6, -1, v0 :: v_dual_bitop2_b32 v5, 28, v5 bitop3:0x40
	s_xor_b32 s20, s14, s21
	s_clause 0x1
	s_load_b32 s21, s[0:1], 0x1b0
	s_load_b64 s[14:15], s[0:1], 0x508
	v_lshrrev_b32_e32 v7, 3, v6
	v_lshl_add_u32 v5, v0, 2, v5
	v_lshlrev_b32_e32 v10, 5, v0
	s_wait_xcnt 0x0
	v_cmp_gt_u32_e64 s0, 32, v0
	s_wait_dscnt 0x0
	v_add_nc_u32_e32 v2, v2, v3
	v_and_b32_e32 v3, 0xfc, v0
	v_mad_u32 v0, s72, s33, v0
	v_and_b32_e32 v7, 0x1ffffffc, v7
	v_mbcnt_lo_u32_b32 v8, -1, 0
	s_cmp_o_f16 s73, s73
	v_add_nc_u32_e32 v10, v3, v10
	v_mov_b32_e32 v14, 0x8000
	v_lshl_add_u32 v9, v6, 2, v7
	v_and_b32_e32 v11, 15, v8
	v_bfe_i32 v12, v8, 4, 1
	v_add_nc_u32_e32 v13, -1, v8
	s_cselect_b32 s20, s20, 0xffff
	s_add_nc_u64 s[18:19], s[18:19], s[22:23]
	s_wait_kmcnt 0x0
	s_bitcmp1_b32 s21, 0
                                        ; implicit-def: $vgpr15
	s_cselect_b32 s1, -1, 0
	s_branch .LBB209_35
.LBB209_33:                             ;   in Loop: Header=BB209_35 Depth=1
	s_wait_xcnt 0x0
	s_or_b32 exec_lo, exec_lo, s21
	v_add_nc_u32_e32 v2, v3, v2
.LBB209_34:                             ;   in Loop: Header=BB209_35 Depth=1
	v_add_nc_u32_e32 v4, v16, v4
	v_add_nc_u32_e32 v0, 0x100, v0
	s_add_co_i32 s34, s34, -1
	s_delay_alu instid0(SALU_CYCLE_1)
	s_cmp_lg_u32 s34, 0
	s_cbranch_scc0 .LBB209_54
.LBB209_35:                             ; =>This Inner Loop Header: Depth=1
	v_dual_mov_b32 v3, v1 :: v_dual_mov_b32 v6, v1
	s_mov_b32 s21, exec_lo
	v_cmpx_gt_u64_e64 s[4:5], v[0:1]
	s_cbranch_execz .LBB209_37
; %bb.36:                               ;   in Loop: Header=BB209_35 Depth=1
	v_mul_u64_e32 v[6:7], s[16:17], v[0:1]
	s_delay_alu instid0(VALU_DEP_1)
	v_lshl_add_u64 v[6:7], v[6:7], 1, s[8:9]
	global_load_u16 v15, v[6:7], off
	s_wait_loadcnt 0x0
	v_cmp_lt_i16_e32 vcc_lo, -1, v15
	v_and_b32_e32 v3, 0xffff, v15
	s_wait_xcnt 0x0
	v_cndmask_b32_e32 v6, 0xffff, v14, vcc_lo
	v_cmp_o_f16_e32 vcc_lo, v15, v15
	s_delay_alu instid0(VALU_DEP_2) | instskip(NEXT) | instid1(VALU_DEP_1)
	v_xor_b32_e32 v3, v6, v3
	v_cndmask_b32_e32 v6, 0xffff, v3, vcc_lo
	s_delay_alu instid0(VALU_DEP_1) | instskip(SKIP_4) | instid1(VALU_DEP_2)
	v_cmp_lt_u32_e32 vcc_lo, s20, v6
	v_cndmask_b32_e64 v3, 0, 1, vcc_lo
	v_cmp_gt_u32_e32 vcc_lo, s20, v6
	v_cndmask_b32_e64 v7, 0, 1, vcc_lo
	v_cmp_eq_u32_e32 vcc_lo, s20, v6
	v_cndmask_b32_e64 v3, v7, v3, s1
	v_cndmask_b32_e64 v6, 0, 1, vcc_lo
	s_delay_alu instid0(VALU_DEP_2)
	v_and_b32_e32 v3, 1, v3
.LBB209_37:                             ;   in Loop: Header=BB209_35 Depth=1
	s_or_b32 exec_lo, exec_lo, s21
	ds_store_b32 v5, v3
	s_wait_dscnt 0x0
	s_barrier_signal -1
	s_barrier_wait -1
	s_and_saveexec_b32 s21, s0
	s_cbranch_execz .LBB209_39
; %bb.38:                               ;   in Loop: Header=BB209_35 Depth=1
	ds_load_2addr_b32 v[16:17], v10 offset1:1
	ds_load_2addr_b32 v[18:19], v10 offset0:2 offset1:3
	ds_load_2addr_b32 v[20:21], v10 offset0:4 offset1:5
	;; [unrolled: 1-line block ×3, first 2 shown]
	v_cmp_ne_u32_e32 vcc_lo, 0, v11
	; wave barrier
	s_wait_dscnt 0x3
	v_add_nc_u32_e32 v7, v17, v16
	s_wait_dscnt 0x2
	s_delay_alu instid0(VALU_DEP_1) | instskip(SKIP_1) | instid1(VALU_DEP_1)
	v_add3_u32 v7, v7, v18, v19
	s_wait_dscnt 0x1
	v_add3_u32 v7, v7, v20, v21
	s_wait_dscnt 0x0
	s_delay_alu instid0(VALU_DEP_1) | instskip(NEXT) | instid1(VALU_DEP_1)
	v_add3_u32 v7, v7, v22, v23
	v_mov_b32_dpp v17, v7 row_shr:1 row_mask:0xf bank_mask:0xf
	s_delay_alu instid0(VALU_DEP_1) | instskip(SKIP_1) | instid1(VALU_DEP_2)
	v_cndmask_b32_e32 v17, 0, v17, vcc_lo
	v_cmp_lt_u32_e32 vcc_lo, 1, v11
	v_add_nc_u32_e32 v7, v17, v7
	s_delay_alu instid0(VALU_DEP_1) | instskip(NEXT) | instid1(VALU_DEP_1)
	v_mov_b32_dpp v17, v7 row_shr:2 row_mask:0xf bank_mask:0xf
	v_cndmask_b32_e32 v17, 0, v17, vcc_lo
	v_cmp_lt_u32_e32 vcc_lo, 3, v11
	s_delay_alu instid0(VALU_DEP_2) | instskip(NEXT) | instid1(VALU_DEP_1)
	v_add_nc_u32_e32 v7, v7, v17
	v_mov_b32_dpp v17, v7 row_shr:4 row_mask:0xf bank_mask:0xf
	s_delay_alu instid0(VALU_DEP_1) | instskip(SKIP_1) | instid1(VALU_DEP_2)
	v_cndmask_b32_e32 v17, 0, v17, vcc_lo
	v_cmp_lt_u32_e32 vcc_lo, 7, v11
	v_add_nc_u32_e32 v7, v7, v17
	s_delay_alu instid0(VALU_DEP_1) | instskip(NEXT) | instid1(VALU_DEP_1)
	v_mov_b32_dpp v17, v7 row_shr:8 row_mask:0xf bank_mask:0xf
	v_cndmask_b32_e32 v17, 0, v17, vcc_lo
	v_cmp_gt_i32_e32 vcc_lo, 0, v13
	s_delay_alu instid0(VALU_DEP_2) | instskip(SKIP_3) | instid1(VALU_DEP_1)
	v_dual_cndmask_b32 v18, v13, v8 :: v_dual_add_nc_u32 v7, v7, v17
	ds_swizzle_b32 v17, v7 offset:swizzle(BROADCAST,32,15)
	s_wait_dscnt 0x0
	v_dual_lshlrev_b32 v18, 2, v18 :: v_dual_bitop2_b32 v17, v12, v17 bitop3:0x40
	v_add_nc_u32_e32 v7, v7, v17
	ds_bpermute_b32 v7, v18, v7
	s_wait_dscnt 0x0
	v_add_nc_u32_e32 v7, v7, v16
	s_delay_alu instid0(VALU_DEP_1)
	v_cndmask_b32_e64 v7, v7, v3, s3
	ds_store_b32 v10, v7
	; wave barrier
	ds_load_2addr_b32 v[16:17], v10 offset0:1 offset1:2
	ds_load_2addr_b32 v[18:19], v10 offset0:3 offset1:4
	;; [unrolled: 1-line block ×3, first 2 shown]
	ds_load_b32 v22, v10 offset:28
	s_wait_dscnt 0x3
	v_add_nc_u32_e32 v7, v16, v7
	s_delay_alu instid0(VALU_DEP_1) | instskip(SKIP_1) | instid1(VALU_DEP_1)
	v_add_nc_u32_e32 v16, v17, v7
	s_wait_dscnt 0x2
	v_add_nc_u32_e32 v17, v18, v16
	s_delay_alu instid0(VALU_DEP_1) | instskip(SKIP_1) | instid1(VALU_DEP_1)
	v_add_nc_u32_e32 v18, v19, v17
	;; [unrolled: 4-line block ×3, first 2 shown]
	s_wait_dscnt 0x0
	v_add_nc_u32_e32 v21, v22, v20
	ds_store_2addr_b32 v10, v7, v16 offset0:1 offset1:2
	ds_store_2addr_b32 v10, v17, v18 offset0:3 offset1:4
	ds_store_2addr_b32 v10, v19, v20 offset0:5 offset1:6
	ds_store_b32 v10, v21 offset:28
.LBB209_39:                             ;   in Loop: Header=BB209_35 Depth=1
	s_or_b32 exec_lo, exec_lo, s21
	v_mov_b32_e32 v7, 0
	s_wait_dscnt 0x0
	s_barrier_signal -1
	s_barrier_wait -1
	s_and_saveexec_b32 s21, s2
; %bb.40:                               ;   in Loop: Header=BB209_35 Depth=1
	ds_load_b32 v7, v9
; %bb.41:                               ;   in Loop: Header=BB209_35 Depth=1
	s_or_b32 exec_lo, exec_lo, s21
	ds_load_b32 v16, v1 offset:1048
	s_mov_b32 s21, exec_lo
	s_wait_dscnt 0x0
	s_barrier_signal -1
	s_barrier_wait -1
	v_cmpx_ne_u32_e32 0, v3
	s_cbranch_execz .LBB209_43
; %bb.42:                               ;   in Loop: Header=BB209_35 Depth=1
	v_dual_mov_b32 v19, v1 :: v_dual_add_nc_u32 v18, v7, v4
	s_delay_alu instid0(VALU_DEP_1) | instskip(SKIP_1) | instid1(VALU_DEP_2)
	v_mul_u64_e32 v[20:21], s[12:13], v[18:19]
	v_mul_u64_e32 v[18:19], s[14:15], v[18:19]
	v_lshl_add_u64 v[20:21], v[20:21], 1, s[10:11]
	s_delay_alu instid0(VALU_DEP_2)
	v_lshl_add_u64 v[18:19], v[18:19], 3, s[18:19]
	global_store_b16 v[20:21], v15, off
	global_store_b64 v[18:19], v[0:1], off
.LBB209_43:                             ;   in Loop: Header=BB209_35 Depth=1
	s_wait_xcnt 0x0
	s_or_b32 exec_lo, exec_lo, s21
	v_mov_b32_e32 v3, v1
	s_delay_alu instid0(VALU_DEP_1)
	v_cmp_le_u64_e32 vcc_lo, s[6:7], v[2:3]
	s_cbranch_vccnz .LBB209_34
; %bb.44:                               ;   in Loop: Header=BB209_35 Depth=1
	ds_store_b32 v5, v6
	s_wait_storecnt_dscnt 0x0
	s_barrier_signal -1
	s_barrier_wait -1
	s_and_saveexec_b32 s21, s0
	s_cbranch_execz .LBB209_46
; %bb.45:                               ;   in Loop: Header=BB209_35 Depth=1
	ds_load_2addr_b32 v[18:19], v10 offset1:1
	ds_load_2addr_b32 v[20:21], v10 offset0:2 offset1:3
	ds_load_2addr_b32 v[22:23], v10 offset0:4 offset1:5
	;; [unrolled: 1-line block ×3, first 2 shown]
	v_cmp_ne_u32_e32 vcc_lo, 0, v11
	; wave barrier
	s_wait_dscnt 0x3
	v_add_nc_u32_e32 v3, v19, v18
	s_wait_dscnt 0x2
	s_delay_alu instid0(VALU_DEP_1) | instskip(SKIP_1) | instid1(VALU_DEP_1)
	v_add3_u32 v3, v3, v20, v21
	s_wait_dscnt 0x1
	v_add3_u32 v3, v3, v22, v23
	s_wait_dscnt 0x0
	s_delay_alu instid0(VALU_DEP_1) | instskip(NEXT) | instid1(VALU_DEP_1)
	v_add3_u32 v3, v3, v24, v25
	v_mov_b32_dpp v7, v3 row_shr:1 row_mask:0xf bank_mask:0xf
	s_delay_alu instid0(VALU_DEP_1) | instskip(SKIP_1) | instid1(VALU_DEP_2)
	v_cndmask_b32_e32 v7, 0, v7, vcc_lo
	v_cmp_lt_u32_e32 vcc_lo, 1, v11
	v_add_nc_u32_e32 v3, v7, v3
	s_delay_alu instid0(VALU_DEP_1) | instskip(NEXT) | instid1(VALU_DEP_1)
	v_mov_b32_dpp v7, v3 row_shr:2 row_mask:0xf bank_mask:0xf
	v_cndmask_b32_e32 v7, 0, v7, vcc_lo
	v_cmp_lt_u32_e32 vcc_lo, 3, v11
	s_delay_alu instid0(VALU_DEP_2) | instskip(NEXT) | instid1(VALU_DEP_1)
	v_add_nc_u32_e32 v3, v3, v7
	v_mov_b32_dpp v7, v3 row_shr:4 row_mask:0xf bank_mask:0xf
	s_delay_alu instid0(VALU_DEP_1) | instskip(SKIP_1) | instid1(VALU_DEP_2)
	v_cndmask_b32_e32 v7, 0, v7, vcc_lo
	v_cmp_lt_u32_e32 vcc_lo, 7, v11
	v_add_nc_u32_e32 v3, v3, v7
	s_delay_alu instid0(VALU_DEP_1) | instskip(NEXT) | instid1(VALU_DEP_1)
	v_mov_b32_dpp v7, v3 row_shr:8 row_mask:0xf bank_mask:0xf
	v_cndmask_b32_e32 v7, 0, v7, vcc_lo
	v_cmp_gt_i32_e32 vcc_lo, 0, v13
	s_delay_alu instid0(VALU_DEP_2) | instskip(SKIP_3) | instid1(VALU_DEP_1)
	v_dual_add_nc_u32 v3, v3, v7 :: v_dual_cndmask_b32 v17, v13, v8, vcc_lo
	ds_swizzle_b32 v7, v3 offset:swizzle(BROADCAST,32,15)
	s_wait_dscnt 0x0
	v_dual_lshlrev_b32 v17, 2, v17 :: v_dual_bitop2_b32 v7, v12, v7 bitop3:0x40
	v_add_nc_u32_e32 v3, v3, v7
	ds_bpermute_b32 v3, v17, v3
	s_wait_dscnt 0x0
	v_add_nc_u32_e32 v3, v3, v18
	s_delay_alu instid0(VALU_DEP_1)
	v_cndmask_b32_e64 v3, v3, v6, s3
	ds_store_b32 v10, v3
	; wave barrier
	ds_load_2addr_b32 v[18:19], v10 offset0:1 offset1:2
	ds_load_2addr_b32 v[20:21], v10 offset0:3 offset1:4
	;; [unrolled: 1-line block ×3, first 2 shown]
	ds_load_b32 v7, v10 offset:28
	s_wait_dscnt 0x3
	v_add_nc_u32_e32 v3, v18, v3
	s_delay_alu instid0(VALU_DEP_1) | instskip(SKIP_1) | instid1(VALU_DEP_1)
	v_add_nc_u32_e32 v17, v19, v3
	s_wait_dscnt 0x2
	v_add_nc_u32_e32 v18, v20, v17
	s_delay_alu instid0(VALU_DEP_1) | instskip(SKIP_1) | instid1(VALU_DEP_1)
	v_add_nc_u32_e32 v19, v21, v18
	;; [unrolled: 4-line block ×3, first 2 shown]
	s_wait_dscnt 0x0
	v_add_nc_u32_e32 v7, v7, v21
	ds_store_2addr_b32 v10, v3, v17 offset0:1 offset1:2
	ds_store_2addr_b32 v10, v18, v19 offset0:3 offset1:4
	;; [unrolled: 1-line block ×3, first 2 shown]
	ds_store_b32 v10, v7 offset:28
.LBB209_46:                             ;   in Loop: Header=BB209_35 Depth=1
	s_or_b32 exec_lo, exec_lo, s21
	v_mov_b32_e32 v7, 0
	s_wait_dscnt 0x0
	s_barrier_signal -1
	s_barrier_wait -1
	s_and_saveexec_b32 s21, s2
; %bb.47:                               ;   in Loop: Header=BB209_35 Depth=1
	ds_load_b32 v7, v9
; %bb.48:                               ;   in Loop: Header=BB209_35 Depth=1
	s_or_b32 exec_lo, exec_lo, s21
	ds_load_b32 v3, v1 offset:1048
	s_mov_b32 s21, exec_lo
	s_wait_dscnt 0x0
	s_barrier_signal -1
	s_barrier_wait -1
	v_cmpx_ne_u32_e32 0, v6
	s_cbranch_execz .LBB209_33
; %bb.49:                               ;   in Loop: Header=BB209_35 Depth=1
	v_dual_mov_b32 v7, v1 :: v_dual_add_nc_u32 v6, v7, v2
	s_delay_alu instid0(VALU_DEP_1)
	v_cmp_gt_u64_e32 vcc_lo, s[6:7], v[6:7]
	s_and_b32 exec_lo, exec_lo, vcc_lo
	s_cbranch_execz .LBB209_33
; %bb.50:                               ;   in Loop: Header=BB209_35 Depth=1
	v_mul_u64_e32 v[18:19], s[12:13], v[6:7]
	v_mul_u64_e32 v[6:7], s[14:15], v[6:7]
	s_delay_alu instid0(VALU_DEP_2) | instskip(NEXT) | instid1(VALU_DEP_2)
	v_lshl_add_u64 v[18:19], v[18:19], 1, s[10:11]
	v_lshl_add_u64 v[6:7], v[6:7], 3, s[18:19]
	global_store_b16 v[18:19], v15, off
	global_store_b64 v[6:7], v[0:1], off
	s_branch .LBB209_33
.LBB209_51:                             ;   in Loop: Header=BB209_52 Depth=1
	s_add_co_i32 s18, s18, 1
	s_wait_kmcnt 0x0
	s_add_co_i32 s51, s19, s51
	s_add_nc_u64 s[14:15], s[14:15], 4
	s_cmp_lt_u32 s18, s35
	s_add_nc_u64 s[16:17], s[16:17], 4
	s_cbranch_scc0 .LBB209_30
.LBB209_52:                             ; =>This Inner Loop Header: Depth=1
	s_load_b32 s19, s[14:15], 0x0
	s_cmp_ge_u32 s18, s72
	s_cbranch_scc1 .LBB209_51
; %bb.53:                               ;   in Loop: Header=BB209_52 Depth=1
	s_load_b32 s50, s[16:17], 0x0
	s_wait_kmcnt 0x0
	s_add_co_i32 s13, s19, s13
	s_add_co_i32 s12, s50, s12
	s_branch .LBB209_51
.LBB209_54:
	s_endpgm
	.section	.rodata,"a",@progbits
	.p2align	6, 0x0
	.amdhsa_kernel _ZN2at6native6mbtopk10gatherTopKIN3c104HalfEmLi3EEEvNS_4cuda6detail10TensorInfoIKT_T0_EESA_SA_bjSA_NS7_IS8_SA_EESA_NS7_IlSA_EESA_jjPS8_PjSF_j
		.amdhsa_group_segment_fixed_size 1068
		.amdhsa_private_segment_fixed_size 0
		.amdhsa_kernarg_size 1592
		.amdhsa_user_sgpr_count 2
		.amdhsa_user_sgpr_dispatch_ptr 0
		.amdhsa_user_sgpr_queue_ptr 0
		.amdhsa_user_sgpr_kernarg_segment_ptr 1
		.amdhsa_user_sgpr_dispatch_id 0
		.amdhsa_user_sgpr_kernarg_preload_length 0
		.amdhsa_user_sgpr_kernarg_preload_offset 0
		.amdhsa_user_sgpr_private_segment_size 0
		.amdhsa_wavefront_size32 1
		.amdhsa_uses_dynamic_stack 0
		.amdhsa_enable_private_segment 0
		.amdhsa_system_sgpr_workgroup_id_x 1
		.amdhsa_system_sgpr_workgroup_id_y 1
		.amdhsa_system_sgpr_workgroup_id_z 1
		.amdhsa_system_sgpr_workgroup_info 0
		.amdhsa_system_vgpr_workitem_id 0
		.amdhsa_next_free_vgpr 26
		.amdhsa_next_free_sgpr 77
		.amdhsa_named_barrier_count 0
		.amdhsa_reserve_vcc 1
		.amdhsa_float_round_mode_32 0
		.amdhsa_float_round_mode_16_64 0
		.amdhsa_float_denorm_mode_32 3
		.amdhsa_float_denorm_mode_16_64 3
		.amdhsa_fp16_overflow 0
		.amdhsa_memory_ordered 1
		.amdhsa_forward_progress 1
		.amdhsa_inst_pref_size 28
		.amdhsa_round_robin_scheduling 0
		.amdhsa_exception_fp_ieee_invalid_op 0
		.amdhsa_exception_fp_denorm_src 0
		.amdhsa_exception_fp_ieee_div_zero 0
		.amdhsa_exception_fp_ieee_overflow 0
		.amdhsa_exception_fp_ieee_underflow 0
		.amdhsa_exception_fp_ieee_inexact 0
		.amdhsa_exception_int_div_zero 0
	.end_amdhsa_kernel
	.section	.text._ZN2at6native6mbtopk10gatherTopKIN3c104HalfEmLi3EEEvNS_4cuda6detail10TensorInfoIKT_T0_EESA_SA_bjSA_NS7_IS8_SA_EESA_NS7_IlSA_EESA_jjPS8_PjSF_j,"axG",@progbits,_ZN2at6native6mbtopk10gatherTopKIN3c104HalfEmLi3EEEvNS_4cuda6detail10TensorInfoIKT_T0_EESA_SA_bjSA_NS7_IS8_SA_EESA_NS7_IlSA_EESA_jjPS8_PjSF_j,comdat
.Lfunc_end209:
	.size	_ZN2at6native6mbtopk10gatherTopKIN3c104HalfEmLi3EEEvNS_4cuda6detail10TensorInfoIKT_T0_EESA_SA_bjSA_NS7_IS8_SA_EESA_NS7_IlSA_EESA_jjPS8_PjSF_j, .Lfunc_end209-_ZN2at6native6mbtopk10gatherTopKIN3c104HalfEmLi3EEEvNS_4cuda6detail10TensorInfoIKT_T0_EESA_SA_bjSA_NS7_IS8_SA_EESA_NS7_IlSA_EESA_jjPS8_PjSF_j
                                        ; -- End function
	.set _ZN2at6native6mbtopk10gatherTopKIN3c104HalfEmLi3EEEvNS_4cuda6detail10TensorInfoIKT_T0_EESA_SA_bjSA_NS7_IS8_SA_EESA_NS7_IlSA_EESA_jjPS8_PjSF_j.num_vgpr, 26
	.set _ZN2at6native6mbtopk10gatherTopKIN3c104HalfEmLi3EEEvNS_4cuda6detail10TensorInfoIKT_T0_EESA_SA_bjSA_NS7_IS8_SA_EESA_NS7_IlSA_EESA_jjPS8_PjSF_j.num_agpr, 0
	.set _ZN2at6native6mbtopk10gatherTopKIN3c104HalfEmLi3EEEvNS_4cuda6detail10TensorInfoIKT_T0_EESA_SA_bjSA_NS7_IS8_SA_EESA_NS7_IlSA_EESA_jjPS8_PjSF_j.numbered_sgpr, 77
	.set _ZN2at6native6mbtopk10gatherTopKIN3c104HalfEmLi3EEEvNS_4cuda6detail10TensorInfoIKT_T0_EESA_SA_bjSA_NS7_IS8_SA_EESA_NS7_IlSA_EESA_jjPS8_PjSF_j.num_named_barrier, 0
	.set _ZN2at6native6mbtopk10gatherTopKIN3c104HalfEmLi3EEEvNS_4cuda6detail10TensorInfoIKT_T0_EESA_SA_bjSA_NS7_IS8_SA_EESA_NS7_IlSA_EESA_jjPS8_PjSF_j.private_seg_size, 0
	.set _ZN2at6native6mbtopk10gatherTopKIN3c104HalfEmLi3EEEvNS_4cuda6detail10TensorInfoIKT_T0_EESA_SA_bjSA_NS7_IS8_SA_EESA_NS7_IlSA_EESA_jjPS8_PjSF_j.uses_vcc, 1
	.set _ZN2at6native6mbtopk10gatherTopKIN3c104HalfEmLi3EEEvNS_4cuda6detail10TensorInfoIKT_T0_EESA_SA_bjSA_NS7_IS8_SA_EESA_NS7_IlSA_EESA_jjPS8_PjSF_j.uses_flat_scratch, 0
	.set _ZN2at6native6mbtopk10gatherTopKIN3c104HalfEmLi3EEEvNS_4cuda6detail10TensorInfoIKT_T0_EESA_SA_bjSA_NS7_IS8_SA_EESA_NS7_IlSA_EESA_jjPS8_PjSF_j.has_dyn_sized_stack, 0
	.set _ZN2at6native6mbtopk10gatherTopKIN3c104HalfEmLi3EEEvNS_4cuda6detail10TensorInfoIKT_T0_EESA_SA_bjSA_NS7_IS8_SA_EESA_NS7_IlSA_EESA_jjPS8_PjSF_j.has_recursion, 0
	.set _ZN2at6native6mbtopk10gatherTopKIN3c104HalfEmLi3EEEvNS_4cuda6detail10TensorInfoIKT_T0_EESA_SA_bjSA_NS7_IS8_SA_EESA_NS7_IlSA_EESA_jjPS8_PjSF_j.has_indirect_call, 0
	.section	.AMDGPU.csdata,"",@progbits
; Kernel info:
; codeLenInByte = 3536
; TotalNumSgprs: 79
; NumVgprs: 26
; ScratchSize: 0
; MemoryBound: 0
; FloatMode: 240
; IeeeMode: 1
; LDSByteSize: 1068 bytes/workgroup (compile time only)
; SGPRBlocks: 0
; VGPRBlocks: 1
; NumSGPRsForWavesPerEU: 79
; NumVGPRsForWavesPerEU: 26
; NamedBarCnt: 0
; Occupancy: 16
; WaveLimiterHint : 1
; COMPUTE_PGM_RSRC2:SCRATCH_EN: 0
; COMPUTE_PGM_RSRC2:USER_SGPR: 2
; COMPUTE_PGM_RSRC2:TRAP_HANDLER: 0
; COMPUTE_PGM_RSRC2:TGID_X_EN: 1
; COMPUTE_PGM_RSRC2:TGID_Y_EN: 1
; COMPUTE_PGM_RSRC2:TGID_Z_EN: 1
; COMPUTE_PGM_RSRC2:TIDIG_COMP_CNT: 0
	.section	.text._ZN2at6native6sbtopk10gatherTopKIN3c104HalfEmLi3ELb0EEEvNS_4cuda6detail10TensorInfoIKT_T0_EESA_SA_bSA_SA_NS7_IS8_SA_EESA_NS7_IlSA_EESA_PS8_,"axG",@progbits,_ZN2at6native6sbtopk10gatherTopKIN3c104HalfEmLi3ELb0EEEvNS_4cuda6detail10TensorInfoIKT_T0_EESA_SA_bSA_SA_NS7_IS8_SA_EESA_NS7_IlSA_EESA_PS8_,comdat
	.protected	_ZN2at6native6sbtopk10gatherTopKIN3c104HalfEmLi3ELb0EEEvNS_4cuda6detail10TensorInfoIKT_T0_EESA_SA_bSA_SA_NS7_IS8_SA_EESA_NS7_IlSA_EESA_PS8_ ; -- Begin function _ZN2at6native6sbtopk10gatherTopKIN3c104HalfEmLi3ELb0EEEvNS_4cuda6detail10TensorInfoIKT_T0_EESA_SA_bSA_SA_NS7_IS8_SA_EESA_NS7_IlSA_EESA_PS8_
	.globl	_ZN2at6native6sbtopk10gatherTopKIN3c104HalfEmLi3ELb0EEEvNS_4cuda6detail10TensorInfoIKT_T0_EESA_SA_bSA_SA_NS7_IS8_SA_EESA_NS7_IlSA_EESA_PS8_
	.p2align	8
	.type	_ZN2at6native6sbtopk10gatherTopKIN3c104HalfEmLi3ELb0EEEvNS_4cuda6detail10TensorInfoIKT_T0_EESA_SA_bSA_SA_NS7_IS8_SA_EESA_NS7_IlSA_EESA_PS8_,@function
_ZN2at6native6sbtopk10gatherTopKIN3c104HalfEmLi3ELb0EEEvNS_4cuda6detail10TensorInfoIKT_T0_EESA_SA_bSA_SA_NS7_IS8_SA_EESA_NS7_IlSA_EESA_PS8_: ; @_ZN2at6native6sbtopk10gatherTopKIN3c104HalfEmLi3ELb0EEEvNS_4cuda6detail10TensorInfoIKT_T0_EESA_SA_bSA_SA_NS7_IS8_SA_EESA_NS7_IlSA_EESA_PS8_
; %bb.0:
	s_clause 0x1
	s_load_b128 s[28:31], s[0:1], 0x1b8
	s_load_b64 s[16:17], s[0:1], 0x520
	s_bfe_u32 s2, ttmp6, 0x40010
	s_and_b32 s3, ttmp7, 0xffff
	s_add_co_i32 s2, s2, 1
	s_bfe_u32 s5, ttmp6, 0x4000c
	s_mul_i32 s2, s3, s2
	s_bfe_u32 s4, ttmp6, 0x40004
	s_add_co_i32 s5, s5, 1
	s_bfe_u32 s6, ttmp6, 0x40014
	s_add_co_i32 s4, s4, s2
	s_and_b32 s2, ttmp6, 15
	s_mul_i32 s5, ttmp9, s5
	s_lshr_b32 s7, ttmp7, 16
	s_add_co_i32 s6, s6, 1
	s_add_co_i32 s2, s2, s5
	s_mul_i32 s5, s7, s6
	s_bfe_u32 s6, ttmp6, 0x40008
	s_getreg_b32 s8, hwreg(HW_REG_IB_STS2, 6, 4)
	s_add_co_i32 s6, s6, s5
	s_cmp_eq_u32 s8, 0
	s_mov_b32 s59, 0
	s_cselect_b32 s5, s7, s6
	s_cselect_b32 s3, s3, s4
	s_wait_kmcnt 0x0
	s_mul_i32 s5, s17, s5
	s_cselect_b32 s4, ttmp9, s2
	s_add_co_i32 s2, s5, s3
	s_delay_alu instid0(SALU_CYCLE_1) | instskip(NEXT) | instid1(SALU_CYCLE_1)
	s_mul_i32 s2, s2, s16
	s_add_co_i32 s58, s2, s4
	s_delay_alu instid0(SALU_CYCLE_1)
	v_cmp_le_u64_e64 s2, s[28:29], s[58:59]
	s_and_b32 vcc_lo, exec_lo, s2
	s_cbranch_vccnz .LBB210_500
; %bb.1:
	s_load_b128 s[8:11], s[0:1], 0x10
	s_mov_b64 s[6:7], 0
	s_wait_kmcnt 0x0
	v_cmp_lt_u64_e64 s2, s[58:59], s[10:11]
	s_and_b32 vcc_lo, exec_lo, s2
	s_mov_b64 s[2:3], 0
	s_cbranch_vccnz .LBB210_3
; %bb.2:
	v_cvt_f32_u32_e32 v1, s10
	s_sub_co_i32 s3, 0, s10
	s_delay_alu instid0(VALU_DEP_1) | instskip(SKIP_1) | instid1(TRANS32_DEP_1)
	v_rcp_iflag_f32_e32 v1, v1
	v_nop
	v_mul_f32_e32 v1, 0x4f7ffffe, v1
	s_delay_alu instid0(VALU_DEP_1) | instskip(NEXT) | instid1(VALU_DEP_1)
	v_cvt_u32_f32_e32 v1, v1
	v_readfirstlane_b32 s2, v1
	s_mul_i32 s3, s3, s2
	s_delay_alu instid0(SALU_CYCLE_1) | instskip(NEXT) | instid1(SALU_CYCLE_1)
	s_mul_hi_u32 s3, s2, s3
	s_add_co_i32 s2, s2, s3
	s_delay_alu instid0(SALU_CYCLE_1) | instskip(NEXT) | instid1(SALU_CYCLE_1)
	s_mul_hi_u32 s2, s58, s2
	s_mul_i32 s3, s2, s10
	s_add_co_i32 s5, s2, 1
	s_sub_co_i32 s3, s58, s3
	s_delay_alu instid0(SALU_CYCLE_1)
	s_sub_co_i32 s12, s3, s10
	s_cmp_ge_u32 s3, s10
	s_cselect_b32 s2, s5, s2
	s_cselect_b32 s3, s12, s3
	s_add_co_i32 s5, s2, 1
	s_cmp_ge_u32 s3, s10
	s_mov_b32 s3, 0
	s_cselect_b32 s2, s5, s2
.LBB210_3:
	s_load_b128 s[20:23], s[0:1], 0x1d8
	v_cmp_lt_u64_e64 s5, s[2:3], s[8:9]
	s_and_b32 vcc_lo, exec_lo, s5
	s_cbranch_vccnz .LBB210_5
; %bb.4:
	v_cvt_f32_u32_e32 v1, s8
	s_sub_co_i32 s6, 0, s8
	s_delay_alu instid0(VALU_DEP_1) | instskip(SKIP_1) | instid1(TRANS32_DEP_1)
	v_rcp_iflag_f32_e32 v1, v1
	v_nop
	v_mul_f32_e32 v1, 0x4f7ffffe, v1
	s_delay_alu instid0(VALU_DEP_1) | instskip(NEXT) | instid1(VALU_DEP_1)
	v_cvt_u32_f32_e32 v1, v1
	v_readfirstlane_b32 s5, v1
	s_mul_i32 s6, s6, s5
	s_delay_alu instid0(SALU_CYCLE_1) | instskip(NEXT) | instid1(SALU_CYCLE_1)
	s_mul_hi_u32 s6, s5, s6
	s_add_co_i32 s5, s5, s6
	s_delay_alu instid0(SALU_CYCLE_1) | instskip(NEXT) | instid1(SALU_CYCLE_1)
	s_mul_hi_u32 s5, s2, s5
	s_mul_i32 s6, s5, s8
	s_add_co_i32 s7, s5, 1
	s_sub_co_i32 s6, s2, s6
	s_delay_alu instid0(SALU_CYCLE_1)
	s_sub_co_i32 s12, s6, s8
	s_cmp_ge_u32 s6, s8
	s_cselect_b32 s5, s7, s5
	s_cselect_b32 s6, s12, s6
	s_add_co_i32 s12, s5, 1
	s_cmp_ge_u32 s6, s8
	s_mov_b32 s7, 0
	s_cselect_b32 s6, s12, s5
.LBB210_5:
	s_wait_kmcnt 0x0
	v_cmp_lt_u64_e64 s5, s[58:59], s[22:23]
	s_mov_b64 s[18:19], 0
	s_mov_b64 s[24:25], 0
	s_and_b32 vcc_lo, exec_lo, s5
	s_cbranch_vccnz .LBB210_7
; %bb.6:
	v_cvt_f32_u32_e32 v1, s22
	s_sub_co_i32 s12, 0, s22
	s_mov_b32 s25, 0
	s_delay_alu instid0(VALU_DEP_1) | instskip(SKIP_1) | instid1(TRANS32_DEP_1)
	v_rcp_iflag_f32_e32 v1, v1
	v_nop
	v_mul_f32_e32 v1, 0x4f7ffffe, v1
	s_delay_alu instid0(VALU_DEP_1) | instskip(NEXT) | instid1(VALU_DEP_1)
	v_cvt_u32_f32_e32 v1, v1
	v_readfirstlane_b32 s5, v1
	s_mul_i32 s12, s12, s5
	s_delay_alu instid0(SALU_CYCLE_1) | instskip(NEXT) | instid1(SALU_CYCLE_1)
	s_mul_hi_u32 s12, s5, s12
	s_add_co_i32 s5, s5, s12
	s_delay_alu instid0(SALU_CYCLE_1) | instskip(NEXT) | instid1(SALU_CYCLE_1)
	s_mul_hi_u32 s5, s58, s5
	s_mul_i32 s12, s5, s22
	s_add_co_i32 s13, s5, 1
	s_sub_co_i32 s12, s58, s12
	s_delay_alu instid0(SALU_CYCLE_1)
	s_sub_co_i32 s14, s12, s22
	s_cmp_ge_u32 s12, s22
	s_cselect_b32 s5, s13, s5
	s_cselect_b32 s12, s14, s12
	s_add_co_i32 s13, s5, 1
	s_cmp_ge_u32 s12, s22
	s_cselect_b32 s24, s13, s5
.LBB210_7:
	s_load_b128 s[44:47], s[0:1], 0x380
	v_cmp_lt_u64_e64 s5, s[24:25], s[20:21]
	s_and_b32 vcc_lo, exec_lo, s5
	s_cbranch_vccnz .LBB210_9
; %bb.8:
	v_cvt_f32_u32_e32 v1, s20
	s_sub_co_i32 s12, 0, s20
	s_mov_b32 s19, 0
	s_delay_alu instid0(VALU_DEP_1) | instskip(SKIP_1) | instid1(TRANS32_DEP_1)
	v_rcp_iflag_f32_e32 v1, v1
	v_nop
	v_mul_f32_e32 v1, 0x4f7ffffe, v1
	s_delay_alu instid0(VALU_DEP_1) | instskip(NEXT) | instid1(VALU_DEP_1)
	v_cvt_u32_f32_e32 v1, v1
	v_readfirstlane_b32 s5, v1
	s_mul_i32 s12, s12, s5
	s_delay_alu instid0(SALU_CYCLE_1) | instskip(NEXT) | instid1(SALU_CYCLE_1)
	s_mul_hi_u32 s12, s5, s12
	s_add_co_i32 s5, s5, s12
	s_delay_alu instid0(SALU_CYCLE_1) | instskip(NEXT) | instid1(SALU_CYCLE_1)
	s_mul_hi_u32 s5, s24, s5
	s_mul_i32 s12, s5, s20
	s_add_co_i32 s13, s5, 1
	s_sub_co_i32 s12, s24, s12
	s_delay_alu instid0(SALU_CYCLE_1)
	s_sub_co_i32 s14, s12, s20
	s_cmp_ge_u32 s12, s20
	s_cselect_b32 s5, s13, s5
	s_cselect_b32 s12, s14, s12
	s_add_co_i32 s13, s5, 1
	s_cmp_ge_u32 s12, s20
	s_cselect_b32 s18, s13, s5
.LBB210_9:
                                        ; implicit-def: $vgpr46 : SGPR spill to VGPR lane
	s_wait_kmcnt 0x0
	v_cmp_lt_u64_e64 s5, s[58:59], s[46:47]
	v_writelane_b32 v46, s18, 0
	s_mov_b64 s[22:23], 0
	s_mov_b64 s[20:21], 0
	v_writelane_b32 v46, s19, 1
	s_clause 0x1
	s_load_b64 s[18:19], s[0:1], 0xe0
	s_load_b128 s[12:15], s[0:1], 0xd0
	s_and_b32 vcc_lo, exec_lo, s5
	s_cbranch_vccnz .LBB210_11
; %bb.10:
	v_cvt_f32_u32_e32 v1, s46
	s_sub_co_i32 s17, 0, s46
	s_delay_alu instid0(VALU_DEP_1) | instskip(SKIP_1) | instid1(TRANS32_DEP_1)
	v_rcp_iflag_f32_e32 v1, v1
	v_nop
	v_mul_f32_e32 v1, 0x4f7ffffe, v1
	s_delay_alu instid0(VALU_DEP_1) | instskip(NEXT) | instid1(VALU_DEP_1)
	v_cvt_u32_f32_e32 v1, v1
	v_readfirstlane_b32 s5, v1
	s_mul_i32 s17, s17, s5
	s_delay_alu instid0(SALU_CYCLE_1) | instskip(NEXT) | instid1(SALU_CYCLE_1)
	s_mul_hi_u32 s17, s5, s17
	s_add_co_i32 s5, s5, s17
	s_delay_alu instid0(SALU_CYCLE_1) | instskip(NEXT) | instid1(SALU_CYCLE_1)
	s_mul_hi_u32 s5, s58, s5
	s_mul_i32 s17, s5, s46
	s_add_co_i32 s20, s5, 1
	s_sub_co_i32 s17, s58, s17
	s_delay_alu instid0(SALU_CYCLE_1)
	s_sub_co_i32 s21, s17, s46
	s_cmp_ge_u32 s17, s46
	s_cselect_b32 s5, s20, s5
	s_cselect_b32 s17, s21, s17
	s_add_co_i32 s20, s5, 1
	s_cmp_ge_u32 s17, s46
	s_mov_b32 s21, 0
	s_cselect_b32 s20, s20, s5
.LBB210_11:
	v_writelane_b32 v46, s24, 2
	v_writelane_b32 v46, s25, 3
	s_load_b128 s[24:27], s[0:1], 0x440
	s_wait_kmcnt 0x0
	v_writelane_b32 v46, s24, 4
	v_writelane_b32 v46, s25, 5
	;; [unrolled: 1-line block ×4, first 2 shown]
	s_load_b64 s[24:25], s[0:1], 0x2a8
	s_wait_kmcnt 0x0
	v_writelane_b32 v46, s24, 8
	v_writelane_b32 v46, s25, 9
	s_load_b128 s[24:27], s[0:1], 0x298
	s_wait_kmcnt 0x0
	v_writelane_b32 v46, s24, 10
	v_writelane_b32 v46, s25, 11
	v_writelane_b32 v46, s26, 12
	v_writelane_b32 v46, s27, 13
	v_writelane_b32 v46, s20, 14
	v_cmp_lt_u64_e64 s5, s[20:21], s[44:45]
	v_writelane_b32 v46, s21, 15
	s_and_b32 vcc_lo, exec_lo, s5
	s_cbranch_vccnz .LBB210_13
; %bb.12:
	v_cvt_f32_u32_e32 v1, s44
	s_sub_co_i32 s17, 0, s44
	v_readlane_b32 s20, v46, 14
	v_readlane_b32 s21, v46, 15
	s_mov_b32 s23, 0
	v_rcp_iflag_f32_e32 v1, v1
	v_nop
	s_delay_alu instid0(TRANS32_DEP_1) | instskip(NEXT) | instid1(VALU_DEP_1)
	v_mul_f32_e32 v1, 0x4f7ffffe, v1
	v_cvt_u32_f32_e32 v1, v1
	s_delay_alu instid0(VALU_DEP_1) | instskip(SKIP_1) | instid1(SALU_CYCLE_1)
	v_readfirstlane_b32 s5, v1
	s_mul_i32 s17, s17, s5
	s_mul_hi_u32 s17, s5, s17
	s_delay_alu instid0(SALU_CYCLE_1) | instskip(NEXT) | instid1(SALU_CYCLE_1)
	s_add_co_i32 s5, s5, s17
	s_mul_hi_u32 s5, s20, s5
	s_delay_alu instid0(SALU_CYCLE_1) | instskip(NEXT) | instid1(SALU_CYCLE_1)
	s_mul_i32 s17, s5, s44
	s_sub_co_i32 s17, s20, s17
	s_add_co_i32 s20, s5, 1
	s_sub_co_i32 s21, s17, s44
	s_cmp_ge_u32 s17, s44
	s_cselect_b32 s5, s20, s5
	s_cselect_b32 s17, s21, s17
	s_add_co_i32 s20, s5, 1
	s_cmp_ge_u32 s17, s44
	s_cselect_b32 s22, s20, s5
.LBB210_13:
	s_delay_alu instid0(SALU_CYCLE_1)
	v_writelane_b32 v46, s22, 16
	v_cmp_eq_u32_e64 s5, 0, v0
	s_add_nc_u64 s[20:21], s[0:1], 0x520
	s_mov_b32 s29, 0
	v_writelane_b32 v46, s23, 17
	s_clause 0x1
	s_load_b64 s[22:23], s[0:1], 0x0
	s_load_b128 s[36:39], s[0:1], 0x1a0
	s_and_saveexec_b32 s17, s5
	s_cbranch_execz .LBB210_15
; %bb.14:
	s_wait_kmcnt 0x0
	v_dual_mov_b32 v2, 0 :: v_dual_mov_b32 v4, s36
	s_delay_alu instid0(VALU_DEP_1)
	v_dual_mov_b32 v5, s37 :: v_dual_mov_b32 v3, v2
	ds_store_b32 v2, v2 offset:5144
	ds_store_b128 v2, v[2:5] offset:5120
.LBB210_15:
	s_or_b32 exec_lo, exec_lo, s17
	s_mul_u64 s[8:9], s[6:7], s[8:9]
	s_mul_u64 s[12:13], s[6:7], s[12:13]
	s_load_b64 s[6:7], s[0:1], 0x370
	v_dual_mov_b32 v3, 0 :: v_dual_add_nc_u32 v2, 2, v0
	v_lshlrev_b32_e32 v16, 2, v0
	s_wait_dscnt 0x0
	s_barrier_signal -1
	s_delay_alu instid0(VALU_DEP_2)
	v_mov_b32_e32 v1, v3
	s_wait_kmcnt 0x0
	v_max_u64 v[6:7], s[36:37], v[2:3]
	s_barrier_wait -1
	s_load_b32 s24, s[20:21], 0xc
	v_mul_u64_e32 v[4:5], s[30:31], v[0:1]
	s_mul_u64 s[10:11], s[2:3], s[10:11]
	s_sub_nc_u64 s[2:3], s[2:3], s[8:9]
	s_sub_nc_u64 s[8:9], s[58:59], s[10:11]
	s_lshl_b64 s[10:11], s[12:13], 1
	s_mul_u64 s[12:13], s[2:3], s[14:15]
	s_mul_u64 s[8:9], s[8:9], s[18:19]
	s_add_nc_u64 s[10:11], s[22:23], s[10:11]
	s_lshl_b64 s[12:13], s[12:13], 1
	v_writelane_b32 v46, s6, 18
	v_dual_mov_b32 v9, -1 :: v_dual_lshlrev_b32 v28, 1, v0
	s_load_b32 s17, s[0:1], 0x1b0
	v_not_b32_e32 v8, v0
	v_writelane_b32 v46, s7, 19
	s_load_b64 s[6:7], s[0:1], 0x1c8
	s_lshl_b64 s[8:9], s[8:9], 1
	s_add_nc_u64 s[10:11], s[10:11], s[12:13]
	v_mbcnt_lo_u32_b32 v13, -1, 0
	s_add_nc_u64 s[34:35], s[10:11], s[8:9]
	v_cmp_gt_u32_e32 vcc_lo, 32, v0
	s_movk_i32 s3, 0x3e0
	v_cmp_lt_u64_e64 s33, 0x600, s[36:37]
	v_and_or_b32 v30, v0, s3, 0xc00
	v_lshlrev_b64_e64 v[10:11], v13, -1
	v_cmp_gt_u64_e64 s43, s[36:37], v[0:1]
	v_mov_b64_e32 v[22:23], s[38:39]
	s_mov_b32 s57, s29
	v_cmp_eq_u32_e64 s2, 0, v13
	v_dual_mov_b32 v36, 0 :: v_dual_add_nc_u32 v29, 0xc00, v28
	v_not_b32_e32 v12, v10
	v_lshl_add_u64 v[14:15], v[4:5], 1, s[34:35]
	v_add_nc_u64_e32 v[4:5], v[6:7], v[8:9]
	s_wait_kmcnt 0x0
	s_bitcmp1_b32 s17, 0
	v_writelane_b32 v46, s6, 20
	s_cselect_b32 vcc_hi, -1, 0
	s_and_b32 s56, s24, 0xffff
	s_xor_b32 s103, vcc_hi, -1
	v_dual_mov_b32 v17, v3 :: v_dual_bitop2_b32 v18, -4, v4 bitop3:0x40
	v_writelane_b32 v46, s7, 21
	v_cmp_gt_i32_e64 s7, 4, v13
	v_cmp_lt_u64_e64 s3, 3, v[4:5]
	v_dual_mov_b32 v19, v5 :: v_dual_lshlrev_b32 v32, 3, v0
	v_cmp_gt_u32_e64 s6, 2, v0
	s_and_b32 s102, vcc_lo, s7
	s_bfe_u32 s7, s24, 0xb0005
	s_cmp_gt_u32 s56, 31
	v_writelane_b32 v46, s3, 22
	s_cselect_b32 s104, -1, 0
	s_cmp_lt_u32 s4, s16
	v_add_nc_u64_e32 v[20:21], v[18:19], v[0:1]
	s_cselect_b32 s28, 12, 18
	s_add_co_i32 s3, s7, -1
	v_lshl_or_b32 v33, v13, 3, 0xc00
	s_and_b32 s4, s3, 0xffff
	s_bfe_u32 s3, s56, 0x30005
	s_cmp_gt_u32 s4, 6
	v_writelane_b32 v46, s3, 23
	s_cselect_b32 s68, -1, 0
	s_and_b32 s69, s7, 0x7f8
	s_cmp_lg_u32 s3, 0
	v_cmp_ne_u64_e64 s3, v[4:5], v[18:19]
	v_dual_mov_b32 v34, 0x8000 :: v_dual_mov_b32 v31, 0
	v_mov_b32_e32 v35, 0
	s_add_nc_u64 s[74:75], s[56:57], -1
	s_mov_b32 s78, s30
	s_add_nc_u64 s[76:77], s[74:75], s[36:37]
	s_mov_b32 s79, s31
	s_mov_b32 s80, s30
	;; [unrolled: 1-line block ×5, first 2 shown]
	s_cselect_b32 s70, -1, 0
	s_lshl_b32 s71, s56, 1
	s_mov_b32 s48, 14
	s_and_b64 s[84:85], s[36:37], 0xffffffff00000000
	s_mov_b32 s72, 0x4f800000
	s_movk_i32 s73, 0x3c00
	s_add_nc_u64 s[86:87], s[20:21], s[28:29]
	s_mov_b32 s49, 0
	s_mov_b32 s51, 0
	v_writelane_b32 v46, s3, 24
                                        ; implicit-def: $sgpr50
                                        ; implicit-def: $sgpr54
                                        ; implicit-def: $sgpr53
                                        ; implicit-def: $sgpr55
                                        ; implicit-def: $sgpr52
                                        ; implicit-def: $sgpr61
                                        ; implicit-def: $sgpr7
                                        ; implicit-def: $sgpr8
                                        ; implicit-def: $sgpr60
                                        ; implicit-def: $sgpr4
	s_branch .LBB210_18
.LBB210_16:                             ;   in Loop: Header=BB210_18 Depth=1
	s_or_b32 exec_lo, exec_lo, s12
	v_mov_b64_e32 v[22:23], v[4:5]
	s_and_not1_b32 s3, s4, exec_lo
	s_and_b32 s4, s11, exec_lo
	s_and_not1_b32 s60, s60, exec_lo
	s_or_b32 s4, s3, s4
	s_and_not1_b32 s8, s8, exec_lo
	s_and_not1_b32 s7, s7, exec_lo
	;; [unrolled: 1-line block ×3, first 2 shown]
	s_or_not1_b32 s10, s10, exec_lo
.LBB210_17:                             ;   in Loop: Header=BB210_18 Depth=1
	s_or_b32 exec_lo, exec_lo, s9
	s_delay_alu instid0(SALU_CYCLE_1) | instskip(NEXT) | instid1(SALU_CYCLE_1)
	s_and_b32 s9, exec_lo, s10
	s_or_b32 s49, s9, s49
	s_and_not1_b32 s9, s52, exec_lo
	s_and_b32 s10, s4, exec_lo
	s_and_not1_b32 s11, s55, exec_lo
	s_or_b32 s52, s9, s10
	s_and_b32 s9, s60, exec_lo
	s_and_not1_b32 s10, s53, exec_lo
	s_and_b32 s12, s8, exec_lo
	s_or_b32 s55, s11, s9
	s_or_b32 s53, s10, s12
	s_and_not1_b32 s9, s54, exec_lo
	s_and_b32 s10, s7, exec_lo
	s_and_not1_b32 s11, s50, exec_lo
	s_and_b32 s12, s61, exec_lo
	s_or_b32 s54, s9, s10
	s_or_b32 s50, s11, s12
	s_and_not1_b32 exec_lo, exec_lo, s49
	s_cbranch_execz .LBB210_496
.LBB210_18:                             ; =>This Loop Header: Depth=1
                                        ;     Child Loop BB210_23 Depth 2
                                        ;     Child Loop BB210_37 Depth 2
	;; [unrolled: 1-line block ×25, first 2 shown]
	ds_load_b128 v[4:7], v3 offset:5120
	s_wait_dscnt 0x0
	v_readfirstlane_b32 s89, v5
	v_readfirstlane_b32 s88, v4
	s_cmp_lg_u64 s[88:89], 0
	s_cbranch_scc1 .LBB210_50
; %bb.19:                               ;   in Loop: Header=BB210_18 Depth=1
	s_and_b32 vcc_lo, exec_lo, s33
	s_cbranch_vccz .LBB210_31
; %bb.20:                               ;   in Loop: Header=BB210_18 Depth=1
	v_cmp_gt_u64_e32 vcc_lo, 0x601, v[6:7]
	s_mov_b32 s11, 0
	s_mov_b32 s9, 0
	s_cbranch_vccz .LBB210_32
; %bb.21:                               ;   in Loop: Header=BB210_18 Depth=1
	global_load_u16 v2, v3, s[86:87]
	global_load_u16 v6, v[14:15], off
	v_mov_b64_e32 v[4:5], v[0:1]
	s_mov_b32 s12, 0
	s_wait_loadcnt 0x1
	v_and_b32_e32 v2, 0xffff, v2
	s_branch .LBB210_23
.LBB210_22:                             ;   in Loop: Header=BB210_23 Depth=2
	s_or_b32 exec_lo, exec_lo, s10
	v_mov_b32_e32 v6, v7
	s_and_not1_b32 exec_lo, exec_lo, s12
	s_cbranch_execz .LBB210_105
.LBB210_23:                             ;   Parent Loop BB210_18 Depth=1
                                        ; =>  This Inner Loop Header: Depth=2
	s_delay_alu instid0(VALU_DEP_1) | instskip(SKIP_3) | instid1(VALU_DEP_2)
	v_add_nc_u64_e32 v[4:5], v[4:5], v[2:3]
	s_wait_dscnt 0x0
	v_dual_mov_b32 v8, 0 :: v_dual_mov_b32 v7, 0
	s_mov_b32 s10, exec_lo
	v_cmp_le_u64_e32 vcc_lo, s[36:37], v[4:5]
	s_wait_xcnt 0x0
	v_cmpx_gt_u64_e64 s[36:37], v[4:5]
	s_cbranch_execz .LBB210_25
; %bb.24:                               ;   in Loop: Header=BB210_23 Depth=2
	v_mul_u64_e32 v[10:11], s[30:31], v[4:5]
	s_delay_alu instid0(VALU_DEP_1)
	v_lshl_add_u64 v[10:11], v[10:11], 1, s[34:35]
	global_load_u16 v7, v[10:11], off
.LBB210_25:                             ;   in Loop: Header=BB210_23 Depth=2
	s_wait_xcnt 0x0
	s_or_b32 exec_lo, exec_lo, s10
	s_wait_loadcnt 0x0
	v_cmp_lt_i16_e64 s9, -1, v6
	v_and_b32_e32 v9, 0xffff, v6
	s_delay_alu instid0(VALU_DEP_2) | instskip(SKIP_1) | instid1(VALU_DEP_2)
	v_cndmask_b32_e64 v10, 0xffff, v34, s9
	v_cmp_o_f16_e64 s9, v6, v6
	v_xor_b32_e32 v9, v10, v9
	s_delay_alu instid0(VALU_DEP_1) | instskip(NEXT) | instid1(VALU_DEP_1)
	v_cndmask_b32_e64 v9, 0xffff, v9, s9
	v_and_b32_e32 v9, v9, v35
	s_delay_alu instid0(VALU_DEP_1) | instskip(SKIP_2) | instid1(SALU_CYCLE_1)
	v_cmp_eq_u32_e64 s9, v9, v31
	s_cmp_lg_u32 s9, 0
	s_cselect_b32 s10, -1, 0
	s_and_b32 s10, s2, s10
	s_delay_alu instid0(SALU_CYCLE_1)
	s_and_saveexec_b32 s13, s10
	s_cbranch_execz .LBB210_29
; %bb.26:                               ;   in Loop: Header=BB210_23 Depth=2
	s_mov_b32 s16, exec_lo
	s_bcnt1_i32_b32 s14, s9
	v_mbcnt_lo_u32_b32 v8, s16, 0
	s_mov_b32 s15, exec_lo
                                        ; implicit-def: $vgpr9
	s_delay_alu instid0(VALU_DEP_1)
	v_cmpx_eq_u32_e32 0, v8
; %bb.27:                               ;   in Loop: Header=BB210_23 Depth=2
	s_bcnt1_i32_b32 s10, s16
	s_delay_alu instid0(SALU_CYCLE_1) | instskip(NEXT) | instid1(SALU_CYCLE_1)
	s_mul_i32 s10, s14, s10
	v_mov_b32_e32 v9, s10
	ds_add_rtn_u32 v9, v3, v9 offset:5144
; %bb.28:                               ;   in Loop: Header=BB210_23 Depth=2
	s_or_b32 exec_lo, exec_lo, s15
	s_wait_dscnt 0x0
	v_readfirstlane_b32 s10, v9
	s_delay_alu instid0(VALU_DEP_1)
	v_mad_u32_u24 v8, s14, v8, s10
.LBB210_29:                             ;   in Loop: Header=BB210_23 Depth=2
	s_or_b32 exec_lo, exec_lo, s13
	ds_bpermute_b32 v8, v3, v8
	s_and_b32 s10, exec_lo, vcc_lo
	s_delay_alu instid0(SALU_CYCLE_1)
	s_or_b32 s12, s10, s12
	s_and_saveexec_b32 s10, s9
	s_cbranch_execz .LBB210_22
; %bb.30:                               ;   in Loop: Header=BB210_23 Depth=2
	v_and_b32_e32 v9, s9, v12
	s_delay_alu instid0(VALU_DEP_1) | instskip(NEXT) | instid1(VALU_DEP_1)
	v_bcnt_u32_b32 v9, v9, 0
	v_lshlrev_b32_e32 v9, 1, v9
	s_wait_dscnt 0x0
	s_delay_alu instid0(VALU_DEP_1)
	v_lshl_add_u32 v8, v8, 1, v9
	ds_store_b16 v8, v6
	s_branch .LBB210_22
.LBB210_31:                             ;   in Loop: Header=BB210_18 Depth=1
	s_mov_b32 s11, -1
	s_mov_b32 s9, 0
.LBB210_32:                             ;   in Loop: Header=BB210_18 Depth=1
	s_and_b32 vcc_lo, exec_lo, s11
	s_cbranch_vccz .LBB210_48
.LBB210_33:                             ;   in Loop: Header=BB210_18 Depth=1
	s_and_saveexec_b32 s9, s43
	s_cbranch_execz .LBB210_45
; %bb.34:                               ;   in Loop: Header=BB210_18 Depth=1
	global_load_u16 v4, v3, s[86:87]
	global_load_u16 v26, v[14:15], off
	s_mov_b32 s12, exec_lo
	v_mov_b32_e32 v8, v0
	s_wait_loadcnt 0x1
	v_and_b32_e32 v2, 0xffff, v4
	v_readfirstlane_b32 s10, v4
	s_delay_alu instid0(VALU_DEP_2) | instskip(SKIP_1) | instid1(VALU_DEP_1)
	v_add_nc_u32_e32 v2, v2, v0
	s_wait_xcnt 0x0
	v_cmpx_gt_u64_e64 s[36:37], v[2:3]
	s_cbranch_execz .LBB210_44
; %bb.35:                               ;   in Loop: Header=BB210_18 Depth=1
	s_and_b32 s28, s10, 0xffff
	v_mov_b64_e32 v[6:7], v[0:1]
	v_mov_b64_e32 v[4:5], v[2:3]
	v_readlane_b32 s3, v46, 22
	s_cmp_eq_u32 s28, 1
	s_mov_b32 s11, -1
	s_cselect_b32 s10, -1, 0
                                        ; implicit-def: $vgpr8_vgpr9
	s_delay_alu instid0(SALU_CYCLE_1) | instskip(NEXT) | instid1(SALU_CYCLE_1)
	s_and_b32 s13, s3, s10
	s_and_saveexec_b32 s10, s13
	s_cbranch_execz .LBB210_39
; %bb.36:                               ;   in Loop: Header=BB210_18 Depth=1
	v_add_nc_u64_e32 v[8:9], 3, v[2:3]
	v_add_nc_u64_e32 v[6:7], 2, v[2:3]
	;; [unrolled: 1-line block ×3, first 2 shown]
	v_mov_b64_e32 v[24:25], v[18:19]
	s_wait_loadcnt 0x0
	v_dual_lshlrev_b32 v37, 16, v26 :: v_dual_mov_b32 v27, v28
	s_mov_b32 s11, 0
	v_mov_b64_e32 v[10:11], v[8:9]
	v_mov_b64_e32 v[8:9], v[6:7]
	;; [unrolled: 1-line block ×4, first 2 shown]
.LBB210_37:                             ;   Parent Loop BB210_18 Depth=1
                                        ; =>  This Inner Loop Header: Depth=2
	s_delay_alu instid0(VALU_DEP_2) | instskip(NEXT) | instid1(VALU_DEP_4)
	v_mul_u64_e32 v[38:39], s[30:31], v[6:7]
	v_mul_u64_e32 v[40:41], s[80:81], v[8:9]
	;; [unrolled: 1-line block ×3, first 2 shown]
	s_delay_alu instid0(VALU_DEP_4)
	v_mul_u64_e32 v[44:45], s[78:79], v[4:5]
	v_add_nc_u64_e32 v[24:25], -4, v[24:25]
	v_add_nc_u64_e32 v[10:11], 4, v[10:11]
	v_add_nc_u64_e32 v[8:9], 4, v[8:9]
	;; [unrolled: 1-line block ×4, first 2 shown]
	v_cmp_eq_u64_e32 vcc_lo, 0, v[24:25]
	s_or_b32 s11, vcc_lo, s11
	v_lshl_add_u64 v[38:39], v[38:39], 1, s[34:35]
	v_lshl_add_u64 v[40:41], v[40:41], 1, s[34:35]
	;; [unrolled: 1-line block ×4, first 2 shown]
	s_clause 0x3
	global_load_u16 v38, v[38:39], off
	global_load_u16 v40, v[40:41], off
	;; [unrolled: 1-line block ×4, first 2 shown]
	s_wait_loadcnt 0x2
	v_perm_b32 v39, v40, v38, 0x5040100
	s_wait_loadcnt 0x0
	v_alignbit_b32 v38, v41, v37, 16
	v_perm_b32 v37, v26, v40, 0x5040100
	ds_store_b64 v27, v[38:39]
	v_add_nc_u32_e32 v27, 8, v27
	s_wait_xcnt 0x0
	s_and_not1_b32 exec_lo, exec_lo, s11
	s_cbranch_execnz .LBB210_37
; %bb.38:                               ;   in Loop: Header=BB210_18 Depth=1
	s_or_b32 exec_lo, exec_lo, s11
	v_add_nc_u64_e32 v[4:5], v[2:3], v[18:19]
	v_mov_b64_e32 v[6:7], v[20:21]
	v_readlane_b32 s3, v46, 24
	s_or_not1_b32 s11, s3, exec_lo
	v_add_nc_u64_e32 v[8:9], -1, v[4:5]
.LBB210_39:                             ;   in Loop: Header=BB210_18 Depth=1
	s_or_b32 exec_lo, exec_lo, s10
	s_and_saveexec_b32 s13, s11
	s_cbranch_execz .LBB210_43
; %bb.40:                               ;   in Loop: Header=BB210_18 Depth=1
	s_sub_nc_u64 s[10:11], 0, s[28:29]
	s_mov_b32 s14, 0
.LBB210_41:                             ;   Parent Loop BB210_18 Depth=1
                                        ; =>  This Inner Loop Header: Depth=2
	v_mov_b64_e32 v[8:9], v[4:5]
	s_wait_loadcnt 0x0
	v_dual_mov_b32 v2, v26 :: v_dual_lshlrev_b32 v10, 1, v6
	ds_store_b16 v10, v2
	v_mul_u64_e32 v[4:5], s[30:31], v[8:9]
	v_mov_b64_e32 v[6:7], v[8:9]
	s_delay_alu instid0(VALU_DEP_2) | instskip(SKIP_3) | instid1(VALU_DEP_1)
	v_lshl_add_u64 v[4:5], v[4:5], 1, s[34:35]
	global_load_u16 v26, v[4:5], off
	s_wait_xcnt 0x0
	v_add_nc_u64_e32 v[4:5], s[28:29], v[8:9]
	v_cmp_le_u64_e32 vcc_lo, s[36:37], v[4:5]
	s_or_b32 s14, vcc_lo, s14
	s_delay_alu instid0(SALU_CYCLE_1)
	s_and_not1_b32 exec_lo, exec_lo, s14
	s_cbranch_execnz .LBB210_41
; %bb.42:                               ;   in Loop: Header=BB210_18 Depth=1
	s_or_b32 exec_lo, exec_lo, s14
	v_add_nc_u64_e32 v[8:9], s[10:11], v[4:5]
.LBB210_43:                             ;   in Loop: Header=BB210_18 Depth=1
	s_or_b32 exec_lo, exec_lo, s13
.LBB210_44:                             ;   in Loop: Header=BB210_18 Depth=1
	s_delay_alu instid0(SALU_CYCLE_1) | instskip(NEXT) | instid1(VALU_DEP_1)
	s_or_b32 exec_lo, exec_lo, s12
	v_lshlrev_b32_e32 v2, 1, v8
	s_wait_loadcnt 0x0
	ds_store_b16 v2, v26
.LBB210_45:                             ;   in Loop: Header=BB210_18 Depth=1
	s_or_b32 exec_lo, exec_lo, s9
	s_wait_dscnt 0x0
	s_barrier_signal -1
	s_barrier_wait -1
	s_and_saveexec_b32 s9, s5
; %bb.46:                               ;   in Loop: Header=BB210_18 Depth=1
	v_mov_b64_e32 v[4:5], s[36:37]
	ds_store_b64 v3, v[4:5] offset:5120
; %bb.47:                               ;   in Loop: Header=BB210_18 Depth=1
	s_or_b32 exec_lo, exec_lo, s9
	s_mov_b32 s9, -1
	s_wait_dscnt 0x0
	s_barrier_signal -1
	s_barrier_wait -1
.LBB210_48:                             ;   in Loop: Header=BB210_18 Depth=1
	s_and_b32 vcc_lo, exec_lo, s9
	s_mov_b64 s[88:89], 0
	s_cbranch_vccz .LBB210_50
; %bb.49:                               ;   in Loop: Header=BB210_18 Depth=1
	ds_load_b64 v[4:5], v3 offset:5120
	s_wait_dscnt 0x0
	v_readfirstlane_b32 s88, v4
	v_readfirstlane_b32 s89, v5
.LBB210_50:                             ;   in Loop: Header=BB210_18 Depth=1
	s_delay_alu instid0(VALU_DEP_2)
	s_cmp_lt_i32 s88, 1
	s_mov_b32 s9, -1
                                        ; implicit-def: $vgpr4_vgpr5
                                        ; implicit-def: $vgpr8_vgpr9
	s_cbranch_scc1 .LBB210_60
; %bb.51:                               ;   in Loop: Header=BB210_18 Depth=1
	s_and_b32 vcc_lo, exec_lo, s9
	s_cbranch_vccnz .LBB210_74
.LBB210_52:                             ;   in Loop: Header=BB210_18 Depth=1
	s_lshl_b32 s9, s51, 7
	s_and_saveexec_b32 s10, s2
	s_cbranch_execz .LBB210_54
.LBB210_53:                             ;   in Loop: Header=BB210_18 Depth=1
	v_lshl_add_u32 v2, s9, 3, v30
	ds_store_b128 v2, v[4:7]
	ds_store_b128 v2, v[8:11] offset:16
.LBB210_54:                             ;   in Loop: Header=BB210_18 Depth=1
	s_or_b32 exec_lo, exec_lo, s10
	s_wait_dscnt 0x0
	s_barrier_signal -1
	s_barrier_wait -1
	s_and_saveexec_b32 s10, s102
	s_cbranch_execz .LBB210_88
; %bb.55:                               ;   in Loop: Header=BB210_18 Depth=1
	v_mov_b64_e32 v[4:5], 0
	s_and_not1_b32 vcc_lo, exec_lo, s104
	s_cbranch_vccnz .LBB210_87
; %bb.56:                               ;   in Loop: Header=BB210_18 Depth=1
	v_mov_b64_e32 v[4:5], 0
	s_and_not1_b32 vcc_lo, exec_lo, s68
	s_cbranch_vccnz .LBB210_84
; %bb.57:                               ;   in Loop: Header=BB210_18 Depth=1
	v_lshl_add_u32 v2, s51, 10, v33
	s_mov_b32 s11, 0
.LBB210_58:                             ;   Parent Loop BB210_18 Depth=1
                                        ; =>  This Inner Loop Header: Depth=2
	ds_load_2addr_b64 v[6:9], v2 offset1:4
	ds_load_2addr_b64 v[24:27], v2 offset0:8 offset1:12
	s_add_co_i32 s11, s11, 8
	s_delay_alu instid0(SALU_CYCLE_1) | instskip(SKIP_2) | instid1(VALU_DEP_1)
	s_cmp_eq_u32 s69, s11
	s_wait_dscnt 0x1
	v_add_nc_u64_e32 v[4:5], v[6:7], v[4:5]
	v_add_nc_u64_e32 v[8:9], v[8:9], v[4:5]
	ds_load_2addr_b64 v[4:7], v2 offset0:16 offset1:20
	s_wait_dscnt 0x1
	v_add_nc_u64_e32 v[8:9], v[24:25], v[8:9]
	s_delay_alu instid0(VALU_DEP_1) | instskip(SKIP_4) | instid1(VALU_DEP_1)
	v_add_nc_u64_e32 v[24:25], v[26:27], v[8:9]
	ds_load_2addr_b64 v[8:11], v2 offset0:24 offset1:28
	v_add_nc_u32_e32 v2, 0x100, v2
	s_wait_dscnt 0x1
	v_add_nc_u64_e32 v[4:5], v[4:5], v[24:25]
	v_add_nc_u64_e32 v[4:5], v[6:7], v[4:5]
	s_wait_dscnt 0x0
	s_delay_alu instid0(VALU_DEP_1) | instskip(NEXT) | instid1(VALU_DEP_1)
	v_add_nc_u64_e32 v[4:5], v[8:9], v[4:5]
	v_add_nc_u64_e32 v[4:5], v[10:11], v[4:5]
	s_cbranch_scc0 .LBB210_58
; %bb.59:                               ;   in Loop: Header=BB210_18 Depth=1
	s_mov_b32 s11, s69
	s_and_not1_b32 vcc_lo, exec_lo, s70
	s_cbranch_vccz .LBB210_85
	s_branch .LBB210_87
.LBB210_60:                             ;   in Loop: Header=BB210_18 Depth=1
	global_load_u16 v2, v3, s[86:87]
	s_mov_b32 s21, s29
	s_wait_loadcnt 0x0
	v_readfirstlane_b32 s9, v2
	s_and_b32 s9, 0xffff, s9
	s_delay_alu instid0(SALU_CYCLE_1)
	s_lshl_b32 s20, s9, 2
	s_cmp_lg_u64 s[84:85], 0
	s_cbranch_scc0 .LBB210_83
; %bb.61:                               ;   in Loop: Header=BB210_18 Depth=1
	s_cvt_f32_u32 s9, s20
	s_sub_nc_u64 s[12:13], 0, s[20:21]
	s_delay_alu instid0(SALU_CYCLE_2) | instskip(NEXT) | instid1(SALU_CYCLE_3)
	s_fmamk_f32 s9, s72, 0x0, s9
	v_s_rcp_f32 s9, s9
	s_delay_alu instid0(TRANS32_DEP_1) | instskip(NEXT) | instid1(SALU_CYCLE_3)
	s_mul_f32 s9, s9, 0x5f7ffffc
	s_mul_f32 s10, s9, 0x2f800000
	s_delay_alu instid0(SALU_CYCLE_3) | instskip(NEXT) | instid1(SALU_CYCLE_3)
	s_trunc_f32 s10, s10
	s_fmamk_f32 s9, s10, 0xcf800000, s9
	s_cvt_u32_f32 s11, s10
	s_delay_alu instid0(SALU_CYCLE_2) | instskip(NEXT) | instid1(SALU_CYCLE_3)
	s_cvt_u32_f32 s10, s9
	s_mul_u64 s[14:15], s[12:13], s[10:11]
	s_delay_alu instid0(SALU_CYCLE_1)
	s_mul_hi_u32 s17, s10, s15
	s_mul_i32 s16, s10, s15
	s_mul_hi_u32 s28, s10, s14
	s_mul_i32 s18, s11, s14
	s_add_nc_u64 s[16:17], s[28:29], s[16:17]
	s_mul_hi_u32 s9, s11, s14
	s_mul_hi_u32 s19, s11, s15
	s_mul_i32 s14, s11, s15
	s_add_co_u32 s15, s16, s18
	s_add_co_ci_u32 s28, s17, s9
	s_add_co_ci_u32 s15, s19, 0
	s_delay_alu instid0(SALU_CYCLE_1) | instskip(NEXT) | instid1(SALU_CYCLE_1)
	s_add_nc_u64 s[14:15], s[28:29], s[14:15]
	s_add_co_u32 s10, s10, s14
	s_cselect_b32 s9, -1, 0
	s_delay_alu instid0(SALU_CYCLE_1) | instskip(SKIP_1) | instid1(SALU_CYCLE_1)
	s_cmp_lg_u32 s9, 0
	s_add_co_ci_u32 s11, s11, s15
	s_mul_u64 s[12:13], s[12:13], s[10:11]
	s_delay_alu instid0(SALU_CYCLE_1)
	s_mul_hi_u32 s15, s10, s13
	s_mul_i32 s14, s10, s13
	s_mul_hi_u32 s28, s10, s12
	s_mul_i32 s16, s11, s12
	s_add_nc_u64 s[14:15], s[28:29], s[14:15]
	s_mul_hi_u32 s9, s11, s12
	s_mul_hi_u32 s17, s11, s13
	s_mul_i32 s12, s11, s13
	s_add_co_u32 s13, s14, s16
	s_add_co_ci_u32 s28, s15, s9
	s_add_co_ci_u32 s13, s17, 0
	s_delay_alu instid0(SALU_CYCLE_1) | instskip(NEXT) | instid1(SALU_CYCLE_1)
	s_add_nc_u64 s[12:13], s[28:29], s[12:13]
	s_add_co_u32 s9, s10, s12
	s_cselect_b32 s10, -1, 0
	s_mul_hi_u32 s28, s36, s9
	s_cmp_lg_u32 s10, 0
	s_mul_hi_u32 s14, s37, s9
	s_add_co_ci_u32 s12, s11, s13
	s_mul_i32 s9, s37, s9
	s_mul_hi_u32 s11, s36, s12
	s_mul_i32 s10, s36, s12
	s_mul_hi_u32 s13, s37, s12
	s_add_nc_u64 s[10:11], s[28:29], s[10:11]
	s_mul_i32 s12, s37, s12
	s_add_co_u32 s9, s10, s9
	s_add_co_ci_u32 s28, s11, s14
	s_add_co_ci_u32 s13, s13, 0
	s_delay_alu instid0(SALU_CYCLE_1) | instskip(NEXT) | instid1(SALU_CYCLE_1)
	s_add_nc_u64 s[10:11], s[28:29], s[12:13]
	s_and_b64 s[12:13], s[10:11], 0xffffffff00000000
	s_delay_alu instid0(SALU_CYCLE_1) | instskip(NEXT) | instid1(SALU_CYCLE_1)
	s_or_b32 s12, s12, s10
	s_mul_u64 s[10:11], s[20:21], s[12:13]
	s_delay_alu instid0(SALU_CYCLE_1) | instskip(SKIP_1) | instid1(SALU_CYCLE_1)
	s_sub_co_u32 s9, s36, s10
	s_cselect_b32 s10, -1, 0
	s_cmp_lg_u32 s10, 0
	s_sub_co_ci_u32 s10, s37, s11
	s_sub_co_u32 s11, s9, s20
	s_cselect_b32 s12, -1, 0
	s_delay_alu instid0(SALU_CYCLE_1) | instskip(SKIP_3) | instid1(SALU_CYCLE_1)
	s_cmp_lg_u32 s12, 0
	s_sub_co_ci_u32 s12, s10, 0
	s_sub_co_u32 s13, s11, s20
	s_cselect_b32 s14, -1, 0
	s_cmp_lg_u32 s14, 0
	s_sub_co_ci_u32 s14, s12, 0
	s_cmp_ge_u32 s11, s20
	s_cselect_b32 s15, -1, 0
	s_cmp_eq_u32 s12, 0
	s_cselect_b32 s15, s15, -1
	s_delay_alu instid0(SALU_CYCLE_1)
	s_cmp_lg_u32 s15, 0
	s_cselect_b32 s12, s14, s12
	s_cselect_b32 s13, s13, s11
	s_cmp_ge_u32 s9, s20
	s_cselect_b32 s11, -1, 0
	s_cmp_eq_u32 s10, 0
	s_cselect_b32 s11, s11, -1
	s_delay_alu instid0(SALU_CYCLE_1)
	s_cmp_lg_u32 s11, 0
	s_cselect_b32 s11, s12, s10
	s_cselect_b32 s10, s13, s9
	s_cbranch_execnz .LBB210_63
.LBB210_62:                             ;   in Loop: Header=BB210_18 Depth=1
	v_cvt_f32_u32_e32 v4, s20
	s_sub_co_i32 s10, 0, s20
	s_delay_alu instid0(VALU_DEP_1) | instskip(SKIP_1) | instid1(TRANS32_DEP_1)
	v_rcp_iflag_f32_e32 v4, v4
	v_nop
	v_mul_f32_e32 v4, 0x4f7ffffe, v4
	s_delay_alu instid0(VALU_DEP_1) | instskip(NEXT) | instid1(VALU_DEP_1)
	v_cvt_u32_f32_e32 v4, v4
	v_readfirstlane_b32 s9, v4
	s_mul_i32 s10, s10, s9
	s_delay_alu instid0(SALU_CYCLE_1) | instskip(NEXT) | instid1(SALU_CYCLE_1)
	s_mul_hi_u32 s10, s9, s10
	s_add_co_i32 s9, s9, s10
	s_delay_alu instid0(SALU_CYCLE_1) | instskip(NEXT) | instid1(SALU_CYCLE_1)
	s_mul_hi_u32 s9, s36, s9
	s_mul_i32 s9, s9, s20
	s_delay_alu instid0(SALU_CYCLE_1) | instskip(NEXT) | instid1(SALU_CYCLE_1)
	s_sub_co_i32 s9, s36, s9
	s_sub_co_i32 s10, s9, s20
	s_cmp_ge_u32 s9, s20
	s_cselect_b32 s9, s10, s9
	s_delay_alu instid0(SALU_CYCLE_1) | instskip(SKIP_2) | instid1(SALU_CYCLE_1)
	s_sub_co_i32 s10, s9, s20
	s_cmp_ge_u32 s9, s20
	s_cselect_b32 s28, s10, s9
	s_mov_b64 s[10:11], s[28:29]
.LBB210_63:                             ;   in Loop: Header=BB210_18 Depth=1
	v_mov_b64_e32 v[4:5], 0
	v_mov_b64_e32 v[6:7], 0
	;; [unrolled: 1-line block ×4, first 2 shown]
	s_sub_nc_u64 s[22:23], s[36:37], s[10:11]
	s_mov_b32 s19, exec_lo
	v_cmpx_gt_u64_e64 s[22:23], v[16:17]
	s_cbranch_execz .LBB210_67
; %bb.64:                               ;   in Loop: Header=BB210_18 Depth=1
	v_mov_b64_e32 v[24:25], v[16:17]
	s_mov_b64 s[24:25], 0
	s_mov_b32 s64, 0
	s_mov_b64 s[26:27], 0
	s_mov_b64 s[90:91], 0
	s_mov_b64 s[92:93], 0
.LBB210_65:                             ;   Parent Loop BB210_18 Depth=1
                                        ; =>  This Inner Loop Header: Depth=2
	s_delay_alu instid0(VALU_DEP_1) | instskip(SKIP_2) | instid1(VALU_DEP_1)
	v_mul_u64_e32 v[4:5], s[30:31], v[24:25]
	s_lshl_b64 s[10:11], s[30:31], 1
	v_add_nc_u64_e32 v[24:25], s[20:21], v[24:25]
	v_cmp_le_u64_e32 vcc_lo, s[22:23], v[24:25]
	s_delay_alu instid0(VALU_DEP_3)
	v_lshl_add_u64 v[4:5], v[4:5], 1, s[34:35]
	global_load_u16 v6, v[4:5], off
	s_wait_xcnt 0x0
	v_add_nc_u64_e32 v[4:5], s[10:11], v[4:5]
	global_load_u16 v7, v[4:5], off
	s_wait_xcnt 0x0
	v_add_nc_u64_e32 v[4:5], s[10:11], v[4:5]
	;; [unrolled: 3-line block ×3, first 2 shown]
	global_load_u16 v4, v[4:5], off
	s_wait_loadcnt 0x3
	v_cmp_lt_i16_e64 s9, -1, v6
	s_wait_xcnt 0x0
	v_and_b32_e32 v5, 0xffff, v6
	s_delay_alu instid0(VALU_DEP_2)
	v_cndmask_b32_e64 v9, 0xffff, v34, s9
	v_cmp_o_f16_e64 s9, v6, v6
	s_wait_loadcnt 0x2
	v_cmp_lt_i16_e64 s10, -1, v7
	v_and_b32_e32 v6, 0xffff, v7
	v_xor_b32_e32 v5, v9, v5
	s_delay_alu instid0(VALU_DEP_3) | instskip(NEXT) | instid1(VALU_DEP_2)
	v_cndmask_b32_e64 v9, 0xffff, v34, s10
	v_cndmask_b32_e64 v5, 0xffff, v5, s9
	s_wait_loadcnt 0x1
	v_cmp_lt_i16_e64 s10, -1, v8
	v_cmp_o_f16_e64 s9, v7, v7
	v_xor_b32_e32 v6, v9, v6
	v_and_b32_e32 v7, 0xffff, v8
	v_and_b32_e32 v10, v5, v35
	v_cndmask_b32_e64 v9, 0xffff, v34, s10
	v_bfe_u32 v5, v5, s48, 2
	v_cndmask_b32_e64 v6, 0xffff, v6, s9
	v_cmp_o_f16_e64 s9, v8, v8
	v_cmp_eq_u32_e64 s10, v10, v31
	v_xor_b32_e32 v7, v9, v7
	v_cmp_eq_u32_e64 s11, 0, v5
	v_cmp_eq_u32_e64 s12, 1, v5
	s_wait_loadcnt 0x0
	v_cmp_lt_i16_e64 s15, -1, v4
	v_cmp_eq_u32_e64 s13, 2, v5
	v_cndmask_b32_e64 v7, 0xffff, v7, s9
	s_and_b32 s9, s10, s11
	v_cmp_eq_u32_e64 s14, 3, v5
	v_cndmask_b32_e64 v10, 0, 1, s9
	s_and_b32 s9, s10, s12
	v_and_b32_e32 v5, 0xffff, v4
	v_cndmask_b32_e64 v8, 0xffff, v34, s15
	v_and_b32_e32 v9, v6, v35
	v_bfe_u32 v6, v6, s48, 2
	v_cndmask_b32_e64 v11, 0, 1, s9
	s_and_b32 s9, s10, s13
	v_xor_b32_e32 v5, v8, v5
	v_cndmask_b32_e64 v26, 0, 1, s9
	s_and_b32 s9, s10, s14
	v_cmp_eq_u32_e64 s10, v9, v31
	v_cndmask_b32_e64 v27, 0, 1, s9
	v_cmp_o_f16_e64 s9, v4, v4
	v_cmp_eq_u32_e64 s11, 0, v6
	v_cmp_eq_u32_e64 s12, 1, v6
	;; [unrolled: 1-line block ×4, first 2 shown]
	v_cndmask_b32_e64 v5, 0xffff, v5, s9
	s_and_b32 s9, s10, s11
	v_and_b32_e32 v4, v7, v35
	v_bfe_u32 v6, v7, s48, 2
	v_cndmask_b32_e64 v7, 0, 1, s9
	s_and_b32 s9, s10, s12
	v_cmp_ne_u32_e64 s15, 0, v10
	v_cndmask_b32_e64 v8, 0, 1, s9
	s_and_b32 s9, s10, s13
	v_cmp_eq_u32_e64 s11, 1, v6
	v_cndmask_b32_e64 v9, 0, 1, s9
	s_and_b32 s9, s10, s14
	v_cmp_eq_u32_e64 s10, 0, v6
	v_cndmask_b32_e64 v10, 0, 1, s9
	v_cmp_eq_u32_e64 s9, v4, v31
	v_cmp_eq_u32_e64 s12, 2, v6
	;; [unrolled: 1-line block ×3, first 2 shown]
	v_cmp_ne_u32_e64 s16, 0, v11
	v_and_b32_e32 v4, v5, v35
	s_and_b32 s10, s9, s10
	v_bfe_u32 v5, v5, s48, 2
	v_cndmask_b32_e64 v6, 0, 1, s10
	s_and_b32 s10, s9, s11
	v_cmp_ne_u32_e64 s14, 0, v7
	v_cndmask_b32_e64 v7, 0, 1, s10
	s_and_b32 s10, s9, s12
	s_and_b32 s9, s9, s13
	s_bcnt1_i32_b32 s28, s15
	s_bcnt1_i32_b32 s62, s16
	v_cmp_ne_u32_e64 s15, 0, v8
	v_cmp_ne_u32_e64 s16, 0, v9
	v_cndmask_b32_e64 v8, 0, 1, s10
	v_cndmask_b32_e64 v9, 0, 1, s9
	v_cmp_eq_u32_e64 s9, v4, v31
	v_cmp_eq_u32_e64 s10, 0, v5
	;; [unrolled: 1-line block ×3, first 2 shown]
	v_cmp_ne_u32_e64 s17, 0, v26
	v_cmp_eq_u32_e64 s12, 2, v5
	v_cmp_eq_u32_e64 s13, 3, v5
	s_bcnt1_i32_b32 s14, s14
	s_and_b32 s10, s9, s10
	s_bcnt1_i32_b32 s15, s15
	s_add_co_i32 s28, s14, s28
	v_cmp_ne_u32_e64 s14, 0, v6
	v_cndmask_b32_e64 v4, 0, 1, s10
	s_and_b32 s10, s9, s11
	s_bcnt1_i32_b32 s63, s17
	s_bcnt1_i32_b32 s16, s16
	s_add_co_i32 s62, s15, s62
	v_cmp_ne_u32_e64 s15, 0, v7
	v_cndmask_b32_e64 v5, 0, 1, s10
	s_and_b32 s10, s9, s12
	s_and_b32 s9, s9, s13
	v_cmp_ne_u32_e64 s18, 0, v27
	v_cmp_ne_u32_e64 s17, 0, v10
	s_add_co_i32 s63, s16, s63
	v_cmp_ne_u32_e64 s16, 0, v8
	v_cndmask_b32_e64 v7, 0, 1, s9
	s_bcnt1_i32_b32 s9, s14
	v_cndmask_b32_e64 v6, 0, 1, s10
	s_bcnt1_i32_b32 s10, s15
	s_add_co_i32 s14, s28, s9
	v_cmp_ne_u32_e64 s9, 0, v4
	s_bcnt1_i32_b32 s18, s18
	s_bcnt1_i32_b32 s17, s17
	;; [unrolled: 1-line block ×3, first 2 shown]
	s_add_co_i32 s15, s62, s10
	v_cmp_ne_u32_e64 s10, 0, v5
	s_add_co_i32 s18, s17, s18
	v_cmp_ne_u32_e64 s17, 0, v9
	;; [unrolled: 2-line block ×3, first 2 shown]
	s_bcnt1_i32_b32 s9, s9
	v_cmp_ne_u32_e64 s12, 0, v7
	s_bcnt1_i32_b32 s10, s10
	s_add_co_i32 s28, s14, s9
	s_bcnt1_i32_b32 s13, s17
	s_bcnt1_i32_b32 s11, s11
	s_add_nc_u64 s[92:93], s[92:93], s[28:29]
	s_add_co_i32 s28, s15, s10
	s_add_co_i32 s13, s18, s13
	s_bcnt1_i32_b32 s12, s12
	s_add_nc_u64 s[90:91], s[90:91], s[28:29]
	s_add_co_i32 s28, s16, s11
	v_mov_b64_e32 v[4:5], s[92:93]
	s_add_nc_u64 s[26:27], s[26:27], s[28:29]
	s_add_co_i32 s28, s13, s12
	v_mov_b64_e32 v[6:7], s[90:91]
	s_add_nc_u64 s[24:25], s[24:25], s[28:29]
	v_mov_b64_e32 v[8:9], s[26:27]
	v_mov_b64_e32 v[10:11], s[24:25]
	s_or_b32 s64, vcc_lo, s64
	s_delay_alu instid0(SALU_CYCLE_1)
	s_and_not1_b32 exec_lo, exec_lo, s64
	s_cbranch_execnz .LBB210_65
; %bb.66:                               ;   in Loop: Header=BB210_18 Depth=1
	s_or_b32 exec_lo, exec_lo, s64
.LBB210_67:                             ;   in Loop: Header=BB210_18 Depth=1
	s_delay_alu instid0(SALU_CYCLE_1) | instskip(SKIP_3) | instid1(VALU_DEP_2)
	s_or_b32 exec_lo, exec_lo, s19
	v_add_nc_u64_e32 v[24:25], s[22:23], v[0:1]
	v_and_b32_e32 v2, 0xffff, v2
	s_mov_b32 s12, exec_lo
	v_cmpx_gt_u64_e64 s[36:37], v[24:25]
	s_cbranch_execz .LBB210_73
; %bb.68:                               ;   in Loop: Header=BB210_18 Depth=1
	v_mul_u64_e32 v[26:27], s[30:31], v[24:25]
	s_mov_b32 s13, 0
	s_delay_alu instid0(VALU_DEP_1)
	v_lshl_add_u64 v[26:27], v[26:27], 1, s[34:35]
	global_load_u16 v27, v[26:27], off
	s_branch .LBB210_70
.LBB210_69:                             ;   in Loop: Header=BB210_70 Depth=2
	s_wait_xcnt 0x0
	s_or_b32 exec_lo, exec_lo, s10
	s_wait_loadcnt 0x0
	v_cmp_lt_i16_e64 s9, -1, v27
	v_and_b32_e32 v37, 0xffff, v27
	s_and_b32 s11, exec_lo, vcc_lo
	s_delay_alu instid0(SALU_CYCLE_1) | instskip(SKIP_2) | instid1(VALU_DEP_2)
	s_or_b32 s13, s11, s13
	v_cndmask_b32_e64 v38, 0xffff, v34, s9
	v_cmp_o_f16_e64 s9, v27, v27
	v_xor_b32_e32 v37, v38, v37
	s_delay_alu instid0(VALU_DEP_1) | instskip(NEXT) | instid1(VALU_DEP_1)
	v_cndmask_b32_e64 v27, 0xffff, v37, s9
	v_and_b32_e32 v37, v27, v35
	v_bfe_u32 v27, v27, s48, 2
	s_delay_alu instid0(VALU_DEP_2) | instskip(NEXT) | instid1(VALU_DEP_2)
	v_cmp_eq_u32_e64 s9, v37, v31
	v_cmp_eq_u32_e64 s10, 0, v27
	v_cmp_eq_u32_e32 vcc_lo, 1, v27
	s_and_b32 s10, s9, s10
	s_and_b32 s11, s9, vcc_lo
	v_cndmask_b32_e64 v37, 0, 1, s10
	v_cmp_eq_u32_e64 s10, 2, v27
	v_cmp_eq_u32_e32 vcc_lo, 3, v27
	v_cndmask_b32_e64 v38, 0, 1, s11
	s_delay_alu instid0(VALU_DEP_4)
	v_cmp_ne_u32_e64 s11, 0, v37
	s_and_b32 s10, s9, s10
	s_and_b32 s9, s9, vcc_lo
	v_cndmask_b32_e64 v27, 0, 1, s10
	v_cndmask_b32_e64 v37, 0, 1, s9
	v_cmp_ne_u32_e64 s10, 0, v38
	s_bcnt1_i32_b32 s28, s11
	v_cmp_ne_u32_e32 vcc_lo, 0, v27
	v_cmp_ne_u32_e64 s9, 0, v37
	v_add_nc_u64_e32 v[4:5], s[28:29], v[4:5]
	s_bcnt1_i32_b32 s28, s10
	v_mov_b32_e32 v27, v26
	v_add_nc_u64_e32 v[6:7], s[28:29], v[6:7]
	s_bcnt1_i32_b32 s28, vcc_lo
	s_delay_alu instid0(SALU_CYCLE_1) | instskip(SKIP_1) | instid1(SALU_CYCLE_1)
	v_add_nc_u64_e32 v[8:9], s[28:29], v[8:9]
	s_bcnt1_i32_b32 s28, s9
	v_add_nc_u64_e32 v[10:11], s[28:29], v[10:11]
	s_and_not1_b32 exec_lo, exec_lo, s13
	s_cbranch_execz .LBB210_72
.LBB210_70:                             ;   Parent Loop BB210_18 Depth=1
                                        ; =>  This Inner Loop Header: Depth=2
	v_add_nc_u64_e32 v[24:25], v[24:25], v[2:3]
	s_wait_xcnt 0x0
	v_mov_b32_e32 v26, 0
	s_mov_b32 s10, exec_lo
	s_delay_alu instid0(VALU_DEP_2)
	v_cmp_le_u64_e32 vcc_lo, s[36:37], v[24:25]
	v_cmpx_gt_u64_e64 s[36:37], v[24:25]
	s_cbranch_execz .LBB210_69
; %bb.71:                               ;   in Loop: Header=BB210_70 Depth=2
	v_mul_u64_e32 v[38:39], s[30:31], v[24:25]
	s_delay_alu instid0(VALU_DEP_1)
	v_lshl_add_u64 v[38:39], v[38:39], 1, s[34:35]
	global_load_u16 v26, v[38:39], off
	s_branch .LBB210_69
.LBB210_72:                             ;   in Loop: Header=BB210_18 Depth=1
	s_or_b32 exec_lo, exec_lo, s13
.LBB210_73:                             ;   in Loop: Header=BB210_18 Depth=1
	s_delay_alu instid0(SALU_CYCLE_1)
	s_or_b32 exec_lo, exec_lo, s12
	s_branch .LBB210_52
.LBB210_74:                             ;   in Loop: Header=BB210_18 Depth=1
	global_load_u16 v2, v3, s[86:87]
	s_mov_b32 s91, s29
	v_mov_b64_e32 v[6:7], 0
	v_mov_b64_e32 v[8:9], 0
	;; [unrolled: 1-line block ×3, first 2 shown]
	s_mov_b32 s65, exec_lo
	s_wait_loadcnt 0x0
	v_readfirstlane_b32 s9, v2
	v_and_b32_e32 v2, 0xffff, v2
	s_and_b32 s64, 0xffff, s9
	s_delay_alu instid0(SALU_CYCLE_1) | instskip(NEXT) | instid1(SALU_CYCLE_1)
	s_lshl_b32 s92, s64, 2
	s_cvt_f32_u32 s9, s92
	s_sub_co_i32 s10, 0, s92
	s_delay_alu instid0(SALU_CYCLE_2) | instskip(SKIP_1) | instid1(TRANS32_DEP_1)
	v_rcp_iflag_f32_e32 v4, s9
	v_nop
	v_readfirstlane_b32 s9, v4
	s_mul_f32 s9, s9, 0x4f7ffffe
	s_delay_alu instid0(SALU_CYCLE_3) | instskip(NEXT) | instid1(SALU_CYCLE_3)
	s_cvt_u32_f32 s9, s9
	s_mul_i32 s10, s10, s9
	s_delay_alu instid0(SALU_CYCLE_1) | instskip(NEXT) | instid1(SALU_CYCLE_1)
	s_mul_hi_u32 s10, s9, s10
	s_add_co_i32 s9, s9, s10
	s_delay_alu instid0(SALU_CYCLE_1) | instskip(NEXT) | instid1(SALU_CYCLE_1)
	s_mul_hi_u32 s9, s88, s9
	s_mul_i32 s10, s9, s92
	s_add_co_i32 s11, s9, 1
	s_sub_co_i32 s10, s88, s10
	s_delay_alu instid0(SALU_CYCLE_1)
	s_sub_co_i32 s12, s10, s92
	s_cmp_ge_u32 s10, s92
	s_cselect_b32 s9, s11, s9
	s_cselect_b32 s10, s12, s10
	s_add_co_i32 s11, s9, 1
	s_cmp_ge_u32 s10, s92
	s_cselect_b32 s90, s11, s9
	s_delay_alu instid0(SALU_CYCLE_1) | instskip(NEXT) | instid1(VALU_DEP_1)
	v_mul_u64_e32 v[4:5], s[90:91], v[2:3]
	v_lshlrev_b64_e32 v[24:25], 2, v[4:5]
	v_mov_b64_e32 v[4:5], 0
	s_delay_alu instid0(VALU_DEP_2)
	v_cmpx_gt_u64_e64 v[24:25], v[16:17]
	s_cbranch_execz .LBB210_78
; %bb.75:                               ;   in Loop: Header=BB210_18 Depth=1
	v_mov_b64_e32 v[26:27], v[16:17]
	v_mov_b32_e32 v37, v32
	s_mov_b32 s93, s29
	s_lshl_b32 s91, s64, 3
	s_mov_b64 s[94:95], 0
	s_mov_b32 s62, 0
	s_mov_b64 s[96:97], 0
	s_mov_b64 s[98:99], 0
	;; [unrolled: 1-line block ×3, first 2 shown]
.LBB210_76:                             ;   Parent Loop BB210_18 Depth=1
                                        ; =>  This Inner Loop Header: Depth=2
	ds_load_b64 v[4:5], v37
	v_add_nc_u32_e32 v37, s91, v37
	v_add_nc_u64_e32 v[26:27], s[92:93], v[26:27]
	s_delay_alu instid0(VALU_DEP_1) | instskip(SKIP_4) | instid1(VALU_DEP_3)
	v_cmp_ge_u64_e32 vcc_lo, v[26:27], v[24:25]
	s_wait_dscnt 0x0
	v_cmp_lt_i16_e64 s9, -1, v4
	v_lshrrev_b32_e32 v6, 16, v4
	v_cmp_o_f16_e64 s10, v4, v4
	v_cndmask_b32_e64 v8, 0xffff, v34, s9
	v_cmp_lt_i16_e64 s9, -1, v5
	s_delay_alu instid0(VALU_DEP_2) | instskip(NEXT) | instid1(VALU_DEP_2)
	v_bitop3_b32 v8, v8, v4, 0xffff bitop3:0x78
	v_cndmask_b32_e64 v9, 0xffff, v34, s9
	v_cmp_lt_i16_e64 s9, -1, v6
	s_delay_alu instid0(VALU_DEP_2) | instskip(NEXT) | instid1(VALU_DEP_2)
	v_bitop3_b32 v9, v9, v5, 0xffff bitop3:0x78
	v_cndmask_b32_e64 v10, 0xffff, v34, s9
	s_delay_alu instid0(VALU_DEP_1) | instskip(NEXT) | instid1(VALU_DEP_1)
	v_dual_lshrrev_b32 v7, 16, v5 :: v_dual_bitop2_b32 v4, v10, v6 bitop3:0x14
	v_cmp_lt_i16_e64 s9, -1, v7
	s_delay_alu instid0(VALU_DEP_1) | instskip(SKIP_3) | instid1(VALU_DEP_4)
	v_cndmask_b32_e64 v11, 0xffff, v34, s9
	v_cmp_o_f16_e64 s9, v5, v5
	v_cndmask_b32_e64 v5, 0xffff, v8, s10
	v_cmp_o_f16_e64 s10, v7, v7
	v_xor_b32_e32 v8, v11, v7
	s_delay_alu instid0(VALU_DEP_4)
	v_cndmask_b32_e64 v7, 0xffff, v9, s9
	v_cmp_o_f16_e64 s9, v6, v6
	v_and_b32_e32 v6, v5, v35
	v_bfe_u32 v5, v5, s48, 2
	v_cndmask_b32_e64 v8, 0xffff, v8, s10
	v_and_b32_e32 v9, v7, v35
	v_cndmask_b32_e64 v4, 0xffff, v4, s9
	v_bfe_u32 v7, v7, s48, 2
	v_cmp_eq_u32_e64 s9, v6, v31
	v_cmp_eq_u32_e64 s11, 0, v5
	;; [unrolled: 1-line block ×3, first 2 shown]
	v_and_b32_e32 v6, v4, v35
	v_bfe_u32 v4, v4, s48, 2
	v_cmp_eq_u32_e64 s12, 0, v7
	v_cmp_eq_u32_e64 s13, 1, v5
	s_and_b32 s11, s9, s11
	v_cmp_eq_u32_e64 s14, 1, v7
	v_and_b32_e32 v9, v8, v35
	v_bfe_u32 v8, v8, s48, 2
	v_cmp_eq_u32_e64 s21, 0, v4
	v_cmp_eq_u32_e64 s23, 1, v4
	;; [unrolled: 1-line block ×4, first 2 shown]
	v_cndmask_b32_e64 v4, 0, 1, s11
	s_and_b32 s11, s10, s12
	v_cmp_eq_u32_e64 s15, 2, v5
	v_cmp_eq_u32_e64 s17, 3, v5
	v_cndmask_b32_e64 v5, 0, 1, s11
	s_and_b32 s11, s9, s13
	v_cmp_eq_u32_e64 s16, 2, v7
	v_cmp_eq_u32_e64 s18, 3, v7
	;; [unrolled: 1-line block ×3, first 2 shown]
	v_cndmask_b32_e64 v6, 0, 1, s11
	s_and_b32 s11, s10, s14
	v_cmp_eq_u32_e64 s20, v9, v31
	v_cmp_eq_u32_e64 s22, 0, v8
	v_cndmask_b32_e64 v7, 0, 1, s11
	s_and_b32 s11, s9, s15
	s_and_b32 s9, s9, s17
	v_cmp_eq_u32_e64 s24, 1, v8
	v_cmp_eq_u32_e64 s26, 2, v8
	;; [unrolled: 1-line block ×3, first 2 shown]
	v_cndmask_b32_e64 v8, 0, 1, s11
	s_and_b32 s11, s10, s16
	v_cndmask_b32_e64 v10, 0, 1, s9
	s_and_b32 s9, s10, s18
	s_and_b32 s10, s19, s21
	v_cndmask_b32_e64 v9, 0, 1, s11
	v_cndmask_b32_e64 v11, 0, 1, s9
	v_cmp_ne_u32_e64 s9, 0, v4
	v_cndmask_b32_e64 v4, 0, 1, s10
	s_and_b32 s11, s20, s22
	s_and_b32 s12, s19, s23
	v_cmp_ne_u32_e64 s10, 0, v5
	v_cndmask_b32_e64 v5, 0, 1, s11
	v_cmp_ne_u32_e64 s11, 0, v6
	v_cndmask_b32_e64 v6, 0, 1, s12
	s_and_b32 s13, s20, s24
	s_and_b32 s14, s19, s25
	;; [unrolled: 1-line block ×5, first 2 shown]
	v_cmp_ne_u32_e64 s12, 0, v7
	v_cndmask_b32_e64 v7, 0, 1, s13
	v_cmp_ne_u32_e64 s13, 0, v8
	v_cndmask_b32_e64 v8, 0, 1, s14
	;; [unrolled: 2-line block ×5, first 2 shown]
	s_bcnt1_i32_b32 s17, s9
	v_cmp_ne_u32_e64 s9, 0, v4
	s_bcnt1_i32_b32 s19, s11
	v_cmp_ne_u32_e64 s11, 0, v6
	;; [unrolled: 2-line block ×4, first 2 shown]
	s_bcnt1_i32_b32 s9, s9
	s_bcnt1_i32_b32 s20, s12
	v_cmp_ne_u32_e64 s12, 0, v7
	s_bcnt1_i32_b32 s23, s15
	v_cmp_ne_u32_e64 s15, 0, v10
	s_bcnt1_i32_b32 s11, s11
	s_add_co_i32 s9, s9, s17
	s_bcnt1_i32_b32 s22, s14
	v_cmp_ne_u32_e64 s14, 0, v9
	s_bcnt1_i32_b32 s10, s10
	s_bcnt1_i32_b32 s13, s13
	s_add_co_i32 s11, s11, s19
	s_add_co_i32 s9, s9, s18
	s_bcnt1_i32_b32 s24, s16
	v_cmp_ne_u32_e64 s16, 0, v11
	s_bcnt1_i32_b32 s12, s12
	s_bcnt1_i32_b32 s15, s15
	s_add_co_i32 s13, s13, s21
	s_add_co_i32 s11, s11, s20
	;; [unrolled: 1-line block ×3, first 2 shown]
	s_bcnt1_i32_b32 s14, s14
	s_add_co_i32 s15, s15, s23
	s_add_co_i32 s13, s13, s22
	s_add_nc_u64 s[100:101], s[100:101], s[28:29]
	s_add_co_i32 s28, s11, s12
	s_bcnt1_i32_b32 s16, s16
	s_add_co_i32 s15, s15, s24
	s_add_nc_u64 s[98:99], s[98:99], s[28:29]
	s_add_co_i32 s28, s13, s14
	v_mov_b64_e32 v[4:5], s[100:101]
	s_add_nc_u64 s[96:97], s[96:97], s[28:29]
	s_add_co_i32 s28, s15, s16
	v_mov_b64_e32 v[6:7], s[98:99]
	s_add_nc_u64 s[94:95], s[94:95], s[28:29]
	v_mov_b64_e32 v[8:9], s[96:97]
	v_mov_b64_e32 v[10:11], s[94:95]
	s_or_b32 s62, vcc_lo, s62
	s_delay_alu instid0(SALU_CYCLE_1)
	s_and_not1_b32 exec_lo, exec_lo, s62
	s_cbranch_execnz .LBB210_76
; %bb.77:                               ;   in Loop: Header=BB210_18 Depth=1
	s_or_b32 exec_lo, exec_lo, s62
.LBB210_78:                             ;   in Loop: Header=BB210_18 Depth=1
	s_delay_alu instid0(SALU_CYCLE_1) | instskip(SKIP_3) | instid1(VALU_DEP_1)
	s_or_b32 exec_lo, exec_lo, s65
	v_add_nc_u64_e32 v[24:25], v[24:25], v[0:1]
	s_and_b64 s[14:15], s[88:89], 0x7fffffff
	s_mov_b32 s16, exec_lo
	v_cmpx_gt_u64_e64 s[14:15], v[24:25]
	s_cbranch_execz .LBB210_82
; %bb.79:                               ;   in Loop: Header=BB210_18 Depth=1
	s_mul_i32 s9, s90, s64
	s_lshl_b32 s18, s64, 1
	v_lshl_add_u32 v26, s9, 3, v28
	s_mov_b32 s17, 0
.LBB210_80:                             ;   Parent Loop BB210_18 Depth=1
                                        ; =>  This Inner Loop Header: Depth=2
	ds_load_u16 v27, v26
	v_add_nc_u64_e32 v[24:25], v[24:25], v[2:3]
	v_add_nc_u32_e32 v26, s18, v26
	s_delay_alu instid0(VALU_DEP_2) | instskip(SKIP_3) | instid1(VALU_DEP_2)
	v_cmp_le_u64_e32 vcc_lo, s[14:15], v[24:25]
	s_wait_dscnt 0x0
	v_cmp_lt_i16_e64 s9, -1, v27
	v_and_b32_e32 v37, 0xffff, v27
	v_cndmask_b32_e64 v38, 0xffff, v34, s9
	v_cmp_o_f16_e64 s9, v27, v27
	s_delay_alu instid0(VALU_DEP_2) | instskip(NEXT) | instid1(VALU_DEP_1)
	v_xor_b32_e32 v37, v38, v37
	v_cndmask_b32_e64 v27, 0xffff, v37, s9
	s_delay_alu instid0(VALU_DEP_1) | instskip(SKIP_1) | instid1(VALU_DEP_2)
	v_and_b32_e32 v37, v27, v35
	v_bfe_u32 v27, v27, s48, 2
	v_cmp_eq_u32_e64 s9, v37, v31
	s_delay_alu instid0(VALU_DEP_2) | instskip(SKIP_4) | instid1(SALU_CYCLE_1)
	v_cmp_eq_u32_e64 s10, 0, v27
	v_cmp_eq_u32_e64 s11, 1, v27
	;; [unrolled: 1-line block ×4, first 2 shown]
	s_and_b32 s10, s9, s10
	v_cndmask_b32_e64 v27, 0, 1, s10
	s_and_b32 s10, s9, s11
	s_delay_alu instid0(SALU_CYCLE_1)
	v_cndmask_b32_e64 v37, 0, 1, s10
	s_and_b32 s10, s9, s12
	s_and_b32 s9, s9, s13
	v_cndmask_b32_e64 v38, 0, 1, s10
	v_cndmask_b32_e64 v39, 0, 1, s9
	v_cmp_ne_u32_e64 s9, 0, v27
	v_cmp_ne_u32_e64 s10, 0, v37
	s_delay_alu instid0(VALU_DEP_4) | instskip(NEXT) | instid1(VALU_DEP_4)
	v_cmp_ne_u32_e64 s11, 0, v38
	v_cmp_ne_u32_e64 s12, 0, v39
	s_bcnt1_i32_b32 s28, s9
	s_delay_alu instid0(SALU_CYCLE_1) | instskip(SKIP_1) | instid1(SALU_CYCLE_1)
	v_add_nc_u64_e32 v[4:5], s[28:29], v[4:5]
	s_bcnt1_i32_b32 s28, s10
	v_add_nc_u64_e32 v[6:7], s[28:29], v[6:7]
	s_bcnt1_i32_b32 s28, s11
	s_delay_alu instid0(SALU_CYCLE_1)
	v_add_nc_u64_e32 v[8:9], s[28:29], v[8:9]
	s_bcnt1_i32_b32 s28, s12
	s_or_b32 s17, vcc_lo, s17
	v_add_nc_u64_e32 v[10:11], s[28:29], v[10:11]
	s_and_not1_b32 exec_lo, exec_lo, s17
	s_cbranch_execnz .LBB210_80
; %bb.81:                               ;   in Loop: Header=BB210_18 Depth=1
	s_or_b32 exec_lo, exec_lo, s17
.LBB210_82:                             ;   in Loop: Header=BB210_18 Depth=1
	s_delay_alu instid0(SALU_CYCLE_1)
	s_or_b32 exec_lo, exec_lo, s16
	s_lshl_b32 s9, s51, 7
	s_and_saveexec_b32 s10, s2
	s_cbranch_execnz .LBB210_53
	s_branch .LBB210_54
.LBB210_83:                             ;   in Loop: Header=BB210_18 Depth=1
                                        ; implicit-def: $sgpr10_sgpr11
	s_branch .LBB210_62
.LBB210_84:                             ;   in Loop: Header=BB210_18 Depth=1
	s_mov_b32 s11, 0
	s_and_not1_b32 vcc_lo, exec_lo, s70
	s_cbranch_vccnz .LBB210_87
.LBB210_85:                             ;   in Loop: Header=BB210_18 Depth=1
	s_lshl_b32 s12, s51, 10
	s_lshl_b32 s11, s11, 5
	s_delay_alu instid0(SALU_CYCLE_1)
	v_add3_u32 v2, s12, s11, v33
	v_readlane_b32 s11, v46, 23
.LBB210_86:                             ;   Parent Loop BB210_18 Depth=1
                                        ; =>  This Inner Loop Header: Depth=2
	ds_load_b64 v[6:7], v2
	v_add_nc_u32_e32 v2, 32, v2
	s_add_co_i32 s11, s11, -1
	s_delay_alu instid0(SALU_CYCLE_1)
	s_cmp_lg_u32 s11, 0
	s_wait_dscnt 0x0
	v_add_nc_u64_e32 v[4:5], v[6:7], v[4:5]
	s_cbranch_scc1 .LBB210_86
.LBB210_87:                             ;   in Loop: Header=BB210_18 Depth=1
	v_add_lshl_u32 v2, s9, v13, 3
	ds_store_b64 v2, v[4:5] offset:3072
.LBB210_88:                             ;   in Loop: Header=BB210_18 Depth=1
	s_or_b32 exec_lo, exec_lo, s10
	s_lshl_b32 s9, s9, 3
	s_wait_dscnt 0x0
	v_mov_b32_e32 v2, s9
	s_barrier_signal -1
	s_barrier_wait -1
	v_cmp_eq_u64_e64 s9, 1, v[22:23]
	ds_load_b128 v[4:7], v2 offset:3072
	ds_load_b128 v[8:11], v2 offset:3088
	s_lshl_b32 s24, 3, s48
	s_mov_b32 s91, -1
	s_not_b32 s25, s24
	s_mov_b32 s26, 0
	s_and_not1_b32 vcc_lo, exec_lo, s103
	s_mov_b32 s88, 0
	s_mov_b32 s27, 0
                                        ; implicit-def: $sgpr89
                                        ; implicit-def: $sgpr90
                                        ; implicit-def: $vgpr2
	s_wait_dscnt 0x1
	v_readfirstlane_b32 s13, v5
	v_readfirstlane_b32 s12, v4
	;; [unrolled: 1-line block ×4, first 2 shown]
	s_wait_dscnt 0x0
	v_readfirstlane_b32 s17, v9
	v_readfirstlane_b32 s16, v8
	v_readfirstlane_b32 s19, v11
	v_readfirstlane_b32 s18, v10
                                        ; implicit-def: $vgpr4_vgpr5
                                        ; implicit-def: $vgpr8
                                        ; implicit-def: $vgpr9
                                        ; implicit-def: $vgpr10
	s_cbranch_vccnz .LBB210_291
; %bb.89:                               ;   in Loop: Header=BB210_18 Depth=1
	s_cmp_eq_u64 s[12:13], 1
	v_dual_mov_b32 v8, v31 :: v_dual_mov_b32 v9, v35
	v_mov_b32_e32 v10, v36
	s_cselect_b32 s10, -1, 0
                                        ; implicit-def: $sgpr90
                                        ; implicit-def: $sgpr89
	s_delay_alu instid0(SALU_CYCLE_1)
	s_and_b32 s93, s10, s9
	s_mov_b32 s10, -1
	s_and_saveexec_b32 s27, s93
	s_cbranch_execz .LBB210_126
; %bb.90:                               ;   in Loop: Header=BB210_18 Depth=1
	ds_load_b64 v[4:5], v3 offset:5120
	s_wait_dscnt 0x0
	s_barrier_signal -1
	s_barrier_wait -1
	v_readfirstlane_b32 s10, v4
	v_readfirstlane_b32 s11, v5
	s_and_saveexec_b32 s20, s6
; %bb.91:                               ;   in Loop: Header=BB210_18 Depth=1
	ds_store_b16 v29, v3
; %bb.92:                               ;   in Loop: Header=BB210_18 Depth=1
	s_or_b32 exec_lo, exec_lo, s20
	v_and_b32_e32 v8, s25, v31
	v_or_b32_e32 v9, s24, v35
	s_mov_b32 s89, -1
	s_mov_b32 s90, 0
	s_cmp_eq_u64 s[10:11], 0
	s_mov_b32 s22, 0
	s_mov_b32 s23, -1
	s_wait_dscnt 0x0
	s_barrier_signal -1
	s_barrier_wait -1
                                        ; implicit-def: $vgpr10
	s_cbranch_scc1 .LBB210_110
; %bb.93:                               ;   in Loop: Header=BB210_18 Depth=1
	s_add_nc_u64 s[20:21], s[10:11], s[74:75]
	s_delay_alu instid0(SALU_CYCLE_1) | instskip(NEXT) | instid1(SALU_CYCLE_1)
	s_and_b64 s[22:23], s[20:21], 0xffffffff00000000
	s_cmp_lg_u64 s[22:23], 0
	s_cbranch_scc0 .LBB210_153
; %bb.94:                               ;   in Loop: Header=BB210_18 Depth=1
	s_cvt_f32_u32 s3, s56
	s_sub_nc_u64 s[62:63], 0, s[56:57]
	s_delay_alu instid0(SALU_CYCLE_2) | instskip(NEXT) | instid1(SALU_CYCLE_3)
	s_fmamk_f32 s3, s72, 0x0, s3
	v_s_rcp_f32 s3, s3
	s_delay_alu instid0(TRANS32_DEP_1) | instskip(NEXT) | instid1(SALU_CYCLE_3)
	s_mul_f32 s3, s3, 0x5f7ffffc
	s_mul_f32 s22, s3, 0x2f800000
	s_delay_alu instid0(SALU_CYCLE_3) | instskip(NEXT) | instid1(SALU_CYCLE_3)
	s_trunc_f32 s22, s22
	s_fmamk_f32 s3, s22, 0xcf800000, s3
	s_cvt_u32_f32 s23, s22
	s_delay_alu instid0(SALU_CYCLE_2) | instskip(NEXT) | instid1(SALU_CYCLE_3)
	s_cvt_u32_f32 s22, s3
	s_mul_u64 s[64:65], s[62:63], s[22:23]
	s_delay_alu instid0(SALU_CYCLE_1)
	s_mul_hi_u32 s67, s22, s65
	s_mul_i32 s66, s22, s65
	s_mul_hi_u32 s28, s22, s64
	s_mul_i32 s40, s23, s64
	s_add_nc_u64 s[66:67], s[28:29], s[66:67]
	s_mul_hi_u32 s3, s23, s64
	s_mul_hi_u32 s41, s23, s65
	s_add_co_u32 s28, s66, s40
	s_add_co_ci_u32 s28, s67, s3
	s_mul_i32 s64, s23, s65
	s_add_co_ci_u32 s65, s41, 0
	s_delay_alu instid0(SALU_CYCLE_1) | instskip(NEXT) | instid1(SALU_CYCLE_1)
	s_add_nc_u64 s[64:65], s[28:29], s[64:65]
	s_add_co_u32 s22, s22, s64
	s_cselect_b32 s3, -1, 0
	s_delay_alu instid0(SALU_CYCLE_1) | instskip(SKIP_1) | instid1(SALU_CYCLE_1)
	s_cmp_lg_u32 s3, 0
	s_add_co_ci_u32 s23, s23, s65
	s_mul_u64 s[62:63], s[62:63], s[22:23]
	s_delay_alu instid0(SALU_CYCLE_1)
	s_mul_hi_u32 s65, s22, s63
	s_mul_i32 s64, s22, s63
	s_mul_hi_u32 s28, s22, s62
	s_mul_i32 s40, s23, s62
	s_add_nc_u64 s[64:65], s[28:29], s[64:65]
	s_mul_hi_u32 s3, s23, s62
	s_mul_hi_u32 s41, s23, s63
	s_add_co_u32 s28, s64, s40
	s_add_co_ci_u32 s28, s65, s3
	s_mul_i32 s62, s23, s63
	s_add_co_ci_u32 s63, s41, 0
	s_delay_alu instid0(SALU_CYCLE_1) | instskip(NEXT) | instid1(SALU_CYCLE_1)
	s_add_nc_u64 s[62:63], s[28:29], s[62:63]
	s_add_co_u32 s3, s22, s62
	s_cselect_b32 s22, -1, 0
	s_mul_hi_u32 s28, s20, s3
	s_cmp_lg_u32 s22, 0
	s_mul_hi_u32 s40, s21, s3
	s_add_co_ci_u32 s41, s23, s63
	s_mul_i32 s3, s21, s3
	s_mul_hi_u32 s23, s20, s41
	s_mul_i32 s22, s20, s41
	s_mul_hi_u32 s42, s21, s41
	s_add_nc_u64 s[22:23], s[28:29], s[22:23]
	s_mul_i32 s62, s21, s41
	s_add_co_u32 s3, s22, s3
	s_add_co_ci_u32 s28, s23, s40
	s_add_co_ci_u32 s63, s42, 0
	s_delay_alu instid0(SALU_CYCLE_1) | instskip(NEXT) | instid1(SALU_CYCLE_1)
	s_add_nc_u64 s[22:23], s[28:29], s[62:63]
	s_and_b64 s[62:63], s[22:23], 0xffffffff00000000
	s_delay_alu instid0(SALU_CYCLE_1) | instskip(NEXT) | instid1(SALU_CYCLE_1)
	s_or_b32 s62, s62, s22
	s_mul_u64 s[22:23], s[56:57], s[62:63]
	s_delay_alu instid0(SALU_CYCLE_1) | instskip(SKIP_1) | instid1(SALU_CYCLE_1)
	s_sub_co_u32 s3, s20, s22
	s_cselect_b32 s22, -1, 0
	s_cmp_lg_u32 s22, 0
	s_sub_co_ci_u32 s22, s21, s23
	s_sub_co_u32 s23, s3, s56
	s_cselect_b32 s28, -1, 0
	s_delay_alu instid0(SALU_CYCLE_1) | instskip(SKIP_3) | instid1(SALU_CYCLE_1)
	s_cmp_lg_u32 s28, 0
	s_sub_co_ci_u32 s28, s22, 0
	s_sub_co_u32 s40, s23, s56
	s_cselect_b32 s41, -1, 0
	s_cmp_lg_u32 s41, 0
	s_sub_co_ci_u32 s41, s28, 0
	s_cmp_ge_u32 s23, s56
	s_cselect_b32 s42, -1, 0
	s_cmp_eq_u32 s28, 0
	s_cselect_b32 s42, s42, -1
	s_delay_alu instid0(SALU_CYCLE_1)
	s_cmp_lg_u32 s42, 0
	s_cselect_b32 s28, s41, s28
	s_cselect_b32 s40, s40, s23
	s_cmp_ge_u32 s3, s56
	s_cselect_b32 s23, -1, 0
	s_cmp_eq_u32 s22, 0
	s_cselect_b32 s23, s23, -1
	s_delay_alu instid0(SALU_CYCLE_1)
	s_cmp_lg_u32 s23, 0
	s_cselect_b32 s23, s28, s22
	s_cselect_b32 s22, s40, s3
	s_cbranch_execnz .LBB210_96
.LBB210_95:                             ;   in Loop: Header=BB210_18 Depth=1
	v_cvt_f32_u32_e32 v2, s56
	s_sub_co_i32 s22, 0, s56
	s_delay_alu instid0(VALU_DEP_1) | instskip(SKIP_1) | instid1(TRANS32_DEP_1)
	v_rcp_iflag_f32_e32 v2, v2
	v_nop
	v_mul_f32_e32 v2, 0x4f7ffffe, v2
	s_delay_alu instid0(VALU_DEP_1) | instskip(NEXT) | instid1(VALU_DEP_1)
	v_cvt_u32_f32_e32 v2, v2
	v_readfirstlane_b32 s3, v2
	s_mul_i32 s22, s22, s3
	s_delay_alu instid0(SALU_CYCLE_1) | instskip(NEXT) | instid1(SALU_CYCLE_1)
	s_mul_hi_u32 s22, s3, s22
	s_add_co_i32 s3, s3, s22
	s_delay_alu instid0(SALU_CYCLE_1) | instskip(NEXT) | instid1(SALU_CYCLE_1)
	s_mul_hi_u32 s3, s20, s3
	s_mul_i32 s3, s3, s56
	s_delay_alu instid0(SALU_CYCLE_1) | instskip(NEXT) | instid1(SALU_CYCLE_1)
	s_sub_co_i32 s3, s20, s3
	s_sub_co_i32 s22, s3, s56
	s_cmp_ge_u32 s3, s56
	s_cselect_b32 s3, s22, s3
	s_delay_alu instid0(SALU_CYCLE_1) | instskip(SKIP_2) | instid1(SALU_CYCLE_1)
	s_sub_co_i32 s22, s3, s56
	s_cmp_ge_u32 s3, s56
	s_cselect_b32 s28, s22, s3
	s_mov_b64 s[22:23], s[28:29]
.LBB210_96:                             ;   in Loop: Header=BB210_18 Depth=1
	s_delay_alu instid0(SALU_CYCLE_1)
	s_sub_nc_u64 s[20:21], s[20:21], s[22:23]
	s_mov_b32 s23, 0
	s_mov_b32 s22, 0
	s_mov_b32 s28, exec_lo
                                        ; implicit-def: $vgpr10
	v_cmpx_gt_u64_e64 s[20:21], v[0:1]
	s_cbranch_execz .LBB210_109
; %bb.97:                               ;   in Loop: Header=BB210_18 Depth=1
	v_mov_b64_e32 v[4:5], v[0:1]
	v_mov_b32_e32 v2, v28
                                        ; implicit-def: $sgpr62
	s_branch .LBB210_101
.LBB210_98:                             ;   in Loop: Header=BB210_101 Depth=2
	s_or_b32 exec_lo, exec_lo, s63
	s_wait_dscnt 0x0
	s_barrier_signal -1
	s_barrier_wait -1
	ds_load_b32 v6, v3 offset:3072
	s_wait_dscnt 0x0
	s_barrier_signal -1
	s_barrier_wait -1
	v_cmp_neq_f16_e32 vcc_lo, 0, v6
	s_cbranch_vccnz .LBB210_104
; %bb.99:                               ;   in Loop: Header=BB210_101 Depth=2
	v_add_nc_u64_e32 v[4:5], s[56:57], v[4:5]
	v_add_nc_u32_e32 v2, s71, v2
	s_mov_b32 s63, 0
	s_delay_alu instid0(VALU_DEP_2)
	v_cmp_le_u64_e32 vcc_lo, s[20:21], v[4:5]
	s_or_not1_b32 s64, vcc_lo, exec_lo
.LBB210_100:                            ;   in Loop: Header=BB210_101 Depth=2
	s_delay_alu instid0(SALU_CYCLE_1) | instskip(NEXT) | instid1(SALU_CYCLE_1)
	s_and_b32 s3, exec_lo, s64
	s_or_b32 s22, s3, s22
	s_and_not1_b32 s3, s62, exec_lo
	s_and_b32 s40, s63, exec_lo
	s_delay_alu instid0(SALU_CYCLE_1)
	s_or_b32 s62, s3, s40
	s_and_not1_b32 exec_lo, exec_lo, s22
	s_cbranch_execz .LBB210_108
.LBB210_101:                            ;   Parent Loop BB210_18 Depth=1
                                        ; =>  This Inner Loop Header: Depth=2
	s_mov_b32 s63, exec_lo
	s_delay_alu instid0(VALU_DEP_2)
	v_cmpx_gt_u64_e64 s[10:11], v[4:5]
	s_cbranch_execz .LBB210_98
; %bb.102:                              ;   in Loop: Header=BB210_101 Depth=2
	ds_load_u16 v6, v2
	s_wait_dscnt 0x0
	v_cmp_lt_i16_e32 vcc_lo, -1, v6
	v_and_b32_e32 v7, 0xffff, v6
	v_cndmask_b32_e32 v10, 0xffff, v34, vcc_lo
	v_cmp_o_f16_e32 vcc_lo, v6, v6
	s_delay_alu instid0(VALU_DEP_2) | instskip(NEXT) | instid1(VALU_DEP_1)
	v_xor_b32_e32 v7, v10, v7
	v_cndmask_b32_e32 v7, 0xffff, v7, vcc_lo
	s_delay_alu instid0(VALU_DEP_1) | instskip(NEXT) | instid1(VALU_DEP_1)
	v_and_b32_e32 v7, v7, v9
	v_cmp_eq_u32_e32 vcc_lo, v7, v8
	s_and_b32 exec_lo, exec_lo, vcc_lo
	s_cbranch_execz .LBB210_98
; %bb.103:                              ;   in Loop: Header=BB210_101 Depth=2
	v_perm_b32 v6, v6, s73, 0x5040100
	ds_store_b32 v3, v6 offset:3072
	s_branch .LBB210_98
.LBB210_104:                            ;   in Loop: Header=BB210_101 Depth=2
	s_mov_b32 s64, -1
	s_mov_b32 s63, -1
                                        ; implicit-def: $vgpr4_vgpr5
                                        ; implicit-def: $vgpr2
	s_branch .LBB210_100
.LBB210_105:                            ;   in Loop: Header=BB210_18 Depth=1
	s_or_b32 exec_lo, exec_lo, s12
	s_wait_dscnt 0x0
	s_barrier_signal -1
	s_barrier_wait -1
	s_and_saveexec_b32 s9, s5
	s_cbranch_execz .LBB210_107
; %bb.106:                              ;   in Loop: Header=BB210_18 Depth=1
	ds_load_b32 v4, v3 offset:5144
	s_wait_dscnt 0x0
	v_ashrrev_i32_e32 v5, 31, v4
	ds_store_b64 v3, v[4:5] offset:5120
.LBB210_107:                            ;   in Loop: Header=BB210_18 Depth=1
	s_or_b32 exec_lo, exec_lo, s9
	s_wait_dscnt 0x0
	s_barrier_signal -1
	s_mov_b32 s9, -1
	s_barrier_wait -1
	s_and_b32 vcc_lo, exec_lo, s11
	s_cbranch_vccnz .LBB210_33
	s_branch .LBB210_48
.LBB210_108:                            ;   in Loop: Header=BB210_18 Depth=1
	s_or_b32 exec_lo, exec_lo, s22
	v_lshrrev_b32_e32 v10, 16, v6
	s_and_b32 s22, s62, exec_lo
.LBB210_109:                            ;   in Loop: Header=BB210_18 Depth=1
	s_or_b32 exec_lo, exec_lo, s28
.LBB210_110:                            ;   in Loop: Header=BB210_18 Depth=1
	s_delay_alu instid0(SALU_CYCLE_1)
	s_and_b32 vcc_lo, exec_lo, s23
	s_cbranch_vccz .LBB210_125
; %bb.111:                              ;   in Loop: Header=BB210_18 Depth=1
	s_and_b64 s[10:11], s[76:77], 0xffffffff00000000
	s_delay_alu instid0(SALU_CYCLE_1)
	s_cmp_lg_u64 s[10:11], 0
	s_cbranch_scc0 .LBB210_154
; %bb.112:                              ;   in Loop: Header=BB210_18 Depth=1
	s_cvt_f32_u32 s3, s56
	s_sub_nc_u64 s[20:21], 0, s[56:57]
	s_delay_alu instid0(SALU_CYCLE_2) | instskip(NEXT) | instid1(SALU_CYCLE_3)
	s_fmamk_f32 s3, s72, 0x0, s3
	v_s_rcp_f32 s3, s3
	s_delay_alu instid0(TRANS32_DEP_1) | instskip(NEXT) | instid1(SALU_CYCLE_3)
	s_mul_f32 s3, s3, 0x5f7ffffc
	s_mul_f32 s10, s3, 0x2f800000
	s_delay_alu instid0(SALU_CYCLE_3) | instskip(NEXT) | instid1(SALU_CYCLE_3)
	s_trunc_f32 s10, s10
	s_fmamk_f32 s3, s10, 0xcf800000, s3
	s_cvt_u32_f32 s11, s10
	s_delay_alu instid0(SALU_CYCLE_2) | instskip(NEXT) | instid1(SALU_CYCLE_3)
	s_cvt_u32_f32 s10, s3
	s_mul_u64 s[62:63], s[20:21], s[10:11]
	s_delay_alu instid0(SALU_CYCLE_1)
	s_mul_hi_u32 s65, s10, s63
	s_mul_i32 s64, s10, s63
	s_mul_hi_u32 s28, s10, s62
	s_mul_i32 s23, s11, s62
	s_add_nc_u64 s[64:65], s[28:29], s[64:65]
	s_mul_hi_u32 s3, s11, s62
	s_mul_hi_u32 s40, s11, s63
	s_add_co_u32 s23, s64, s23
	s_add_co_ci_u32 s28, s65, s3
	s_mul_i32 s62, s11, s63
	s_add_co_ci_u32 s63, s40, 0
	s_delay_alu instid0(SALU_CYCLE_1) | instskip(NEXT) | instid1(SALU_CYCLE_1)
	s_add_nc_u64 s[62:63], s[28:29], s[62:63]
	s_add_co_u32 s10, s10, s62
	s_cselect_b32 s3, -1, 0
	s_delay_alu instid0(SALU_CYCLE_1) | instskip(SKIP_1) | instid1(SALU_CYCLE_1)
	s_cmp_lg_u32 s3, 0
	s_add_co_ci_u32 s11, s11, s63
	s_mul_u64 s[20:21], s[20:21], s[10:11]
	s_delay_alu instid0(SALU_CYCLE_1)
	s_mul_hi_u32 s63, s10, s21
	s_mul_i32 s62, s10, s21
	s_mul_hi_u32 s28, s10, s20
	s_mul_i32 s23, s11, s20
	s_add_nc_u64 s[62:63], s[28:29], s[62:63]
	s_mul_hi_u32 s3, s11, s20
	s_mul_hi_u32 s40, s11, s21
	s_mul_i32 s20, s11, s21
	s_add_co_u32 s21, s62, s23
	s_add_co_ci_u32 s28, s63, s3
	s_add_co_ci_u32 s21, s40, 0
	s_delay_alu instid0(SALU_CYCLE_1) | instskip(NEXT) | instid1(SALU_CYCLE_1)
	s_add_nc_u64 s[20:21], s[28:29], s[20:21]
	s_add_co_u32 s3, s10, s20
	s_cselect_b32 s10, -1, 0
	s_mul_hi_u32 s28, s76, s3
	s_cmp_lg_u32 s10, 0
	s_mul_hi_u32 s23, s77, s3
	s_add_co_ci_u32 s20, s11, s21
	s_mul_i32 s3, s77, s3
	s_mul_hi_u32 s11, s76, s20
	s_mul_i32 s10, s76, s20
	s_mul_hi_u32 s21, s77, s20
	s_add_nc_u64 s[10:11], s[28:29], s[10:11]
	s_mul_i32 s20, s77, s20
	s_add_co_u32 s3, s10, s3
	s_add_co_ci_u32 s28, s11, s23
	s_add_co_ci_u32 s21, s21, 0
	s_delay_alu instid0(SALU_CYCLE_1) | instskip(NEXT) | instid1(SALU_CYCLE_1)
	s_add_nc_u64 s[10:11], s[28:29], s[20:21]
	s_and_b64 s[20:21], s[10:11], 0xffffffff00000000
	s_delay_alu instid0(SALU_CYCLE_1) | instskip(NEXT) | instid1(SALU_CYCLE_1)
	s_or_b32 s20, s20, s10
	s_mul_u64 s[10:11], s[56:57], s[20:21]
	s_delay_alu instid0(SALU_CYCLE_1) | instskip(SKIP_1) | instid1(SALU_CYCLE_1)
	s_sub_co_u32 s3, s76, s10
	s_cselect_b32 s10, -1, 0
	s_cmp_lg_u32 s10, 0
	s_sub_co_ci_u32 s10, s77, s11
	s_sub_co_u32 s11, s3, s56
	s_cselect_b32 s20, -1, 0
	s_delay_alu instid0(SALU_CYCLE_1) | instskip(SKIP_3) | instid1(SALU_CYCLE_1)
	s_cmp_lg_u32 s20, 0
	s_sub_co_ci_u32 s20, s10, 0
	s_sub_co_u32 s21, s11, s56
	s_cselect_b32 s23, -1, 0
	s_cmp_lg_u32 s23, 0
	s_sub_co_ci_u32 s23, s20, 0
	s_cmp_ge_u32 s11, s56
	s_cselect_b32 s28, -1, 0
	s_cmp_eq_u32 s20, 0
	s_cselect_b32 s28, s28, -1
	s_delay_alu instid0(SALU_CYCLE_1)
	s_cmp_lg_u32 s28, 0
	s_cselect_b32 s20, s23, s20
	s_cselect_b32 s21, s21, s11
	s_cmp_ge_u32 s3, s56
	s_cselect_b32 s11, -1, 0
	s_cmp_eq_u32 s10, 0
	s_cselect_b32 s11, s11, -1
	s_delay_alu instid0(SALU_CYCLE_1)
	s_cmp_lg_u32 s11, 0
	s_cselect_b32 s11, s20, s10
	s_cselect_b32 s10, s21, s3
	s_cbranch_execnz .LBB210_114
.LBB210_113:                            ;   in Loop: Header=BB210_18 Depth=1
	v_cvt_f32_u32_e32 v2, s56
	s_sub_co_i32 s10, 0, s56
	s_delay_alu instid0(VALU_DEP_1) | instskip(SKIP_1) | instid1(TRANS32_DEP_1)
	v_rcp_iflag_f32_e32 v2, v2
	v_nop
	v_mul_f32_e32 v2, 0x4f7ffffe, v2
	s_delay_alu instid0(VALU_DEP_1) | instskip(NEXT) | instid1(VALU_DEP_1)
	v_cvt_u32_f32_e32 v2, v2
	v_readfirstlane_b32 s3, v2
	s_mul_i32 s10, s10, s3
	s_delay_alu instid0(SALU_CYCLE_1) | instskip(NEXT) | instid1(SALU_CYCLE_1)
	s_mul_hi_u32 s10, s3, s10
	s_add_co_i32 s3, s3, s10
	s_delay_alu instid0(SALU_CYCLE_1) | instskip(NEXT) | instid1(SALU_CYCLE_1)
	s_mul_hi_u32 s3, s76, s3
	s_mul_i32 s3, s3, s56
	s_delay_alu instid0(SALU_CYCLE_1) | instskip(NEXT) | instid1(SALU_CYCLE_1)
	s_sub_co_i32 s3, s76, s3
	s_sub_co_i32 s10, s3, s56
	s_cmp_ge_u32 s3, s56
	s_cselect_b32 s3, s10, s3
	s_delay_alu instid0(SALU_CYCLE_1) | instskip(SKIP_2) | instid1(SALU_CYCLE_1)
	s_sub_co_i32 s10, s3, s56
	s_cmp_ge_u32 s3, s56
	s_cselect_b32 s28, s10, s3
	s_mov_b64 s[10:11], s[28:29]
.LBB210_114:                            ;   in Loop: Header=BB210_18 Depth=1
	s_delay_alu instid0(SALU_CYCLE_1)
	s_sub_nc_u64 s[10:11], s[76:77], s[10:11]
	s_mov_b32 s20, exec_lo
                                        ; implicit-def: $vgpr10
	v_cmpx_gt_u64_e64 s[10:11], v[0:1]
	s_cbranch_execz .LBB210_124
; %bb.115:                              ;   in Loop: Header=BB210_18 Depth=1
	v_mov_b64_e32 v[4:5], v[0:1]
	s_mov_b32 s21, 0
                                        ; implicit-def: $sgpr23
	s_branch .LBB210_119
.LBB210_116:                            ;   in Loop: Header=BB210_119 Depth=2
	s_or_b32 exec_lo, exec_lo, s28
	s_wait_dscnt 0x0
	s_barrier_signal -1
	s_barrier_wait -1
	ds_load_b32 v2, v3 offset:3072
	s_wait_dscnt 0x0
	s_barrier_signal -1
	s_barrier_wait -1
	v_cmp_neq_f16_e32 vcc_lo, 0, v2
	s_cbranch_vccnz .LBB210_122
; %bb.117:                              ;   in Loop: Header=BB210_119 Depth=2
	v_add_nc_u64_e32 v[4:5], s[56:57], v[4:5]
	s_mov_b32 s28, 0
	s_delay_alu instid0(VALU_DEP_1)
	v_cmp_le_u64_e32 vcc_lo, s[10:11], v[4:5]
	s_or_not1_b32 s62, vcc_lo, exec_lo
.LBB210_118:                            ;   in Loop: Header=BB210_119 Depth=2
	s_delay_alu instid0(SALU_CYCLE_1) | instskip(NEXT) | instid1(SALU_CYCLE_1)
	s_and_b32 s3, exec_lo, s62
	s_or_b32 s21, s3, s21
	s_and_not1_b32 s3, s23, exec_lo
	s_and_b32 s23, s28, exec_lo
	s_delay_alu instid0(SALU_CYCLE_1)
	s_or_b32 s23, s3, s23
	s_and_not1_b32 exec_lo, exec_lo, s21
	s_cbranch_execz .LBB210_123
.LBB210_119:                            ;   Parent Loop BB210_18 Depth=1
                                        ; =>  This Inner Loop Header: Depth=2
	s_mov_b32 s28, exec_lo
	s_delay_alu instid0(VALU_DEP_1)
	v_cmpx_gt_u64_e64 s[36:37], v[4:5]
	s_cbranch_execz .LBB210_116
; %bb.120:                              ;   in Loop: Header=BB210_119 Depth=2
	v_mul_u64_e32 v[6:7], s[30:31], v[4:5]
	s_delay_alu instid0(VALU_DEP_1)
	v_lshl_add_u64 v[6:7], v[6:7], 1, s[34:35]
	global_load_u16 v2, v[6:7], off
	s_wait_loadcnt 0x0
	v_cmp_lt_i16_e32 vcc_lo, -1, v2
	v_and_b32_e32 v6, 0xffff, v2
	v_cndmask_b32_e32 v7, 0xffff, v34, vcc_lo
	v_cmp_o_f16_e32 vcc_lo, v2, v2
	s_delay_alu instid0(VALU_DEP_2) | instskip(NEXT) | instid1(VALU_DEP_1)
	v_xor_b32_e32 v6, v7, v6
	v_cndmask_b32_e32 v6, 0xffff, v6, vcc_lo
	s_delay_alu instid0(VALU_DEP_1) | instskip(NEXT) | instid1(VALU_DEP_1)
	v_and_b32_e32 v6, v6, v9
	v_cmp_eq_u32_e32 vcc_lo, v6, v8
	s_and_b32 exec_lo, exec_lo, vcc_lo
	s_cbranch_execz .LBB210_116
; %bb.121:                              ;   in Loop: Header=BB210_119 Depth=2
	v_perm_b32 v2, v2, s73, 0x5040100
	ds_store_b32 v3, v2 offset:3072
	s_branch .LBB210_116
.LBB210_122:                            ;   in Loop: Header=BB210_119 Depth=2
	s_mov_b32 s62, -1
	s_mov_b32 s28, -1
                                        ; implicit-def: $vgpr4_vgpr5
	s_branch .LBB210_118
.LBB210_123:                            ;   in Loop: Header=BB210_18 Depth=1
	s_or_b32 exec_lo, exec_lo, s21
	v_lshrrev_b32_e32 v10, 16, v2
	s_and_not1_b32 s3, s22, exec_lo
	s_and_b32 s10, s23, exec_lo
	s_delay_alu instid0(SALU_CYCLE_1)
	s_or_b32 s22, s3, s10
.LBB210_124:                            ;   in Loop: Header=BB210_18 Depth=1
	s_or_b32 exec_lo, exec_lo, s20
	s_mov_b32 s89, 0
	s_mov_b32 s90, -1
.LBB210_125:                            ;   in Loop: Header=BB210_18 Depth=1
	s_or_not1_b32 s10, s22, exec_lo
.LBB210_126:                            ;   in Loop: Header=BB210_18 Depth=1
	s_or_b32 exec_lo, exec_lo, s27
	s_mov_b32 s91, 0
	s_mov_b32 s88, 0
	;; [unrolled: 1-line block ×3, first 2 shown]
                                        ; implicit-def: $vgpr4_vgpr5
                                        ; implicit-def: $vgpr2
	s_and_saveexec_b32 s92, s10
	s_cbranch_execz .LBB210_290
; %bb.127:                              ;   in Loop: Header=BB210_18 Depth=1
	v_mov_b64_e32 v[4:5], 1
	v_mov_b32_e32 v2, 1
	s_xor_b32 s3, s93, -1
	s_mov_b32 s11, 0
	s_and_saveexec_b32 s10, s3
	s_cbranch_execz .LBB210_136
; %bb.128:                              ;   in Loop: Header=BB210_18 Depth=1
	s_mov_b32 s3, exec_lo
	v_cmpx_ge_u64_e64 s[12:13], v[22:23]
	s_xor_b32 s11, exec_lo, s3
	s_cbranch_execz .LBB210_133
; %bb.129:                              ;   in Loop: Header=BB210_18 Depth=1
	ds_load_b64 v[4:5], v3 offset:5120
	v_and_b32_e32 v8, s25, v8
	v_or_b32_e32 v9, s24, v9
	s_wait_dscnt 0x0
	v_cmp_ne_u64_e32 vcc_lo, 0, v[4:5]
	s_cbranch_vccnz .LBB210_133
; %bb.130:                              ;   in Loop: Header=BB210_18 Depth=1
	s_and_saveexec_b32 s20, s5
; %bb.131:                              ;   in Loop: Header=BB210_18 Depth=1
	v_mov_b64_e32 v[4:5], s[12:13]
	ds_store_b64 v3, v[4:5] offset:5128
; %bb.132:                              ;   in Loop: Header=BB210_18 Depth=1
	s_or_b32 exec_lo, exec_lo, s20
	s_wait_dscnt 0x0
	s_barrier_signal -1
	s_barrier_wait -1
.LBB210_133:                            ;   in Loop: Header=BB210_18 Depth=1
	s_or_saveexec_b32 s11, s11
	v_mov_b64_e32 v[4:5], v[22:23]
	v_mov_b32_e32 v2, 8
	s_mov_b32 s20, 0
	s_xor_b32 exec_lo, exec_lo, s11
; %bb.134:                              ;   in Loop: Header=BB210_18 Depth=1
	v_sub_nc_u64_e64 v[4:5], v[22:23], s[12:13]
	v_mov_b32_e32 v2, 0
	s_mov_b32 s20, exec_lo
; %bb.135:                              ;   in Loop: Header=BB210_18 Depth=1
	s_or_b32 exec_lo, exec_lo, s11
	s_delay_alu instid0(SALU_CYCLE_1)
	s_and_b32 s11, s20, exec_lo
.LBB210_136:                            ;   in Loop: Header=BB210_18 Depth=1
	s_or_b32 exec_lo, exec_lo, s10
	s_mov_b32 s10, -1
                                        ; implicit-def: $sgpr88
                                        ; implicit-def: $sgpr93
	s_and_saveexec_b32 s3, s11
	s_delay_alu instid0(SALU_CYCLE_1)
	s_xor_b32 s27, exec_lo, s3
	s_cbranch_execz .LBB210_287
; %bb.137:                              ;   in Loop: Header=BB210_18 Depth=1
	v_cmp_eq_u64_e32 vcc_lo, 1, v[4:5]
	s_cmp_eq_u64 s[14:15], 1
                                        ; implicit-def: $sgpr93
                                        ; implicit-def: $sgpr88
	s_cselect_b32 s10, -1, 0
	s_delay_alu instid0(SALU_CYCLE_1)
	s_and_b32 s95, s10, vcc_lo
	s_mov_b32 s10, -1
	s_and_saveexec_b32 s94, s95
	s_cbranch_execz .LBB210_173
; %bb.138:                              ;   in Loop: Header=BB210_18 Depth=1
	ds_load_b64 v[6:7], v3 offset:5120
	s_wait_dscnt 0x0
	s_barrier_signal -1
	s_barrier_wait -1
	v_readfirstlane_b32 s10, v6
	v_readfirstlane_b32 s11, v7
	s_and_saveexec_b32 s20, s6
; %bb.139:                              ;   in Loop: Header=BB210_18 Depth=1
	ds_store_b16 v29, v3
; %bb.140:                              ;   in Loop: Header=BB210_18 Depth=1
	s_or_b32 exec_lo, exec_lo, s20
	s_lshl_b32 s20, 1, s48
	v_or_b32_e32 v9, s24, v9
	v_and_or_b32 v8, v8, s25, s20
	s_mov_b32 s88, -1
	s_mov_b32 s93, 0
	s_cmp_eq_u64 s[10:11], 0
	s_mov_b32 s22, 0
	s_mov_b32 s23, -1
	s_wait_dscnt 0x0
	s_barrier_signal -1
	s_barrier_wait -1
                                        ; implicit-def: $vgpr10
	s_cbranch_scc1 .LBB210_157
; %bb.141:                              ;   in Loop: Header=BB210_18 Depth=1
	s_add_nc_u64 s[20:21], s[10:11], s[74:75]
	s_delay_alu instid0(SALU_CYCLE_1) | instskip(NEXT) | instid1(SALU_CYCLE_1)
	s_and_b64 s[22:23], s[20:21], 0xffffffff00000000
	s_cmp_lg_u64 s[22:23], 0
	s_cbranch_scc0 .LBB210_200
; %bb.142:                              ;   in Loop: Header=BB210_18 Depth=1
	s_cvt_f32_u32 s22, s56
	s_sub_nc_u64 s[62:63], 0, s[56:57]
	s_delay_alu instid0(SALU_CYCLE_2) | instskip(NEXT) | instid1(SALU_CYCLE_3)
	s_fmamk_f32 s22, s72, 0x0, s22
	v_s_rcp_f32 s22, s22
	s_delay_alu instid0(TRANS32_DEP_1) | instskip(NEXT) | instid1(SALU_CYCLE_3)
	s_mul_f32 s22, s22, 0x5f7ffffc
	s_mul_f32 s23, s22, 0x2f800000
	s_delay_alu instid0(SALU_CYCLE_3) | instskip(NEXT) | instid1(SALU_CYCLE_3)
	s_trunc_f32 s23, s23
	s_fmamk_f32 s22, s23, 0xcf800000, s22
	s_cvt_u32_f32 s23, s23
	s_delay_alu instid0(SALU_CYCLE_2) | instskip(NEXT) | instid1(SALU_CYCLE_3)
	s_cvt_u32_f32 s22, s22
	s_mul_u64 s[64:65], s[62:63], s[22:23]
	s_delay_alu instid0(SALU_CYCLE_1)
	s_mul_hi_u32 s97, s22, s65
	s_mul_i32 s96, s22, s65
	s_mul_hi_u32 s28, s22, s64
	s_mul_i32 s67, s23, s64
	s_add_nc_u64 s[96:97], s[28:29], s[96:97]
	s_mul_hi_u32 s66, s23, s64
	s_mul_hi_u32 s98, s23, s65
	s_add_co_u32 s28, s96, s67
	s_add_co_ci_u32 s28, s97, s66
	s_mul_i32 s64, s23, s65
	s_add_co_ci_u32 s65, s98, 0
	s_delay_alu instid0(SALU_CYCLE_1) | instskip(NEXT) | instid1(SALU_CYCLE_1)
	s_add_nc_u64 s[64:65], s[28:29], s[64:65]
	s_add_co_u32 s22, s22, s64
	s_cselect_b32 s28, -1, 0
	s_delay_alu instid0(SALU_CYCLE_1) | instskip(SKIP_1) | instid1(SALU_CYCLE_1)
	s_cmp_lg_u32 s28, 0
	s_add_co_ci_u32 s23, s23, s65
	s_mul_u64 s[62:63], s[62:63], s[22:23]
	s_delay_alu instid0(SALU_CYCLE_1)
	s_mul_hi_u32 s65, s22, s63
	s_mul_i32 s64, s22, s63
	s_mul_hi_u32 s28, s22, s62
	s_mul_i32 s67, s23, s62
	s_add_nc_u64 s[64:65], s[28:29], s[64:65]
	s_mul_hi_u32 s66, s23, s62
	s_mul_hi_u32 s96, s23, s63
	s_add_co_u32 s28, s64, s67
	s_add_co_ci_u32 s28, s65, s66
	s_mul_i32 s62, s23, s63
	s_add_co_ci_u32 s63, s96, 0
	s_delay_alu instid0(SALU_CYCLE_1) | instskip(NEXT) | instid1(SALU_CYCLE_1)
	s_add_nc_u64 s[62:63], s[28:29], s[62:63]
	s_add_co_u32 s22, s22, s62
	s_cselect_b32 s62, -1, 0
	s_mul_hi_u32 s28, s20, s22
	s_cmp_lg_u32 s62, 0
	s_mul_hi_u32 s64, s21, s22
	s_add_co_ci_u32 s62, s23, s63
	s_mul_i32 s63, s21, s22
	s_mul_hi_u32 s23, s20, s62
	s_mul_i32 s22, s20, s62
	s_mul_hi_u32 s65, s21, s62
	s_add_nc_u64 s[22:23], s[28:29], s[22:23]
	s_mul_i32 s62, s21, s62
	s_add_co_u32 s22, s22, s63
	s_add_co_ci_u32 s28, s23, s64
	s_add_co_ci_u32 s63, s65, 0
	s_delay_alu instid0(SALU_CYCLE_1) | instskip(NEXT) | instid1(SALU_CYCLE_1)
	s_add_nc_u64 s[22:23], s[28:29], s[62:63]
	s_and_b64 s[62:63], s[22:23], 0xffffffff00000000
	s_delay_alu instid0(SALU_CYCLE_1) | instskip(NEXT) | instid1(SALU_CYCLE_1)
	s_or_b32 s62, s62, s22
	s_mul_u64 s[22:23], s[56:57], s[62:63]
	s_delay_alu instid0(SALU_CYCLE_1) | instskip(SKIP_1) | instid1(SALU_CYCLE_1)
	s_sub_co_u32 s22, s20, s22
	s_cselect_b32 s28, -1, 0
	s_cmp_lg_u32 s28, 0
	s_sub_co_ci_u32 s23, s21, s23
	s_sub_co_u32 s28, s22, s56
	s_cselect_b32 s62, -1, 0
	s_delay_alu instid0(SALU_CYCLE_1) | instskip(SKIP_3) | instid1(SALU_CYCLE_1)
	s_cmp_lg_u32 s62, 0
	s_sub_co_ci_u32 s62, s23, 0
	s_sub_co_u32 s63, s28, s56
	s_cselect_b32 s64, -1, 0
	s_cmp_lg_u32 s64, 0
	s_sub_co_ci_u32 s64, s62, 0
	s_cmp_ge_u32 s28, s56
	s_cselect_b32 s65, -1, 0
	s_cmp_eq_u32 s62, 0
	s_cselect_b32 s65, s65, -1
	s_delay_alu instid0(SALU_CYCLE_1)
	s_cmp_lg_u32 s65, 0
	s_cselect_b32 s62, s64, s62
	s_cselect_b32 s28, s63, s28
	s_cmp_ge_u32 s22, s56
	s_cselect_b32 s63, -1, 0
	s_cmp_eq_u32 s23, 0
	s_cselect_b32 s63, s63, -1
	s_delay_alu instid0(SALU_CYCLE_1)
	s_cmp_lg_u32 s63, 0
	s_cselect_b32 s23, s62, s23
	s_cselect_b32 s22, s28, s22
	s_cbranch_execnz .LBB210_144
.LBB210_143:                            ;   in Loop: Header=BB210_18 Depth=1
	v_cvt_f32_u32_e32 v6, s56
	s_sub_co_i32 s23, 0, s56
	s_delay_alu instid0(VALU_DEP_1) | instskip(SKIP_1) | instid1(TRANS32_DEP_1)
	v_rcp_iflag_f32_e32 v6, v6
	v_nop
	v_mul_f32_e32 v6, 0x4f7ffffe, v6
	s_delay_alu instid0(VALU_DEP_1) | instskip(NEXT) | instid1(VALU_DEP_1)
	v_cvt_u32_f32_e32 v6, v6
	v_readfirstlane_b32 s22, v6
	s_mul_i32 s23, s23, s22
	s_delay_alu instid0(SALU_CYCLE_1) | instskip(NEXT) | instid1(SALU_CYCLE_1)
	s_mul_hi_u32 s23, s22, s23
	s_add_co_i32 s22, s22, s23
	s_delay_alu instid0(SALU_CYCLE_1) | instskip(NEXT) | instid1(SALU_CYCLE_1)
	s_mul_hi_u32 s22, s20, s22
	s_mul_i32 s22, s22, s56
	s_delay_alu instid0(SALU_CYCLE_1) | instskip(NEXT) | instid1(SALU_CYCLE_1)
	s_sub_co_i32 s22, s20, s22
	s_sub_co_i32 s23, s22, s56
	s_cmp_ge_u32 s22, s56
	s_cselect_b32 s22, s23, s22
	s_delay_alu instid0(SALU_CYCLE_1) | instskip(SKIP_2) | instid1(SALU_CYCLE_1)
	s_sub_co_i32 s23, s22, s56
	s_cmp_ge_u32 s22, s56
	s_cselect_b32 s28, s23, s22
	s_mov_b64 s[22:23], s[28:29]
.LBB210_144:                            ;   in Loop: Header=BB210_18 Depth=1
	s_delay_alu instid0(SALU_CYCLE_1)
	s_sub_nc_u64 s[20:21], s[20:21], s[22:23]
	s_mov_b32 s23, 0
	s_mov_b32 s22, 0
	s_mov_b32 s28, exec_lo
                                        ; implicit-def: $vgpr10
	v_cmpx_gt_u64_e64 s[20:21], v[0:1]
	s_cbranch_execz .LBB210_156
; %bb.145:                              ;   in Loop: Header=BB210_18 Depth=1
	v_mov_b64_e32 v[6:7], v[0:1]
	v_mov_b32_e32 v10, v28
                                        ; implicit-def: $sgpr62
	s_branch .LBB210_149
.LBB210_146:                            ;   in Loop: Header=BB210_149 Depth=2
	s_or_b32 exec_lo, exec_lo, s63
	s_wait_dscnt 0x0
	s_barrier_signal -1
	s_barrier_wait -1
	ds_load_b32 v11, v3 offset:3072
	s_wait_dscnt 0x0
	s_barrier_signal -1
	s_barrier_wait -1
	v_cmp_neq_f16_e32 vcc_lo, 0, v11
	s_cbranch_vccnz .LBB210_152
; %bb.147:                              ;   in Loop: Header=BB210_149 Depth=2
	v_add_nc_u64_e32 v[6:7], s[56:57], v[6:7]
	v_add_nc_u32_e32 v10, s71, v10
	s_mov_b32 s63, 0
	s_delay_alu instid0(VALU_DEP_2)
	v_cmp_le_u64_e32 vcc_lo, s[20:21], v[6:7]
	s_or_not1_b32 s64, vcc_lo, exec_lo
.LBB210_148:                            ;   in Loop: Header=BB210_149 Depth=2
	s_delay_alu instid0(SALU_CYCLE_1) | instskip(NEXT) | instid1(SALU_CYCLE_1)
	s_and_b32 s3, exec_lo, s64
	s_or_b32 s22, s3, s22
	s_and_not1_b32 s3, s62, exec_lo
	s_and_b32 s40, s63, exec_lo
	s_delay_alu instid0(SALU_CYCLE_1)
	s_or_b32 s62, s3, s40
	s_and_not1_b32 exec_lo, exec_lo, s22
	s_cbranch_execz .LBB210_155
.LBB210_149:                            ;   Parent Loop BB210_18 Depth=1
                                        ; =>  This Inner Loop Header: Depth=2
	s_mov_b32 s63, exec_lo
	s_delay_alu instid0(VALU_DEP_2)
	v_cmpx_gt_u64_e64 s[10:11], v[6:7]
	s_cbranch_execz .LBB210_146
; %bb.150:                              ;   in Loop: Header=BB210_149 Depth=2
	ds_load_u16 v11, v10
	s_wait_dscnt 0x0
	v_cmp_lt_i16_e32 vcc_lo, -1, v11
	v_and_b32_e32 v24, 0xffff, v11
	v_cndmask_b32_e32 v25, 0xffff, v34, vcc_lo
	v_cmp_o_f16_e32 vcc_lo, v11, v11
	s_delay_alu instid0(VALU_DEP_2) | instskip(NEXT) | instid1(VALU_DEP_1)
	v_xor_b32_e32 v24, v25, v24
	v_cndmask_b32_e32 v24, 0xffff, v24, vcc_lo
	s_delay_alu instid0(VALU_DEP_1) | instskip(NEXT) | instid1(VALU_DEP_1)
	v_and_b32_e32 v24, v24, v9
	v_cmp_eq_u32_e32 vcc_lo, v24, v8
	s_and_b32 exec_lo, exec_lo, vcc_lo
	s_cbranch_execz .LBB210_146
; %bb.151:                              ;   in Loop: Header=BB210_149 Depth=2
	v_perm_b32 v11, v11, s73, 0x5040100
	ds_store_b32 v3, v11 offset:3072
	s_branch .LBB210_146
.LBB210_152:                            ;   in Loop: Header=BB210_149 Depth=2
	s_mov_b32 s64, -1
	s_mov_b32 s63, -1
                                        ; implicit-def: $vgpr6_vgpr7
                                        ; implicit-def: $vgpr10
	s_branch .LBB210_148
.LBB210_153:                            ;   in Loop: Header=BB210_18 Depth=1
                                        ; implicit-def: $sgpr22_sgpr23
	s_branch .LBB210_95
.LBB210_154:                            ;   in Loop: Header=BB210_18 Depth=1
                                        ; implicit-def: $sgpr10_sgpr11
	s_branch .LBB210_113
.LBB210_155:                            ;   in Loop: Header=BB210_18 Depth=1
	s_or_b32 exec_lo, exec_lo, s22
	v_lshrrev_b32_e32 v10, 16, v11
	s_and_b32 s22, s62, exec_lo
.LBB210_156:                            ;   in Loop: Header=BB210_18 Depth=1
	s_or_b32 exec_lo, exec_lo, s28
.LBB210_157:                            ;   in Loop: Header=BB210_18 Depth=1
	s_delay_alu instid0(SALU_CYCLE_1)
	s_and_b32 vcc_lo, exec_lo, s23
	s_cbranch_vccz .LBB210_172
; %bb.158:                              ;   in Loop: Header=BB210_18 Depth=1
	s_and_b64 s[10:11], s[76:77], 0xffffffff00000000
	s_delay_alu instid0(SALU_CYCLE_1)
	s_cmp_lg_u64 s[10:11], 0
	s_cbranch_scc0 .LBB210_201
; %bb.159:                              ;   in Loop: Header=BB210_18 Depth=1
	s_cvt_f32_u32 s10, s56
	s_sub_nc_u64 s[20:21], 0, s[56:57]
	s_delay_alu instid0(SALU_CYCLE_2) | instskip(NEXT) | instid1(SALU_CYCLE_3)
	s_fmamk_f32 s10, s72, 0x0, s10
	v_s_rcp_f32 s10, s10
	s_delay_alu instid0(TRANS32_DEP_1) | instskip(NEXT) | instid1(SALU_CYCLE_3)
	s_mul_f32 s10, s10, 0x5f7ffffc
	s_mul_f32 s11, s10, 0x2f800000
	s_delay_alu instid0(SALU_CYCLE_3) | instskip(NEXT) | instid1(SALU_CYCLE_3)
	s_trunc_f32 s11, s11
	s_fmamk_f32 s10, s11, 0xcf800000, s10
	s_cvt_u32_f32 s11, s11
	s_delay_alu instid0(SALU_CYCLE_2) | instskip(NEXT) | instid1(SALU_CYCLE_3)
	s_cvt_u32_f32 s10, s10
	s_mul_u64 s[62:63], s[20:21], s[10:11]
	s_delay_alu instid0(SALU_CYCLE_1)
	s_mul_hi_u32 s65, s10, s63
	s_mul_i32 s64, s10, s63
	s_mul_hi_u32 s28, s10, s62
	s_mul_i32 s66, s11, s62
	s_add_nc_u64 s[64:65], s[28:29], s[64:65]
	s_mul_hi_u32 s23, s11, s62
	s_mul_hi_u32 s67, s11, s63
	s_add_co_u32 s28, s64, s66
	s_add_co_ci_u32 s28, s65, s23
	s_mul_i32 s62, s11, s63
	s_add_co_ci_u32 s63, s67, 0
	s_delay_alu instid0(SALU_CYCLE_1) | instskip(NEXT) | instid1(SALU_CYCLE_1)
	s_add_nc_u64 s[62:63], s[28:29], s[62:63]
	s_add_co_u32 s10, s10, s62
	s_cselect_b32 s23, -1, 0
	s_delay_alu instid0(SALU_CYCLE_1) | instskip(SKIP_1) | instid1(SALU_CYCLE_1)
	s_cmp_lg_u32 s23, 0
	s_add_co_ci_u32 s11, s11, s63
	s_mul_u64 s[20:21], s[20:21], s[10:11]
	s_delay_alu instid0(SALU_CYCLE_1)
	s_mul_hi_u32 s63, s10, s21
	s_mul_i32 s62, s10, s21
	s_mul_hi_u32 s28, s10, s20
	s_mul_i32 s64, s11, s20
	s_add_nc_u64 s[62:63], s[28:29], s[62:63]
	s_mul_hi_u32 s23, s11, s20
	s_mul_hi_u32 s65, s11, s21
	s_mul_i32 s20, s11, s21
	s_add_co_u32 s21, s62, s64
	s_add_co_ci_u32 s28, s63, s23
	s_add_co_ci_u32 s21, s65, 0
	s_delay_alu instid0(SALU_CYCLE_1) | instskip(NEXT) | instid1(SALU_CYCLE_1)
	s_add_nc_u64 s[20:21], s[28:29], s[20:21]
	s_add_co_u32 s10, s10, s20
	s_cselect_b32 s20, -1, 0
	s_mul_hi_u32 s28, s76, s10
	s_cmp_lg_u32 s20, 0
	s_mul_hi_u32 s23, s77, s10
	s_add_co_ci_u32 s20, s11, s21
	s_mul_i32 s21, s77, s10
	s_mul_hi_u32 s11, s76, s20
	s_mul_i32 s10, s76, s20
	s_mul_hi_u32 s62, s77, s20
	s_add_nc_u64 s[10:11], s[28:29], s[10:11]
	s_mul_i32 s20, s77, s20
	s_add_co_u32 s10, s10, s21
	s_add_co_ci_u32 s28, s11, s23
	s_add_co_ci_u32 s21, s62, 0
	s_delay_alu instid0(SALU_CYCLE_1) | instskip(NEXT) | instid1(SALU_CYCLE_1)
	s_add_nc_u64 s[10:11], s[28:29], s[20:21]
	s_and_b64 s[20:21], s[10:11], 0xffffffff00000000
	s_delay_alu instid0(SALU_CYCLE_1) | instskip(NEXT) | instid1(SALU_CYCLE_1)
	s_or_b32 s20, s20, s10
	s_mul_u64 s[10:11], s[56:57], s[20:21]
	s_delay_alu instid0(SALU_CYCLE_1) | instskip(SKIP_1) | instid1(SALU_CYCLE_1)
	s_sub_co_u32 s10, s76, s10
	s_cselect_b32 s20, -1, 0
	s_cmp_lg_u32 s20, 0
	s_sub_co_ci_u32 s11, s77, s11
	s_sub_co_u32 s20, s10, s56
	s_cselect_b32 s21, -1, 0
	s_delay_alu instid0(SALU_CYCLE_1) | instskip(SKIP_3) | instid1(SALU_CYCLE_1)
	s_cmp_lg_u32 s21, 0
	s_sub_co_ci_u32 s21, s11, 0
	s_sub_co_u32 s23, s20, s56
	s_cselect_b32 s28, -1, 0
	s_cmp_lg_u32 s28, 0
	s_sub_co_ci_u32 s28, s21, 0
	s_cmp_ge_u32 s20, s56
	s_cselect_b32 s62, -1, 0
	s_cmp_eq_u32 s21, 0
	s_cselect_b32 s62, s62, -1
	s_delay_alu instid0(SALU_CYCLE_1)
	s_cmp_lg_u32 s62, 0
	s_cselect_b32 s21, s28, s21
	s_cselect_b32 s20, s23, s20
	s_cmp_ge_u32 s10, s56
	s_cselect_b32 s23, -1, 0
	s_cmp_eq_u32 s11, 0
	s_cselect_b32 s23, s23, -1
	s_delay_alu instid0(SALU_CYCLE_1)
	s_cmp_lg_u32 s23, 0
	s_cselect_b32 s11, s21, s11
	s_cselect_b32 s10, s20, s10
	s_cbranch_execnz .LBB210_161
.LBB210_160:                            ;   in Loop: Header=BB210_18 Depth=1
	v_cvt_f32_u32_e32 v6, s56
	s_sub_co_i32 s11, 0, s56
	s_delay_alu instid0(VALU_DEP_1) | instskip(SKIP_1) | instid1(TRANS32_DEP_1)
	v_rcp_iflag_f32_e32 v6, v6
	v_nop
	v_mul_f32_e32 v6, 0x4f7ffffe, v6
	s_delay_alu instid0(VALU_DEP_1) | instskip(NEXT) | instid1(VALU_DEP_1)
	v_cvt_u32_f32_e32 v6, v6
	v_readfirstlane_b32 s10, v6
	s_mul_i32 s11, s11, s10
	s_delay_alu instid0(SALU_CYCLE_1) | instskip(NEXT) | instid1(SALU_CYCLE_1)
	s_mul_hi_u32 s11, s10, s11
	s_add_co_i32 s10, s10, s11
	s_delay_alu instid0(SALU_CYCLE_1) | instskip(NEXT) | instid1(SALU_CYCLE_1)
	s_mul_hi_u32 s10, s76, s10
	s_mul_i32 s10, s10, s56
	s_delay_alu instid0(SALU_CYCLE_1) | instskip(NEXT) | instid1(SALU_CYCLE_1)
	s_sub_co_i32 s10, s76, s10
	s_sub_co_i32 s11, s10, s56
	s_cmp_ge_u32 s10, s56
	s_cselect_b32 s10, s11, s10
	s_delay_alu instid0(SALU_CYCLE_1) | instskip(SKIP_2) | instid1(SALU_CYCLE_1)
	s_sub_co_i32 s11, s10, s56
	s_cmp_ge_u32 s10, s56
	s_cselect_b32 s28, s11, s10
	s_mov_b64 s[10:11], s[28:29]
.LBB210_161:                            ;   in Loop: Header=BB210_18 Depth=1
	s_delay_alu instid0(SALU_CYCLE_1)
	s_sub_nc_u64 s[10:11], s[76:77], s[10:11]
	s_mov_b32 s20, exec_lo
                                        ; implicit-def: $vgpr10
	v_nop
	v_cmpx_gt_u64_e64 s[10:11], v[0:1]
	s_cbranch_execz .LBB210_171
; %bb.162:                              ;   in Loop: Header=BB210_18 Depth=1
	v_mov_b64_e32 v[6:7], v[0:1]
	s_mov_b32 s21, 0
                                        ; implicit-def: $sgpr23
	s_branch .LBB210_166
.LBB210_163:                            ;   in Loop: Header=BB210_166 Depth=2
	s_or_b32 exec_lo, exec_lo, s28
	s_wait_dscnt 0x0
	s_barrier_signal -1
	s_barrier_wait -1
	ds_load_b32 v10, v3 offset:3072
	s_wait_dscnt 0x0
	s_barrier_signal -1
	s_barrier_wait -1
	v_cmp_eq_f16_e32 vcc_lo, 0, v10
	s_cbranch_vccz .LBB210_169
; %bb.164:                              ;   in Loop: Header=BB210_166 Depth=2
	v_add_nc_u64_e32 v[6:7], s[56:57], v[6:7]
	s_mov_b32 s28, 0
	s_delay_alu instid0(VALU_DEP_1)
	v_cmp_le_u64_e32 vcc_lo, s[10:11], v[6:7]
	s_or_not1_b32 s62, vcc_lo, exec_lo
.LBB210_165:                            ;   in Loop: Header=BB210_166 Depth=2
	s_delay_alu instid0(SALU_CYCLE_1) | instskip(NEXT) | instid1(SALU_CYCLE_1)
	s_and_b32 s3, exec_lo, s62
	s_or_b32 s21, s3, s21
	s_and_not1_b32 s3, s23, exec_lo
	s_and_b32 s23, s28, exec_lo
	s_delay_alu instid0(SALU_CYCLE_1)
	s_or_b32 s23, s3, s23
	s_and_not1_b32 exec_lo, exec_lo, s21
	s_cbranch_execz .LBB210_170
.LBB210_166:                            ;   Parent Loop BB210_18 Depth=1
                                        ; =>  This Inner Loop Header: Depth=2
	s_mov_b32 s28, exec_lo
	s_delay_alu instid0(VALU_DEP_1)
	v_cmpx_gt_u64_e64 s[36:37], v[6:7]
	s_cbranch_execz .LBB210_163
; %bb.167:                              ;   in Loop: Header=BB210_166 Depth=2
	v_mul_u64_e32 v[10:11], s[30:31], v[6:7]
	s_delay_alu instid0(VALU_DEP_1)
	v_lshl_add_u64 v[10:11], v[10:11], 1, s[34:35]
	global_load_u16 v10, v[10:11], off
	s_wait_loadcnt 0x0
	v_cmp_lt_i16_e32 vcc_lo, -1, v10
	v_and_b32_e32 v11, 0xffff, v10
	v_cndmask_b32_e32 v24, 0xffff, v34, vcc_lo
	v_cmp_o_f16_e32 vcc_lo, v10, v10
	s_delay_alu instid0(VALU_DEP_2) | instskip(NEXT) | instid1(VALU_DEP_1)
	v_xor_b32_e32 v11, v24, v11
	v_cndmask_b32_e32 v11, 0xffff, v11, vcc_lo
	s_delay_alu instid0(VALU_DEP_1) | instskip(NEXT) | instid1(VALU_DEP_1)
	v_and_b32_e32 v11, v11, v9
	v_cmp_eq_u32_e32 vcc_lo, v11, v8
	s_and_b32 exec_lo, exec_lo, vcc_lo
	s_cbranch_execz .LBB210_163
; %bb.168:                              ;   in Loop: Header=BB210_166 Depth=2
	v_perm_b32 v10, v10, s73, 0x5040100
	ds_store_b32 v3, v10 offset:3072
	s_branch .LBB210_163
.LBB210_169:                            ;   in Loop: Header=BB210_166 Depth=2
	s_mov_b32 s62, -1
	s_mov_b32 s28, -1
                                        ; implicit-def: $vgpr6_vgpr7
	s_branch .LBB210_165
.LBB210_170:                            ;   in Loop: Header=BB210_18 Depth=1
	s_or_b32 exec_lo, exec_lo, s21
	v_lshrrev_b32_e32 v10, 16, v10
	s_and_not1_b32 s3, s22, exec_lo
	s_and_b32 s10, s23, exec_lo
	s_delay_alu instid0(SALU_CYCLE_1)
	s_or_b32 s22, s3, s10
.LBB210_171:                            ;   in Loop: Header=BB210_18 Depth=1
	s_or_b32 exec_lo, exec_lo, s20
	s_mov_b32 s88, 0
	s_mov_b32 s93, -1
.LBB210_172:                            ;   in Loop: Header=BB210_18 Depth=1
	s_or_not1_b32 s10, s22, exec_lo
.LBB210_173:                            ;   in Loop: Header=BB210_18 Depth=1
	s_or_b32 exec_lo, exec_lo, s94
	s_mov_b32 s11, 0
	s_and_saveexec_b32 s94, s10
	s_cbranch_execz .LBB210_286
; %bb.174:                              ;   in Loop: Header=BB210_18 Depth=1
	v_mov_b64_e32 v[6:7], 1
	v_mov_b32_e32 v2, 1
	s_xor_b32 s20, s95, -1
	s_delay_alu instid0(SALU_CYCLE_1)
	s_and_saveexec_b32 s10, s20
	s_cbranch_execz .LBB210_183
; %bb.175:                              ;   in Loop: Header=BB210_18 Depth=1
	s_mov_b32 s11, exec_lo
	v_cmpx_ge_u64_e64 s[14:15], v[4:5]
	s_xor_b32 s11, exec_lo, s11
	s_cbranch_execz .LBB210_180
; %bb.176:                              ;   in Loop: Header=BB210_18 Depth=1
	ds_load_b64 v[6:7], v3 offset:5120
	s_lshl_b32 s20, 1, s48
	v_or_b32_e32 v9, s24, v9
	v_and_or_b32 v8, v8, s25, s20
	s_wait_dscnt 0x0
	v_cmp_ne_u64_e32 vcc_lo, 0, v[6:7]
	s_cbranch_vccnz .LBB210_180
; %bb.177:                              ;   in Loop: Header=BB210_18 Depth=1
	s_and_saveexec_b32 s20, s5
; %bb.178:                              ;   in Loop: Header=BB210_18 Depth=1
	v_mov_b64_e32 v[6:7], s[14:15]
	ds_store_b64 v3, v[6:7] offset:5128
; %bb.179:                              ;   in Loop: Header=BB210_18 Depth=1
	s_or_b32 exec_lo, exec_lo, s20
	s_wait_dscnt 0x0
	s_barrier_signal -1
	s_barrier_wait -1
.LBB210_180:                            ;   in Loop: Header=BB210_18 Depth=1
	s_or_saveexec_b32 s11, s11
	v_mov_b32_e32 v2, 8
	s_mov_b32 s20, 0
	s_xor_b32 exec_lo, exec_lo, s11
; %bb.181:                              ;   in Loop: Header=BB210_18 Depth=1
	v_sub_nc_u64_e64 v[4:5], v[4:5], s[14:15]
	v_mov_b32_e32 v2, 0
	s_mov_b32 s20, exec_lo
; %bb.182:                              ;   in Loop: Header=BB210_18 Depth=1
	s_or_b32 exec_lo, exec_lo, s11
	s_delay_alu instid0(VALU_DEP_2)
	v_mov_b64_e32 v[6:7], v[4:5]
	s_and_b32 s11, s20, exec_lo
.LBB210_183:                            ;   in Loop: Header=BB210_18 Depth=1
	s_or_b32 exec_lo, exec_lo, s10
	s_mov_b32 s10, -1
                                        ; implicit-def: $sgpr96
                                        ; implicit-def: $sgpr97
	s_and_saveexec_b32 s95, s11
	s_cbranch_execz .LBB210_285
; %bb.184:                              ;   in Loop: Header=BB210_18 Depth=1
	s_delay_alu instid0(VALU_DEP_1) | instskip(SKIP_2) | instid1(SALU_CYCLE_1)
	v_cmp_eq_u64_e32 vcc_lo, 1, v[6:7]
	s_cmp_eq_u64 s[16:17], 1
                                        ; implicit-def: $sgpr97
                                        ; implicit-def: $sgpr96
	s_cselect_b32 s10, -1, 0
	s_and_b32 s99, s10, vcc_lo
	s_mov_b32 s10, -1
	s_and_saveexec_b32 s98, s99
	s_cbranch_execz .LBB210_220
; %bb.185:                              ;   in Loop: Header=BB210_18 Depth=1
	ds_load_b64 v[4:5], v3 offset:5120
	s_wait_dscnt 0x0
	s_barrier_signal -1
	s_barrier_wait -1
	v_readfirstlane_b32 s10, v4
	v_readfirstlane_b32 s11, v5
	s_and_saveexec_b32 s20, s6
; %bb.186:                              ;   in Loop: Header=BB210_18 Depth=1
	ds_store_b16 v29, v3
; %bb.187:                              ;   in Loop: Header=BB210_18 Depth=1
	s_or_b32 exec_lo, exec_lo, s20
	s_lshl_b32 s20, 2, s48
	v_or_b32_e32 v9, s24, v9
	v_and_or_b32 v8, v8, s25, s20
	s_mov_b32 s96, -1
	s_mov_b32 s97, 0
	s_cmp_eq_u64 s[10:11], 0
	s_mov_b32 s22, 0
	s_mov_b32 s23, -1
	s_wait_dscnt 0x0
	s_barrier_signal -1
	s_barrier_wait -1
                                        ; implicit-def: $vgpr10
	s_cbranch_scc1 .LBB210_204
; %bb.188:                              ;   in Loop: Header=BB210_18 Depth=1
	s_add_nc_u64 s[20:21], s[10:11], s[74:75]
	s_delay_alu instid0(SALU_CYCLE_1) | instskip(NEXT) | instid1(SALU_CYCLE_1)
	s_and_b64 s[22:23], s[20:21], 0xffffffff00000000
	s_cmp_lg_u64 s[22:23], 0
	s_cbranch_scc0 .LBB210_237
; %bb.189:                              ;   in Loop: Header=BB210_18 Depth=1
	s_cvt_f32_u32 s22, s56
	s_sub_nc_u64 s[62:63], 0, s[56:57]
	s_delay_alu instid0(SALU_CYCLE_2) | instskip(NEXT) | instid1(SALU_CYCLE_3)
	s_fmamk_f32 s22, s72, 0x0, s22
	v_s_rcp_f32 s22, s22
	s_delay_alu instid0(TRANS32_DEP_1) | instskip(NEXT) | instid1(SALU_CYCLE_3)
	s_mul_f32 s22, s22, 0x5f7ffffc
	s_mul_f32 s23, s22, 0x2f800000
	s_delay_alu instid0(SALU_CYCLE_3) | instskip(NEXT) | instid1(SALU_CYCLE_3)
	s_trunc_f32 s23, s23
	s_fmamk_f32 s22, s23, 0xcf800000, s22
	s_cvt_u32_f32 s23, s23
	s_delay_alu instid0(SALU_CYCLE_2) | instskip(NEXT) | instid1(SALU_CYCLE_3)
	s_cvt_u32_f32 s22, s22
	s_mul_u64 s[64:65], s[62:63], s[22:23]
	s_delay_alu instid0(SALU_CYCLE_1)
	s_mul_hi_u32 s101, s22, s65
	s_mul_i32 s100, s22, s65
	s_mul_hi_u32 s28, s22, s64
	s_mul_i32 s67, s23, s64
	s_add_nc_u64 s[100:101], s[28:29], s[100:101]
	s_mul_hi_u32 s66, s23, s64
	s_mul_hi_u32 vcc_lo, s23, s65
	s_add_co_u32 s28, s100, s67
	s_add_co_ci_u32 s28, s101, s66
	s_mul_i32 s64, s23, s65
	s_add_co_ci_u32 s65, vcc_lo, 0
	s_delay_alu instid0(SALU_CYCLE_1) | instskip(NEXT) | instid1(SALU_CYCLE_1)
	s_add_nc_u64 s[64:65], s[28:29], s[64:65]
	s_add_co_u32 s22, s22, s64
	s_cselect_b32 s28, -1, 0
	s_delay_alu instid0(SALU_CYCLE_1) | instskip(SKIP_1) | instid1(SALU_CYCLE_1)
	s_cmp_lg_u32 s28, 0
	s_add_co_ci_u32 s23, s23, s65
	s_mul_u64 s[62:63], s[62:63], s[22:23]
	s_delay_alu instid0(SALU_CYCLE_1)
	s_mul_hi_u32 s65, s22, s63
	s_mul_i32 s64, s22, s63
	s_mul_hi_u32 s28, s22, s62
	s_mul_i32 s67, s23, s62
	s_add_nc_u64 s[64:65], s[28:29], s[64:65]
	s_mul_hi_u32 s66, s23, s62
	s_mul_hi_u32 s100, s23, s63
	s_add_co_u32 s28, s64, s67
	s_add_co_ci_u32 s28, s65, s66
	s_mul_i32 s62, s23, s63
	s_add_co_ci_u32 s63, s100, 0
	s_delay_alu instid0(SALU_CYCLE_1) | instskip(NEXT) | instid1(SALU_CYCLE_1)
	s_add_nc_u64 s[62:63], s[28:29], s[62:63]
	s_add_co_u32 s22, s22, s62
	s_cselect_b32 s62, -1, 0
	s_mul_hi_u32 s28, s20, s22
	s_cmp_lg_u32 s62, 0
	s_mul_hi_u32 s64, s21, s22
	s_add_co_ci_u32 s62, s23, s63
	s_mul_i32 s63, s21, s22
	s_mul_hi_u32 s23, s20, s62
	s_mul_i32 s22, s20, s62
	s_mul_hi_u32 s65, s21, s62
	s_add_nc_u64 s[22:23], s[28:29], s[22:23]
	s_mul_i32 s62, s21, s62
	s_add_co_u32 s22, s22, s63
	s_add_co_ci_u32 s28, s23, s64
	s_add_co_ci_u32 s63, s65, 0
	s_delay_alu instid0(SALU_CYCLE_1) | instskip(NEXT) | instid1(SALU_CYCLE_1)
	s_add_nc_u64 s[22:23], s[28:29], s[62:63]
	s_and_b64 s[62:63], s[22:23], 0xffffffff00000000
	s_delay_alu instid0(SALU_CYCLE_1) | instskip(NEXT) | instid1(SALU_CYCLE_1)
	s_or_b32 s62, s62, s22
	s_mul_u64 s[22:23], s[56:57], s[62:63]
	s_delay_alu instid0(SALU_CYCLE_1) | instskip(SKIP_1) | instid1(SALU_CYCLE_1)
	s_sub_co_u32 s22, s20, s22
	s_cselect_b32 s28, -1, 0
	s_cmp_lg_u32 s28, 0
	s_sub_co_ci_u32 s23, s21, s23
	s_sub_co_u32 s28, s22, s56
	s_cselect_b32 s62, -1, 0
	s_delay_alu instid0(SALU_CYCLE_1) | instskip(SKIP_3) | instid1(SALU_CYCLE_1)
	s_cmp_lg_u32 s62, 0
	s_sub_co_ci_u32 s62, s23, 0
	s_sub_co_u32 s63, s28, s56
	s_cselect_b32 s64, -1, 0
	s_cmp_lg_u32 s64, 0
	s_sub_co_ci_u32 s64, s62, 0
	s_cmp_ge_u32 s28, s56
	s_cselect_b32 s65, -1, 0
	s_cmp_eq_u32 s62, 0
	s_cselect_b32 s65, s65, -1
	s_delay_alu instid0(SALU_CYCLE_1)
	s_cmp_lg_u32 s65, 0
	s_cselect_b32 s62, s64, s62
	s_cselect_b32 s28, s63, s28
	s_cmp_ge_u32 s22, s56
	s_cselect_b32 s63, -1, 0
	s_cmp_eq_u32 s23, 0
	s_cselect_b32 s63, s63, -1
	s_delay_alu instid0(SALU_CYCLE_1)
	s_cmp_lg_u32 s63, 0
	s_cselect_b32 s23, s62, s23
	s_cselect_b32 s22, s28, s22
	s_cbranch_execnz .LBB210_191
.LBB210_190:                            ;   in Loop: Header=BB210_18 Depth=1
	v_cvt_f32_u32_e32 v4, s56
	s_sub_co_i32 s23, 0, s56
	s_delay_alu instid0(VALU_DEP_1) | instskip(SKIP_1) | instid1(TRANS32_DEP_1)
	v_rcp_iflag_f32_e32 v4, v4
	v_nop
	v_mul_f32_e32 v4, 0x4f7ffffe, v4
	s_delay_alu instid0(VALU_DEP_1) | instskip(NEXT) | instid1(VALU_DEP_1)
	v_cvt_u32_f32_e32 v4, v4
	v_readfirstlane_b32 s22, v4
	s_mul_i32 s23, s23, s22
	s_delay_alu instid0(SALU_CYCLE_1) | instskip(NEXT) | instid1(SALU_CYCLE_1)
	s_mul_hi_u32 s23, s22, s23
	s_add_co_i32 s22, s22, s23
	s_delay_alu instid0(SALU_CYCLE_1) | instskip(NEXT) | instid1(SALU_CYCLE_1)
	s_mul_hi_u32 s22, s20, s22
	s_mul_i32 s22, s22, s56
	s_delay_alu instid0(SALU_CYCLE_1) | instskip(NEXT) | instid1(SALU_CYCLE_1)
	s_sub_co_i32 s22, s20, s22
	s_sub_co_i32 s23, s22, s56
	s_cmp_ge_u32 s22, s56
	s_cselect_b32 s22, s23, s22
	s_delay_alu instid0(SALU_CYCLE_1) | instskip(SKIP_2) | instid1(SALU_CYCLE_1)
	s_sub_co_i32 s23, s22, s56
	s_cmp_ge_u32 s22, s56
	s_cselect_b32 s28, s23, s22
	s_mov_b64 s[22:23], s[28:29]
.LBB210_191:                            ;   in Loop: Header=BB210_18 Depth=1
	s_delay_alu instid0(SALU_CYCLE_1)
	s_sub_nc_u64 s[20:21], s[20:21], s[22:23]
	s_mov_b32 s23, 0
	s_mov_b32 s22, 0
	s_mov_b32 s28, exec_lo
                                        ; implicit-def: $vgpr10
	v_cmpx_gt_u64_e64 s[20:21], v[0:1]
	s_cbranch_execz .LBB210_203
; %bb.192:                              ;   in Loop: Header=BB210_18 Depth=1
	v_mov_b64_e32 v[4:5], v[0:1]
	v_mov_b32_e32 v10, v28
                                        ; implicit-def: $sgpr62
	s_branch .LBB210_196
.LBB210_193:                            ;   in Loop: Header=BB210_196 Depth=2
	s_or_b32 exec_lo, exec_lo, s63
	s_wait_dscnt 0x0
	s_barrier_signal -1
	s_barrier_wait -1
	ds_load_b32 v11, v3 offset:3072
	s_wait_dscnt 0x0
	s_barrier_signal -1
	s_barrier_wait -1
	v_cmp_neq_f16_e32 vcc_lo, 0, v11
	s_cbranch_vccnz .LBB210_199
; %bb.194:                              ;   in Loop: Header=BB210_196 Depth=2
	v_add_nc_u64_e32 v[4:5], s[56:57], v[4:5]
	v_add_nc_u32_e32 v10, s71, v10
	s_mov_b32 s63, 0
	s_delay_alu instid0(VALU_DEP_2)
	v_cmp_le_u64_e32 vcc_lo, s[20:21], v[4:5]
	s_or_not1_b32 s64, vcc_lo, exec_lo
.LBB210_195:                            ;   in Loop: Header=BB210_196 Depth=2
	s_delay_alu instid0(SALU_CYCLE_1) | instskip(NEXT) | instid1(SALU_CYCLE_1)
	s_and_b32 s3, exec_lo, s64
	s_or_b32 s22, s3, s22
	s_and_not1_b32 s3, s62, exec_lo
	s_and_b32 s40, s63, exec_lo
	s_delay_alu instid0(SALU_CYCLE_1)
	s_or_b32 s62, s3, s40
	s_and_not1_b32 exec_lo, exec_lo, s22
	s_cbranch_execz .LBB210_202
.LBB210_196:                            ;   Parent Loop BB210_18 Depth=1
                                        ; =>  This Inner Loop Header: Depth=2
	s_mov_b32 s63, exec_lo
	s_delay_alu instid0(VALU_DEP_2)
	v_cmpx_gt_u64_e64 s[10:11], v[4:5]
	s_cbranch_execz .LBB210_193
; %bb.197:                              ;   in Loop: Header=BB210_196 Depth=2
	ds_load_u16 v11, v10
	s_wait_dscnt 0x0
	v_cmp_lt_i16_e32 vcc_lo, -1, v11
	v_and_b32_e32 v24, 0xffff, v11
	v_cndmask_b32_e32 v25, 0xffff, v34, vcc_lo
	v_cmp_o_f16_e32 vcc_lo, v11, v11
	s_delay_alu instid0(VALU_DEP_2) | instskip(NEXT) | instid1(VALU_DEP_1)
	v_xor_b32_e32 v24, v25, v24
	v_cndmask_b32_e32 v24, 0xffff, v24, vcc_lo
	s_delay_alu instid0(VALU_DEP_1) | instskip(NEXT) | instid1(VALU_DEP_1)
	v_and_b32_e32 v24, v24, v9
	v_cmp_eq_u32_e32 vcc_lo, v24, v8
	s_and_b32 exec_lo, exec_lo, vcc_lo
	s_cbranch_execz .LBB210_193
; %bb.198:                              ;   in Loop: Header=BB210_196 Depth=2
	v_perm_b32 v11, v11, s73, 0x5040100
	ds_store_b32 v3, v11 offset:3072
	s_branch .LBB210_193
.LBB210_199:                            ;   in Loop: Header=BB210_196 Depth=2
	s_mov_b32 s64, -1
	s_mov_b32 s63, -1
                                        ; implicit-def: $vgpr4_vgpr5
                                        ; implicit-def: $vgpr10
	s_branch .LBB210_195
.LBB210_200:                            ;   in Loop: Header=BB210_18 Depth=1
                                        ; implicit-def: $sgpr22_sgpr23
	s_branch .LBB210_143
.LBB210_201:                            ;   in Loop: Header=BB210_18 Depth=1
                                        ; implicit-def: $sgpr10_sgpr11
	s_branch .LBB210_160
.LBB210_202:                            ;   in Loop: Header=BB210_18 Depth=1
	s_or_b32 exec_lo, exec_lo, s22
	v_lshrrev_b32_e32 v10, 16, v11
	s_and_b32 s22, s62, exec_lo
.LBB210_203:                            ;   in Loop: Header=BB210_18 Depth=1
	s_or_b32 exec_lo, exec_lo, s28
.LBB210_204:                            ;   in Loop: Header=BB210_18 Depth=1
	s_delay_alu instid0(SALU_CYCLE_1)
	s_and_b32 vcc_lo, exec_lo, s23
	s_cbranch_vccz .LBB210_219
; %bb.205:                              ;   in Loop: Header=BB210_18 Depth=1
	s_and_b64 s[10:11], s[76:77], 0xffffffff00000000
	s_delay_alu instid0(SALU_CYCLE_1)
	s_cmp_lg_u64 s[10:11], 0
	s_cbranch_scc0 .LBB210_238
; %bb.206:                              ;   in Loop: Header=BB210_18 Depth=1
	s_cvt_f32_u32 s10, s56
	s_sub_nc_u64 s[20:21], 0, s[56:57]
	s_delay_alu instid0(SALU_CYCLE_2) | instskip(NEXT) | instid1(SALU_CYCLE_3)
	s_fmamk_f32 s10, s72, 0x0, s10
	v_s_rcp_f32 s10, s10
	s_delay_alu instid0(TRANS32_DEP_1) | instskip(NEXT) | instid1(SALU_CYCLE_3)
	s_mul_f32 s10, s10, 0x5f7ffffc
	s_mul_f32 s11, s10, 0x2f800000
	s_delay_alu instid0(SALU_CYCLE_3) | instskip(NEXT) | instid1(SALU_CYCLE_3)
	s_trunc_f32 s11, s11
	s_fmamk_f32 s10, s11, 0xcf800000, s10
	s_cvt_u32_f32 s11, s11
	s_delay_alu instid0(SALU_CYCLE_2) | instskip(NEXT) | instid1(SALU_CYCLE_3)
	s_cvt_u32_f32 s10, s10
	s_mul_u64 s[62:63], s[20:21], s[10:11]
	s_delay_alu instid0(SALU_CYCLE_1)
	s_mul_hi_u32 s65, s10, s63
	s_mul_i32 s64, s10, s63
	s_mul_hi_u32 s28, s10, s62
	s_mul_i32 s66, s11, s62
	s_add_nc_u64 s[64:65], s[28:29], s[64:65]
	s_mul_hi_u32 s23, s11, s62
	s_mul_hi_u32 s67, s11, s63
	s_add_co_u32 s28, s64, s66
	s_add_co_ci_u32 s28, s65, s23
	s_mul_i32 s62, s11, s63
	s_add_co_ci_u32 s63, s67, 0
	s_delay_alu instid0(SALU_CYCLE_1) | instskip(NEXT) | instid1(SALU_CYCLE_1)
	s_add_nc_u64 s[62:63], s[28:29], s[62:63]
	s_add_co_u32 s10, s10, s62
	s_cselect_b32 s23, -1, 0
	s_delay_alu instid0(SALU_CYCLE_1) | instskip(SKIP_1) | instid1(SALU_CYCLE_1)
	s_cmp_lg_u32 s23, 0
	s_add_co_ci_u32 s11, s11, s63
	s_mul_u64 s[20:21], s[20:21], s[10:11]
	s_delay_alu instid0(SALU_CYCLE_1)
	s_mul_hi_u32 s63, s10, s21
	s_mul_i32 s62, s10, s21
	s_mul_hi_u32 s28, s10, s20
	s_mul_i32 s64, s11, s20
	s_add_nc_u64 s[62:63], s[28:29], s[62:63]
	s_mul_hi_u32 s23, s11, s20
	s_mul_hi_u32 s65, s11, s21
	s_mul_i32 s20, s11, s21
	s_add_co_u32 s21, s62, s64
	s_add_co_ci_u32 s28, s63, s23
	s_add_co_ci_u32 s21, s65, 0
	s_delay_alu instid0(SALU_CYCLE_1) | instskip(NEXT) | instid1(SALU_CYCLE_1)
	s_add_nc_u64 s[20:21], s[28:29], s[20:21]
	s_add_co_u32 s10, s10, s20
	s_cselect_b32 s20, -1, 0
	s_mul_hi_u32 s28, s76, s10
	s_cmp_lg_u32 s20, 0
	s_mul_hi_u32 s23, s77, s10
	s_add_co_ci_u32 s20, s11, s21
	s_mul_i32 s21, s77, s10
	s_mul_hi_u32 s11, s76, s20
	s_mul_i32 s10, s76, s20
	s_mul_hi_u32 s62, s77, s20
	s_add_nc_u64 s[10:11], s[28:29], s[10:11]
	s_mul_i32 s20, s77, s20
	s_add_co_u32 s10, s10, s21
	s_add_co_ci_u32 s28, s11, s23
	s_add_co_ci_u32 s21, s62, 0
	s_delay_alu instid0(SALU_CYCLE_1) | instskip(NEXT) | instid1(SALU_CYCLE_1)
	s_add_nc_u64 s[10:11], s[28:29], s[20:21]
	s_and_b64 s[20:21], s[10:11], 0xffffffff00000000
	s_delay_alu instid0(SALU_CYCLE_1) | instskip(NEXT) | instid1(SALU_CYCLE_1)
	s_or_b32 s20, s20, s10
	s_mul_u64 s[10:11], s[56:57], s[20:21]
	s_delay_alu instid0(SALU_CYCLE_1) | instskip(SKIP_1) | instid1(SALU_CYCLE_1)
	s_sub_co_u32 s10, s76, s10
	s_cselect_b32 s20, -1, 0
	s_cmp_lg_u32 s20, 0
	s_sub_co_ci_u32 s11, s77, s11
	s_sub_co_u32 s20, s10, s56
	s_cselect_b32 s21, -1, 0
	s_delay_alu instid0(SALU_CYCLE_1) | instskip(SKIP_3) | instid1(SALU_CYCLE_1)
	s_cmp_lg_u32 s21, 0
	s_sub_co_ci_u32 s21, s11, 0
	s_sub_co_u32 s23, s20, s56
	s_cselect_b32 s28, -1, 0
	s_cmp_lg_u32 s28, 0
	s_sub_co_ci_u32 s28, s21, 0
	s_cmp_ge_u32 s20, s56
	s_cselect_b32 s62, -1, 0
	s_cmp_eq_u32 s21, 0
	s_cselect_b32 s62, s62, -1
	s_delay_alu instid0(SALU_CYCLE_1)
	s_cmp_lg_u32 s62, 0
	s_cselect_b32 s21, s28, s21
	s_cselect_b32 s20, s23, s20
	s_cmp_ge_u32 s10, s56
	s_cselect_b32 s23, -1, 0
	s_cmp_eq_u32 s11, 0
	s_cselect_b32 s23, s23, -1
	s_delay_alu instid0(SALU_CYCLE_1)
	s_cmp_lg_u32 s23, 0
	s_cselect_b32 s11, s21, s11
	s_cselect_b32 s10, s20, s10
	s_cbranch_execnz .LBB210_208
.LBB210_207:                            ;   in Loop: Header=BB210_18 Depth=1
	v_cvt_f32_u32_e32 v4, s56
	s_sub_co_i32 s11, 0, s56
	s_delay_alu instid0(VALU_DEP_1) | instskip(SKIP_1) | instid1(TRANS32_DEP_1)
	v_rcp_iflag_f32_e32 v4, v4
	v_nop
	v_mul_f32_e32 v4, 0x4f7ffffe, v4
	s_delay_alu instid0(VALU_DEP_1) | instskip(NEXT) | instid1(VALU_DEP_1)
	v_cvt_u32_f32_e32 v4, v4
	v_readfirstlane_b32 s10, v4
	s_mul_i32 s11, s11, s10
	s_delay_alu instid0(SALU_CYCLE_1) | instskip(NEXT) | instid1(SALU_CYCLE_1)
	s_mul_hi_u32 s11, s10, s11
	s_add_co_i32 s10, s10, s11
	s_delay_alu instid0(SALU_CYCLE_1) | instskip(NEXT) | instid1(SALU_CYCLE_1)
	s_mul_hi_u32 s10, s76, s10
	s_mul_i32 s10, s10, s56
	s_delay_alu instid0(SALU_CYCLE_1) | instskip(NEXT) | instid1(SALU_CYCLE_1)
	s_sub_co_i32 s10, s76, s10
	s_sub_co_i32 s11, s10, s56
	s_cmp_ge_u32 s10, s56
	s_cselect_b32 s10, s11, s10
	s_delay_alu instid0(SALU_CYCLE_1) | instskip(SKIP_2) | instid1(SALU_CYCLE_1)
	s_sub_co_i32 s11, s10, s56
	s_cmp_ge_u32 s10, s56
	s_cselect_b32 s28, s11, s10
	s_mov_b64 s[10:11], s[28:29]
.LBB210_208:                            ;   in Loop: Header=BB210_18 Depth=1
	s_delay_alu instid0(SALU_CYCLE_1)
	s_sub_nc_u64 s[10:11], s[76:77], s[10:11]
	s_mov_b32 s20, exec_lo
                                        ; implicit-def: $vgpr10
	v_nop
	v_cmpx_gt_u64_e64 s[10:11], v[0:1]
	s_cbranch_execz .LBB210_218
; %bb.209:                              ;   in Loop: Header=BB210_18 Depth=1
	v_mov_b64_e32 v[4:5], v[0:1]
	s_mov_b32 s21, 0
                                        ; implicit-def: $sgpr23
	s_branch .LBB210_213
.LBB210_210:                            ;   in Loop: Header=BB210_213 Depth=2
	s_or_b32 exec_lo, exec_lo, s28
	s_wait_dscnt 0x0
	s_barrier_signal -1
	s_barrier_wait -1
	ds_load_b32 v10, v3 offset:3072
	s_wait_dscnt 0x0
	s_barrier_signal -1
	s_barrier_wait -1
	v_cmp_eq_f16_e32 vcc_lo, 0, v10
	s_cbranch_vccz .LBB210_216
; %bb.211:                              ;   in Loop: Header=BB210_213 Depth=2
	v_add_nc_u64_e32 v[4:5], s[56:57], v[4:5]
	s_mov_b32 s28, 0
	s_delay_alu instid0(VALU_DEP_1)
	v_cmp_le_u64_e32 vcc_lo, s[10:11], v[4:5]
	s_or_not1_b32 s62, vcc_lo, exec_lo
.LBB210_212:                            ;   in Loop: Header=BB210_213 Depth=2
	s_delay_alu instid0(SALU_CYCLE_1) | instskip(NEXT) | instid1(SALU_CYCLE_1)
	s_and_b32 s3, exec_lo, s62
	s_or_b32 s21, s3, s21
	s_and_not1_b32 s3, s23, exec_lo
	s_and_b32 s23, s28, exec_lo
	s_delay_alu instid0(SALU_CYCLE_1)
	s_or_b32 s23, s3, s23
	s_and_not1_b32 exec_lo, exec_lo, s21
	s_cbranch_execz .LBB210_217
.LBB210_213:                            ;   Parent Loop BB210_18 Depth=1
                                        ; =>  This Inner Loop Header: Depth=2
	s_mov_b32 s28, exec_lo
	s_delay_alu instid0(VALU_DEP_1)
	v_cmpx_gt_u64_e64 s[36:37], v[4:5]
	s_cbranch_execz .LBB210_210
; %bb.214:                              ;   in Loop: Header=BB210_213 Depth=2
	v_mul_u64_e32 v[10:11], s[30:31], v[4:5]
	s_delay_alu instid0(VALU_DEP_1)
	v_lshl_add_u64 v[10:11], v[10:11], 1, s[34:35]
	global_load_u16 v10, v[10:11], off
	s_wait_loadcnt 0x0
	v_cmp_lt_i16_e32 vcc_lo, -1, v10
	v_and_b32_e32 v11, 0xffff, v10
	v_cndmask_b32_e32 v24, 0xffff, v34, vcc_lo
	v_cmp_o_f16_e32 vcc_lo, v10, v10
	s_delay_alu instid0(VALU_DEP_2) | instskip(NEXT) | instid1(VALU_DEP_1)
	v_xor_b32_e32 v11, v24, v11
	v_cndmask_b32_e32 v11, 0xffff, v11, vcc_lo
	s_delay_alu instid0(VALU_DEP_1) | instskip(NEXT) | instid1(VALU_DEP_1)
	v_and_b32_e32 v11, v11, v9
	v_cmp_eq_u32_e32 vcc_lo, v11, v8
	s_and_b32 exec_lo, exec_lo, vcc_lo
	s_cbranch_execz .LBB210_210
; %bb.215:                              ;   in Loop: Header=BB210_213 Depth=2
	v_perm_b32 v10, v10, s73, 0x5040100
	ds_store_b32 v3, v10 offset:3072
	s_branch .LBB210_210
.LBB210_216:                            ;   in Loop: Header=BB210_213 Depth=2
	s_mov_b32 s62, -1
	s_mov_b32 s28, -1
                                        ; implicit-def: $vgpr4_vgpr5
	s_branch .LBB210_212
.LBB210_217:                            ;   in Loop: Header=BB210_18 Depth=1
	s_or_b32 exec_lo, exec_lo, s21
	v_lshrrev_b32_e32 v10, 16, v10
	s_and_not1_b32 s3, s22, exec_lo
	s_and_b32 s10, s23, exec_lo
	s_delay_alu instid0(SALU_CYCLE_1)
	s_or_b32 s22, s3, s10
.LBB210_218:                            ;   in Loop: Header=BB210_18 Depth=1
	s_or_b32 exec_lo, exec_lo, s20
	s_mov_b32 s96, 0
	s_mov_b32 s97, -1
.LBB210_219:                            ;   in Loop: Header=BB210_18 Depth=1
	s_or_not1_b32 s10, s22, exec_lo
.LBB210_220:                            ;   in Loop: Header=BB210_18 Depth=1
	s_or_b32 exec_lo, exec_lo, s98
	s_mov_b32 s11, 0
	s_and_saveexec_b32 s98, s10
	s_cbranch_execz .LBB210_284
; %bb.221:                              ;   in Loop: Header=BB210_18 Depth=1
	v_mov_b64_e32 v[4:5], 1
	v_mov_b32_e32 v2, 1
	s_xor_b32 s20, s99, -1
	s_delay_alu instid0(SALU_CYCLE_1)
	s_and_saveexec_b32 s10, s20
	s_cbranch_execz .LBB210_230
; %bb.222:                              ;   in Loop: Header=BB210_18 Depth=1
	s_mov_b32 s11, exec_lo
	v_cmpx_ge_u64_e64 s[16:17], v[6:7]
	s_xor_b32 s11, exec_lo, s11
	s_cbranch_execz .LBB210_227
; %bb.223:                              ;   in Loop: Header=BB210_18 Depth=1
	ds_load_b64 v[4:5], v3 offset:5120
	s_lshl_b32 s20, 2, s48
	v_or_b32_e32 v9, s24, v9
	v_and_or_b32 v8, v8, s25, s20
	s_wait_dscnt 0x0
	v_cmp_ne_u64_e32 vcc_lo, 0, v[4:5]
	s_cbranch_vccnz .LBB210_227
; %bb.224:                              ;   in Loop: Header=BB210_18 Depth=1
	s_and_saveexec_b32 s20, s5
; %bb.225:                              ;   in Loop: Header=BB210_18 Depth=1
	v_mov_b64_e32 v[4:5], s[16:17]
	ds_store_b64 v3, v[4:5] offset:5128
; %bb.226:                              ;   in Loop: Header=BB210_18 Depth=1
	s_or_b32 exec_lo, exec_lo, s20
	s_wait_dscnt 0x0
	s_barrier_signal -1
	s_barrier_wait -1
.LBB210_227:                            ;   in Loop: Header=BB210_18 Depth=1
	s_or_saveexec_b32 s11, s11
	v_mov_b32_e32 v2, 8
	s_mov_b32 s20, 0
	s_xor_b32 exec_lo, exec_lo, s11
; %bb.228:                              ;   in Loop: Header=BB210_18 Depth=1
	v_sub_nc_u64_e64 v[6:7], v[6:7], s[16:17]
	v_mov_b32_e32 v2, 0
	s_mov_b32 s20, exec_lo
; %bb.229:                              ;   in Loop: Header=BB210_18 Depth=1
	s_or_b32 exec_lo, exec_lo, s11
	s_delay_alu instid0(VALU_DEP_2)
	v_mov_b64_e32 v[4:5], v[6:7]
	s_and_b32 s11, s20, exec_lo
.LBB210_230:                            ;   in Loop: Header=BB210_18 Depth=1
	s_or_b32 exec_lo, exec_lo, s10
	s_mov_b32 s10, -1
                                        ; implicit-def: $sgpr65
                                        ; implicit-def: $sgpr64
	s_and_saveexec_b32 s99, s11
	s_cbranch_execz .LBB210_283
; %bb.231:                              ;   in Loop: Header=BB210_18 Depth=1
	s_delay_alu instid0(VALU_DEP_1) | instskip(SKIP_3) | instid1(SALU_CYCLE_1)
	v_cmp_eq_u64_e32 vcc_lo, 1, v[4:5]
	s_cmp_eq_u64 s[18:19], 1
	s_mov_b32 s11, -1
	s_cselect_b32 s10, -1, 0
                                        ; implicit-def: $sgpr65
                                        ; implicit-def: $sgpr64
	s_and_b32 s41, s10, vcc_lo
	s_delay_alu instid0(SALU_CYCLE_1)
	s_and_saveexec_b32 s101, s41
	s_cbranch_execz .LBB210_271
; %bb.232:                              ;   in Loop: Header=BB210_18 Depth=1
	ds_load_b64 v[6:7], v3 offset:5120
	s_wait_dscnt 0x0
	s_barrier_signal -1
	s_barrier_wait -1
	v_readfirstlane_b32 s10, v6
	v_readfirstlane_b32 s11, v7
	s_and_saveexec_b32 s20, s6
; %bb.233:                              ;   in Loop: Header=BB210_18 Depth=1
	ds_store_b16 v29, v3
; %bb.234:                              ;   in Loop: Header=BB210_18 Depth=1
	s_or_b32 exec_lo, exec_lo, s20
	v_or_b32_e32 v8, s24, v8
	v_or_b32_e32 v9, s24, v9
	s_mov_b32 s64, -1
	s_mov_b32 s65, 0
	s_cmp_eq_u64 s[10:11], 0
	s_mov_b32 s22, 0
	s_mov_b32 s23, -1
	s_wait_dscnt 0x0
	s_barrier_signal -1
	s_barrier_wait -1
                                        ; implicit-def: $vgpr10
	s_cbranch_scc1 .LBB210_253
; %bb.235:                              ;   in Loop: Header=BB210_18 Depth=1
	v_writelane_b32 v46, s41, 25
	s_add_nc_u64 s[20:21], s[10:11], s[74:75]
	s_delay_alu instid0(SALU_CYCLE_1) | instskip(NEXT) | instid1(SALU_CYCLE_1)
	s_and_b64 s[22:23], s[20:21], 0xffffffff00000000
	s_cmp_lg_u64 s[22:23], 0
	v_writelane_b32 v46, s43, 26
	s_mov_b32 s43, vcc_hi
	s_cbranch_scc0 .LBB210_239
; %bb.236:                              ;   in Loop: Header=BB210_18 Depth=1
	s_cvt_f32_u32 s22, s56
	s_sub_nc_u64 s[62:63], 0, s[56:57]
	s_delay_alu instid0(SALU_CYCLE_2) | instskip(NEXT) | instid1(SALU_CYCLE_3)
	s_fmamk_f32 s22, s72, 0x0, s22
	v_s_rcp_f32 s22, s22
	s_delay_alu instid0(TRANS32_DEP_1) | instskip(NEXT) | instid1(SALU_CYCLE_3)
	s_mul_f32 s22, s22, 0x5f7ffffc
	s_mul_f32 s23, s22, 0x2f800000
	s_delay_alu instid0(SALU_CYCLE_3) | instskip(NEXT) | instid1(SALU_CYCLE_3)
	s_trunc_f32 s23, s23
	s_fmamk_f32 s22, s23, 0xcf800000, s22
	s_cvt_u32_f32 s23, s23
	s_delay_alu instid0(SALU_CYCLE_2) | instskip(NEXT) | instid1(SALU_CYCLE_3)
	s_cvt_u32_f32 s22, s22
	s_mul_u64 s[66:67], s[62:63], s[22:23]
	s_delay_alu instid0(SALU_CYCLE_1)
	s_mul_hi_u32 vcc_hi, s22, s67
	s_mul_i32 vcc_lo, s22, s67
	s_mul_hi_u32 s28, s22, s66
	s_mul_i32 s100, s23, s66
	s_add_nc_u64 vcc, s[28:29], vcc
	s_mul_hi_u32 s3, s23, s66
	s_mul_hi_u32 s40, s23, s67
	s_add_co_u32 s28, vcc_lo, s100
	s_add_co_ci_u32 s28, vcc_hi, s3
	s_mul_i32 s66, s23, s67
	s_add_co_ci_u32 s67, s40, 0
	s_delay_alu instid0(SALU_CYCLE_1) | instskip(NEXT) | instid1(SALU_CYCLE_1)
	s_add_nc_u64 s[66:67], s[28:29], s[66:67]
	s_add_co_u32 s22, s22, s66
	s_cselect_b32 s3, -1, 0
	s_delay_alu instid0(SALU_CYCLE_1) | instskip(SKIP_1) | instid1(SALU_CYCLE_1)
	s_cmp_lg_u32 s3, 0
	s_add_co_ci_u32 s23, s23, s67
	s_mul_u64 s[62:63], s[62:63], s[22:23]
	s_delay_alu instid0(SALU_CYCLE_1)
	s_mul_hi_u32 s67, s22, s63
	s_mul_i32 s66, s22, s63
	s_mul_hi_u32 s28, s22, s62
	s_mul_i32 s40, s23, s62
	s_add_nc_u64 s[66:67], s[28:29], s[66:67]
	s_mul_hi_u32 s3, s23, s62
	s_mul_hi_u32 s41, s23, s63
	s_add_co_u32 s28, s66, s40
	s_add_co_ci_u32 s28, s67, s3
	s_mul_i32 s62, s23, s63
	s_add_co_ci_u32 s63, s41, 0
	s_delay_alu instid0(SALU_CYCLE_1) | instskip(NEXT) | instid1(SALU_CYCLE_1)
	s_add_nc_u64 s[62:63], s[28:29], s[62:63]
	s_add_co_u32 s3, s22, s62
	s_cselect_b32 s22, -1, 0
	s_mul_hi_u32 s28, s20, s3
	s_cmp_lg_u32 s22, 0
	s_mul_hi_u32 s40, s21, s3
	s_add_co_ci_u32 s41, s23, s63
	s_mul_i32 s3, s21, s3
	s_mul_hi_u32 s23, s20, s41
	s_mul_i32 s22, s20, s41
	s_mul_hi_u32 s42, s21, s41
	s_add_nc_u64 s[22:23], s[28:29], s[22:23]
	s_mul_i32 s62, s21, s41
	s_add_co_u32 s3, s22, s3
	s_add_co_ci_u32 s28, s23, s40
	s_add_co_ci_u32 s63, s42, 0
	s_delay_alu instid0(SALU_CYCLE_1) | instskip(NEXT) | instid1(SALU_CYCLE_1)
	s_add_nc_u64 s[22:23], s[28:29], s[62:63]
	s_and_b64 s[62:63], s[22:23], 0xffffffff00000000
	s_delay_alu instid0(SALU_CYCLE_1) | instskip(NEXT) | instid1(SALU_CYCLE_1)
	s_or_b32 s62, s62, s22
	s_mul_u64 s[22:23], s[56:57], s[62:63]
	s_delay_alu instid0(SALU_CYCLE_1) | instskip(SKIP_1) | instid1(SALU_CYCLE_1)
	s_sub_co_u32 s3, s20, s22
	s_cselect_b32 s22, -1, 0
	s_cmp_lg_u32 s22, 0
	s_sub_co_ci_u32 s22, s21, s23
	s_sub_co_u32 s23, s3, s56
	s_cselect_b32 s28, -1, 0
	s_delay_alu instid0(SALU_CYCLE_1) | instskip(SKIP_3) | instid1(SALU_CYCLE_1)
	s_cmp_lg_u32 s28, 0
	s_sub_co_ci_u32 s28, s22, 0
	s_sub_co_u32 s40, s23, s56
	s_cselect_b32 s41, -1, 0
	s_cmp_lg_u32 s41, 0
	s_sub_co_ci_u32 s41, s28, 0
	s_cmp_ge_u32 s23, s56
	s_cselect_b32 s42, -1, 0
	s_cmp_eq_u32 s28, 0
	s_cselect_b32 s42, s42, -1
	s_delay_alu instid0(SALU_CYCLE_1)
	s_cmp_lg_u32 s42, 0
	s_cselect_b32 s28, s41, s28
	s_cselect_b32 s40, s40, s23
	s_cmp_ge_u32 s3, s56
	s_cselect_b32 s23, -1, 0
	s_cmp_eq_u32 s22, 0
	s_cselect_b32 s23, s23, -1
	s_delay_alu instid0(SALU_CYCLE_1)
	s_cmp_lg_u32 s23, 0
	s_cselect_b32 s23, s28, s22
	s_cselect_b32 s22, s40, s3
	s_mov_b32 s28, 0
	s_branch .LBB210_240
.LBB210_237:                            ;   in Loop: Header=BB210_18 Depth=1
                                        ; implicit-def: $sgpr22_sgpr23
	s_branch .LBB210_190
.LBB210_238:                            ;   in Loop: Header=BB210_18 Depth=1
                                        ; implicit-def: $sgpr10_sgpr11
	s_branch .LBB210_207
.LBB210_239:                            ;   in Loop: Header=BB210_18 Depth=1
	s_mov_b32 s28, -1
                                        ; implicit-def: $sgpr22_sgpr23
.LBB210_240:                            ;   in Loop: Header=BB210_18 Depth=1
	s_delay_alu instid0(SALU_CYCLE_1)
	s_and_not1_b32 vcc_lo, exec_lo, s28
	s_cbranch_vccnz .LBB210_242
; %bb.241:                              ;   in Loop: Header=BB210_18 Depth=1
	v_cvt_f32_u32_e32 v6, s56
	s_sub_co_i32 s23, 0, s56
	s_delay_alu instid0(VALU_DEP_1) | instskip(SKIP_1) | instid1(TRANS32_DEP_1)
	v_rcp_iflag_f32_e32 v6, v6
	v_nop
	v_mul_f32_e32 v6, 0x4f7ffffe, v6
	s_delay_alu instid0(VALU_DEP_1) | instskip(NEXT) | instid1(VALU_DEP_1)
	v_cvt_u32_f32_e32 v6, v6
	v_readfirstlane_b32 s22, v6
	s_mul_i32 s23, s23, s22
	s_delay_alu instid0(SALU_CYCLE_1) | instskip(NEXT) | instid1(SALU_CYCLE_1)
	s_mul_hi_u32 s23, s22, s23
	s_add_co_i32 s22, s22, s23
	s_delay_alu instid0(SALU_CYCLE_1) | instskip(NEXT) | instid1(SALU_CYCLE_1)
	s_mul_hi_u32 s22, s20, s22
	s_mul_i32 s22, s22, s56
	s_delay_alu instid0(SALU_CYCLE_1) | instskip(NEXT) | instid1(SALU_CYCLE_1)
	s_sub_co_i32 s22, s20, s22
	s_sub_co_i32 s23, s22, s56
	s_cmp_ge_u32 s22, s56
	s_cselect_b32 s22, s23, s22
	s_delay_alu instid0(SALU_CYCLE_1) | instskip(SKIP_2) | instid1(SALU_CYCLE_1)
	s_sub_co_i32 s23, s22, s56
	s_cmp_ge_u32 s22, s56
	s_cselect_b32 s28, s23, s22
	s_mov_b64 s[22:23], s[28:29]
.LBB210_242:                            ;   in Loop: Header=BB210_18 Depth=1
	s_delay_alu instid0(SALU_CYCLE_1)
	s_sub_nc_u64 s[20:21], s[20:21], s[22:23]
	s_mov_b32 s23, 0
	s_mov_b32 s22, 0
	s_mov_b32 s28, exec_lo
                                        ; implicit-def: $vgpr10
	v_cmpx_gt_u64_e64 s[20:21], v[0:1]
	s_mov_b32 vcc_hi, s43
	v_readlane_b32 s43, v46, 26
	v_readlane_b32 s41, v46, 25
	s_cbranch_execz .LBB210_252
; %bb.243:                              ;   in Loop: Header=BB210_18 Depth=1
	v_mov_b64_e32 v[6:7], v[0:1]
	v_mov_b32_e32 v10, v28
                                        ; implicit-def: $sgpr62
	s_branch .LBB210_247
.LBB210_244:                            ;   in Loop: Header=BB210_247 Depth=2
	s_or_b32 exec_lo, exec_lo, s63
	s_wait_dscnt 0x0
	s_barrier_signal -1
	s_barrier_wait -1
	ds_load_b32 v11, v3 offset:3072
	s_wait_dscnt 0x0
	s_barrier_signal -1
	s_barrier_wait -1
	v_cmp_neq_f16_e32 vcc_lo, 0, v11
	s_cbranch_vccnz .LBB210_250
; %bb.245:                              ;   in Loop: Header=BB210_247 Depth=2
	v_add_nc_u64_e32 v[6:7], s[56:57], v[6:7]
	v_add_nc_u32_e32 v10, s71, v10
	s_mov_b32 s63, 0
	s_delay_alu instid0(VALU_DEP_2)
	v_cmp_le_u64_e32 vcc_lo, s[20:21], v[6:7]
	s_or_not1_b32 vcc_lo, vcc_lo, exec_lo
.LBB210_246:                            ;   in Loop: Header=BB210_247 Depth=2
	s_delay_alu instid0(SALU_CYCLE_1) | instskip(NEXT) | instid1(SALU_CYCLE_1)
	s_and_b32 s3, exec_lo, vcc_lo
	s_or_b32 s22, s3, s22
	s_and_not1_b32 s3, s62, exec_lo
	s_and_b32 s40, s63, exec_lo
	s_delay_alu instid0(SALU_CYCLE_1)
	s_or_b32 s62, s3, s40
	s_and_not1_b32 exec_lo, exec_lo, s22
	s_cbranch_execz .LBB210_251
.LBB210_247:                            ;   Parent Loop BB210_18 Depth=1
                                        ; =>  This Inner Loop Header: Depth=2
	s_mov_b32 s63, exec_lo
	s_delay_alu instid0(VALU_DEP_2)
	v_cmpx_gt_u64_e64 s[10:11], v[6:7]
	s_cbranch_execz .LBB210_244
; %bb.248:                              ;   in Loop: Header=BB210_247 Depth=2
	ds_load_u16 v11, v10
	s_wait_dscnt 0x0
	v_cmp_lt_i16_e32 vcc_lo, -1, v11
	v_and_b32_e32 v24, 0xffff, v11
	v_cndmask_b32_e32 v25, 0xffff, v34, vcc_lo
	v_cmp_o_f16_e32 vcc_lo, v11, v11
	s_delay_alu instid0(VALU_DEP_2) | instskip(NEXT) | instid1(VALU_DEP_1)
	v_xor_b32_e32 v24, v25, v24
	v_cndmask_b32_e32 v24, 0xffff, v24, vcc_lo
	s_delay_alu instid0(VALU_DEP_1) | instskip(NEXT) | instid1(VALU_DEP_1)
	v_and_b32_e32 v24, v24, v9
	v_cmp_eq_u32_e32 vcc_lo, v24, v8
	s_and_b32 exec_lo, exec_lo, vcc_lo
	s_cbranch_execz .LBB210_244
; %bb.249:                              ;   in Loop: Header=BB210_247 Depth=2
	v_perm_b32 v11, v11, s73, 0x5040100
	ds_store_b32 v3, v11 offset:3072
	s_branch .LBB210_244
.LBB210_250:                            ;   in Loop: Header=BB210_247 Depth=2
	s_mov_b32 vcc_lo, -1
	s_mov_b32 s63, -1
                                        ; implicit-def: $vgpr6_vgpr7
                                        ; implicit-def: $vgpr10
	s_branch .LBB210_246
.LBB210_251:                            ;   in Loop: Header=BB210_18 Depth=1
	s_or_b32 exec_lo, exec_lo, s22
	v_lshrrev_b32_e32 v10, 16, v11
	s_and_b32 s22, s62, exec_lo
.LBB210_252:                            ;   in Loop: Header=BB210_18 Depth=1
	s_or_b32 exec_lo, exec_lo, s28
.LBB210_253:                            ;   in Loop: Header=BB210_18 Depth=1
	s_delay_alu instid0(SALU_CYCLE_1)
	s_and_b32 vcc_lo, exec_lo, s23
	s_cbranch_vccz .LBB210_270
; %bb.254:                              ;   in Loop: Header=BB210_18 Depth=1
	s_and_b64 s[10:11], s[76:77], 0xffffffff00000000
	s_delay_alu instid0(SALU_CYCLE_1)
	s_cmp_lg_u64 s[10:11], 0
	s_cbranch_scc0 .LBB210_256
; %bb.255:                              ;   in Loop: Header=BB210_18 Depth=1
	s_cvt_f32_u32 s3, s56
	s_sub_nc_u64 s[20:21], 0, s[56:57]
	s_delay_alu instid0(SALU_CYCLE_2) | instskip(NEXT) | instid1(SALU_CYCLE_3)
	s_fmamk_f32 s3, s72, 0x0, s3
	v_s_rcp_f32 s3, s3
	s_delay_alu instid0(TRANS32_DEP_1) | instskip(NEXT) | instid1(SALU_CYCLE_3)
	s_mul_f32 s3, s3, 0x5f7ffffc
	s_mul_f32 s10, s3, 0x2f800000
	s_delay_alu instid0(SALU_CYCLE_3) | instskip(NEXT) | instid1(SALU_CYCLE_3)
	s_trunc_f32 s10, s10
	s_fmamk_f32 s3, s10, 0xcf800000, s3
	s_cvt_u32_f32 s11, s10
	s_delay_alu instid0(SALU_CYCLE_2) | instskip(NEXT) | instid1(SALU_CYCLE_3)
	s_cvt_u32_f32 s10, s3
	s_mul_u64 s[62:63], s[20:21], s[10:11]
	s_delay_alu instid0(SALU_CYCLE_1)
	s_mul_hi_u32 s65, s10, s63
	s_mul_i32 s64, s10, s63
	s_mul_hi_u32 s28, s10, s62
	s_mul_i32 s23, s11, s62
	s_add_nc_u64 s[64:65], s[28:29], s[64:65]
	s_mul_hi_u32 s3, s11, s62
	s_mul_hi_u32 s40, s11, s63
	s_add_co_u32 s23, s64, s23
	s_add_co_ci_u32 s28, s65, s3
	s_mul_i32 s62, s11, s63
	s_add_co_ci_u32 s63, s40, 0
	s_delay_alu instid0(SALU_CYCLE_1) | instskip(NEXT) | instid1(SALU_CYCLE_1)
	s_add_nc_u64 s[62:63], s[28:29], s[62:63]
	s_add_co_u32 s10, s10, s62
	s_cselect_b32 s3, -1, 0
	s_delay_alu instid0(SALU_CYCLE_1) | instskip(SKIP_1) | instid1(SALU_CYCLE_1)
	s_cmp_lg_u32 s3, 0
	s_add_co_ci_u32 s11, s11, s63
	s_mul_u64 s[20:21], s[20:21], s[10:11]
	s_delay_alu instid0(SALU_CYCLE_1)
	s_mul_hi_u32 s63, s10, s21
	s_mul_i32 s62, s10, s21
	s_mul_hi_u32 s28, s10, s20
	s_mul_i32 s23, s11, s20
	s_add_nc_u64 s[62:63], s[28:29], s[62:63]
	s_mul_hi_u32 s3, s11, s20
	s_mul_hi_u32 s40, s11, s21
	s_mul_i32 s20, s11, s21
	s_add_co_u32 s21, s62, s23
	s_add_co_ci_u32 s28, s63, s3
	s_add_co_ci_u32 s21, s40, 0
	s_delay_alu instid0(SALU_CYCLE_1) | instskip(NEXT) | instid1(SALU_CYCLE_1)
	s_add_nc_u64 s[20:21], s[28:29], s[20:21]
	s_add_co_u32 s3, s10, s20
	s_cselect_b32 s10, -1, 0
	s_mul_hi_u32 s28, s76, s3
	s_cmp_lg_u32 s10, 0
	s_mul_hi_u32 s23, s77, s3
	s_add_co_ci_u32 s20, s11, s21
	s_mul_i32 s3, s77, s3
	s_mul_hi_u32 s11, s76, s20
	s_mul_i32 s10, s76, s20
	s_mul_hi_u32 s21, s77, s20
	s_add_nc_u64 s[10:11], s[28:29], s[10:11]
	s_mul_i32 s20, s77, s20
	s_add_co_u32 s3, s10, s3
	s_add_co_ci_u32 s28, s11, s23
	s_add_co_ci_u32 s21, s21, 0
	s_delay_alu instid0(SALU_CYCLE_1) | instskip(NEXT) | instid1(SALU_CYCLE_1)
	s_add_nc_u64 s[10:11], s[28:29], s[20:21]
	s_and_b64 s[20:21], s[10:11], 0xffffffff00000000
	s_delay_alu instid0(SALU_CYCLE_1) | instskip(NEXT) | instid1(SALU_CYCLE_1)
	s_or_b32 s20, s20, s10
	s_mul_u64 s[10:11], s[56:57], s[20:21]
	s_delay_alu instid0(SALU_CYCLE_1) | instskip(SKIP_1) | instid1(SALU_CYCLE_1)
	s_sub_co_u32 s3, s76, s10
	s_cselect_b32 s10, -1, 0
	s_cmp_lg_u32 s10, 0
	s_sub_co_ci_u32 s10, s77, s11
	s_sub_co_u32 s11, s3, s56
	s_cselect_b32 s20, -1, 0
	s_delay_alu instid0(SALU_CYCLE_1) | instskip(SKIP_3) | instid1(SALU_CYCLE_1)
	s_cmp_lg_u32 s20, 0
	s_sub_co_ci_u32 s20, s10, 0
	s_sub_co_u32 s21, s11, s56
	s_cselect_b32 s23, -1, 0
	s_cmp_lg_u32 s23, 0
	s_sub_co_ci_u32 s23, s20, 0
	s_cmp_ge_u32 s11, s56
	s_cselect_b32 s28, -1, 0
	s_cmp_eq_u32 s20, 0
	s_cselect_b32 s28, s28, -1
	s_delay_alu instid0(SALU_CYCLE_1)
	s_cmp_lg_u32 s28, 0
	s_cselect_b32 s20, s23, s20
	s_cselect_b32 s21, s21, s11
	s_cmp_ge_u32 s3, s56
	s_cselect_b32 s11, -1, 0
	s_cmp_eq_u32 s10, 0
	s_cselect_b32 s11, s11, -1
	s_delay_alu instid0(SALU_CYCLE_1)
	s_cmp_lg_u32 s11, 0
	s_cselect_b32 s11, s20, s10
	s_cselect_b32 s10, s21, s3
	s_mov_b32 s20, 0
	s_branch .LBB210_257
.LBB210_256:                            ;   in Loop: Header=BB210_18 Depth=1
	s_mov_b32 s20, -1
                                        ; implicit-def: $sgpr10_sgpr11
.LBB210_257:                            ;   in Loop: Header=BB210_18 Depth=1
	s_delay_alu instid0(SALU_CYCLE_1)
	s_and_not1_b32 vcc_lo, exec_lo, s20
	s_cbranch_vccnz .LBB210_259
; %bb.258:                              ;   in Loop: Header=BB210_18 Depth=1
	v_cvt_f32_u32_e32 v6, s56
	s_sub_co_i32 s10, 0, s56
	s_delay_alu instid0(VALU_DEP_1) | instskip(SKIP_1) | instid1(TRANS32_DEP_1)
	v_rcp_iflag_f32_e32 v6, v6
	v_nop
	v_mul_f32_e32 v6, 0x4f7ffffe, v6
	s_delay_alu instid0(VALU_DEP_1) | instskip(NEXT) | instid1(VALU_DEP_1)
	v_cvt_u32_f32_e32 v6, v6
	v_readfirstlane_b32 s3, v6
	s_mul_i32 s10, s10, s3
	s_delay_alu instid0(SALU_CYCLE_1) | instskip(NEXT) | instid1(SALU_CYCLE_1)
	s_mul_hi_u32 s10, s3, s10
	s_add_co_i32 s3, s3, s10
	s_delay_alu instid0(SALU_CYCLE_1) | instskip(NEXT) | instid1(SALU_CYCLE_1)
	s_mul_hi_u32 s3, s76, s3
	s_mul_i32 s3, s3, s56
	s_delay_alu instid0(SALU_CYCLE_1) | instskip(NEXT) | instid1(SALU_CYCLE_1)
	s_sub_co_i32 s3, s76, s3
	s_sub_co_i32 s10, s3, s56
	s_cmp_ge_u32 s3, s56
	s_cselect_b32 s3, s10, s3
	s_delay_alu instid0(SALU_CYCLE_1) | instskip(SKIP_2) | instid1(SALU_CYCLE_1)
	s_sub_co_i32 s10, s3, s56
	s_cmp_ge_u32 s3, s56
	s_cselect_b32 s28, s10, s3
	s_mov_b64 s[10:11], s[28:29]
.LBB210_259:                            ;   in Loop: Header=BB210_18 Depth=1
	s_delay_alu instid0(SALU_CYCLE_1)
	s_sub_nc_u64 s[10:11], s[76:77], s[10:11]
	s_mov_b32 s20, exec_lo
                                        ; implicit-def: $vgpr10
	v_cmpx_gt_u64_e64 s[10:11], v[0:1]
	s_cbranch_execz .LBB210_269
; %bb.260:                              ;   in Loop: Header=BB210_18 Depth=1
	v_mov_b64_e32 v[6:7], v[0:1]
	s_mov_b32 s21, 0
                                        ; implicit-def: $sgpr23
	s_branch .LBB210_264
.LBB210_261:                            ;   in Loop: Header=BB210_264 Depth=2
	s_or_b32 exec_lo, exec_lo, s28
	s_wait_dscnt 0x0
	s_barrier_signal -1
	s_barrier_wait -1
	ds_load_b32 v10, v3 offset:3072
	s_wait_dscnt 0x0
	s_barrier_signal -1
	s_barrier_wait -1
	v_cmp_eq_f16_e32 vcc_lo, 0, v10
	s_cbranch_vccz .LBB210_267
; %bb.262:                              ;   in Loop: Header=BB210_264 Depth=2
	v_add_nc_u64_e32 v[6:7], s[56:57], v[6:7]
	s_mov_b32 s28, 0
	s_delay_alu instid0(VALU_DEP_1)
	v_cmp_le_u64_e32 vcc_lo, s[10:11], v[6:7]
	s_or_not1_b32 s62, vcc_lo, exec_lo
.LBB210_263:                            ;   in Loop: Header=BB210_264 Depth=2
	s_delay_alu instid0(SALU_CYCLE_1) | instskip(NEXT) | instid1(SALU_CYCLE_1)
	s_and_b32 s3, exec_lo, s62
	s_or_b32 s21, s3, s21
	s_and_not1_b32 s3, s23, exec_lo
	s_and_b32 s23, s28, exec_lo
	s_delay_alu instid0(SALU_CYCLE_1)
	s_or_b32 s23, s3, s23
	s_and_not1_b32 exec_lo, exec_lo, s21
	s_cbranch_execz .LBB210_268
.LBB210_264:                            ;   Parent Loop BB210_18 Depth=1
                                        ; =>  This Inner Loop Header: Depth=2
	s_mov_b32 s28, exec_lo
	s_delay_alu instid0(VALU_DEP_1)
	v_cmpx_gt_u64_e64 s[36:37], v[6:7]
	s_cbranch_execz .LBB210_261
; %bb.265:                              ;   in Loop: Header=BB210_264 Depth=2
	v_mul_u64_e32 v[10:11], s[30:31], v[6:7]
	s_delay_alu instid0(VALU_DEP_1)
	v_lshl_add_u64 v[10:11], v[10:11], 1, s[34:35]
	global_load_u16 v10, v[10:11], off
	s_wait_loadcnt 0x0
	v_cmp_lt_i16_e32 vcc_lo, -1, v10
	v_and_b32_e32 v11, 0xffff, v10
	v_cndmask_b32_e32 v24, 0xffff, v34, vcc_lo
	v_cmp_o_f16_e32 vcc_lo, v10, v10
	s_delay_alu instid0(VALU_DEP_2) | instskip(NEXT) | instid1(VALU_DEP_1)
	v_xor_b32_e32 v11, v24, v11
	v_cndmask_b32_e32 v11, 0xffff, v11, vcc_lo
	s_delay_alu instid0(VALU_DEP_1) | instskip(NEXT) | instid1(VALU_DEP_1)
	v_and_b32_e32 v11, v11, v9
	v_cmp_eq_u32_e32 vcc_lo, v11, v8
	s_and_b32 exec_lo, exec_lo, vcc_lo
	s_cbranch_execz .LBB210_261
; %bb.266:                              ;   in Loop: Header=BB210_264 Depth=2
	v_perm_b32 v10, v10, s73, 0x5040100
	ds_store_b32 v3, v10 offset:3072
	s_branch .LBB210_261
.LBB210_267:                            ;   in Loop: Header=BB210_264 Depth=2
	s_mov_b32 s62, -1
	s_mov_b32 s28, -1
                                        ; implicit-def: $vgpr6_vgpr7
	s_branch .LBB210_263
.LBB210_268:                            ;   in Loop: Header=BB210_18 Depth=1
	s_or_b32 exec_lo, exec_lo, s21
	v_lshrrev_b32_e32 v10, 16, v10
	s_and_not1_b32 s3, s22, exec_lo
	s_and_b32 s10, s23, exec_lo
	s_delay_alu instid0(SALU_CYCLE_1)
	s_or_b32 s22, s3, s10
.LBB210_269:                            ;   in Loop: Header=BB210_18 Depth=1
	s_or_b32 exec_lo, exec_lo, s20
	s_mov_b32 s64, 0
	s_mov_b32 s65, -1
.LBB210_270:                            ;   in Loop: Header=BB210_18 Depth=1
	s_or_not1_b32 s11, s22, exec_lo
.LBB210_271:                            ;   in Loop: Header=BB210_18 Depth=1
	s_or_b32 exec_lo, exec_lo, s101
	s_mov_b32 s20, 0
	s_and_saveexec_b32 s10, s11
	s_cbranch_execz .LBB210_282
; %bb.272:                              ;   in Loop: Header=BB210_18 Depth=1
	v_mov_b64_e32 v[6:7], 1
	v_mov_b32_e32 v2, 1
	s_xor_b32 s3, s41, -1
	s_delay_alu instid0(SALU_CYCLE_1)
	s_and_saveexec_b32 s11, s3
	s_cbranch_execz .LBB210_281
; %bb.273:                              ;   in Loop: Header=BB210_18 Depth=1
	s_mov_b32 s3, exec_lo
	v_cmpx_ge_u64_e64 s[18:19], v[4:5]
	s_xor_b32 s20, exec_lo, s3
	s_cbranch_execz .LBB210_278
; %bb.274:                              ;   in Loop: Header=BB210_18 Depth=1
	ds_load_b64 v[6:7], v3 offset:5120
	v_or_b32_e32 v8, s24, v8
	v_or_b32_e32 v9, s24, v9
	s_wait_dscnt 0x0
	v_cmp_ne_u64_e32 vcc_lo, 0, v[6:7]
	s_cbranch_vccnz .LBB210_278
; %bb.275:                              ;   in Loop: Header=BB210_18 Depth=1
	s_and_saveexec_b32 s21, s5
; %bb.276:                              ;   in Loop: Header=BB210_18 Depth=1
	v_mov_b64_e32 v[6:7], s[18:19]
	ds_store_b64 v3, v[6:7] offset:5128
; %bb.277:                              ;   in Loop: Header=BB210_18 Depth=1
	s_or_b32 exec_lo, exec_lo, s21
	s_wait_dscnt 0x0
	s_barrier_signal -1
	s_barrier_wait -1
.LBB210_278:                            ;   in Loop: Header=BB210_18 Depth=1
	s_and_not1_saveexec_b32 s20, s20
; %bb.279:                              ;   in Loop: Header=BB210_18 Depth=1
	v_sub_nc_u64_e64 v[4:5], v[4:5], s[18:19]
; %bb.280:                              ;   in Loop: Header=BB210_18 Depth=1
	s_or_b32 exec_lo, exec_lo, s20
	s_delay_alu instid0(VALU_DEP_1)
	v_mov_b64_e32 v[6:7], v[4:5]
	v_mov_b32_e32 v2, 8
.LBB210_281:                            ;   in Loop: Header=BB210_18 Depth=1
	s_or_b32 exec_lo, exec_lo, s11
	s_delay_alu instid0(VALU_DEP_2)
	v_mov_b64_e32 v[4:5], v[6:7]
	s_mov_b32 s20, exec_lo
.LBB210_282:                            ;   in Loop: Header=BB210_18 Depth=1
	s_or_b32 exec_lo, exec_lo, s10
	s_delay_alu instid0(SALU_CYCLE_1)
	s_or_not1_b32 s10, s20, exec_lo
.LBB210_283:                            ;   in Loop: Header=BB210_18 Depth=1
	s_or_b32 exec_lo, exec_lo, s99
	s_delay_alu instid0(VALU_DEP_1)
	v_mov_b64_e32 v[6:7], v[4:5]
	s_and_not1_b32 s11, s97, exec_lo
	s_and_b32 s20, s65, exec_lo
	s_and_not1_b32 s21, s96, exec_lo
	s_and_b32 s22, s64, exec_lo
	s_or_b32 s97, s11, s20
	s_or_b32 s96, s21, s22
	s_and_b32 s11, s10, exec_lo
.LBB210_284:                            ;   in Loop: Header=BB210_18 Depth=1
	s_or_b32 exec_lo, exec_lo, s98
	s_delay_alu instid0(SALU_CYCLE_1)
	s_or_not1_b32 s10, s11, exec_lo
.LBB210_285:                            ;   in Loop: Header=BB210_18 Depth=1
	s_or_b32 exec_lo, exec_lo, s95
	v_mov_b64_e32 v[4:5], v[6:7]
	s_and_not1_b32 s11, s93, exec_lo
	s_and_b32 s20, s97, exec_lo
	s_and_not1_b32 s21, s88, exec_lo
	s_and_b32 s22, s96, exec_lo
	s_or_b32 s93, s11, s20
	s_or_b32 s88, s21, s22
	s_and_b32 s11, s10, exec_lo
.LBB210_286:                            ;   in Loop: Header=BB210_18 Depth=1
	s_or_b32 exec_lo, exec_lo, s94
	s_delay_alu instid0(SALU_CYCLE_1)
	s_or_not1_b32 s10, s11, exec_lo
.LBB210_287:                            ;   in Loop: Header=BB210_18 Depth=1
	s_or_b32 exec_lo, exec_lo, s27
	s_mov_b32 s11, 0
	s_mov_b32 s20, 0
	s_and_saveexec_b32 s21, s10
	s_delay_alu instid0(SALU_CYCLE_1)
	s_xor_b32 s21, exec_lo, s21
; %bb.288:                              ;   in Loop: Header=BB210_18 Depth=1
	v_cmp_ne_u32_e32 vcc_lo, 8, v2
	v_cmp_eq_u32_e64 s10, 8, v2
	s_and_b32 s20, vcc_lo, exec_lo
	s_and_b32 s11, s10, exec_lo
; %bb.289:                              ;   in Loop: Header=BB210_18 Depth=1
	s_or_b32 exec_lo, exec_lo, s21
	s_delay_alu instid0(SALU_CYCLE_1)
	s_and_not1_b32 s10, s90, exec_lo
	s_and_b32 s21, s93, exec_lo
	s_and_not1_b32 s22, s89, exec_lo
	s_and_b32 s23, s88, exec_lo
	s_or_b32 s90, s10, s21
	s_or_b32 s89, s22, s23
	s_and_b32 s27, s20, exec_lo
	s_and_b32 s88, s11, exec_lo
.LBB210_290:                            ;   in Loop: Header=BB210_18 Depth=1
	s_or_b32 exec_lo, exec_lo, s92
.LBB210_291:                            ;   in Loop: Header=BB210_18 Depth=1
	s_delay_alu instid0(SALU_CYCLE_1)
	s_and_b32 vcc_lo, exec_lo, s91
	s_cbranch_vccz .LBB210_308
; %bb.292:                              ;   in Loop: Header=BB210_18 Depth=1
	s_cmp_eq_u64 s[18:19], 1
                                        ; implicit-def: $sgpr91
                                        ; implicit-def: $sgpr26
	s_cselect_b32 s10, -1, 0
	s_delay_alu instid0(SALU_CYCLE_1)
	s_and_b32 s9, s10, s9
	s_mov_b32 s10, -1
	s_and_saveexec_b32 s89, s9
	s_cbranch_execz .LBB210_327
; %bb.293:                              ;   in Loop: Header=BB210_18 Depth=1
	ds_load_b64 v[4:5], v3 offset:5120
	s_wait_dscnt 0x0
	s_barrier_signal -1
	s_barrier_wait -1
	v_readfirstlane_b32 s10, v4
	v_readfirstlane_b32 s11, v5
	s_and_saveexec_b32 s20, s6
; %bb.294:                              ;   in Loop: Header=BB210_18 Depth=1
	ds_store_b16 v29, v3
; %bb.295:                              ;   in Loop: Header=BB210_18 Depth=1
	s_or_b32 exec_lo, exec_lo, s20
	v_or_b32_e32 v31, s24, v31
	v_or_b32_e32 v35, s24, v35
	s_mov_b32 s26, -1
	s_mov_b32 s91, 0
	s_cmp_eq_u64 s[10:11], 0
	s_mov_b32 s22, 0
	s_mov_b32 s23, -1
	s_wait_dscnt 0x0
	s_barrier_signal -1
	s_barrier_wait -1
                                        ; implicit-def: $vgpr36
	s_cbranch_scc1 .LBB210_311
; %bb.296:                              ;   in Loop: Header=BB210_18 Depth=1
	s_add_nc_u64 s[20:21], s[10:11], s[74:75]
	s_delay_alu instid0(SALU_CYCLE_1) | instskip(NEXT) | instid1(SALU_CYCLE_1)
	s_and_b64 s[22:23], s[20:21], 0xffffffff00000000
	s_cmp_lg_u64 s[22:23], 0
	s_cbranch_scc0 .LBB210_354
; %bb.297:                              ;   in Loop: Header=BB210_18 Depth=1
	s_cvt_f32_u32 s22, s56
	s_sub_nc_u64 s[62:63], 0, s[56:57]
	s_delay_alu instid0(SALU_CYCLE_2) | instskip(NEXT) | instid1(SALU_CYCLE_3)
	s_fmamk_f32 s22, s72, 0x0, s22
	v_s_rcp_f32 s22, s22
	s_delay_alu instid0(TRANS32_DEP_1) | instskip(NEXT) | instid1(SALU_CYCLE_3)
	s_mul_f32 s22, s22, 0x5f7ffffc
	s_mul_f32 s23, s22, 0x2f800000
	s_delay_alu instid0(SALU_CYCLE_3) | instskip(NEXT) | instid1(SALU_CYCLE_3)
	s_trunc_f32 s23, s23
	s_fmamk_f32 s22, s23, 0xcf800000, s22
	s_cvt_u32_f32 s23, s23
	s_delay_alu instid0(SALU_CYCLE_2) | instskip(NEXT) | instid1(SALU_CYCLE_3)
	s_cvt_u32_f32 s22, s22
	s_mul_u64 s[64:65], s[62:63], s[22:23]
	s_delay_alu instid0(SALU_CYCLE_1)
	s_mul_hi_u32 s93, s22, s65
	s_mul_i32 s92, s22, s65
	s_mul_hi_u32 s28, s22, s64
	s_mul_i32 s67, s23, s64
	s_add_nc_u64 s[92:93], s[28:29], s[92:93]
	s_mul_hi_u32 s66, s23, s64
	s_mul_hi_u32 s90, s23, s65
	s_add_co_u32 s28, s92, s67
	s_add_co_ci_u32 s28, s93, s66
	s_mul_i32 s64, s23, s65
	s_add_co_ci_u32 s65, s90, 0
	s_delay_alu instid0(SALU_CYCLE_1) | instskip(NEXT) | instid1(SALU_CYCLE_1)
	s_add_nc_u64 s[64:65], s[28:29], s[64:65]
	s_add_co_u32 s22, s22, s64
	s_cselect_b32 s28, -1, 0
	s_delay_alu instid0(SALU_CYCLE_1) | instskip(SKIP_1) | instid1(SALU_CYCLE_1)
	s_cmp_lg_u32 s28, 0
	s_add_co_ci_u32 s23, s23, s65
	s_mul_u64 s[62:63], s[62:63], s[22:23]
	s_delay_alu instid0(SALU_CYCLE_1)
	s_mul_hi_u32 s65, s22, s63
	s_mul_i32 s64, s22, s63
	s_mul_hi_u32 s28, s22, s62
	s_mul_i32 s67, s23, s62
	s_add_nc_u64 s[64:65], s[28:29], s[64:65]
	s_mul_hi_u32 s66, s23, s62
	s_mul_hi_u32 s90, s23, s63
	s_add_co_u32 s28, s64, s67
	s_add_co_ci_u32 s28, s65, s66
	s_mul_i32 s62, s23, s63
	s_add_co_ci_u32 s63, s90, 0
	s_delay_alu instid0(SALU_CYCLE_1) | instskip(NEXT) | instid1(SALU_CYCLE_1)
	s_add_nc_u64 s[62:63], s[28:29], s[62:63]
	s_add_co_u32 s22, s22, s62
	s_cselect_b32 s62, -1, 0
	s_mul_hi_u32 s28, s20, s22
	s_cmp_lg_u32 s62, 0
	s_mul_hi_u32 s64, s21, s22
	s_add_co_ci_u32 s62, s23, s63
	s_mul_i32 s63, s21, s22
	s_mul_hi_u32 s23, s20, s62
	s_mul_i32 s22, s20, s62
	s_mul_hi_u32 s65, s21, s62
	s_add_nc_u64 s[22:23], s[28:29], s[22:23]
	s_mul_i32 s62, s21, s62
	s_add_co_u32 s22, s22, s63
	s_add_co_ci_u32 s28, s23, s64
	s_add_co_ci_u32 s63, s65, 0
	s_delay_alu instid0(SALU_CYCLE_1) | instskip(NEXT) | instid1(SALU_CYCLE_1)
	s_add_nc_u64 s[22:23], s[28:29], s[62:63]
	s_and_b64 s[62:63], s[22:23], 0xffffffff00000000
	s_delay_alu instid0(SALU_CYCLE_1) | instskip(NEXT) | instid1(SALU_CYCLE_1)
	s_or_b32 s62, s62, s22
	s_mul_u64 s[22:23], s[56:57], s[62:63]
	s_delay_alu instid0(SALU_CYCLE_1) | instskip(SKIP_1) | instid1(SALU_CYCLE_1)
	s_sub_co_u32 s22, s20, s22
	s_cselect_b32 s28, -1, 0
	s_cmp_lg_u32 s28, 0
	s_sub_co_ci_u32 s23, s21, s23
	s_sub_co_u32 s28, s22, s56
	s_cselect_b32 s62, -1, 0
	s_delay_alu instid0(SALU_CYCLE_1) | instskip(SKIP_3) | instid1(SALU_CYCLE_1)
	s_cmp_lg_u32 s62, 0
	s_sub_co_ci_u32 s62, s23, 0
	s_sub_co_u32 s63, s28, s56
	s_cselect_b32 s64, -1, 0
	s_cmp_lg_u32 s64, 0
	s_sub_co_ci_u32 s64, s62, 0
	s_cmp_ge_u32 s28, s56
	s_cselect_b32 s65, -1, 0
	s_cmp_eq_u32 s62, 0
	s_cselect_b32 s65, s65, -1
	s_delay_alu instid0(SALU_CYCLE_1)
	s_cmp_lg_u32 s65, 0
	s_cselect_b32 s62, s64, s62
	s_cselect_b32 s28, s63, s28
	s_cmp_ge_u32 s22, s56
	s_cselect_b32 s63, -1, 0
	s_cmp_eq_u32 s23, 0
	s_cselect_b32 s63, s63, -1
	s_delay_alu instid0(SALU_CYCLE_1)
	s_cmp_lg_u32 s63, 0
	s_cselect_b32 s23, s62, s23
	s_cselect_b32 s22, s28, s22
	s_cbranch_execnz .LBB210_299
.LBB210_298:                            ;   in Loop: Header=BB210_18 Depth=1
	v_cvt_f32_u32_e32 v2, s56
	s_sub_co_i32 s23, 0, s56
	s_delay_alu instid0(VALU_DEP_1) | instskip(SKIP_1) | instid1(TRANS32_DEP_1)
	v_rcp_iflag_f32_e32 v2, v2
	v_nop
	v_mul_f32_e32 v2, 0x4f7ffffe, v2
	s_delay_alu instid0(VALU_DEP_1) | instskip(NEXT) | instid1(VALU_DEP_1)
	v_cvt_u32_f32_e32 v2, v2
	v_readfirstlane_b32 s22, v2
	s_mul_i32 s23, s23, s22
	s_delay_alu instid0(SALU_CYCLE_1) | instskip(NEXT) | instid1(SALU_CYCLE_1)
	s_mul_hi_u32 s23, s22, s23
	s_add_co_i32 s22, s22, s23
	s_delay_alu instid0(SALU_CYCLE_1) | instskip(NEXT) | instid1(SALU_CYCLE_1)
	s_mul_hi_u32 s22, s20, s22
	s_mul_i32 s22, s22, s56
	s_delay_alu instid0(SALU_CYCLE_1) | instskip(NEXT) | instid1(SALU_CYCLE_1)
	s_sub_co_i32 s22, s20, s22
	s_sub_co_i32 s23, s22, s56
	s_cmp_ge_u32 s22, s56
	s_cselect_b32 s22, s23, s22
	s_delay_alu instid0(SALU_CYCLE_1) | instskip(SKIP_2) | instid1(SALU_CYCLE_1)
	s_sub_co_i32 s23, s22, s56
	s_cmp_ge_u32 s22, s56
	s_cselect_b32 s28, s23, s22
	s_mov_b64 s[22:23], s[28:29]
.LBB210_299:                            ;   in Loop: Header=BB210_18 Depth=1
	s_delay_alu instid0(SALU_CYCLE_1)
	s_sub_nc_u64 s[20:21], s[20:21], s[22:23]
	s_mov_b32 s23, 0
	s_mov_b32 s22, 0
	s_mov_b32 s28, exec_lo
                                        ; implicit-def: $vgpr36
	v_cmpx_gt_u64_e64 s[20:21], v[0:1]
	s_cbranch_execz .LBB210_310
; %bb.300:                              ;   in Loop: Header=BB210_18 Depth=1
	v_mov_b64_e32 v[4:5], v[0:1]
	v_mov_b32_e32 v2, v28
                                        ; implicit-def: $sgpr62
	s_branch .LBB210_304
.LBB210_301:                            ;   in Loop: Header=BB210_304 Depth=2
	s_or_b32 exec_lo, exec_lo, s63
	s_wait_dscnt 0x0
	s_barrier_signal -1
	s_barrier_wait -1
	ds_load_b32 v6, v3 offset:3072
	s_wait_dscnt 0x0
	s_barrier_signal -1
	s_barrier_wait -1
	v_cmp_neq_f16_e32 vcc_lo, 0, v6
	s_cbranch_vccnz .LBB210_307
; %bb.302:                              ;   in Loop: Header=BB210_304 Depth=2
	v_add_nc_u64_e32 v[4:5], s[56:57], v[4:5]
	v_add_nc_u32_e32 v2, s71, v2
	s_mov_b32 s63, 0
	s_delay_alu instid0(VALU_DEP_2)
	v_cmp_le_u64_e32 vcc_lo, s[20:21], v[4:5]
	s_or_not1_b32 s64, vcc_lo, exec_lo
.LBB210_303:                            ;   in Loop: Header=BB210_304 Depth=2
	s_delay_alu instid0(SALU_CYCLE_1) | instskip(NEXT) | instid1(SALU_CYCLE_1)
	s_and_b32 s3, exec_lo, s64
	s_or_b32 s22, s3, s22
	s_and_not1_b32 s3, s62, exec_lo
	s_and_b32 s40, s63, exec_lo
	s_delay_alu instid0(SALU_CYCLE_1)
	s_or_b32 s62, s3, s40
	s_and_not1_b32 exec_lo, exec_lo, s22
	s_cbranch_execz .LBB210_309
.LBB210_304:                            ;   Parent Loop BB210_18 Depth=1
                                        ; =>  This Inner Loop Header: Depth=2
	s_mov_b32 s63, exec_lo
	s_delay_alu instid0(VALU_DEP_2)
	v_cmpx_gt_u64_e64 s[10:11], v[4:5]
	s_cbranch_execz .LBB210_301
; %bb.305:                              ;   in Loop: Header=BB210_304 Depth=2
	ds_load_u16 v6, v2
	s_wait_dscnt 0x0
	v_cmp_lt_i16_e32 vcc_lo, -1, v6
	v_and_b32_e32 v7, 0xffff, v6
	v_cndmask_b32_e32 v8, 0xffff, v34, vcc_lo
	v_cmp_o_f16_e32 vcc_lo, v6, v6
	s_delay_alu instid0(VALU_DEP_2) | instskip(NEXT) | instid1(VALU_DEP_1)
	v_xor_b32_e32 v7, v8, v7
	v_cndmask_b32_e32 v7, 0xffff, v7, vcc_lo
	s_delay_alu instid0(VALU_DEP_1) | instskip(NEXT) | instid1(VALU_DEP_1)
	v_and_b32_e32 v7, v7, v35
	v_cmp_eq_u32_e32 vcc_lo, v7, v31
	s_and_b32 exec_lo, exec_lo, vcc_lo
	s_cbranch_execz .LBB210_301
; %bb.306:                              ;   in Loop: Header=BB210_304 Depth=2
	v_perm_b32 v6, v6, s73, 0x5040100
	ds_store_b32 v3, v6 offset:3072
	s_branch .LBB210_301
.LBB210_307:                            ;   in Loop: Header=BB210_304 Depth=2
	s_mov_b32 s64, -1
	s_mov_b32 s63, -1
                                        ; implicit-def: $vgpr4_vgpr5
                                        ; implicit-def: $vgpr2
	s_branch .LBB210_303
.LBB210_308:                            ;   in Loop: Header=BB210_18 Depth=1
	v_dual_mov_b32 v31, v8 :: v_dual_mov_b32 v35, v9
	v_mov_b32_e32 v36, v10
	s_mov_b32 s91, 0
	s_and_saveexec_b32 s9, s88
	s_cbranch_execnz .LBB210_492
	s_branch .LBB210_493
.LBB210_309:                            ;   in Loop: Header=BB210_18 Depth=1
	s_or_b32 exec_lo, exec_lo, s22
	v_lshrrev_b32_e32 v36, 16, v6
	s_and_b32 s22, s62, exec_lo
.LBB210_310:                            ;   in Loop: Header=BB210_18 Depth=1
	s_or_b32 exec_lo, exec_lo, s28
.LBB210_311:                            ;   in Loop: Header=BB210_18 Depth=1
	s_delay_alu instid0(SALU_CYCLE_1)
	s_and_b32 vcc_lo, exec_lo, s23
	s_cbranch_vccz .LBB210_326
; %bb.312:                              ;   in Loop: Header=BB210_18 Depth=1
	s_and_b64 s[10:11], s[76:77], 0xffffffff00000000
	s_delay_alu instid0(SALU_CYCLE_1)
	s_cmp_lg_u64 s[10:11], 0
	s_cbranch_scc0 .LBB210_355
; %bb.313:                              ;   in Loop: Header=BB210_18 Depth=1
	s_cvt_f32_u32 s10, s56
	s_sub_nc_u64 s[20:21], 0, s[56:57]
	s_delay_alu instid0(SALU_CYCLE_2) | instskip(NEXT) | instid1(SALU_CYCLE_3)
	s_fmamk_f32 s10, s72, 0x0, s10
	v_s_rcp_f32 s10, s10
	s_delay_alu instid0(TRANS32_DEP_1) | instskip(NEXT) | instid1(SALU_CYCLE_3)
	s_mul_f32 s10, s10, 0x5f7ffffc
	s_mul_f32 s11, s10, 0x2f800000
	s_delay_alu instid0(SALU_CYCLE_3) | instskip(NEXT) | instid1(SALU_CYCLE_3)
	s_trunc_f32 s11, s11
	s_fmamk_f32 s10, s11, 0xcf800000, s10
	s_cvt_u32_f32 s11, s11
	s_delay_alu instid0(SALU_CYCLE_2) | instskip(NEXT) | instid1(SALU_CYCLE_3)
	s_cvt_u32_f32 s10, s10
	s_mul_u64 s[62:63], s[20:21], s[10:11]
	s_delay_alu instid0(SALU_CYCLE_1)
	s_mul_hi_u32 s65, s10, s63
	s_mul_i32 s64, s10, s63
	s_mul_hi_u32 s28, s10, s62
	s_mul_i32 s26, s11, s62
	s_add_nc_u64 s[64:65], s[28:29], s[64:65]
	s_mul_hi_u32 s23, s11, s62
	s_mul_hi_u32 s66, s11, s63
	s_add_co_u32 s26, s64, s26
	s_add_co_ci_u32 s28, s65, s23
	s_mul_i32 s62, s11, s63
	s_add_co_ci_u32 s63, s66, 0
	s_delay_alu instid0(SALU_CYCLE_1) | instskip(NEXT) | instid1(SALU_CYCLE_1)
	s_add_nc_u64 s[62:63], s[28:29], s[62:63]
	s_add_co_u32 s10, s10, s62
	s_cselect_b32 s23, -1, 0
	s_delay_alu instid0(SALU_CYCLE_1) | instskip(SKIP_1) | instid1(SALU_CYCLE_1)
	s_cmp_lg_u32 s23, 0
	s_add_co_ci_u32 s11, s11, s63
	s_mul_u64 s[20:21], s[20:21], s[10:11]
	s_delay_alu instid0(SALU_CYCLE_1)
	s_mul_hi_u32 s63, s10, s21
	s_mul_i32 s62, s10, s21
	s_mul_hi_u32 s28, s10, s20
	s_mul_i32 s26, s11, s20
	s_add_nc_u64 s[62:63], s[28:29], s[62:63]
	s_mul_hi_u32 s23, s11, s20
	s_mul_hi_u32 s64, s11, s21
	s_mul_i32 s20, s11, s21
	s_add_co_u32 s21, s62, s26
	s_add_co_ci_u32 s28, s63, s23
	s_add_co_ci_u32 s21, s64, 0
	s_delay_alu instid0(SALU_CYCLE_1) | instskip(NEXT) | instid1(SALU_CYCLE_1)
	s_add_nc_u64 s[20:21], s[28:29], s[20:21]
	s_add_co_u32 s10, s10, s20
	s_cselect_b32 s20, -1, 0
	s_mul_hi_u32 s28, s76, s10
	s_cmp_lg_u32 s20, 0
	s_mul_hi_u32 s23, s77, s10
	s_add_co_ci_u32 s20, s11, s21
	s_mul_i32 s21, s77, s10
	s_mul_hi_u32 s11, s76, s20
	s_mul_i32 s10, s76, s20
	s_mul_hi_u32 s26, s77, s20
	s_add_nc_u64 s[10:11], s[28:29], s[10:11]
	s_mul_i32 s20, s77, s20
	s_add_co_u32 s10, s10, s21
	s_add_co_ci_u32 s28, s11, s23
	s_add_co_ci_u32 s21, s26, 0
	s_delay_alu instid0(SALU_CYCLE_1) | instskip(NEXT) | instid1(SALU_CYCLE_1)
	s_add_nc_u64 s[10:11], s[28:29], s[20:21]
	s_and_b64 s[20:21], s[10:11], 0xffffffff00000000
	s_delay_alu instid0(SALU_CYCLE_1) | instskip(NEXT) | instid1(SALU_CYCLE_1)
	s_or_b32 s20, s20, s10
	s_mul_u64 s[10:11], s[56:57], s[20:21]
	s_delay_alu instid0(SALU_CYCLE_1) | instskip(SKIP_1) | instid1(SALU_CYCLE_1)
	s_sub_co_u32 s10, s76, s10
	s_cselect_b32 s20, -1, 0
	s_cmp_lg_u32 s20, 0
	s_sub_co_ci_u32 s11, s77, s11
	s_sub_co_u32 s20, s10, s56
	s_cselect_b32 s21, -1, 0
	s_delay_alu instid0(SALU_CYCLE_1) | instskip(SKIP_3) | instid1(SALU_CYCLE_1)
	s_cmp_lg_u32 s21, 0
	s_sub_co_ci_u32 s21, s11, 0
	s_sub_co_u32 s23, s20, s56
	s_cselect_b32 s26, -1, 0
	s_cmp_lg_u32 s26, 0
	s_sub_co_ci_u32 s26, s21, 0
	s_cmp_ge_u32 s20, s56
	s_cselect_b32 s28, -1, 0
	s_cmp_eq_u32 s21, 0
	s_cselect_b32 s28, s28, -1
	s_delay_alu instid0(SALU_CYCLE_1)
	s_cmp_lg_u32 s28, 0
	s_cselect_b32 s21, s26, s21
	s_cselect_b32 s20, s23, s20
	s_cmp_ge_u32 s10, s56
	s_cselect_b32 s23, -1, 0
	s_cmp_eq_u32 s11, 0
	s_cselect_b32 s23, s23, -1
	s_delay_alu instid0(SALU_CYCLE_1)
	s_cmp_lg_u32 s23, 0
	s_cselect_b32 s11, s21, s11
	s_cselect_b32 s10, s20, s10
	s_cbranch_execnz .LBB210_315
.LBB210_314:                            ;   in Loop: Header=BB210_18 Depth=1
	v_cvt_f32_u32_e32 v2, s56
	s_sub_co_i32 s11, 0, s56
	s_delay_alu instid0(VALU_DEP_1) | instskip(SKIP_1) | instid1(TRANS32_DEP_1)
	v_rcp_iflag_f32_e32 v2, v2
	v_nop
	v_mul_f32_e32 v2, 0x4f7ffffe, v2
	s_delay_alu instid0(VALU_DEP_1) | instskip(NEXT) | instid1(VALU_DEP_1)
	v_cvt_u32_f32_e32 v2, v2
	v_readfirstlane_b32 s10, v2
	s_mul_i32 s11, s11, s10
	s_delay_alu instid0(SALU_CYCLE_1) | instskip(NEXT) | instid1(SALU_CYCLE_1)
	s_mul_hi_u32 s11, s10, s11
	s_add_co_i32 s10, s10, s11
	s_delay_alu instid0(SALU_CYCLE_1) | instskip(NEXT) | instid1(SALU_CYCLE_1)
	s_mul_hi_u32 s10, s76, s10
	s_mul_i32 s10, s10, s56
	s_delay_alu instid0(SALU_CYCLE_1) | instskip(NEXT) | instid1(SALU_CYCLE_1)
	s_sub_co_i32 s10, s76, s10
	s_sub_co_i32 s11, s10, s56
	s_cmp_ge_u32 s10, s56
	s_cselect_b32 s10, s11, s10
	s_delay_alu instid0(SALU_CYCLE_1) | instskip(SKIP_2) | instid1(SALU_CYCLE_1)
	s_sub_co_i32 s11, s10, s56
	s_cmp_ge_u32 s10, s56
	s_cselect_b32 s28, s11, s10
	s_mov_b64 s[10:11], s[28:29]
.LBB210_315:                            ;   in Loop: Header=BB210_18 Depth=1
	s_delay_alu instid0(SALU_CYCLE_1)
	s_sub_nc_u64 s[10:11], s[76:77], s[10:11]
	s_mov_b32 s20, exec_lo
                                        ; implicit-def: $vgpr36
	v_nop
	v_cmpx_gt_u64_e64 s[10:11], v[0:1]
	s_cbranch_execz .LBB210_325
; %bb.316:                              ;   in Loop: Header=BB210_18 Depth=1
	v_mov_b64_e32 v[4:5], v[0:1]
	s_mov_b32 s21, 0
                                        ; implicit-def: $sgpr23
	s_branch .LBB210_320
.LBB210_317:                            ;   in Loop: Header=BB210_320 Depth=2
	s_or_b32 exec_lo, exec_lo, s26
	s_wait_dscnt 0x0
	s_barrier_signal -1
	s_barrier_wait -1
	ds_load_b32 v2, v3 offset:3072
	s_wait_dscnt 0x0
	s_barrier_signal -1
	s_barrier_wait -1
	v_cmp_neq_f16_e32 vcc_lo, 0, v2
	s_cbranch_vccnz .LBB210_323
; %bb.318:                              ;   in Loop: Header=BB210_320 Depth=2
	v_add_nc_u64_e32 v[4:5], s[56:57], v[4:5]
	s_mov_b32 s26, 0
	s_delay_alu instid0(VALU_DEP_1)
	v_cmp_le_u64_e32 vcc_lo, s[10:11], v[4:5]
	s_or_not1_b32 s28, vcc_lo, exec_lo
.LBB210_319:                            ;   in Loop: Header=BB210_320 Depth=2
	s_delay_alu instid0(SALU_CYCLE_1) | instskip(NEXT) | instid1(SALU_CYCLE_1)
	s_and_b32 s3, exec_lo, s28
	s_or_b32 s21, s3, s21
	s_and_not1_b32 s3, s23, exec_lo
	s_and_b32 s23, s26, exec_lo
	s_delay_alu instid0(SALU_CYCLE_1)
	s_or_b32 s23, s3, s23
	s_and_not1_b32 exec_lo, exec_lo, s21
	s_cbranch_execz .LBB210_324
.LBB210_320:                            ;   Parent Loop BB210_18 Depth=1
                                        ; =>  This Inner Loop Header: Depth=2
	s_mov_b32 s26, exec_lo
	s_delay_alu instid0(VALU_DEP_1)
	v_cmpx_gt_u64_e64 s[36:37], v[4:5]
	s_cbranch_execz .LBB210_317
; %bb.321:                              ;   in Loop: Header=BB210_320 Depth=2
	v_mul_u64_e32 v[6:7], s[30:31], v[4:5]
	s_delay_alu instid0(VALU_DEP_1)
	v_lshl_add_u64 v[6:7], v[6:7], 1, s[34:35]
	global_load_u16 v2, v[6:7], off
	s_wait_loadcnt 0x0
	v_cmp_lt_i16_e32 vcc_lo, -1, v2
	v_and_b32_e32 v6, 0xffff, v2
	v_cndmask_b32_e32 v7, 0xffff, v34, vcc_lo
	v_cmp_o_f16_e32 vcc_lo, v2, v2
	s_delay_alu instid0(VALU_DEP_2) | instskip(NEXT) | instid1(VALU_DEP_1)
	v_xor_b32_e32 v6, v7, v6
	v_cndmask_b32_e32 v6, 0xffff, v6, vcc_lo
	s_delay_alu instid0(VALU_DEP_1) | instskip(NEXT) | instid1(VALU_DEP_1)
	v_and_b32_e32 v6, v6, v35
	v_cmp_eq_u32_e32 vcc_lo, v6, v31
	s_and_b32 exec_lo, exec_lo, vcc_lo
	s_cbranch_execz .LBB210_317
; %bb.322:                              ;   in Loop: Header=BB210_320 Depth=2
	v_perm_b32 v2, v2, s73, 0x5040100
	ds_store_b32 v3, v2 offset:3072
	s_branch .LBB210_317
.LBB210_323:                            ;   in Loop: Header=BB210_320 Depth=2
	s_mov_b32 s28, -1
	s_mov_b32 s26, -1
                                        ; implicit-def: $vgpr4_vgpr5
	s_branch .LBB210_319
.LBB210_324:                            ;   in Loop: Header=BB210_18 Depth=1
	s_or_b32 exec_lo, exec_lo, s21
	s_delay_alu instid0(SALU_CYCLE_1)
	s_and_not1_b32 s3, s22, exec_lo
	s_and_b32 s10, s23, exec_lo
	v_lshrrev_b32_e32 v36, 16, v2
	s_or_b32 s22, s3, s10
.LBB210_325:                            ;   in Loop: Header=BB210_18 Depth=1
	s_or_b32 exec_lo, exec_lo, s20
	s_mov_b32 s26, 0
	s_mov_b32 s91, -1
.LBB210_326:                            ;   in Loop: Header=BB210_18 Depth=1
	s_or_not1_b32 s10, s22, exec_lo
.LBB210_327:                            ;   in Loop: Header=BB210_18 Depth=1
	s_or_b32 exec_lo, exec_lo, s89
                                        ; implicit-def: $vgpr4_vgpr5
                                        ; implicit-def: $vgpr2
	s_and_saveexec_b32 s22, s10
	s_cbranch_execz .LBB210_491
; %bb.328:                              ;   in Loop: Header=BB210_18 Depth=1
	v_mov_b64_e32 v[4:5], 1
	v_mov_b32_e32 v2, 1
	s_xor_b32 s10, s9, -1
	s_mov_b32 s11, 0
	s_and_saveexec_b32 s9, s10
	s_cbranch_execz .LBB210_337
; %bb.329:                              ;   in Loop: Header=BB210_18 Depth=1
	s_mov_b32 s10, exec_lo
	v_cmpx_ge_u64_e64 s[18:19], v[22:23]
	s_xor_b32 s10, exec_lo, s10
	s_cbranch_execz .LBB210_334
; %bb.330:                              ;   in Loop: Header=BB210_18 Depth=1
	ds_load_b64 v[4:5], v3 offset:5120
	v_or_b32_e32 v31, s24, v31
	v_or_b32_e32 v35, s24, v35
	s_wait_dscnt 0x0
	v_cmp_ne_u64_e32 vcc_lo, 0, v[4:5]
	s_cbranch_vccnz .LBB210_334
; %bb.331:                              ;   in Loop: Header=BB210_18 Depth=1
	s_and_saveexec_b32 s11, s5
; %bb.332:                              ;   in Loop: Header=BB210_18 Depth=1
	v_mov_b64_e32 v[4:5], s[18:19]
	ds_store_b64 v3, v[4:5] offset:5128
; %bb.333:                              ;   in Loop: Header=BB210_18 Depth=1
	s_or_b32 exec_lo, exec_lo, s11
	s_wait_dscnt 0x0
	s_barrier_signal -1
	s_barrier_wait -1
.LBB210_334:                            ;   in Loop: Header=BB210_18 Depth=1
	s_or_saveexec_b32 s10, s10
	v_mov_b32_e32 v2, 5
	s_mov_b32 s11, 0
	s_xor_b32 exec_lo, exec_lo, s10
; %bb.335:                              ;   in Loop: Header=BB210_18 Depth=1
	v_sub_nc_u64_e64 v[22:23], v[22:23], s[18:19]
	v_mov_b32_e32 v2, 0
	s_mov_b32 s11, exec_lo
; %bb.336:                              ;   in Loop: Header=BB210_18 Depth=1
	s_or_b32 exec_lo, exec_lo, s10
	s_delay_alu instid0(VALU_DEP_2)
	v_mov_b64_e32 v[4:5], v[22:23]
	s_and_b32 s11, s11, exec_lo
.LBB210_337:                            ;   in Loop: Header=BB210_18 Depth=1
	s_or_b32 exec_lo, exec_lo, s9
	s_mov_b32 s10, -1
                                        ; implicit-def: $sgpr23
                                        ; implicit-def: $sgpr89
	s_and_saveexec_b32 s9, s11
	s_delay_alu instid0(SALU_CYCLE_1)
	s_xor_b32 s9, exec_lo, s9
	s_cbranch_execz .LBB210_488
; %bb.338:                              ;   in Loop: Header=BB210_18 Depth=1
	v_cmp_eq_u64_e32 vcc_lo, 1, v[4:5]
	s_cmp_eq_u64 s[16:17], 1
                                        ; implicit-def: $sgpr89
                                        ; implicit-def: $sgpr23
	s_cselect_b32 s10, -1, 0
	s_delay_alu instid0(SALU_CYCLE_1)
	s_and_b32 s90, s10, vcc_lo
	s_mov_b32 s10, -1
	s_and_saveexec_b32 s92, s90
	s_cbranch_execz .LBB210_374
; %bb.339:                              ;   in Loop: Header=BB210_18 Depth=1
	ds_load_b64 v[6:7], v3 offset:5120
	s_wait_dscnt 0x0
	s_barrier_signal -1
	s_barrier_wait -1
	v_readfirstlane_b32 s10, v6
	v_readfirstlane_b32 s11, v7
	s_and_saveexec_b32 s18, s6
; %bb.340:                              ;   in Loop: Header=BB210_18 Depth=1
	ds_store_b16 v29, v3
; %bb.341:                              ;   in Loop: Header=BB210_18 Depth=1
	s_or_b32 exec_lo, exec_lo, s18
	s_lshl_b32 s18, 2, s48
	v_or_b32_e32 v35, s24, v35
	v_and_or_b32 v31, v31, s25, s18
	s_mov_b32 s23, -1
	s_mov_b32 s89, 0
	s_cmp_eq_u64 s[10:11], 0
	s_mov_b32 s20, 0
	s_mov_b32 s21, -1
	s_wait_dscnt 0x0
	s_barrier_signal -1
	s_barrier_wait -1
                                        ; implicit-def: $vgpr36
	s_cbranch_scc1 .LBB210_358
; %bb.342:                              ;   in Loop: Header=BB210_18 Depth=1
	s_add_nc_u64 s[18:19], s[10:11], s[74:75]
	s_delay_alu instid0(SALU_CYCLE_1) | instskip(NEXT) | instid1(SALU_CYCLE_1)
	s_and_b64 s[20:21], s[18:19], 0xffffffff00000000
	s_cmp_lg_u64 s[20:21], 0
	s_cbranch_scc0 .LBB210_401
; %bb.343:                              ;   in Loop: Header=BB210_18 Depth=1
	s_cvt_f32_u32 s20, s56
	s_sub_nc_u64 s[62:63], 0, s[56:57]
	s_delay_alu instid0(SALU_CYCLE_2) | instskip(NEXT) | instid1(SALU_CYCLE_3)
	s_fmamk_f32 s20, s72, 0x0, s20
	v_s_rcp_f32 s20, s20
	s_delay_alu instid0(TRANS32_DEP_1) | instskip(NEXT) | instid1(SALU_CYCLE_3)
	s_mul_f32 s20, s20, 0x5f7ffffc
	s_mul_f32 s21, s20, 0x2f800000
	s_delay_alu instid0(SALU_CYCLE_3) | instskip(NEXT) | instid1(SALU_CYCLE_3)
	s_trunc_f32 s21, s21
	s_fmamk_f32 s20, s21, 0xcf800000, s20
	s_cvt_u32_f32 s21, s21
	s_delay_alu instid0(SALU_CYCLE_2) | instskip(NEXT) | instid1(SALU_CYCLE_3)
	s_cvt_u32_f32 s20, s20
	s_mul_u64 s[64:65], s[62:63], s[20:21]
	s_delay_alu instid0(SALU_CYCLE_1)
	s_mul_hi_u32 s95, s20, s65
	s_mul_i32 s94, s20, s65
	s_mul_hi_u32 s28, s20, s64
	s_mul_i32 s67, s21, s64
	s_add_nc_u64 s[94:95], s[28:29], s[94:95]
	s_mul_hi_u32 s66, s21, s64
	s_mul_hi_u32 s93, s21, s65
	s_add_co_u32 s28, s94, s67
	s_add_co_ci_u32 s28, s95, s66
	s_mul_i32 s64, s21, s65
	s_add_co_ci_u32 s65, s93, 0
	s_delay_alu instid0(SALU_CYCLE_1) | instskip(NEXT) | instid1(SALU_CYCLE_1)
	s_add_nc_u64 s[64:65], s[28:29], s[64:65]
	s_add_co_u32 s20, s20, s64
	s_cselect_b32 s28, -1, 0
	s_delay_alu instid0(SALU_CYCLE_1) | instskip(SKIP_1) | instid1(SALU_CYCLE_1)
	s_cmp_lg_u32 s28, 0
	s_add_co_ci_u32 s21, s21, s65
	s_mul_u64 s[62:63], s[62:63], s[20:21]
	s_delay_alu instid0(SALU_CYCLE_1)
	s_mul_hi_u32 s65, s20, s63
	s_mul_i32 s64, s20, s63
	s_mul_hi_u32 s28, s20, s62
	s_mul_i32 s67, s21, s62
	s_add_nc_u64 s[64:65], s[28:29], s[64:65]
	s_mul_hi_u32 s66, s21, s62
	s_mul_hi_u32 s93, s21, s63
	s_add_co_u32 s28, s64, s67
	s_add_co_ci_u32 s28, s65, s66
	s_mul_i32 s62, s21, s63
	s_add_co_ci_u32 s63, s93, 0
	s_delay_alu instid0(SALU_CYCLE_1) | instskip(NEXT) | instid1(SALU_CYCLE_1)
	s_add_nc_u64 s[62:63], s[28:29], s[62:63]
	s_add_co_u32 s20, s20, s62
	s_cselect_b32 s62, -1, 0
	s_mul_hi_u32 s28, s18, s20
	s_cmp_lg_u32 s62, 0
	s_mul_hi_u32 s64, s19, s20
	s_add_co_ci_u32 s62, s21, s63
	s_mul_i32 s63, s19, s20
	s_mul_hi_u32 s21, s18, s62
	s_mul_i32 s20, s18, s62
	s_mul_hi_u32 s65, s19, s62
	s_add_nc_u64 s[20:21], s[28:29], s[20:21]
	s_mul_i32 s62, s19, s62
	s_add_co_u32 s20, s20, s63
	s_add_co_ci_u32 s28, s21, s64
	s_add_co_ci_u32 s63, s65, 0
	s_delay_alu instid0(SALU_CYCLE_1) | instskip(NEXT) | instid1(SALU_CYCLE_1)
	s_add_nc_u64 s[20:21], s[28:29], s[62:63]
	s_and_b64 s[62:63], s[20:21], 0xffffffff00000000
	s_delay_alu instid0(SALU_CYCLE_1) | instskip(NEXT) | instid1(SALU_CYCLE_1)
	s_or_b32 s62, s62, s20
	s_mul_u64 s[20:21], s[56:57], s[62:63]
	s_delay_alu instid0(SALU_CYCLE_1) | instskip(SKIP_1) | instid1(SALU_CYCLE_1)
	s_sub_co_u32 s20, s18, s20
	s_cselect_b32 s28, -1, 0
	s_cmp_lg_u32 s28, 0
	s_sub_co_ci_u32 s21, s19, s21
	s_sub_co_u32 s28, s20, s56
	s_cselect_b32 s62, -1, 0
	s_delay_alu instid0(SALU_CYCLE_1) | instskip(SKIP_3) | instid1(SALU_CYCLE_1)
	s_cmp_lg_u32 s62, 0
	s_sub_co_ci_u32 s62, s21, 0
	s_sub_co_u32 s63, s28, s56
	s_cselect_b32 s64, -1, 0
	s_cmp_lg_u32 s64, 0
	s_sub_co_ci_u32 s64, s62, 0
	s_cmp_ge_u32 s28, s56
	s_cselect_b32 s65, -1, 0
	s_cmp_eq_u32 s62, 0
	s_cselect_b32 s65, s65, -1
	s_delay_alu instid0(SALU_CYCLE_1)
	s_cmp_lg_u32 s65, 0
	s_cselect_b32 s62, s64, s62
	s_cselect_b32 s28, s63, s28
	s_cmp_ge_u32 s20, s56
	s_cselect_b32 s63, -1, 0
	s_cmp_eq_u32 s21, 0
	s_cselect_b32 s63, s63, -1
	s_delay_alu instid0(SALU_CYCLE_1)
	s_cmp_lg_u32 s63, 0
	s_cselect_b32 s21, s62, s21
	s_cselect_b32 s20, s28, s20
	s_cbranch_execnz .LBB210_345
.LBB210_344:                            ;   in Loop: Header=BB210_18 Depth=1
	v_cvt_f32_u32_e32 v6, s56
	s_sub_co_i32 s21, 0, s56
	s_delay_alu instid0(VALU_DEP_1) | instskip(SKIP_1) | instid1(TRANS32_DEP_1)
	v_rcp_iflag_f32_e32 v6, v6
	v_nop
	v_mul_f32_e32 v6, 0x4f7ffffe, v6
	s_delay_alu instid0(VALU_DEP_1) | instskip(NEXT) | instid1(VALU_DEP_1)
	v_cvt_u32_f32_e32 v6, v6
	v_readfirstlane_b32 s20, v6
	s_mul_i32 s21, s21, s20
	s_delay_alu instid0(SALU_CYCLE_1) | instskip(NEXT) | instid1(SALU_CYCLE_1)
	s_mul_hi_u32 s21, s20, s21
	s_add_co_i32 s20, s20, s21
	s_delay_alu instid0(SALU_CYCLE_1) | instskip(NEXT) | instid1(SALU_CYCLE_1)
	s_mul_hi_u32 s20, s18, s20
	s_mul_i32 s20, s20, s56
	s_delay_alu instid0(SALU_CYCLE_1) | instskip(NEXT) | instid1(SALU_CYCLE_1)
	s_sub_co_i32 s20, s18, s20
	s_sub_co_i32 s21, s20, s56
	s_cmp_ge_u32 s20, s56
	s_cselect_b32 s20, s21, s20
	s_delay_alu instid0(SALU_CYCLE_1) | instskip(SKIP_2) | instid1(SALU_CYCLE_1)
	s_sub_co_i32 s21, s20, s56
	s_cmp_ge_u32 s20, s56
	s_cselect_b32 s28, s21, s20
	s_mov_b64 s[20:21], s[28:29]
.LBB210_345:                            ;   in Loop: Header=BB210_18 Depth=1
	s_delay_alu instid0(SALU_CYCLE_1)
	s_sub_nc_u64 s[18:19], s[18:19], s[20:21]
	s_mov_b32 s21, 0
	s_mov_b32 s20, 0
	s_mov_b32 s28, exec_lo
                                        ; implicit-def: $vgpr36
	v_cmpx_gt_u64_e64 s[18:19], v[0:1]
	s_cbranch_execz .LBB210_357
; %bb.346:                              ;   in Loop: Header=BB210_18 Depth=1
	v_mov_b64_e32 v[6:7], v[0:1]
	v_mov_b32_e32 v8, v28
                                        ; implicit-def: $sgpr62
	s_branch .LBB210_350
.LBB210_347:                            ;   in Loop: Header=BB210_350 Depth=2
	s_or_b32 exec_lo, exec_lo, s63
	s_wait_dscnt 0x0
	s_barrier_signal -1
	s_barrier_wait -1
	ds_load_b32 v9, v3 offset:3072
	s_wait_dscnt 0x0
	s_barrier_signal -1
	s_barrier_wait -1
	v_cmp_neq_f16_e32 vcc_lo, 0, v9
	s_cbranch_vccnz .LBB210_353
; %bb.348:                              ;   in Loop: Header=BB210_350 Depth=2
	v_add_nc_u64_e32 v[6:7], s[56:57], v[6:7]
	v_add_nc_u32_e32 v8, s71, v8
	s_mov_b32 s63, 0
	s_delay_alu instid0(VALU_DEP_2)
	v_cmp_le_u64_e32 vcc_lo, s[18:19], v[6:7]
	s_or_not1_b32 s64, vcc_lo, exec_lo
.LBB210_349:                            ;   in Loop: Header=BB210_350 Depth=2
	s_delay_alu instid0(SALU_CYCLE_1) | instskip(NEXT) | instid1(SALU_CYCLE_1)
	s_and_b32 s3, exec_lo, s64
	s_or_b32 s20, s3, s20
	s_and_not1_b32 s3, s62, exec_lo
	s_and_b32 s40, s63, exec_lo
	s_delay_alu instid0(SALU_CYCLE_1)
	s_or_b32 s62, s3, s40
	s_and_not1_b32 exec_lo, exec_lo, s20
	s_cbranch_execz .LBB210_356
.LBB210_350:                            ;   Parent Loop BB210_18 Depth=1
                                        ; =>  This Inner Loop Header: Depth=2
	s_mov_b32 s63, exec_lo
	s_delay_alu instid0(VALU_DEP_2)
	v_cmpx_gt_u64_e64 s[10:11], v[6:7]
	s_cbranch_execz .LBB210_347
; %bb.351:                              ;   in Loop: Header=BB210_350 Depth=2
	ds_load_u16 v9, v8
	s_wait_dscnt 0x0
	v_cmp_lt_i16_e32 vcc_lo, -1, v9
	v_and_b32_e32 v10, 0xffff, v9
	v_cndmask_b32_e32 v11, 0xffff, v34, vcc_lo
	v_cmp_o_f16_e32 vcc_lo, v9, v9
	s_delay_alu instid0(VALU_DEP_2) | instskip(NEXT) | instid1(VALU_DEP_1)
	v_xor_b32_e32 v10, v11, v10
	v_cndmask_b32_e32 v10, 0xffff, v10, vcc_lo
	s_delay_alu instid0(VALU_DEP_1) | instskip(NEXT) | instid1(VALU_DEP_1)
	v_and_b32_e32 v10, v10, v35
	v_cmp_eq_u32_e32 vcc_lo, v10, v31
	s_and_b32 exec_lo, exec_lo, vcc_lo
	s_cbranch_execz .LBB210_347
; %bb.352:                              ;   in Loop: Header=BB210_350 Depth=2
	v_perm_b32 v9, v9, s73, 0x5040100
	ds_store_b32 v3, v9 offset:3072
	s_branch .LBB210_347
.LBB210_353:                            ;   in Loop: Header=BB210_350 Depth=2
	s_mov_b32 s64, -1
	s_mov_b32 s63, -1
                                        ; implicit-def: $vgpr6_vgpr7
                                        ; implicit-def: $vgpr8
	s_branch .LBB210_349
.LBB210_354:                            ;   in Loop: Header=BB210_18 Depth=1
                                        ; implicit-def: $sgpr22_sgpr23
	s_branch .LBB210_298
.LBB210_355:                            ;   in Loop: Header=BB210_18 Depth=1
                                        ; implicit-def: $sgpr10_sgpr11
	s_branch .LBB210_314
.LBB210_356:                            ;   in Loop: Header=BB210_18 Depth=1
	s_or_b32 exec_lo, exec_lo, s20
	v_lshrrev_b32_e32 v36, 16, v9
	s_and_b32 s20, s62, exec_lo
.LBB210_357:                            ;   in Loop: Header=BB210_18 Depth=1
	s_or_b32 exec_lo, exec_lo, s28
.LBB210_358:                            ;   in Loop: Header=BB210_18 Depth=1
	s_delay_alu instid0(SALU_CYCLE_1)
	s_and_b32 vcc_lo, exec_lo, s21
	s_cbranch_vccz .LBB210_373
; %bb.359:                              ;   in Loop: Header=BB210_18 Depth=1
	s_and_b64 s[10:11], s[76:77], 0xffffffff00000000
	s_delay_alu instid0(SALU_CYCLE_1)
	s_cmp_lg_u64 s[10:11], 0
	s_cbranch_scc0 .LBB210_402
; %bb.360:                              ;   in Loop: Header=BB210_18 Depth=1
	s_cvt_f32_u32 s10, s56
	s_sub_nc_u64 s[18:19], 0, s[56:57]
	s_delay_alu instid0(SALU_CYCLE_2) | instskip(NEXT) | instid1(SALU_CYCLE_3)
	s_fmamk_f32 s10, s72, 0x0, s10
	v_s_rcp_f32 s10, s10
	s_delay_alu instid0(TRANS32_DEP_1) | instskip(NEXT) | instid1(SALU_CYCLE_3)
	s_mul_f32 s10, s10, 0x5f7ffffc
	s_mul_f32 s11, s10, 0x2f800000
	s_delay_alu instid0(SALU_CYCLE_3) | instskip(NEXT) | instid1(SALU_CYCLE_3)
	s_trunc_f32 s11, s11
	s_fmamk_f32 s10, s11, 0xcf800000, s10
	s_cvt_u32_f32 s11, s11
	s_delay_alu instid0(SALU_CYCLE_2) | instskip(NEXT) | instid1(SALU_CYCLE_3)
	s_cvt_u32_f32 s10, s10
	s_mul_u64 s[62:63], s[18:19], s[10:11]
	s_delay_alu instid0(SALU_CYCLE_1)
	s_mul_hi_u32 s65, s10, s63
	s_mul_i32 s64, s10, s63
	s_mul_hi_u32 s28, s10, s62
	s_mul_i32 s23, s11, s62
	s_add_nc_u64 s[64:65], s[28:29], s[64:65]
	s_mul_hi_u32 s21, s11, s62
	s_mul_hi_u32 s66, s11, s63
	s_add_co_u32 s23, s64, s23
	s_add_co_ci_u32 s28, s65, s21
	s_mul_i32 s62, s11, s63
	s_add_co_ci_u32 s63, s66, 0
	s_delay_alu instid0(SALU_CYCLE_1) | instskip(NEXT) | instid1(SALU_CYCLE_1)
	s_add_nc_u64 s[62:63], s[28:29], s[62:63]
	s_add_co_u32 s10, s10, s62
	s_cselect_b32 s21, -1, 0
	s_delay_alu instid0(SALU_CYCLE_1) | instskip(SKIP_1) | instid1(SALU_CYCLE_1)
	s_cmp_lg_u32 s21, 0
	s_add_co_ci_u32 s11, s11, s63
	s_mul_u64 s[18:19], s[18:19], s[10:11]
	s_delay_alu instid0(SALU_CYCLE_1)
	s_mul_hi_u32 s63, s10, s19
	s_mul_i32 s62, s10, s19
	s_mul_hi_u32 s28, s10, s18
	s_mul_i32 s23, s11, s18
	s_add_nc_u64 s[62:63], s[28:29], s[62:63]
	s_mul_hi_u32 s21, s11, s18
	s_mul_hi_u32 s64, s11, s19
	s_mul_i32 s18, s11, s19
	s_add_co_u32 s19, s62, s23
	s_add_co_ci_u32 s28, s63, s21
	s_add_co_ci_u32 s19, s64, 0
	s_delay_alu instid0(SALU_CYCLE_1) | instskip(NEXT) | instid1(SALU_CYCLE_1)
	s_add_nc_u64 s[18:19], s[28:29], s[18:19]
	s_add_co_u32 s10, s10, s18
	s_cselect_b32 s18, -1, 0
	s_mul_hi_u32 s28, s76, s10
	s_cmp_lg_u32 s18, 0
	s_mul_hi_u32 s21, s77, s10
	s_add_co_ci_u32 s18, s11, s19
	s_mul_i32 s19, s77, s10
	s_mul_hi_u32 s11, s76, s18
	s_mul_i32 s10, s76, s18
	s_mul_hi_u32 s23, s77, s18
	s_add_nc_u64 s[10:11], s[28:29], s[10:11]
	s_mul_i32 s18, s77, s18
	s_add_co_u32 s10, s10, s19
	s_add_co_ci_u32 s28, s11, s21
	s_add_co_ci_u32 s19, s23, 0
	s_delay_alu instid0(SALU_CYCLE_1) | instskip(NEXT) | instid1(SALU_CYCLE_1)
	s_add_nc_u64 s[10:11], s[28:29], s[18:19]
	s_and_b64 s[18:19], s[10:11], 0xffffffff00000000
	s_delay_alu instid0(SALU_CYCLE_1) | instskip(NEXT) | instid1(SALU_CYCLE_1)
	s_or_b32 s18, s18, s10
	s_mul_u64 s[10:11], s[56:57], s[18:19]
	s_delay_alu instid0(SALU_CYCLE_1) | instskip(SKIP_1) | instid1(SALU_CYCLE_1)
	s_sub_co_u32 s10, s76, s10
	s_cselect_b32 s18, -1, 0
	s_cmp_lg_u32 s18, 0
	s_sub_co_ci_u32 s11, s77, s11
	s_sub_co_u32 s18, s10, s56
	s_cselect_b32 s19, -1, 0
	s_delay_alu instid0(SALU_CYCLE_1) | instskip(SKIP_3) | instid1(SALU_CYCLE_1)
	s_cmp_lg_u32 s19, 0
	s_sub_co_ci_u32 s19, s11, 0
	s_sub_co_u32 s21, s18, s56
	s_cselect_b32 s23, -1, 0
	s_cmp_lg_u32 s23, 0
	s_sub_co_ci_u32 s23, s19, 0
	s_cmp_ge_u32 s18, s56
	s_cselect_b32 s28, -1, 0
	s_cmp_eq_u32 s19, 0
	s_cselect_b32 s28, s28, -1
	s_delay_alu instid0(SALU_CYCLE_1)
	s_cmp_lg_u32 s28, 0
	s_cselect_b32 s19, s23, s19
	s_cselect_b32 s18, s21, s18
	s_cmp_ge_u32 s10, s56
	s_cselect_b32 s21, -1, 0
	s_cmp_eq_u32 s11, 0
	s_cselect_b32 s21, s21, -1
	s_delay_alu instid0(SALU_CYCLE_1)
	s_cmp_lg_u32 s21, 0
	s_cselect_b32 s11, s19, s11
	s_cselect_b32 s10, s18, s10
	s_cbranch_execnz .LBB210_362
.LBB210_361:                            ;   in Loop: Header=BB210_18 Depth=1
	v_cvt_f32_u32_e32 v6, s56
	s_sub_co_i32 s11, 0, s56
	s_delay_alu instid0(VALU_DEP_1) | instskip(SKIP_1) | instid1(TRANS32_DEP_1)
	v_rcp_iflag_f32_e32 v6, v6
	v_nop
	v_mul_f32_e32 v6, 0x4f7ffffe, v6
	s_delay_alu instid0(VALU_DEP_1) | instskip(NEXT) | instid1(VALU_DEP_1)
	v_cvt_u32_f32_e32 v6, v6
	v_readfirstlane_b32 s10, v6
	s_mul_i32 s11, s11, s10
	s_delay_alu instid0(SALU_CYCLE_1) | instskip(NEXT) | instid1(SALU_CYCLE_1)
	s_mul_hi_u32 s11, s10, s11
	s_add_co_i32 s10, s10, s11
	s_delay_alu instid0(SALU_CYCLE_1) | instskip(NEXT) | instid1(SALU_CYCLE_1)
	s_mul_hi_u32 s10, s76, s10
	s_mul_i32 s10, s10, s56
	s_delay_alu instid0(SALU_CYCLE_1) | instskip(NEXT) | instid1(SALU_CYCLE_1)
	s_sub_co_i32 s10, s76, s10
	s_sub_co_i32 s11, s10, s56
	s_cmp_ge_u32 s10, s56
	s_cselect_b32 s10, s11, s10
	s_delay_alu instid0(SALU_CYCLE_1) | instskip(SKIP_2) | instid1(SALU_CYCLE_1)
	s_sub_co_i32 s11, s10, s56
	s_cmp_ge_u32 s10, s56
	s_cselect_b32 s28, s11, s10
	s_mov_b64 s[10:11], s[28:29]
.LBB210_362:                            ;   in Loop: Header=BB210_18 Depth=1
	s_delay_alu instid0(SALU_CYCLE_1)
	s_sub_nc_u64 s[10:11], s[76:77], s[10:11]
	s_mov_b32 s18, exec_lo
                                        ; implicit-def: $vgpr36
	v_nop
	v_cmpx_gt_u64_e64 s[10:11], v[0:1]
	s_cbranch_execz .LBB210_372
; %bb.363:                              ;   in Loop: Header=BB210_18 Depth=1
	v_mov_b64_e32 v[6:7], v[0:1]
	s_mov_b32 s19, 0
                                        ; implicit-def: $sgpr21
	s_branch .LBB210_367
.LBB210_364:                            ;   in Loop: Header=BB210_367 Depth=2
	s_or_b32 exec_lo, exec_lo, s23
	s_wait_dscnt 0x0
	s_barrier_signal -1
	s_barrier_wait -1
	ds_load_b32 v8, v3 offset:3072
	s_wait_dscnt 0x0
	s_barrier_signal -1
	s_barrier_wait -1
	v_cmp_eq_f16_e32 vcc_lo, 0, v8
	s_cbranch_vccz .LBB210_370
; %bb.365:                              ;   in Loop: Header=BB210_367 Depth=2
	v_add_nc_u64_e32 v[6:7], s[56:57], v[6:7]
	s_mov_b32 s23, 0
	s_delay_alu instid0(VALU_DEP_1)
	v_cmp_le_u64_e32 vcc_lo, s[10:11], v[6:7]
	s_or_not1_b32 s28, vcc_lo, exec_lo
.LBB210_366:                            ;   in Loop: Header=BB210_367 Depth=2
	s_delay_alu instid0(SALU_CYCLE_1) | instskip(NEXT) | instid1(SALU_CYCLE_1)
	s_and_b32 s3, exec_lo, s28
	s_or_b32 s19, s3, s19
	s_and_not1_b32 s3, s21, exec_lo
	s_and_b32 s21, s23, exec_lo
	s_delay_alu instid0(SALU_CYCLE_1)
	s_or_b32 s21, s3, s21
	s_and_not1_b32 exec_lo, exec_lo, s19
	s_cbranch_execz .LBB210_371
.LBB210_367:                            ;   Parent Loop BB210_18 Depth=1
                                        ; =>  This Inner Loop Header: Depth=2
	s_mov_b32 s23, exec_lo
	s_delay_alu instid0(VALU_DEP_1)
	v_cmpx_gt_u64_e64 s[36:37], v[6:7]
	s_cbranch_execz .LBB210_364
; %bb.368:                              ;   in Loop: Header=BB210_367 Depth=2
	v_mul_u64_e32 v[8:9], s[30:31], v[6:7]
	s_delay_alu instid0(VALU_DEP_1)
	v_lshl_add_u64 v[8:9], v[8:9], 1, s[34:35]
	global_load_u16 v8, v[8:9], off
	s_wait_loadcnt 0x0
	v_cmp_lt_i16_e32 vcc_lo, -1, v8
	v_and_b32_e32 v9, 0xffff, v8
	v_cndmask_b32_e32 v10, 0xffff, v34, vcc_lo
	v_cmp_o_f16_e32 vcc_lo, v8, v8
	s_delay_alu instid0(VALU_DEP_2) | instskip(NEXT) | instid1(VALU_DEP_1)
	v_xor_b32_e32 v9, v10, v9
	v_cndmask_b32_e32 v9, 0xffff, v9, vcc_lo
	s_delay_alu instid0(VALU_DEP_1) | instskip(NEXT) | instid1(VALU_DEP_1)
	v_and_b32_e32 v9, v9, v35
	v_cmp_eq_u32_e32 vcc_lo, v9, v31
	s_and_b32 exec_lo, exec_lo, vcc_lo
	s_cbranch_execz .LBB210_364
; %bb.369:                              ;   in Loop: Header=BB210_367 Depth=2
	v_perm_b32 v8, v8, s73, 0x5040100
	ds_store_b32 v3, v8 offset:3072
	s_branch .LBB210_364
.LBB210_370:                            ;   in Loop: Header=BB210_367 Depth=2
	s_mov_b32 s28, -1
	s_mov_b32 s23, -1
                                        ; implicit-def: $vgpr6_vgpr7
	s_branch .LBB210_366
.LBB210_371:                            ;   in Loop: Header=BB210_18 Depth=1
	s_or_b32 exec_lo, exec_lo, s19
	v_lshrrev_b32_e32 v36, 16, v8
	s_and_not1_b32 s3, s20, exec_lo
	s_and_b32 s10, s21, exec_lo
	s_delay_alu instid0(SALU_CYCLE_1)
	s_or_b32 s20, s3, s10
.LBB210_372:                            ;   in Loop: Header=BB210_18 Depth=1
	s_or_b32 exec_lo, exec_lo, s18
	s_mov_b32 s23, 0
	s_mov_b32 s89, -1
.LBB210_373:                            ;   in Loop: Header=BB210_18 Depth=1
	s_or_not1_b32 s10, s20, exec_lo
.LBB210_374:                            ;   in Loop: Header=BB210_18 Depth=1
	s_or_b32 exec_lo, exec_lo, s92
	s_mov_b32 s11, 0
	s_and_saveexec_b32 s20, s10
	s_cbranch_execz .LBB210_487
; %bb.375:                              ;   in Loop: Header=BB210_18 Depth=1
	v_mov_b64_e32 v[6:7], 1
	v_mov_b32_e32 v2, 1
	s_xor_b32 s18, s90, -1
	s_delay_alu instid0(SALU_CYCLE_1)
	s_and_saveexec_b32 s10, s18
	s_cbranch_execz .LBB210_384
; %bb.376:                              ;   in Loop: Header=BB210_18 Depth=1
	s_mov_b32 s11, exec_lo
	v_cmpx_ge_u64_e64 s[16:17], v[4:5]
	s_xor_b32 s11, exec_lo, s11
	s_cbranch_execz .LBB210_381
; %bb.377:                              ;   in Loop: Header=BB210_18 Depth=1
	ds_load_b64 v[6:7], v3 offset:5120
	s_lshl_b32 s18, 2, s48
	v_or_b32_e32 v35, s24, v35
	v_and_or_b32 v31, v31, s25, s18
	s_wait_dscnt 0x0
	v_cmp_ne_u64_e32 vcc_lo, 0, v[6:7]
	s_cbranch_vccnz .LBB210_381
; %bb.378:                              ;   in Loop: Header=BB210_18 Depth=1
	s_and_saveexec_b32 s18, s5
; %bb.379:                              ;   in Loop: Header=BB210_18 Depth=1
	v_mov_b64_e32 v[6:7], s[16:17]
	ds_store_b64 v3, v[6:7] offset:5128
; %bb.380:                              ;   in Loop: Header=BB210_18 Depth=1
	s_or_b32 exec_lo, exec_lo, s18
	s_wait_dscnt 0x0
	s_barrier_signal -1
	s_barrier_wait -1
.LBB210_381:                            ;   in Loop: Header=BB210_18 Depth=1
	s_or_saveexec_b32 s11, s11
	v_mov_b32_e32 v2, 5
	s_mov_b32 s18, 0
	s_xor_b32 exec_lo, exec_lo, s11
; %bb.382:                              ;   in Loop: Header=BB210_18 Depth=1
	v_sub_nc_u64_e64 v[4:5], v[4:5], s[16:17]
	v_mov_b32_e32 v2, 0
	s_mov_b32 s18, exec_lo
; %bb.383:                              ;   in Loop: Header=BB210_18 Depth=1
	s_or_b32 exec_lo, exec_lo, s11
	s_delay_alu instid0(VALU_DEP_2)
	v_mov_b64_e32 v[6:7], v[4:5]
	s_and_b32 s11, s18, exec_lo
.LBB210_384:                            ;   in Loop: Header=BB210_18 Depth=1
	s_or_b32 exec_lo, exec_lo, s10
	s_mov_b32 s10, -1
                                        ; implicit-def: $sgpr90
                                        ; implicit-def: $sgpr92
	s_and_saveexec_b32 s21, s11
	s_cbranch_execz .LBB210_486
; %bb.385:                              ;   in Loop: Header=BB210_18 Depth=1
	s_delay_alu instid0(VALU_DEP_1) | instskip(SKIP_2) | instid1(SALU_CYCLE_1)
	v_cmp_eq_u64_e32 vcc_lo, 1, v[6:7]
	s_cmp_eq_u64 s[14:15], 1
                                        ; implicit-def: $sgpr92
                                        ; implicit-def: $sgpr90
	s_cselect_b32 s10, -1, 0
	s_and_b32 s93, s10, vcc_lo
	s_mov_b32 s10, -1
	s_and_saveexec_b32 s94, s93
	s_cbranch_execz .LBB210_421
; %bb.386:                              ;   in Loop: Header=BB210_18 Depth=1
	ds_load_b64 v[4:5], v3 offset:5120
	s_wait_dscnt 0x0
	s_barrier_signal -1
	s_barrier_wait -1
	v_readfirstlane_b32 s10, v4
	v_readfirstlane_b32 s11, v5
	s_and_saveexec_b32 s16, s6
; %bb.387:                              ;   in Loop: Header=BB210_18 Depth=1
	ds_store_b16 v29, v3
; %bb.388:                              ;   in Loop: Header=BB210_18 Depth=1
	s_or_b32 exec_lo, exec_lo, s16
	s_lshl_b32 s16, 1, s48
	v_or_b32_e32 v35, s24, v35
	v_and_or_b32 v31, v31, s25, s16
	s_mov_b32 s90, -1
	s_mov_b32 s92, 0
	s_cmp_eq_u64 s[10:11], 0
	s_mov_b32 s18, 0
	s_mov_b32 s19, -1
	s_wait_dscnt 0x0
	s_barrier_signal -1
	s_barrier_wait -1
                                        ; implicit-def: $vgpr36
	s_cbranch_scc1 .LBB210_405
; %bb.389:                              ;   in Loop: Header=BB210_18 Depth=1
	s_add_nc_u64 s[16:17], s[10:11], s[74:75]
	s_delay_alu instid0(SALU_CYCLE_1) | instskip(NEXT) | instid1(SALU_CYCLE_1)
	s_and_b64 s[18:19], s[16:17], 0xffffffff00000000
	s_cmp_lg_u64 s[18:19], 0
	s_cbranch_scc0 .LBB210_438
; %bb.390:                              ;   in Loop: Header=BB210_18 Depth=1
	s_cvt_f32_u32 s18, s56
	s_sub_nc_u64 s[62:63], 0, s[56:57]
	s_delay_alu instid0(SALU_CYCLE_2) | instskip(NEXT) | instid1(SALU_CYCLE_3)
	s_fmamk_f32 s18, s72, 0x0, s18
	v_s_rcp_f32 s18, s18
	s_delay_alu instid0(TRANS32_DEP_1) | instskip(NEXT) | instid1(SALU_CYCLE_3)
	s_mul_f32 s18, s18, 0x5f7ffffc
	s_mul_f32 s19, s18, 0x2f800000
	s_delay_alu instid0(SALU_CYCLE_3) | instskip(NEXT) | instid1(SALU_CYCLE_3)
	s_trunc_f32 s19, s19
	s_fmamk_f32 s18, s19, 0xcf800000, s18
	s_cvt_u32_f32 s19, s19
	s_delay_alu instid0(SALU_CYCLE_2) | instskip(NEXT) | instid1(SALU_CYCLE_3)
	s_cvt_u32_f32 s18, s18
	s_mul_u64 s[64:65], s[62:63], s[18:19]
	s_delay_alu instid0(SALU_CYCLE_1)
	s_mul_hi_u32 s97, s18, s65
	s_mul_i32 s96, s18, s65
	s_mul_hi_u32 s28, s18, s64
	s_mul_i32 s67, s19, s64
	s_add_nc_u64 s[96:97], s[28:29], s[96:97]
	s_mul_hi_u32 s66, s19, s64
	s_mul_hi_u32 s95, s19, s65
	s_add_co_u32 s28, s96, s67
	s_add_co_ci_u32 s28, s97, s66
	s_mul_i32 s64, s19, s65
	s_add_co_ci_u32 s65, s95, 0
	s_delay_alu instid0(SALU_CYCLE_1) | instskip(NEXT) | instid1(SALU_CYCLE_1)
	s_add_nc_u64 s[64:65], s[28:29], s[64:65]
	s_add_co_u32 s18, s18, s64
	s_cselect_b32 s28, -1, 0
	s_delay_alu instid0(SALU_CYCLE_1) | instskip(SKIP_1) | instid1(SALU_CYCLE_1)
	s_cmp_lg_u32 s28, 0
	s_add_co_ci_u32 s19, s19, s65
	s_mul_u64 s[62:63], s[62:63], s[18:19]
	s_delay_alu instid0(SALU_CYCLE_1)
	s_mul_hi_u32 s65, s18, s63
	s_mul_i32 s64, s18, s63
	s_mul_hi_u32 s28, s18, s62
	s_mul_i32 s67, s19, s62
	s_add_nc_u64 s[64:65], s[28:29], s[64:65]
	s_mul_hi_u32 s66, s19, s62
	s_mul_hi_u32 s95, s19, s63
	s_add_co_u32 s28, s64, s67
	s_add_co_ci_u32 s28, s65, s66
	s_mul_i32 s62, s19, s63
	s_add_co_ci_u32 s63, s95, 0
	s_delay_alu instid0(SALU_CYCLE_1) | instskip(NEXT) | instid1(SALU_CYCLE_1)
	s_add_nc_u64 s[62:63], s[28:29], s[62:63]
	s_add_co_u32 s18, s18, s62
	s_cselect_b32 s62, -1, 0
	s_mul_hi_u32 s28, s16, s18
	s_cmp_lg_u32 s62, 0
	s_mul_hi_u32 s64, s17, s18
	s_add_co_ci_u32 s62, s19, s63
	s_mul_i32 s63, s17, s18
	s_mul_hi_u32 s19, s16, s62
	s_mul_i32 s18, s16, s62
	s_mul_hi_u32 s65, s17, s62
	s_add_nc_u64 s[18:19], s[28:29], s[18:19]
	s_mul_i32 s62, s17, s62
	s_add_co_u32 s18, s18, s63
	s_add_co_ci_u32 s28, s19, s64
	s_add_co_ci_u32 s63, s65, 0
	s_delay_alu instid0(SALU_CYCLE_1) | instskip(NEXT) | instid1(SALU_CYCLE_1)
	s_add_nc_u64 s[18:19], s[28:29], s[62:63]
	s_and_b64 s[62:63], s[18:19], 0xffffffff00000000
	s_delay_alu instid0(SALU_CYCLE_1) | instskip(NEXT) | instid1(SALU_CYCLE_1)
	s_or_b32 s62, s62, s18
	s_mul_u64 s[18:19], s[56:57], s[62:63]
	s_delay_alu instid0(SALU_CYCLE_1) | instskip(SKIP_1) | instid1(SALU_CYCLE_1)
	s_sub_co_u32 s18, s16, s18
	s_cselect_b32 s28, -1, 0
	s_cmp_lg_u32 s28, 0
	s_sub_co_ci_u32 s19, s17, s19
	s_sub_co_u32 s28, s18, s56
	s_cselect_b32 s62, -1, 0
	s_delay_alu instid0(SALU_CYCLE_1) | instskip(SKIP_3) | instid1(SALU_CYCLE_1)
	s_cmp_lg_u32 s62, 0
	s_sub_co_ci_u32 s62, s19, 0
	s_sub_co_u32 s63, s28, s56
	s_cselect_b32 s64, -1, 0
	s_cmp_lg_u32 s64, 0
	s_sub_co_ci_u32 s64, s62, 0
	s_cmp_ge_u32 s28, s56
	s_cselect_b32 s65, -1, 0
	s_cmp_eq_u32 s62, 0
	s_cselect_b32 s65, s65, -1
	s_delay_alu instid0(SALU_CYCLE_1)
	s_cmp_lg_u32 s65, 0
	s_cselect_b32 s62, s64, s62
	s_cselect_b32 s28, s63, s28
	s_cmp_ge_u32 s18, s56
	s_cselect_b32 s63, -1, 0
	s_cmp_eq_u32 s19, 0
	s_cselect_b32 s63, s63, -1
	s_delay_alu instid0(SALU_CYCLE_1)
	s_cmp_lg_u32 s63, 0
	s_cselect_b32 s19, s62, s19
	s_cselect_b32 s18, s28, s18
	s_cbranch_execnz .LBB210_392
.LBB210_391:                            ;   in Loop: Header=BB210_18 Depth=1
	v_cvt_f32_u32_e32 v4, s56
	s_sub_co_i32 s19, 0, s56
	s_delay_alu instid0(VALU_DEP_1) | instskip(SKIP_1) | instid1(TRANS32_DEP_1)
	v_rcp_iflag_f32_e32 v4, v4
	v_nop
	v_mul_f32_e32 v4, 0x4f7ffffe, v4
	s_delay_alu instid0(VALU_DEP_1) | instskip(NEXT) | instid1(VALU_DEP_1)
	v_cvt_u32_f32_e32 v4, v4
	v_readfirstlane_b32 s18, v4
	s_mul_i32 s19, s19, s18
	s_delay_alu instid0(SALU_CYCLE_1) | instskip(NEXT) | instid1(SALU_CYCLE_1)
	s_mul_hi_u32 s19, s18, s19
	s_add_co_i32 s18, s18, s19
	s_delay_alu instid0(SALU_CYCLE_1) | instskip(NEXT) | instid1(SALU_CYCLE_1)
	s_mul_hi_u32 s18, s16, s18
	s_mul_i32 s18, s18, s56
	s_delay_alu instid0(SALU_CYCLE_1) | instskip(NEXT) | instid1(SALU_CYCLE_1)
	s_sub_co_i32 s18, s16, s18
	s_sub_co_i32 s19, s18, s56
	s_cmp_ge_u32 s18, s56
	s_cselect_b32 s18, s19, s18
	s_delay_alu instid0(SALU_CYCLE_1) | instskip(SKIP_2) | instid1(SALU_CYCLE_1)
	s_sub_co_i32 s19, s18, s56
	s_cmp_ge_u32 s18, s56
	s_cselect_b32 s28, s19, s18
	s_mov_b64 s[18:19], s[28:29]
.LBB210_392:                            ;   in Loop: Header=BB210_18 Depth=1
	s_delay_alu instid0(SALU_CYCLE_1)
	s_sub_nc_u64 s[16:17], s[16:17], s[18:19]
	s_mov_b32 s19, 0
	s_mov_b32 s18, 0
	s_mov_b32 s28, exec_lo
                                        ; implicit-def: $vgpr36
	v_cmpx_gt_u64_e64 s[16:17], v[0:1]
	s_cbranch_execz .LBB210_404
; %bb.393:                              ;   in Loop: Header=BB210_18 Depth=1
	v_mov_b64_e32 v[4:5], v[0:1]
	v_mov_b32_e32 v8, v28
                                        ; implicit-def: $sgpr62
	s_branch .LBB210_397
.LBB210_394:                            ;   in Loop: Header=BB210_397 Depth=2
	s_or_b32 exec_lo, exec_lo, s63
	s_wait_dscnt 0x0
	s_barrier_signal -1
	s_barrier_wait -1
	ds_load_b32 v9, v3 offset:3072
	s_wait_dscnt 0x0
	s_barrier_signal -1
	s_barrier_wait -1
	v_cmp_neq_f16_e32 vcc_lo, 0, v9
	s_cbranch_vccnz .LBB210_400
; %bb.395:                              ;   in Loop: Header=BB210_397 Depth=2
	v_add_nc_u64_e32 v[4:5], s[56:57], v[4:5]
	v_add_nc_u32_e32 v8, s71, v8
	s_mov_b32 s63, 0
	s_delay_alu instid0(VALU_DEP_2)
	v_cmp_le_u64_e32 vcc_lo, s[16:17], v[4:5]
	s_or_not1_b32 s64, vcc_lo, exec_lo
.LBB210_396:                            ;   in Loop: Header=BB210_397 Depth=2
	s_delay_alu instid0(SALU_CYCLE_1) | instskip(NEXT) | instid1(SALU_CYCLE_1)
	s_and_b32 s3, exec_lo, s64
	s_or_b32 s18, s3, s18
	s_and_not1_b32 s3, s62, exec_lo
	s_and_b32 s40, s63, exec_lo
	s_delay_alu instid0(SALU_CYCLE_1)
	s_or_b32 s62, s3, s40
	s_and_not1_b32 exec_lo, exec_lo, s18
	s_cbranch_execz .LBB210_403
.LBB210_397:                            ;   Parent Loop BB210_18 Depth=1
                                        ; =>  This Inner Loop Header: Depth=2
	s_mov_b32 s63, exec_lo
	s_delay_alu instid0(VALU_DEP_2)
	v_cmpx_gt_u64_e64 s[10:11], v[4:5]
	s_cbranch_execz .LBB210_394
; %bb.398:                              ;   in Loop: Header=BB210_397 Depth=2
	ds_load_u16 v9, v8
	s_wait_dscnt 0x0
	v_cmp_lt_i16_e32 vcc_lo, -1, v9
	v_and_b32_e32 v10, 0xffff, v9
	v_cndmask_b32_e32 v11, 0xffff, v34, vcc_lo
	v_cmp_o_f16_e32 vcc_lo, v9, v9
	s_delay_alu instid0(VALU_DEP_2) | instskip(NEXT) | instid1(VALU_DEP_1)
	v_xor_b32_e32 v10, v11, v10
	v_cndmask_b32_e32 v10, 0xffff, v10, vcc_lo
	s_delay_alu instid0(VALU_DEP_1) | instskip(NEXT) | instid1(VALU_DEP_1)
	v_and_b32_e32 v10, v10, v35
	v_cmp_eq_u32_e32 vcc_lo, v10, v31
	s_and_b32 exec_lo, exec_lo, vcc_lo
	s_cbranch_execz .LBB210_394
; %bb.399:                              ;   in Loop: Header=BB210_397 Depth=2
	v_perm_b32 v9, v9, s73, 0x5040100
	ds_store_b32 v3, v9 offset:3072
	s_branch .LBB210_394
.LBB210_400:                            ;   in Loop: Header=BB210_397 Depth=2
	s_mov_b32 s64, -1
	s_mov_b32 s63, -1
                                        ; implicit-def: $vgpr4_vgpr5
                                        ; implicit-def: $vgpr8
	s_branch .LBB210_396
.LBB210_401:                            ;   in Loop: Header=BB210_18 Depth=1
                                        ; implicit-def: $sgpr20_sgpr21
	s_branch .LBB210_344
.LBB210_402:                            ;   in Loop: Header=BB210_18 Depth=1
                                        ; implicit-def: $sgpr10_sgpr11
	s_branch .LBB210_361
.LBB210_403:                            ;   in Loop: Header=BB210_18 Depth=1
	s_or_b32 exec_lo, exec_lo, s18
	v_lshrrev_b32_e32 v36, 16, v9
	s_and_b32 s18, s62, exec_lo
.LBB210_404:                            ;   in Loop: Header=BB210_18 Depth=1
	s_or_b32 exec_lo, exec_lo, s28
.LBB210_405:                            ;   in Loop: Header=BB210_18 Depth=1
	s_delay_alu instid0(SALU_CYCLE_1)
	s_and_b32 vcc_lo, exec_lo, s19
	s_cbranch_vccz .LBB210_420
; %bb.406:                              ;   in Loop: Header=BB210_18 Depth=1
	s_and_b64 s[10:11], s[76:77], 0xffffffff00000000
	s_delay_alu instid0(SALU_CYCLE_1)
	s_cmp_lg_u64 s[10:11], 0
	s_cbranch_scc0 .LBB210_439
; %bb.407:                              ;   in Loop: Header=BB210_18 Depth=1
	s_cvt_f32_u32 s10, s56
	s_sub_nc_u64 s[16:17], 0, s[56:57]
	s_delay_alu instid0(SALU_CYCLE_2) | instskip(NEXT) | instid1(SALU_CYCLE_3)
	s_fmamk_f32 s10, s72, 0x0, s10
	v_s_rcp_f32 s10, s10
	s_delay_alu instid0(TRANS32_DEP_1) | instskip(NEXT) | instid1(SALU_CYCLE_3)
	s_mul_f32 s10, s10, 0x5f7ffffc
	s_mul_f32 s11, s10, 0x2f800000
	s_delay_alu instid0(SALU_CYCLE_3) | instskip(NEXT) | instid1(SALU_CYCLE_3)
	s_trunc_f32 s11, s11
	s_fmamk_f32 s10, s11, 0xcf800000, s10
	s_cvt_u32_f32 s11, s11
	s_delay_alu instid0(SALU_CYCLE_2) | instskip(NEXT) | instid1(SALU_CYCLE_3)
	s_cvt_u32_f32 s10, s10
	s_mul_u64 s[62:63], s[16:17], s[10:11]
	s_delay_alu instid0(SALU_CYCLE_1)
	s_mul_hi_u32 s65, s10, s63
	s_mul_i32 s64, s10, s63
	s_mul_hi_u32 s28, s10, s62
	s_mul_i32 s66, s11, s62
	s_add_nc_u64 s[64:65], s[28:29], s[64:65]
	s_mul_hi_u32 s19, s11, s62
	s_mul_hi_u32 s67, s11, s63
	s_add_co_u32 s28, s64, s66
	s_add_co_ci_u32 s28, s65, s19
	s_mul_i32 s62, s11, s63
	s_add_co_ci_u32 s63, s67, 0
	s_delay_alu instid0(SALU_CYCLE_1) | instskip(NEXT) | instid1(SALU_CYCLE_1)
	s_add_nc_u64 s[62:63], s[28:29], s[62:63]
	s_add_co_u32 s10, s10, s62
	s_cselect_b32 s19, -1, 0
	s_delay_alu instid0(SALU_CYCLE_1) | instskip(SKIP_1) | instid1(SALU_CYCLE_1)
	s_cmp_lg_u32 s19, 0
	s_add_co_ci_u32 s11, s11, s63
	s_mul_u64 s[16:17], s[16:17], s[10:11]
	s_delay_alu instid0(SALU_CYCLE_1)
	s_mul_hi_u32 s63, s10, s17
	s_mul_i32 s62, s10, s17
	s_mul_hi_u32 s28, s10, s16
	s_mul_i32 s64, s11, s16
	s_add_nc_u64 s[62:63], s[28:29], s[62:63]
	s_mul_hi_u32 s19, s11, s16
	s_mul_hi_u32 s65, s11, s17
	s_mul_i32 s16, s11, s17
	s_add_co_u32 s17, s62, s64
	s_add_co_ci_u32 s28, s63, s19
	s_add_co_ci_u32 s17, s65, 0
	s_delay_alu instid0(SALU_CYCLE_1) | instskip(NEXT) | instid1(SALU_CYCLE_1)
	s_add_nc_u64 s[16:17], s[28:29], s[16:17]
	s_add_co_u32 s10, s10, s16
	s_cselect_b32 s16, -1, 0
	s_mul_hi_u32 s28, s76, s10
	s_cmp_lg_u32 s16, 0
	s_mul_hi_u32 s19, s77, s10
	s_add_co_ci_u32 s16, s11, s17
	s_mul_i32 s17, s77, s10
	s_mul_hi_u32 s11, s76, s16
	s_mul_i32 s10, s76, s16
	s_mul_hi_u32 s62, s77, s16
	s_add_nc_u64 s[10:11], s[28:29], s[10:11]
	s_mul_i32 s16, s77, s16
	s_add_co_u32 s10, s10, s17
	s_add_co_ci_u32 s28, s11, s19
	s_add_co_ci_u32 s17, s62, 0
	s_delay_alu instid0(SALU_CYCLE_1) | instskip(NEXT) | instid1(SALU_CYCLE_1)
	s_add_nc_u64 s[10:11], s[28:29], s[16:17]
	s_and_b64 s[16:17], s[10:11], 0xffffffff00000000
	s_delay_alu instid0(SALU_CYCLE_1) | instskip(NEXT) | instid1(SALU_CYCLE_1)
	s_or_b32 s16, s16, s10
	s_mul_u64 s[10:11], s[56:57], s[16:17]
	s_delay_alu instid0(SALU_CYCLE_1) | instskip(SKIP_1) | instid1(SALU_CYCLE_1)
	s_sub_co_u32 s10, s76, s10
	s_cselect_b32 s16, -1, 0
	s_cmp_lg_u32 s16, 0
	s_sub_co_ci_u32 s11, s77, s11
	s_sub_co_u32 s16, s10, s56
	s_cselect_b32 s17, -1, 0
	s_delay_alu instid0(SALU_CYCLE_1) | instskip(SKIP_3) | instid1(SALU_CYCLE_1)
	s_cmp_lg_u32 s17, 0
	s_sub_co_ci_u32 s17, s11, 0
	s_sub_co_u32 s19, s16, s56
	s_cselect_b32 s28, -1, 0
	s_cmp_lg_u32 s28, 0
	s_sub_co_ci_u32 s28, s17, 0
	s_cmp_ge_u32 s16, s56
	s_cselect_b32 s62, -1, 0
	s_cmp_eq_u32 s17, 0
	s_cselect_b32 s62, s62, -1
	s_delay_alu instid0(SALU_CYCLE_1)
	s_cmp_lg_u32 s62, 0
	s_cselect_b32 s17, s28, s17
	s_cselect_b32 s16, s19, s16
	s_cmp_ge_u32 s10, s56
	s_cselect_b32 s19, -1, 0
	s_cmp_eq_u32 s11, 0
	s_cselect_b32 s19, s19, -1
	s_delay_alu instid0(SALU_CYCLE_1)
	s_cmp_lg_u32 s19, 0
	s_cselect_b32 s11, s17, s11
	s_cselect_b32 s10, s16, s10
	s_cbranch_execnz .LBB210_409
.LBB210_408:                            ;   in Loop: Header=BB210_18 Depth=1
	v_cvt_f32_u32_e32 v4, s56
	s_sub_co_i32 s11, 0, s56
	s_delay_alu instid0(VALU_DEP_1) | instskip(SKIP_1) | instid1(TRANS32_DEP_1)
	v_rcp_iflag_f32_e32 v4, v4
	v_nop
	v_mul_f32_e32 v4, 0x4f7ffffe, v4
	s_delay_alu instid0(VALU_DEP_1) | instskip(NEXT) | instid1(VALU_DEP_1)
	v_cvt_u32_f32_e32 v4, v4
	v_readfirstlane_b32 s10, v4
	s_mul_i32 s11, s11, s10
	s_delay_alu instid0(SALU_CYCLE_1) | instskip(NEXT) | instid1(SALU_CYCLE_1)
	s_mul_hi_u32 s11, s10, s11
	s_add_co_i32 s10, s10, s11
	s_delay_alu instid0(SALU_CYCLE_1) | instskip(NEXT) | instid1(SALU_CYCLE_1)
	s_mul_hi_u32 s10, s76, s10
	s_mul_i32 s10, s10, s56
	s_delay_alu instid0(SALU_CYCLE_1) | instskip(NEXT) | instid1(SALU_CYCLE_1)
	s_sub_co_i32 s10, s76, s10
	s_sub_co_i32 s11, s10, s56
	s_cmp_ge_u32 s10, s56
	s_cselect_b32 s10, s11, s10
	s_delay_alu instid0(SALU_CYCLE_1) | instskip(SKIP_2) | instid1(SALU_CYCLE_1)
	s_sub_co_i32 s11, s10, s56
	s_cmp_ge_u32 s10, s56
	s_cselect_b32 s28, s11, s10
	s_mov_b64 s[10:11], s[28:29]
.LBB210_409:                            ;   in Loop: Header=BB210_18 Depth=1
	s_delay_alu instid0(SALU_CYCLE_1)
	s_sub_nc_u64 s[10:11], s[76:77], s[10:11]
	s_mov_b32 s16, exec_lo
                                        ; implicit-def: $vgpr36
	v_nop
	v_cmpx_gt_u64_e64 s[10:11], v[0:1]
	s_cbranch_execz .LBB210_419
; %bb.410:                              ;   in Loop: Header=BB210_18 Depth=1
	v_mov_b64_e32 v[4:5], v[0:1]
	s_mov_b32 s17, 0
                                        ; implicit-def: $sgpr19
	s_branch .LBB210_414
.LBB210_411:                            ;   in Loop: Header=BB210_414 Depth=2
	s_or_b32 exec_lo, exec_lo, s28
	s_wait_dscnt 0x0
	s_barrier_signal -1
	s_barrier_wait -1
	ds_load_b32 v8, v3 offset:3072
	s_wait_dscnt 0x0
	s_barrier_signal -1
	s_barrier_wait -1
	v_cmp_eq_f16_e32 vcc_lo, 0, v8
	s_cbranch_vccz .LBB210_417
; %bb.412:                              ;   in Loop: Header=BB210_414 Depth=2
	v_add_nc_u64_e32 v[4:5], s[56:57], v[4:5]
	s_mov_b32 s28, 0
	s_delay_alu instid0(VALU_DEP_1)
	v_cmp_le_u64_e32 vcc_lo, s[10:11], v[4:5]
	s_or_not1_b32 s62, vcc_lo, exec_lo
.LBB210_413:                            ;   in Loop: Header=BB210_414 Depth=2
	s_delay_alu instid0(SALU_CYCLE_1) | instskip(NEXT) | instid1(SALU_CYCLE_1)
	s_and_b32 s3, exec_lo, s62
	s_or_b32 s17, s3, s17
	s_and_not1_b32 s3, s19, exec_lo
	s_and_b32 s19, s28, exec_lo
	s_delay_alu instid0(SALU_CYCLE_1)
	s_or_b32 s19, s3, s19
	s_and_not1_b32 exec_lo, exec_lo, s17
	s_cbranch_execz .LBB210_418
.LBB210_414:                            ;   Parent Loop BB210_18 Depth=1
                                        ; =>  This Inner Loop Header: Depth=2
	s_mov_b32 s28, exec_lo
	s_delay_alu instid0(VALU_DEP_1)
	v_cmpx_gt_u64_e64 s[36:37], v[4:5]
	s_cbranch_execz .LBB210_411
; %bb.415:                              ;   in Loop: Header=BB210_414 Depth=2
	v_mul_u64_e32 v[8:9], s[30:31], v[4:5]
	s_delay_alu instid0(VALU_DEP_1)
	v_lshl_add_u64 v[8:9], v[8:9], 1, s[34:35]
	global_load_u16 v8, v[8:9], off
	s_wait_loadcnt 0x0
	v_cmp_lt_i16_e32 vcc_lo, -1, v8
	v_and_b32_e32 v9, 0xffff, v8
	v_cndmask_b32_e32 v10, 0xffff, v34, vcc_lo
	v_cmp_o_f16_e32 vcc_lo, v8, v8
	s_delay_alu instid0(VALU_DEP_2) | instskip(NEXT) | instid1(VALU_DEP_1)
	v_xor_b32_e32 v9, v10, v9
	v_cndmask_b32_e32 v9, 0xffff, v9, vcc_lo
	s_delay_alu instid0(VALU_DEP_1) | instskip(NEXT) | instid1(VALU_DEP_1)
	v_and_b32_e32 v9, v9, v35
	v_cmp_eq_u32_e32 vcc_lo, v9, v31
	s_and_b32 exec_lo, exec_lo, vcc_lo
	s_cbranch_execz .LBB210_411
; %bb.416:                              ;   in Loop: Header=BB210_414 Depth=2
	v_perm_b32 v8, v8, s73, 0x5040100
	ds_store_b32 v3, v8 offset:3072
	s_branch .LBB210_411
.LBB210_417:                            ;   in Loop: Header=BB210_414 Depth=2
	s_mov_b32 s62, -1
	s_mov_b32 s28, -1
                                        ; implicit-def: $vgpr4_vgpr5
	s_branch .LBB210_413
.LBB210_418:                            ;   in Loop: Header=BB210_18 Depth=1
	s_or_b32 exec_lo, exec_lo, s17
	v_lshrrev_b32_e32 v36, 16, v8
	s_and_not1_b32 s3, s18, exec_lo
	s_and_b32 s10, s19, exec_lo
	s_delay_alu instid0(SALU_CYCLE_1)
	s_or_b32 s18, s3, s10
.LBB210_419:                            ;   in Loop: Header=BB210_18 Depth=1
	s_or_b32 exec_lo, exec_lo, s16
	s_mov_b32 s90, 0
	s_mov_b32 s92, -1
.LBB210_420:                            ;   in Loop: Header=BB210_18 Depth=1
	s_or_not1_b32 s10, s18, exec_lo
.LBB210_421:                            ;   in Loop: Header=BB210_18 Depth=1
	s_or_b32 exec_lo, exec_lo, s94
	s_mov_b32 s11, 0
	s_and_saveexec_b32 s18, s10
	s_cbranch_execz .LBB210_485
; %bb.422:                              ;   in Loop: Header=BB210_18 Depth=1
	v_mov_b64_e32 v[4:5], 1
	v_mov_b32_e32 v2, 1
	s_xor_b32 s16, s93, -1
	s_delay_alu instid0(SALU_CYCLE_1)
	s_and_saveexec_b32 s10, s16
	s_cbranch_execz .LBB210_431
; %bb.423:                              ;   in Loop: Header=BB210_18 Depth=1
	s_mov_b32 s11, exec_lo
	v_cmpx_ge_u64_e64 s[14:15], v[6:7]
	s_xor_b32 s11, exec_lo, s11
	s_cbranch_execz .LBB210_428
; %bb.424:                              ;   in Loop: Header=BB210_18 Depth=1
	ds_load_b64 v[4:5], v3 offset:5120
	s_lshl_b32 s16, 1, s48
	v_or_b32_e32 v35, s24, v35
	v_and_or_b32 v31, v31, s25, s16
	s_wait_dscnt 0x0
	v_cmp_ne_u64_e32 vcc_lo, 0, v[4:5]
	s_cbranch_vccnz .LBB210_428
; %bb.425:                              ;   in Loop: Header=BB210_18 Depth=1
	s_and_saveexec_b32 s16, s5
; %bb.426:                              ;   in Loop: Header=BB210_18 Depth=1
	v_mov_b64_e32 v[4:5], s[14:15]
	ds_store_b64 v3, v[4:5] offset:5128
; %bb.427:                              ;   in Loop: Header=BB210_18 Depth=1
	s_or_b32 exec_lo, exec_lo, s16
	s_wait_dscnt 0x0
	s_barrier_signal -1
	s_barrier_wait -1
.LBB210_428:                            ;   in Loop: Header=BB210_18 Depth=1
	s_or_saveexec_b32 s11, s11
	v_mov_b32_e32 v2, 5
	s_mov_b32 s16, 0
	s_xor_b32 exec_lo, exec_lo, s11
; %bb.429:                              ;   in Loop: Header=BB210_18 Depth=1
	v_sub_nc_u64_e64 v[6:7], v[6:7], s[14:15]
	v_mov_b32_e32 v2, 0
	s_mov_b32 s16, exec_lo
; %bb.430:                              ;   in Loop: Header=BB210_18 Depth=1
	s_or_b32 exec_lo, exec_lo, s11
	s_delay_alu instid0(VALU_DEP_2)
	v_mov_b64_e32 v[4:5], v[6:7]
	s_and_b32 s11, s16, exec_lo
.LBB210_431:                            ;   in Loop: Header=BB210_18 Depth=1
	s_or_b32 exec_lo, exec_lo, s10
	s_mov_b32 s10, -1
                                        ; implicit-def: $sgpr64
                                        ; implicit-def: $sgpr95
	s_and_saveexec_b32 s19, s11
	s_cbranch_execz .LBB210_484
; %bb.432:                              ;   in Loop: Header=BB210_18 Depth=1
	s_delay_alu instid0(VALU_DEP_1) | instskip(SKIP_3) | instid1(SALU_CYCLE_1)
	v_cmp_eq_u64_e32 vcc_lo, 1, v[4:5]
	s_cmp_eq_u64 s[12:13], 1
	s_mov_b32 s11, -1
	s_cselect_b32 s10, -1, 0
                                        ; implicit-def: $sgpr64
                                        ; implicit-def: $sgpr95
	s_and_b32 s93, s10, vcc_lo
	s_delay_alu instid0(SALU_CYCLE_1)
	s_and_saveexec_b32 s94, s93
	s_cbranch_execz .LBB210_472
; %bb.433:                              ;   in Loop: Header=BB210_18 Depth=1
	ds_load_b64 v[6:7], v3 offset:5120
	s_wait_dscnt 0x0
	s_barrier_signal -1
	s_barrier_wait -1
	v_readfirstlane_b32 s10, v6
	v_readfirstlane_b32 s11, v7
	s_and_saveexec_b32 s14, s6
; %bb.434:                              ;   in Loop: Header=BB210_18 Depth=1
	ds_store_b16 v29, v3
; %bb.435:                              ;   in Loop: Header=BB210_18 Depth=1
	s_or_b32 exec_lo, exec_lo, s14
	v_and_b32_e32 v31, s25, v31
	v_or_b32_e32 v35, s24, v35
	s_mov_b32 s95, -1
	s_mov_b32 s64, 0
	s_cmp_eq_u64 s[10:11], 0
	s_mov_b32 s16, 0
	s_mov_b32 s17, -1
	s_wait_dscnt 0x0
	s_barrier_signal -1
	s_barrier_wait -1
                                        ; implicit-def: $vgpr36
	s_cbranch_scc1 .LBB210_454
; %bb.436:                              ;   in Loop: Header=BB210_18 Depth=1
	s_add_nc_u64 s[14:15], s[10:11], s[74:75]
	s_delay_alu instid0(SALU_CYCLE_1) | instskip(NEXT) | instid1(SALU_CYCLE_1)
	s_and_b64 s[16:17], s[14:15], 0xffffffff00000000
	s_cmp_lg_u64 s[16:17], 0
	s_cbranch_scc0 .LBB210_440
; %bb.437:                              ;   in Loop: Header=BB210_18 Depth=1
	s_cvt_f32_u32 s16, s56
	s_sub_nc_u64 s[62:63], 0, s[56:57]
	s_delay_alu instid0(SALU_CYCLE_2) | instskip(NEXT) | instid1(SALU_CYCLE_3)
	s_fmamk_f32 s16, s72, 0x0, s16
	v_s_rcp_f32 s16, s16
	s_delay_alu instid0(TRANS32_DEP_1) | instskip(NEXT) | instid1(SALU_CYCLE_3)
	s_mul_f32 s16, s16, 0x5f7ffffc
	s_mul_f32 s17, s16, 0x2f800000
	s_delay_alu instid0(SALU_CYCLE_3) | instskip(NEXT) | instid1(SALU_CYCLE_3)
	s_trunc_f32 s17, s17
	s_fmamk_f32 s16, s17, 0xcf800000, s16
	s_cvt_u32_f32 s17, s17
	s_delay_alu instid0(SALU_CYCLE_2) | instskip(NEXT) | instid1(SALU_CYCLE_3)
	s_cvt_u32_f32 s16, s16
	s_mul_u64 s[96:97], s[62:63], s[16:17]
	s_delay_alu instid0(SALU_CYCLE_1)
	s_mul_hi_u32 s99, s16, s97
	s_mul_i32 s98, s16, s97
	s_mul_hi_u32 s28, s16, s96
	s_mul_i32 s66, s17, s96
	s_add_nc_u64 s[98:99], s[28:29], s[98:99]
	s_mul_hi_u32 s65, s17, s96
	s_mul_hi_u32 s67, s17, s97
	s_add_co_u32 s28, s98, s66
	s_add_co_ci_u32 s28, s99, s65
	s_mul_i32 s96, s17, s97
	s_add_co_ci_u32 s97, s67, 0
	s_delay_alu instid0(SALU_CYCLE_1) | instskip(NEXT) | instid1(SALU_CYCLE_1)
	s_add_nc_u64 s[96:97], s[28:29], s[96:97]
	s_add_co_u32 s16, s16, s96
	s_cselect_b32 s28, -1, 0
	s_delay_alu instid0(SALU_CYCLE_1) | instskip(SKIP_1) | instid1(SALU_CYCLE_1)
	s_cmp_lg_u32 s28, 0
	s_add_co_ci_u32 s17, s17, s97
	s_mul_u64 s[62:63], s[62:63], s[16:17]
	s_delay_alu instid0(SALU_CYCLE_1)
	s_mul_hi_u32 s97, s16, s63
	s_mul_i32 s96, s16, s63
	s_mul_hi_u32 s28, s16, s62
	s_mul_i32 s66, s17, s62
	s_add_nc_u64 s[96:97], s[28:29], s[96:97]
	s_mul_hi_u32 s65, s17, s62
	s_mul_hi_u32 s67, s17, s63
	s_add_co_u32 s28, s96, s66
	s_add_co_ci_u32 s28, s97, s65
	s_mul_i32 s62, s17, s63
	s_add_co_ci_u32 s63, s67, 0
	s_delay_alu instid0(SALU_CYCLE_1) | instskip(NEXT) | instid1(SALU_CYCLE_1)
	s_add_nc_u64 s[62:63], s[28:29], s[62:63]
	s_add_co_u32 s16, s16, s62
	s_cselect_b32 s62, -1, 0
	s_mul_hi_u32 s28, s14, s16
	s_cmp_lg_u32 s62, 0
	s_mul_hi_u32 s65, s15, s16
	s_add_co_ci_u32 s62, s17, s63
	s_mul_i32 s63, s15, s16
	s_mul_hi_u32 s17, s14, s62
	s_mul_i32 s16, s14, s62
	s_mul_hi_u32 s66, s15, s62
	s_add_nc_u64 s[16:17], s[28:29], s[16:17]
	s_mul_i32 s62, s15, s62
	s_add_co_u32 s16, s16, s63
	s_add_co_ci_u32 s28, s17, s65
	s_add_co_ci_u32 s63, s66, 0
	s_delay_alu instid0(SALU_CYCLE_1) | instskip(NEXT) | instid1(SALU_CYCLE_1)
	s_add_nc_u64 s[16:17], s[28:29], s[62:63]
	s_and_b64 s[62:63], s[16:17], 0xffffffff00000000
	s_delay_alu instid0(SALU_CYCLE_1) | instskip(NEXT) | instid1(SALU_CYCLE_1)
	s_or_b32 s62, s62, s16
	s_mul_u64 s[16:17], s[56:57], s[62:63]
	s_delay_alu instid0(SALU_CYCLE_1) | instskip(SKIP_1) | instid1(SALU_CYCLE_1)
	s_sub_co_u32 s16, s14, s16
	s_cselect_b32 s28, -1, 0
	s_cmp_lg_u32 s28, 0
	s_sub_co_ci_u32 s17, s15, s17
	s_sub_co_u32 s28, s16, s56
	s_cselect_b32 s62, -1, 0
	s_delay_alu instid0(SALU_CYCLE_1) | instskip(SKIP_3) | instid1(SALU_CYCLE_1)
	s_cmp_lg_u32 s62, 0
	s_sub_co_ci_u32 s62, s17, 0
	s_sub_co_u32 s63, s28, s56
	s_cselect_b32 s65, -1, 0
	s_cmp_lg_u32 s65, 0
	s_sub_co_ci_u32 s65, s62, 0
	s_cmp_ge_u32 s28, s56
	s_cselect_b32 s66, -1, 0
	s_cmp_eq_u32 s62, 0
	s_cselect_b32 s66, s66, -1
	s_delay_alu instid0(SALU_CYCLE_1)
	s_cmp_lg_u32 s66, 0
	s_cselect_b32 s62, s65, s62
	s_cselect_b32 s28, s63, s28
	s_cmp_ge_u32 s16, s56
	s_cselect_b32 s63, -1, 0
	s_cmp_eq_u32 s17, 0
	s_cselect_b32 s63, s63, -1
	s_delay_alu instid0(SALU_CYCLE_1)
	s_cmp_lg_u32 s63, 0
	s_cselect_b32 s17, s62, s17
	s_cselect_b32 s16, s28, s16
	s_mov_b32 s28, 0
	s_branch .LBB210_441
.LBB210_438:                            ;   in Loop: Header=BB210_18 Depth=1
                                        ; implicit-def: $sgpr18_sgpr19
	s_branch .LBB210_391
.LBB210_439:                            ;   in Loop: Header=BB210_18 Depth=1
                                        ; implicit-def: $sgpr10_sgpr11
	s_branch .LBB210_408
.LBB210_440:                            ;   in Loop: Header=BB210_18 Depth=1
	s_mov_b32 s28, -1
                                        ; implicit-def: $sgpr16_sgpr17
.LBB210_441:                            ;   in Loop: Header=BB210_18 Depth=1
	s_delay_alu instid0(SALU_CYCLE_1)
	s_and_not1_b32 vcc_lo, exec_lo, s28
	s_cbranch_vccnz .LBB210_443
; %bb.442:                              ;   in Loop: Header=BB210_18 Depth=1
	v_cvt_f32_u32_e32 v6, s56
	s_sub_co_i32 s17, 0, s56
	s_delay_alu instid0(VALU_DEP_1) | instskip(SKIP_1) | instid1(TRANS32_DEP_1)
	v_rcp_iflag_f32_e32 v6, v6
	v_nop
	v_mul_f32_e32 v6, 0x4f7ffffe, v6
	s_delay_alu instid0(VALU_DEP_1) | instskip(NEXT) | instid1(VALU_DEP_1)
	v_cvt_u32_f32_e32 v6, v6
	v_readfirstlane_b32 s16, v6
	s_mul_i32 s17, s17, s16
	s_delay_alu instid0(SALU_CYCLE_1) | instskip(NEXT) | instid1(SALU_CYCLE_1)
	s_mul_hi_u32 s17, s16, s17
	s_add_co_i32 s16, s16, s17
	s_delay_alu instid0(SALU_CYCLE_1) | instskip(NEXT) | instid1(SALU_CYCLE_1)
	s_mul_hi_u32 s16, s14, s16
	s_mul_i32 s16, s16, s56
	s_delay_alu instid0(SALU_CYCLE_1) | instskip(NEXT) | instid1(SALU_CYCLE_1)
	s_sub_co_i32 s16, s14, s16
	s_sub_co_i32 s17, s16, s56
	s_cmp_ge_u32 s16, s56
	s_cselect_b32 s16, s17, s16
	s_delay_alu instid0(SALU_CYCLE_1) | instskip(SKIP_2) | instid1(SALU_CYCLE_1)
	s_sub_co_i32 s17, s16, s56
	s_cmp_ge_u32 s16, s56
	s_cselect_b32 s28, s17, s16
	s_mov_b64 s[16:17], s[28:29]
.LBB210_443:                            ;   in Loop: Header=BB210_18 Depth=1
	s_delay_alu instid0(SALU_CYCLE_1)
	s_sub_nc_u64 s[14:15], s[14:15], s[16:17]
	s_mov_b32 s17, 0
	s_mov_b32 s16, 0
	s_mov_b32 s28, exec_lo
                                        ; implicit-def: $vgpr36
	v_cmpx_gt_u64_e64 s[14:15], v[0:1]
	s_cbranch_execz .LBB210_453
; %bb.444:                              ;   in Loop: Header=BB210_18 Depth=1
	v_mov_b64_e32 v[6:7], v[0:1]
	v_mov_b32_e32 v8, v28
                                        ; implicit-def: $sgpr62
	s_branch .LBB210_448
.LBB210_445:                            ;   in Loop: Header=BB210_448 Depth=2
	s_or_b32 exec_lo, exec_lo, s63
	s_wait_dscnt 0x0
	s_barrier_signal -1
	s_barrier_wait -1
	ds_load_b32 v9, v3 offset:3072
	s_wait_dscnt 0x0
	s_barrier_signal -1
	s_barrier_wait -1
	v_cmp_neq_f16_e32 vcc_lo, 0, v9
	s_cbranch_vccnz .LBB210_451
; %bb.446:                              ;   in Loop: Header=BB210_448 Depth=2
	v_add_nc_u64_e32 v[6:7], s[56:57], v[6:7]
	v_add_nc_u32_e32 v8, s71, v8
	s_mov_b32 s63, 0
	s_delay_alu instid0(VALU_DEP_2)
	v_cmp_le_u64_e32 vcc_lo, s[14:15], v[6:7]
	s_or_not1_b32 s65, vcc_lo, exec_lo
.LBB210_447:                            ;   in Loop: Header=BB210_448 Depth=2
	s_delay_alu instid0(SALU_CYCLE_1) | instskip(NEXT) | instid1(SALU_CYCLE_1)
	s_and_b32 s3, exec_lo, s65
	s_or_b32 s16, s3, s16
	s_and_not1_b32 s3, s62, exec_lo
	s_and_b32 s40, s63, exec_lo
	s_delay_alu instid0(SALU_CYCLE_1)
	s_or_b32 s62, s3, s40
	s_and_not1_b32 exec_lo, exec_lo, s16
	s_cbranch_execz .LBB210_452
.LBB210_448:                            ;   Parent Loop BB210_18 Depth=1
                                        ; =>  This Inner Loop Header: Depth=2
	s_mov_b32 s63, exec_lo
	s_delay_alu instid0(VALU_DEP_2)
	v_cmpx_gt_u64_e64 s[10:11], v[6:7]
	s_cbranch_execz .LBB210_445
; %bb.449:                              ;   in Loop: Header=BB210_448 Depth=2
	ds_load_u16 v9, v8
	s_wait_dscnt 0x0
	v_cmp_lt_i16_e32 vcc_lo, -1, v9
	v_and_b32_e32 v10, 0xffff, v9
	v_cndmask_b32_e32 v11, 0xffff, v34, vcc_lo
	v_cmp_o_f16_e32 vcc_lo, v9, v9
	s_delay_alu instid0(VALU_DEP_2) | instskip(NEXT) | instid1(VALU_DEP_1)
	v_xor_b32_e32 v10, v11, v10
	v_cndmask_b32_e32 v10, 0xffff, v10, vcc_lo
	s_delay_alu instid0(VALU_DEP_1) | instskip(NEXT) | instid1(VALU_DEP_1)
	v_and_b32_e32 v10, v10, v35
	v_cmp_eq_u32_e32 vcc_lo, v10, v31
	s_and_b32 exec_lo, exec_lo, vcc_lo
	s_cbranch_execz .LBB210_445
; %bb.450:                              ;   in Loop: Header=BB210_448 Depth=2
	v_perm_b32 v9, v9, s73, 0x5040100
	ds_store_b32 v3, v9 offset:3072
	s_branch .LBB210_445
.LBB210_451:                            ;   in Loop: Header=BB210_448 Depth=2
	s_mov_b32 s65, -1
	s_mov_b32 s63, -1
                                        ; implicit-def: $vgpr6_vgpr7
                                        ; implicit-def: $vgpr8
	s_branch .LBB210_447
.LBB210_452:                            ;   in Loop: Header=BB210_18 Depth=1
	s_or_b32 exec_lo, exec_lo, s16
	v_lshrrev_b32_e32 v36, 16, v9
	s_and_b32 s16, s62, exec_lo
.LBB210_453:                            ;   in Loop: Header=BB210_18 Depth=1
	s_or_b32 exec_lo, exec_lo, s28
.LBB210_454:                            ;   in Loop: Header=BB210_18 Depth=1
	s_delay_alu instid0(SALU_CYCLE_1)
	s_and_b32 vcc_lo, exec_lo, s17
	s_cbranch_vccz .LBB210_471
; %bb.455:                              ;   in Loop: Header=BB210_18 Depth=1
	s_and_b64 s[10:11], s[76:77], 0xffffffff00000000
	s_delay_alu instid0(SALU_CYCLE_1)
	s_cmp_lg_u64 s[10:11], 0
	s_cbranch_scc0 .LBB210_457
; %bb.456:                              ;   in Loop: Header=BB210_18 Depth=1
	s_cvt_f32_u32 s10, s56
	s_sub_nc_u64 s[14:15], 0, s[56:57]
	s_delay_alu instid0(SALU_CYCLE_2) | instskip(NEXT) | instid1(SALU_CYCLE_3)
	s_fmamk_f32 s10, s72, 0x0, s10
	v_s_rcp_f32 s10, s10
	s_delay_alu instid0(TRANS32_DEP_1) | instskip(NEXT) | instid1(SALU_CYCLE_3)
	s_mul_f32 s10, s10, 0x5f7ffffc
	s_mul_f32 s11, s10, 0x2f800000
	s_delay_alu instid0(SALU_CYCLE_3) | instskip(NEXT) | instid1(SALU_CYCLE_3)
	s_trunc_f32 s11, s11
	s_fmamk_f32 s10, s11, 0xcf800000, s10
	s_cvt_u32_f32 s11, s11
	s_delay_alu instid0(SALU_CYCLE_2) | instskip(NEXT) | instid1(SALU_CYCLE_3)
	s_cvt_u32_f32 s10, s10
	s_mul_u64 s[62:63], s[14:15], s[10:11]
	s_delay_alu instid0(SALU_CYCLE_1)
	s_mul_hi_u32 s65, s10, s63
	s_mul_i32 s64, s10, s63
	s_mul_hi_u32 s28, s10, s62
	s_mul_i32 s66, s11, s62
	s_add_nc_u64 s[64:65], s[28:29], s[64:65]
	s_mul_hi_u32 s17, s11, s62
	s_mul_hi_u32 s67, s11, s63
	s_add_co_u32 s28, s64, s66
	s_add_co_ci_u32 s28, s65, s17
	s_mul_i32 s62, s11, s63
	s_add_co_ci_u32 s63, s67, 0
	s_delay_alu instid0(SALU_CYCLE_1) | instskip(NEXT) | instid1(SALU_CYCLE_1)
	s_add_nc_u64 s[62:63], s[28:29], s[62:63]
	s_add_co_u32 s10, s10, s62
	s_cselect_b32 s17, -1, 0
	s_delay_alu instid0(SALU_CYCLE_1) | instskip(SKIP_1) | instid1(SALU_CYCLE_1)
	s_cmp_lg_u32 s17, 0
	s_add_co_ci_u32 s11, s11, s63
	s_mul_u64 s[14:15], s[14:15], s[10:11]
	s_delay_alu instid0(SALU_CYCLE_1)
	s_mul_hi_u32 s63, s10, s15
	s_mul_i32 s62, s10, s15
	s_mul_hi_u32 s28, s10, s14
	s_mul_i32 s64, s11, s14
	s_add_nc_u64 s[62:63], s[28:29], s[62:63]
	s_mul_hi_u32 s17, s11, s14
	s_mul_hi_u32 s65, s11, s15
	s_mul_i32 s14, s11, s15
	s_add_co_u32 s15, s62, s64
	s_add_co_ci_u32 s28, s63, s17
	s_add_co_ci_u32 s15, s65, 0
	s_delay_alu instid0(SALU_CYCLE_1) | instskip(NEXT) | instid1(SALU_CYCLE_1)
	s_add_nc_u64 s[14:15], s[28:29], s[14:15]
	s_add_co_u32 s10, s10, s14
	s_cselect_b32 s14, -1, 0
	s_mul_hi_u32 s28, s76, s10
	s_cmp_lg_u32 s14, 0
	s_mul_hi_u32 s17, s77, s10
	s_add_co_ci_u32 s14, s11, s15
	s_mul_i32 s15, s77, s10
	s_mul_hi_u32 s11, s76, s14
	s_mul_i32 s10, s76, s14
	s_mul_hi_u32 s62, s77, s14
	s_add_nc_u64 s[10:11], s[28:29], s[10:11]
	s_mul_i32 s14, s77, s14
	s_add_co_u32 s10, s10, s15
	s_add_co_ci_u32 s28, s11, s17
	s_add_co_ci_u32 s15, s62, 0
	s_delay_alu instid0(SALU_CYCLE_1) | instskip(NEXT) | instid1(SALU_CYCLE_1)
	s_add_nc_u64 s[10:11], s[28:29], s[14:15]
	s_and_b64 s[14:15], s[10:11], 0xffffffff00000000
	s_delay_alu instid0(SALU_CYCLE_1) | instskip(NEXT) | instid1(SALU_CYCLE_1)
	s_or_b32 s14, s14, s10
	s_mul_u64 s[10:11], s[56:57], s[14:15]
	s_delay_alu instid0(SALU_CYCLE_1) | instskip(SKIP_1) | instid1(SALU_CYCLE_1)
	s_sub_co_u32 s10, s76, s10
	s_cselect_b32 s14, -1, 0
	s_cmp_lg_u32 s14, 0
	s_sub_co_ci_u32 s11, s77, s11
	s_sub_co_u32 s14, s10, s56
	s_cselect_b32 s15, -1, 0
	s_delay_alu instid0(SALU_CYCLE_1) | instskip(SKIP_3) | instid1(SALU_CYCLE_1)
	s_cmp_lg_u32 s15, 0
	s_sub_co_ci_u32 s15, s11, 0
	s_sub_co_u32 s17, s14, s56
	s_cselect_b32 s28, -1, 0
	s_cmp_lg_u32 s28, 0
	s_sub_co_ci_u32 s28, s15, 0
	s_cmp_ge_u32 s14, s56
	s_cselect_b32 s62, -1, 0
	s_cmp_eq_u32 s15, 0
	s_cselect_b32 s62, s62, -1
	s_delay_alu instid0(SALU_CYCLE_1)
	s_cmp_lg_u32 s62, 0
	s_cselect_b32 s15, s28, s15
	s_cselect_b32 s14, s17, s14
	s_cmp_ge_u32 s10, s56
	s_cselect_b32 s17, -1, 0
	s_cmp_eq_u32 s11, 0
	s_cselect_b32 s17, s17, -1
	s_delay_alu instid0(SALU_CYCLE_1)
	s_cmp_lg_u32 s17, 0
	s_cselect_b32 s11, s15, s11
	s_cselect_b32 s10, s14, s10
	s_mov_b32 s14, 0
	s_branch .LBB210_458
.LBB210_457:                            ;   in Loop: Header=BB210_18 Depth=1
	s_mov_b32 s14, -1
                                        ; implicit-def: $sgpr10_sgpr11
.LBB210_458:                            ;   in Loop: Header=BB210_18 Depth=1
	s_delay_alu instid0(SALU_CYCLE_1)
	s_and_not1_b32 vcc_lo, exec_lo, s14
	s_cbranch_vccnz .LBB210_460
; %bb.459:                              ;   in Loop: Header=BB210_18 Depth=1
	v_cvt_f32_u32_e32 v6, s56
	s_sub_co_i32 s11, 0, s56
	s_delay_alu instid0(VALU_DEP_1) | instskip(SKIP_1) | instid1(TRANS32_DEP_1)
	v_rcp_iflag_f32_e32 v6, v6
	v_nop
	v_mul_f32_e32 v6, 0x4f7ffffe, v6
	s_delay_alu instid0(VALU_DEP_1) | instskip(NEXT) | instid1(VALU_DEP_1)
	v_cvt_u32_f32_e32 v6, v6
	v_readfirstlane_b32 s10, v6
	s_mul_i32 s11, s11, s10
	s_delay_alu instid0(SALU_CYCLE_1) | instskip(NEXT) | instid1(SALU_CYCLE_1)
	s_mul_hi_u32 s11, s10, s11
	s_add_co_i32 s10, s10, s11
	s_delay_alu instid0(SALU_CYCLE_1) | instskip(NEXT) | instid1(SALU_CYCLE_1)
	s_mul_hi_u32 s10, s76, s10
	s_mul_i32 s10, s10, s56
	s_delay_alu instid0(SALU_CYCLE_1) | instskip(NEXT) | instid1(SALU_CYCLE_1)
	s_sub_co_i32 s10, s76, s10
	s_sub_co_i32 s11, s10, s56
	s_cmp_ge_u32 s10, s56
	s_cselect_b32 s10, s11, s10
	s_delay_alu instid0(SALU_CYCLE_1) | instskip(SKIP_2) | instid1(SALU_CYCLE_1)
	s_sub_co_i32 s11, s10, s56
	s_cmp_ge_u32 s10, s56
	s_cselect_b32 s28, s11, s10
	s_mov_b64 s[10:11], s[28:29]
.LBB210_460:                            ;   in Loop: Header=BB210_18 Depth=1
	s_delay_alu instid0(SALU_CYCLE_1)
	s_sub_nc_u64 s[10:11], s[76:77], s[10:11]
	s_mov_b32 s14, exec_lo
                                        ; implicit-def: $vgpr36
	v_nop
	v_cmpx_gt_u64_e64 s[10:11], v[0:1]
	s_cbranch_execz .LBB210_470
; %bb.461:                              ;   in Loop: Header=BB210_18 Depth=1
	v_mov_b64_e32 v[6:7], v[0:1]
	s_mov_b32 s15, 0
                                        ; implicit-def: $sgpr17
	s_branch .LBB210_465
.LBB210_462:                            ;   in Loop: Header=BB210_465 Depth=2
	s_or_b32 exec_lo, exec_lo, s28
	s_wait_dscnt 0x0
	s_barrier_signal -1
	s_barrier_wait -1
	ds_load_b32 v8, v3 offset:3072
	s_wait_dscnt 0x0
	s_barrier_signal -1
	s_barrier_wait -1
	v_cmp_eq_f16_e32 vcc_lo, 0, v8
	s_cbranch_vccz .LBB210_468
; %bb.463:                              ;   in Loop: Header=BB210_465 Depth=2
	v_add_nc_u64_e32 v[6:7], s[56:57], v[6:7]
	s_mov_b32 s28, 0
	s_delay_alu instid0(VALU_DEP_1)
	v_cmp_le_u64_e32 vcc_lo, s[10:11], v[6:7]
	s_or_not1_b32 s62, vcc_lo, exec_lo
.LBB210_464:                            ;   in Loop: Header=BB210_465 Depth=2
	s_delay_alu instid0(SALU_CYCLE_1) | instskip(NEXT) | instid1(SALU_CYCLE_1)
	s_and_b32 s3, exec_lo, s62
	s_or_b32 s15, s3, s15
	s_and_not1_b32 s3, s17, exec_lo
	s_and_b32 s17, s28, exec_lo
	s_delay_alu instid0(SALU_CYCLE_1)
	s_or_b32 s17, s3, s17
	s_and_not1_b32 exec_lo, exec_lo, s15
	s_cbranch_execz .LBB210_469
.LBB210_465:                            ;   Parent Loop BB210_18 Depth=1
                                        ; =>  This Inner Loop Header: Depth=2
	s_mov_b32 s28, exec_lo
	s_delay_alu instid0(VALU_DEP_1)
	v_cmpx_gt_u64_e64 s[36:37], v[6:7]
	s_cbranch_execz .LBB210_462
; %bb.466:                              ;   in Loop: Header=BB210_465 Depth=2
	v_mul_u64_e32 v[8:9], s[30:31], v[6:7]
	s_delay_alu instid0(VALU_DEP_1)
	v_lshl_add_u64 v[8:9], v[8:9], 1, s[34:35]
	global_load_u16 v8, v[8:9], off
	s_wait_loadcnt 0x0
	v_cmp_lt_i16_e32 vcc_lo, -1, v8
	v_and_b32_e32 v9, 0xffff, v8
	v_cndmask_b32_e32 v10, 0xffff, v34, vcc_lo
	v_cmp_o_f16_e32 vcc_lo, v8, v8
	s_delay_alu instid0(VALU_DEP_2) | instskip(NEXT) | instid1(VALU_DEP_1)
	v_xor_b32_e32 v9, v10, v9
	v_cndmask_b32_e32 v9, 0xffff, v9, vcc_lo
	s_delay_alu instid0(VALU_DEP_1) | instskip(NEXT) | instid1(VALU_DEP_1)
	v_and_b32_e32 v9, v9, v35
	v_cmp_eq_u32_e32 vcc_lo, v9, v31
	s_and_b32 exec_lo, exec_lo, vcc_lo
	s_cbranch_execz .LBB210_462
; %bb.467:                              ;   in Loop: Header=BB210_465 Depth=2
	v_perm_b32 v8, v8, s73, 0x5040100
	ds_store_b32 v3, v8 offset:3072
	s_branch .LBB210_462
.LBB210_468:                            ;   in Loop: Header=BB210_465 Depth=2
	s_mov_b32 s62, -1
	s_mov_b32 s28, -1
                                        ; implicit-def: $vgpr6_vgpr7
	s_branch .LBB210_464
.LBB210_469:                            ;   in Loop: Header=BB210_18 Depth=1
	s_or_b32 exec_lo, exec_lo, s15
	v_lshrrev_b32_e32 v36, 16, v8
	s_and_not1_b32 s3, s16, exec_lo
	s_and_b32 s10, s17, exec_lo
	s_delay_alu instid0(SALU_CYCLE_1)
	s_or_b32 s16, s3, s10
.LBB210_470:                            ;   in Loop: Header=BB210_18 Depth=1
	s_or_b32 exec_lo, exec_lo, s14
	s_mov_b32 s95, 0
	s_mov_b32 s64, -1
.LBB210_471:                            ;   in Loop: Header=BB210_18 Depth=1
	s_or_not1_b32 s11, s16, exec_lo
.LBB210_472:                            ;   in Loop: Header=BB210_18 Depth=1
	s_or_b32 exec_lo, exec_lo, s94
	s_mov_b32 s14, 0
	s_and_saveexec_b32 s10, s11
	s_cbranch_execz .LBB210_483
; %bb.473:                              ;   in Loop: Header=BB210_18 Depth=1
	v_mov_b64_e32 v[6:7], 1
	v_mov_b32_e32 v2, 1
	s_xor_b32 s14, s93, -1
	s_delay_alu instid0(SALU_CYCLE_1)
	s_and_saveexec_b32 s11, s14
	s_cbranch_execz .LBB210_482
; %bb.474:                              ;   in Loop: Header=BB210_18 Depth=1
	s_mov_b32 s14, exec_lo
	v_cmpx_ge_u64_e64 s[12:13], v[4:5]
	s_xor_b32 s14, exec_lo, s14
	s_cbranch_execz .LBB210_479
; %bb.475:                              ;   in Loop: Header=BB210_18 Depth=1
	ds_load_b64 v[6:7], v3 offset:5120
	v_and_b32_e32 v31, s25, v31
	v_or_b32_e32 v35, s24, v35
	s_wait_dscnt 0x0
	v_cmp_ne_u64_e32 vcc_lo, 0, v[6:7]
	s_cbranch_vccnz .LBB210_479
; %bb.476:                              ;   in Loop: Header=BB210_18 Depth=1
	s_and_saveexec_b32 s15, s5
; %bb.477:                              ;   in Loop: Header=BB210_18 Depth=1
	v_mov_b64_e32 v[6:7], s[12:13]
	ds_store_b64 v3, v[6:7] offset:5128
; %bb.478:                              ;   in Loop: Header=BB210_18 Depth=1
	s_or_b32 exec_lo, exec_lo, s15
	s_wait_dscnt 0x0
	s_barrier_signal -1
	s_barrier_wait -1
.LBB210_479:                            ;   in Loop: Header=BB210_18 Depth=1
	s_and_not1_saveexec_b32 s14, s14
; %bb.480:                              ;   in Loop: Header=BB210_18 Depth=1
	v_sub_nc_u64_e64 v[4:5], v[4:5], s[12:13]
; %bb.481:                              ;   in Loop: Header=BB210_18 Depth=1
	s_or_b32 exec_lo, exec_lo, s14
	s_delay_alu instid0(VALU_DEP_1)
	v_mov_b64_e32 v[6:7], v[4:5]
	v_mov_b32_e32 v2, 5
.LBB210_482:                            ;   in Loop: Header=BB210_18 Depth=1
	s_or_b32 exec_lo, exec_lo, s11
	s_delay_alu instid0(VALU_DEP_2)
	v_mov_b64_e32 v[4:5], v[6:7]
	s_mov_b32 s14, exec_lo
.LBB210_483:                            ;   in Loop: Header=BB210_18 Depth=1
	s_or_b32 exec_lo, exec_lo, s10
	s_delay_alu instid0(SALU_CYCLE_1)
	s_or_not1_b32 s10, s14, exec_lo
.LBB210_484:                            ;   in Loop: Header=BB210_18 Depth=1
	s_or_b32 exec_lo, exec_lo, s19
	s_delay_alu instid0(SALU_CYCLE_1)
	s_and_not1_b32 s11, s92, exec_lo
	s_and_b32 s12, s64, exec_lo
	s_and_not1_b32 s13, s90, exec_lo
	s_and_b32 s14, s95, exec_lo
	v_mov_b64_e32 v[6:7], v[4:5]
	s_or_b32 s92, s11, s12
	s_or_b32 s90, s13, s14
	s_and_b32 s11, s10, exec_lo
.LBB210_485:                            ;   in Loop: Header=BB210_18 Depth=1
	s_or_b32 exec_lo, exec_lo, s18
	s_delay_alu instid0(SALU_CYCLE_1)
	s_or_not1_b32 s10, s11, exec_lo
.LBB210_486:                            ;   in Loop: Header=BB210_18 Depth=1
	s_or_b32 exec_lo, exec_lo, s21
	s_delay_alu instid0(SALU_CYCLE_1)
	s_and_not1_b32 s11, s89, exec_lo
	s_and_b32 s12, s92, exec_lo
	s_and_not1_b32 s13, s23, exec_lo
	s_and_b32 s14, s90, exec_lo
	v_mov_b64_e32 v[4:5], v[6:7]
	s_or_b32 s89, s11, s12
	s_or_b32 s23, s13, s14
	s_and_b32 s11, s10, exec_lo
.LBB210_487:                            ;   in Loop: Header=BB210_18 Depth=1
	s_or_b32 exec_lo, exec_lo, s20
	s_delay_alu instid0(SALU_CYCLE_1)
	s_or_not1_b32 s10, s11, exec_lo
.LBB210_488:                            ;   in Loop: Header=BB210_18 Depth=1
	s_or_b32 exec_lo, exec_lo, s9
	s_mov_b32 s9, s88
	s_mov_b32 s11, s27
	s_and_saveexec_b32 s12, s10
; %bb.489:                              ;   in Loop: Header=BB210_18 Depth=1
	v_cmp_ne_u32_e32 vcc_lo, 5, v2
	v_cmp_eq_u32_e64 s9, 5, v2
	s_and_not1_b32 s10, s27, exec_lo
	s_and_not1_b32 s13, s88, exec_lo
	s_and_b32 s11, vcc_lo, exec_lo
	s_and_b32 s9, s9, exec_lo
	s_or_b32 s11, s10, s11
	s_or_b32 s9, s13, s9
; %bb.490:                              ;   in Loop: Header=BB210_18 Depth=1
	s_or_b32 exec_lo, exec_lo, s12
	s_delay_alu instid0(SALU_CYCLE_1)
	s_and_not1_b32 s3, s91, exec_lo
	s_and_b32 s10, s89, exec_lo
	s_and_not1_b32 s12, s26, exec_lo
	s_and_b32 s13, s23, exec_lo
	s_or_b32 s91, s3, s10
	s_and_not1_b32 s3, s27, exec_lo
	s_and_b32 s10, s11, exec_lo
	s_and_not1_b32 s11, s88, exec_lo
	s_and_b32 s9, s9, exec_lo
	s_or_b32 s26, s12, s13
	s_or_b32 s27, s3, s10
	;; [unrolled: 1-line block ×3, first 2 shown]
.LBB210_491:                            ;   in Loop: Header=BB210_18 Depth=1
	s_or_b32 exec_lo, exec_lo, s22
	s_mov_b32 s89, 0
	s_mov_b32 s90, 0
	s_and_saveexec_b32 s9, s88
.LBB210_492:                            ;   in Loop: Header=BB210_18 Depth=1
	v_mov_b32_e32 v2, 0
	s_or_b32 s27, s27, exec_lo
.LBB210_493:                            ;   in Loop: Header=BB210_18 Depth=1
	s_or_b32 exec_lo, exec_lo, s9
	v_mov_b64_e32 v[22:23], v[4:5]
	s_and_not1_b32 s3, s60, exec_lo
	s_and_b32 s9, s91, exec_lo
	s_and_not1_b32 s8, s8, exec_lo
	s_and_b32 s11, s26, exec_lo
	s_or_b32 s60, s3, s9
	s_or_b32 s8, s8, s11
	s_and_not1_b32 s3, s7, exec_lo
	s_and_b32 s7, s90, exec_lo
	s_and_not1_b32 s9, s61, exec_lo
	s_and_b32 s11, s89, exec_lo
	s_mov_b32 s10, -1
	s_and_not1_b32 s4, s4, exec_lo
	s_or_b32 s7, s3, s7
	s_or_b32 s61, s9, s11
	s_and_saveexec_b32 s3, s27
	s_delay_alu instid0(SALU_CYCLE_1)
	s_xor_b32 s9, exec_lo, s3
	s_cbranch_execz .LBB210_17
; %bb.494:                              ;   in Loop: Header=BB210_18 Depth=1
	s_mov_b32 s11, -1
	s_mov_b32 s12, exec_lo
	v_cmpx_eq_u32_e32 0, v2
	s_cbranch_execz .LBB210_16
; %bb.495:                              ;   in Loop: Header=BB210_18 Depth=1
	s_xor_b32 s51, s51, 1
	s_add_co_i32 s13, s48, -2
	s_cmp_eq_u32 s48, 0
	s_mov_b32 s48, s13
	s_cselect_b32 s10, -1, 0
	s_xor_b32 s11, exec_lo, -1
	s_or_not1_b32 s10, s10, exec_lo
	s_branch .LBB210_16
.LBB210_496:
	s_or_b32 exec_lo, exec_lo, s49
	s_xor_b32 s7, s55, -1
	s_xor_b32 s9, s53, -1
	;; [unrolled: 1-line block ×5, first 2 shown]
	s_mov_b32 s8, 0
	s_and_saveexec_b32 s4, s3
	s_delay_alu instid0(SALU_CYCLE_1)
	s_xor_b32 s4, exec_lo, s4
	s_cbranch_execnz .LBB210_501
; %bb.497:
	s_and_not1_saveexec_b32 s0, s4
	s_cbranch_execnz .LBB210_520
.LBB210_498:
	s_or_b32 exec_lo, exec_lo, s0
	s_and_saveexec_b32 s0, s8
.LBB210_499:
	; divergent unreachable
.LBB210_500:
	s_endpgm
.LBB210_501:
	s_and_saveexec_b32 s3, s10
	s_delay_alu instid0(SALU_CYCLE_1)
	s_xor_b32 s16, exec_lo, s3
	s_cbranch_execz .LBB210_518
; %bb.502:
	s_and_saveexec_b32 s3, s9
	s_delay_alu instid0(SALU_CYCLE_1)
	s_xor_b32 s17, exec_lo, s3
	s_cbranch_execz .LBB210_516
; %bb.503:
	;; [unrolled: 5-line block ×3, first 2 shown]
	s_and_saveexec_b32 s3, s6
	s_delay_alu instid0(SALU_CYCLE_1)
	s_xor_b32 s6, exec_lo, s3
; %bb.505:
	v_and_b32_e32 v2, 0x8000, v31
	v_mov_b32_e32 v3, 0xffff
	s_delay_alu instid0(VALU_DEP_2) | instskip(NEXT) | instid1(VALU_DEP_2)
	v_cmp_eq_u32_e32 vcc_lo, 0, v2
	v_cndmask_b32_e32 v2, 0x8000, v3, vcc_lo
	s_delay_alu instid0(VALU_DEP_1)
	v_xor_b32_e32 v36, v2, v31
; %bb.506:
	s_or_b32 exec_lo, exec_lo, s6
	s_and_saveexec_b32 s6, s5
	v_readlane_b32 s8, v46, 14
	v_readlane_b32 s9, v46, 15
; %bb.507:
	v_mov_b64_e32 v[2:3], 0
	v_mov_b32_e32 v4, 0
	ds_store_b64 v4, v[2:3] offset:5136
; %bb.508:
	s_or_b32 exec_lo, exec_lo, s6
	v_mov_b32_e32 v16, 0
	s_wait_dscnt 0x0
	s_barrier_signal -1
	s_barrier_wait -1
	s_and_saveexec_b32 s5, s43
	s_cbranch_execz .LBB210_510
; %bb.509:
	global_load_u16 v16, v[14:15], off
.LBB210_510:
	s_wait_xcnt 0x0
	s_or_b32 exec_lo, exec_lo, s5
	s_clause 0x2
	s_load_b64 s[12:13], s[0:1], 0x450
	s_load_b64 s[6:7], s[0:1], 0x510
	s_load_b128 s[24:27], s[0:1], 0x1d8
	v_readlane_b32 s28, v46, 0
	v_readlane_b32 s48, v46, 10
	;; [unrolled: 1-line block ×4, first 2 shown]
	s_add_nc_u64 s[10:11], s[36:37], 31
	s_mov_b64 s[14:15], 0xffffffffffffffe0
	s_mul_u64 s[22:23], s[8:9], s[46:47]
	v_readlane_b32 s40, v46, 2
	v_readlane_b32 s41, v46, 3
	s_and_b64 s[10:11], s[10:11], s[14:15]
	s_sub_nc_u64 s[14:15], s[58:59], s[22:23]
	s_mov_b64 s[46:47], s[8:9]
	s_load_b64 s[8:9], s[0:1], 0x368
	v_mov_b32_e32 v17, 0x8000
	v_cmp_lt_i16_e32 vcc_lo, -1, v36
	v_readlane_b32 s50, v46, 12
	v_readlane_b32 s51, v46, 13
	s_wait_kmcnt 0x0
	s_mul_u64 s[12:13], s[14:15], s[12:13]
	s_mul_u64 s[14:15], s[28:29], s[48:49]
	;; [unrolled: 1-line block ×3, first 2 shown]
	v_readlane_b32 s28, v46, 8
	v_readlane_b32 s29, v46, 9
	s_mul_u64 s[22:23], s[40:41], s[26:27]
	v_readlane_b32 s26, v46, 16
	v_readlane_b32 s27, v46, 17
	s_sub_nc_u64 s[22:23], s[58:59], s[22:23]
	s_sub_nc_u64 s[0:1], s[40:41], s[24:25]
	s_mul_u64 s[22:23], s[22:23], s[28:29]
	v_readlane_b32 s28, v46, 20
	v_readlane_b32 s29, v46, 21
	s_mul_u64 s[24:25], s[26:27], s[44:45]
	v_and_b32_e32 v2, 0xffff, v36
	v_cndmask_b32_e32 v3, 0xffff, v17, vcc_lo
	s_mul_u64 s[0:1], s[0:1], s[50:51]
	s_sub_nc_u64 s[24:25], s[46:47], s[24:25]
	v_readlane_b32 s44, v46, 4
	s_lshl_b64 s[14:15], s[14:15], 1
	v_readlane_b32 s45, v46, 5
	s_add_nc_u64 s[14:15], s[28:29], s[14:15]
	s_lshl_b64 s[0:1], s[0:1], 1
	v_readlane_b32 s46, v46, 6
	v_readlane_b32 s47, v46, 7
	v_xor_b32_e32 v2, v3, v2
	v_cmp_o_f16_e32 vcc_lo, v36, v36
	s_add_nc_u64 s[0:1], s[14:15], s[0:1]
	v_readlane_b32 s14, v46, 18
	v_readlane_b32 s15, v46, 19
	s_mul_u64 s[26:27], s[26:27], s[44:45]
	s_mul_u64 s[24:25], s[24:25], s[46:47]
	s_lshl_b64 s[26:27], s[26:27], 3
	v_cndmask_b32_e32 v13, 0xffff, v2, vcc_lo
	v_cmp_gt_u64_e32 vcc_lo, s[10:11], v[0:1]
	s_add_nc_u64 s[14:15], s[14:15], s[26:27]
	s_lshl_b64 s[24:25], s[24:25], 3
	s_lshl_b64 s[22:23], s[22:23], 1
	s_add_nc_u64 s[14:15], s[14:15], s[24:25]
	s_lshl_b64 s[24:25], s[12:13], 3
	s_mov_b32 s20, -1
	s_add_nc_u64 s[12:13], s[0:1], s[22:23]
	s_add_nc_u64 s[14:15], s[14:15], s[24:25]
	s_mov_b32 s19, 0
	s_mov_b32 s1, 0
	s_and_saveexec_b32 s5, vcc_lo
	s_cbranch_execnz .LBB210_521
; %bb.511:
	s_or_b32 exec_lo, exec_lo, s5
	s_and_saveexec_b32 s5, s20
	s_cbranch_execnz .LBB210_538
.LBB210_512:
	s_or_b32 exec_lo, exec_lo, s5
	s_and_saveexec_b32 s0, s1
	s_delay_alu instid0(SALU_CYCLE_1)
	s_xor_b32 s0, exec_lo, s0
	s_cbranch_execnz .LBB210_561
.LBB210_513:
	s_or_b32 exec_lo, exec_lo, s0
	s_delay_alu instid0(SALU_CYCLE_1)
	s_and_b32 s8, s19, exec_lo
.LBB210_514:
	s_and_not1_saveexec_b32 s0, s18
	s_cbranch_execnz .LBB210_563
.LBB210_515:
	s_or_b32 exec_lo, exec_lo, s0
	s_delay_alu instid0(SALU_CYCLE_1)
	s_and_b32 s8, s8, exec_lo
.LBB210_516:
	s_and_not1_saveexec_b32 s0, s17
	s_cbranch_execnz .LBB210_562
.LBB210_517:
	s_or_b32 exec_lo, exec_lo, s0
	s_delay_alu instid0(SALU_CYCLE_1)
	s_and_b32 s8, s8, exec_lo
.LBB210_518:
	s_and_not1_saveexec_b32 s0, s16
	s_cbranch_execnz .LBB210_557
.LBB210_519:
	s_or_b32 exec_lo, exec_lo, s0
	s_delay_alu instid0(SALU_CYCLE_1)
	s_and_b32 s8, s8, exec_lo
	s_and_not1_saveexec_b32 s0, s4
	s_cbranch_execz .LBB210_498
.LBB210_520:
	s_or_b32 s8, s8, exec_lo
	s_trap 2
	s_or_b32 exec_lo, exec_lo, s0
	s_and_saveexec_b32 s0, s8
	s_cbranch_execnz .LBB210_499
	s_branch .LBB210_500
.LBB210_521:
	v_mov_b64_e32 v[8:9], v[0:1]
	v_mov_b32_e32 v3, 0
	s_mov_b32 s20, 0
                                        ; implicit-def: $sgpr21
                                        ; implicit-def: $vgpr6_vgpr7
	s_branch .LBB210_523
.LBB210_522:                            ;   in Loop: Header=BB210_523 Depth=1
	s_or_b32 exec_lo, exec_lo, s23
	s_xor_b32 s0, s22, -1
	s_and_b32 s1, exec_lo, s1
	v_mov_b64_e32 v[8:9], v[4:5]
	s_or_b32 s20, s1, s20
	s_wait_loadcnt 0x0
	v_mov_b32_e32 v16, v18
	s_and_not1_b32 s1, s21, exec_lo
	s_and_b32 s0, s0, exec_lo
	s_delay_alu instid0(SALU_CYCLE_1)
	s_or_b32 s21, s1, s0
	s_and_not1_b32 exec_lo, exec_lo, s20
	s_cbranch_execz .LBB210_537
.LBB210_523:                            ; =>This Inner Loop Header: Depth=1
	s_delay_alu instid0(VALU_DEP_2) | instskip(SKIP_2) | instid1(VALU_DEP_2)
	v_add_nc_u64_e32 v[4:5], s[56:57], v[8:9]
	v_mov_b32_e32 v18, 0
	s_mov_b32 s1, exec_lo
	v_cmpx_gt_u64_e64 s[36:37], v[4:5]
	s_cbranch_execz .LBB210_525
; %bb.524:                              ;   in Loop: Header=BB210_523 Depth=1
	v_mul_u64_e32 v[10:11], s[30:31], v[4:5]
	s_delay_alu instid0(VALU_DEP_1)
	v_lshl_add_u64 v[10:11], v[10:11], 1, s[34:35]
	global_load_u16 v18, v[10:11], off
.LBB210_525:                            ;   in Loop: Header=BB210_523 Depth=1
	s_wait_xcnt 0x0
	s_or_b32 exec_lo, exec_lo, s1
	s_mov_b32 s22, 0
	s_mov_b32 s1, exec_lo
	v_cmpx_gt_u64_e64 s[36:37], v[8:9]
	s_cbranch_execz .LBB210_527
; %bb.526:                              ;   in Loop: Header=BB210_523 Depth=1
	s_wait_loadcnt 0x0
	v_cmp_lt_i16_e64 s0, -1, v16
	v_and_b32_e32 v2, 0xffff, v16
	s_delay_alu instid0(VALU_DEP_2) | instskip(SKIP_1) | instid1(VALU_DEP_2)
	v_cndmask_b32_e64 v10, 0xffff, v17, s0
	v_cmp_o_f16_e64 s0, v16, v16
	v_xor_b32_e32 v2, v10, v2
	s_delay_alu instid0(VALU_DEP_1) | instskip(NEXT) | instid1(VALU_DEP_1)
	v_cndmask_b32_e64 v2, 0xffff, v2, s0
	v_cmp_gt_u32_e64 s0, v2, v13
	s_delay_alu instid0(VALU_DEP_1) | instskip(SKIP_1) | instid1(VALU_DEP_1)
	v_cndmask_b32_e64 v10, 0, 1, s0
	v_cmp_lt_u32_e64 s0, v2, v13
	v_cndmask_b32_e64 v2, 0, 1, s0
	s_delay_alu instid0(VALU_DEP_1) | instskip(NEXT) | instid1(VALU_DEP_1)
	v_cndmask_b32_e64 v2, v2, v10, vcc_hi
	v_and_b32_e32 v2, 1, v2
	s_delay_alu instid0(VALU_DEP_1)
	v_cmp_eq_u32_e64 s0, 1, v2
	s_and_b32 s22, s0, exec_lo
.LBB210_527:                            ;   in Loop: Header=BB210_523 Depth=1
	s_or_b32 exec_lo, exec_lo, s1
	v_cndmask_b32_e64 v2, 0, 1, s22
	s_delay_alu instid0(VALU_DEP_1) | instskip(SKIP_2) | instid1(SALU_CYCLE_1)
	v_cmp_ne_u32_e64 s0, 0, v2
	s_cmp_lg_u32 s0, 0
	s_cselect_b32 s1, -1, 0
	s_and_b32 s1, s2, s1
	s_delay_alu instid0(SALU_CYCLE_1)
	s_and_saveexec_b32 s23, s1
	s_cbranch_execz .LBB210_531
; %bb.528:                              ;   in Loop: Header=BB210_523 Depth=1
	s_mov_b32 s26, exec_lo
	s_bcnt1_i32_b32 s24, s0
	v_mbcnt_lo_u32_b32 v10, s26, 0
	s_mov_b32 s25, exec_lo
                                        ; implicit-def: $vgpr6_vgpr7
	s_delay_alu instid0(VALU_DEP_1)
	v_cmpx_eq_u32_e32 0, v10
	s_cbranch_execz .LBB210_530
; %bb.529:                              ;   in Loop: Header=BB210_523 Depth=1
	s_bcnt1_i32_b32 s1, s26
	s_delay_alu instid0(SALU_CYCLE_1) | instskip(NEXT) | instid1(SALU_CYCLE_1)
	s_mul_i32 s1, s24, s1
	v_mov_b32_e32 v2, s1
	s_wait_dscnt 0x0
	ds_add_rtn_u64 v[6:7], v3, v[2:3] offset:5136
.LBB210_530:                            ;   in Loop: Header=BB210_523 Depth=1
	s_or_b32 exec_lo, exec_lo, s25
	s_wait_dscnt 0x0
	v_readfirstlane_b32 s27, v7
	v_readfirstlane_b32 s26, v6
	s_delay_alu instid0(VALU_DEP_1)
	v_mad_nc_u64_u32 v[6:7], s24, v10, s[26:27]
.LBB210_531:                            ;   in Loop: Header=BB210_523 Depth=1
	s_or_b32 exec_lo, exec_lo, s23
	s_wait_dscnt 0x1
	ds_bpermute_b32 v6, v3, v6
	s_wait_dscnt 0x1
	ds_bpermute_b32 v7, v3, v7
	s_mov_b32 s1, -1
	s_mov_b32 s24, -1
	s_and_saveexec_b32 s23, s22
	s_cbranch_execz .LBB210_535
; %bb.532:                              ;   in Loop: Header=BB210_523 Depth=1
	v_and_b32_e32 v2, s0, v12
	s_mov_b32 s22, 0
	s_mov_b32 s24, exec_lo
	s_delay_alu instid0(VALU_DEP_1) | instskip(SKIP_1) | instid1(VALU_DEP_1)
	v_bcnt_u32_b32 v2, v2, 0
	s_wait_dscnt 0x0
	v_add_nc_u64_e32 v[10:11], v[6:7], v[2:3]
	s_delay_alu instid0(VALU_DEP_1)
	v_cmpx_gt_u64_e64 s[38:39], v[10:11]
	s_cbranch_execz .LBB210_534
; %bb.533:                              ;   in Loop: Header=BB210_523 Depth=1
	v_mul_u64_e32 v[20:21], s[8:9], v[10:11]
	v_mul_u64_e32 v[10:11], s[6:7], v[10:11]
	s_mov_b32 s22, exec_lo
	s_delay_alu instid0(VALU_DEP_2) | instskip(NEXT) | instid1(VALU_DEP_2)
	v_lshl_add_u64 v[20:21], v[20:21], 1, s[12:13]
	v_lshl_add_u64 v[10:11], v[10:11], 3, s[14:15]
	s_wait_loadcnt 0x0
	global_store_b16 v[20:21], v16, off
	global_store_b64 v[10:11], v[8:9], off
.LBB210_534:                            ;   in Loop: Header=BB210_523 Depth=1
	s_wait_xcnt 0x0
	s_or_b32 exec_lo, exec_lo, s24
	s_delay_alu instid0(SALU_CYCLE_1)
	s_or_not1_b32 s24, s22, exec_lo
.LBB210_535:                            ;   in Loop: Header=BB210_523 Depth=1
	s_or_b32 exec_lo, exec_lo, s23
	s_mov_b32 s22, -1
	s_and_saveexec_b32 s23, s24
	s_cbranch_execz .LBB210_522
; %bb.536:                              ;   in Loop: Header=BB210_523 Depth=1
	v_cmp_le_u64_e64 s0, s[10:11], v[4:5]
	s_xor_b32 s22, exec_lo, -1
	s_or_not1_b32 s1, s0, exec_lo
	s_branch .LBB210_522
.LBB210_537:
	s_or_b32 exec_lo, exec_lo, s20
	s_delay_alu instid0(SALU_CYCLE_1)
	s_mov_b32 s1, exec_lo
	s_or_not1_b32 s20, s21, exec_lo
	s_or_b32 exec_lo, exec_lo, s5
	s_and_saveexec_b32 s5, s20
	s_cbranch_execz .LBB210_512
.LBB210_538:
	s_wait_loadcnt 0x0
	v_mov_b32_e32 v16, 0
	s_wait_storecnt_dscnt 0x0
	s_barrier_signal -1
	s_barrier_wait -1
	s_and_saveexec_b32 s0, s43
	s_cbranch_execz .LBB210_540
; %bb.539:
	global_load_u16 v16, v[14:15], off
.LBB210_540:
	s_wait_xcnt 0x0
	s_or_b32 exec_lo, exec_lo, s0
	s_mov_b32 s0, 0
	s_and_saveexec_b32 s3, vcc_lo
	s_cbranch_execz .LBB210_560
; %bb.541:
	v_dual_mov_b32 v10, 0x8000 :: v_dual_mov_b32 v3, 0
	s_mov_b32 s19, 0
                                        ; implicit-def: $sgpr20
                                        ; implicit-def: $vgpr6_vgpr7
	s_branch .LBB210_544
.LBB210_542:                            ;   in Loop: Header=BB210_544 Depth=1
	s_or_b32 exec_lo, exec_lo, s21
	s_delay_alu instid0(SALU_CYCLE_1)
	s_or_not1_b32 s23, s23, exec_lo
	s_or_not1_b32 s22, s22, exec_lo
.LBB210_543:                            ;   in Loop: Header=BB210_544 Depth=1
	s_or_b32 exec_lo, exec_lo, s0
	s_xor_b32 s0, s23, -1
	s_and_b32 s21, exec_lo, s22
	v_mov_b64_e32 v[0:1], v[4:5]
	s_or_b32 s19, s21, s19
	v_mov_b32_e32 v16, v11
	s_and_not1_b32 s20, s20, exec_lo
	s_and_b32 s0, s0, exec_lo
	s_delay_alu instid0(SALU_CYCLE_1)
	s_or_b32 s20, s20, s0
	s_and_not1_b32 exec_lo, exec_lo, s19
	s_cbranch_execz .LBB210_558
.LBB210_544:                            ; =>This Inner Loop Header: Depth=1
	v_add_nc_u64_e32 v[4:5], s[56:57], v[0:1]
	v_mov_b32_e32 v11, 0
	s_mov_b32 s0, exec_lo
	s_delay_alu instid0(VALU_DEP_2)
	v_cmpx_gt_u64_e64 s[36:37], v[4:5]
	s_cbranch_execz .LBB210_546
; %bb.545:                              ;   in Loop: Header=BB210_544 Depth=1
	v_mul_u64_e32 v[8:9], s[30:31], v[4:5]
	s_delay_alu instid0(VALU_DEP_1)
	v_lshl_add_u64 v[8:9], v[8:9], 1, s[34:35]
	global_load_u16 v11, v[8:9], off
.LBB210_546:                            ;   in Loop: Header=BB210_544 Depth=1
	s_wait_xcnt 0x0
	s_or_b32 exec_lo, exec_lo, s0
	s_wait_loadcnt 0x0
	v_cmp_lt_i16_e32 vcc_lo, -1, v16
	v_and_b32_e32 v2, 0xffff, v16
	v_cndmask_b32_e32 v8, 0xffff, v10, vcc_lo
	v_cmp_o_f16_e32 vcc_lo, v16, v16
	s_delay_alu instid0(VALU_DEP_2) | instskip(NEXT) | instid1(VALU_DEP_1)
	v_xor_b32_e32 v2, v8, v2
	v_cndmask_b32_e32 v2, 0xffff, v2, vcc_lo
	v_cmp_gt_u64_e32 vcc_lo, s[36:37], v[0:1]
	s_delay_alu instid0(VALU_DEP_2) | instskip(SKIP_1) | instid1(SALU_CYCLE_1)
	v_cmp_eq_u32_e64 s0, v2, v13
	s_and_b32 s21, vcc_lo, s0
	v_cndmask_b32_e64 v2, 0, 1, s21
	s_delay_alu instid0(VALU_DEP_1) | instskip(SKIP_2) | instid1(SALU_CYCLE_1)
	v_cmp_ne_u32_e32 vcc_lo, 0, v2
	s_cmp_lg_u32 vcc_lo, 0
	s_cselect_b32 s0, -1, 0
	s_and_b32 s0, s2, s0
	s_delay_alu instid0(SALU_CYCLE_1)
	s_and_saveexec_b32 s22, s0
	s_cbranch_execz .LBB210_550
; %bb.547:                              ;   in Loop: Header=BB210_544 Depth=1
	s_mov_b32 s25, exec_lo
	s_bcnt1_i32_b32 s23, vcc_lo
	v_mbcnt_lo_u32_b32 v8, s25, 0
	s_mov_b32 s24, exec_lo
                                        ; implicit-def: $vgpr6_vgpr7
	s_delay_alu instid0(VALU_DEP_1)
	v_cmpx_eq_u32_e32 0, v8
; %bb.548:                              ;   in Loop: Header=BB210_544 Depth=1
	s_bcnt1_i32_b32 s0, s25
	s_delay_alu instid0(SALU_CYCLE_1) | instskip(NEXT) | instid1(SALU_CYCLE_1)
	s_mul_i32 s0, s23, s0
	v_mov_b32_e32 v2, s0
	ds_add_rtn_u64 v[6:7], v3, v[2:3] offset:5136
; %bb.549:                              ;   in Loop: Header=BB210_544 Depth=1
	s_or_b32 exec_lo, exec_lo, s24
	s_wait_dscnt 0x0
	v_readfirstlane_b32 s25, v7
	v_readfirstlane_b32 s24, v6
	s_delay_alu instid0(VALU_DEP_1)
	v_mad_nc_u64_u32 v[6:7], s23, v8, s[24:25]
.LBB210_550:                            ;   in Loop: Header=BB210_544 Depth=1
	s_or_b32 exec_lo, exec_lo, s22
	ds_bpermute_b32 v6, v3, v6
	ds_bpermute_b32 v7, v3, v7
	s_cmp_eq_u32 vcc_lo, 0
	s_mov_b32 s22, -1
	s_cselect_b32 s23, -1, 0
	s_wait_dscnt 0x0
	v_cmp_gt_u64_e64 s0, s[38:39], v[6:7]
	s_or_b32 s24, s23, s0
	s_mov_b32 s23, -1
	s_and_saveexec_b32 s0, s24
	s_cbranch_execz .LBB210_543
; %bb.551:                              ;   in Loop: Header=BB210_544 Depth=1
	v_and_b32_e32 v2, vcc_lo, v12
	v_sub_nc_u64_e32 v[8:9], s[38:39], v[6:7]
	s_mov_b32 s24, -1
	s_delay_alu instid0(VALU_DEP_2) | instskip(NEXT) | instid1(VALU_DEP_1)
	v_bcnt_u32_b32 v2, v2, 0
	v_bcnt_u32_b32 v2, 0, v2
	s_delay_alu instid0(VALU_DEP_1) | instskip(SKIP_1) | instid1(SALU_CYCLE_1)
	v_cmp_gt_u64_e32 vcc_lo, v[8:9], v[2:3]
	s_and_b32 s25, s21, vcc_lo
	s_and_saveexec_b32 s21, s25
	s_cbranch_execz .LBB210_555
; %bb.552:                              ;   in Loop: Header=BB210_544 Depth=1
	v_add_nc_u64_e32 v[8:9], v[6:7], v[2:3]
	s_mov_b32 s24, 0
	s_mov_b32 s23, exec_lo
	s_delay_alu instid0(VALU_DEP_1)
	v_cmpx_gt_u64_e64 s[38:39], v[8:9]
; %bb.553:                              ;   in Loop: Header=BB210_544 Depth=1
	v_mul_u64_e32 v[14:15], s[8:9], v[8:9]
	v_mul_u64_e32 v[8:9], s[6:7], v[8:9]
	s_mov_b32 s24, exec_lo
	s_delay_alu instid0(VALU_DEP_2) | instskip(NEXT) | instid1(VALU_DEP_2)
	v_lshl_add_u64 v[14:15], v[14:15], 1, s[12:13]
	v_lshl_add_u64 v[8:9], v[8:9], 3, s[14:15]
	global_store_b16 v[14:15], v16, off
	global_store_b64 v[8:9], v[0:1], off
; %bb.554:                              ;   in Loop: Header=BB210_544 Depth=1
	s_wait_xcnt 0x0
	s_or_b32 exec_lo, exec_lo, s23
	s_delay_alu instid0(SALU_CYCLE_1)
	s_xor_b32 s23, exec_lo, -1
	s_or_not1_b32 s24, s24, exec_lo
.LBB210_555:                            ;   in Loop: Header=BB210_544 Depth=1
	s_or_b32 exec_lo, exec_lo, s21
	s_and_saveexec_b32 s21, s24
	s_cbranch_execz .LBB210_542
; %bb.556:                              ;   in Loop: Header=BB210_544 Depth=1
	v_cmp_le_u64_e32 vcc_lo, s[10:11], v[4:5]
	s_or_b32 s23, s23, exec_lo
	s_or_not1_b32 s22, vcc_lo, exec_lo
	s_branch .LBB210_542
.LBB210_557:
	s_or_b32 s8, s8, exec_lo
	s_trap 2
	s_branch .LBB210_519
.LBB210_558:
	s_or_b32 exec_lo, exec_lo, s19
	s_mov_b32 s0, 0
	s_and_saveexec_b32 s2, s20
	s_delay_alu instid0(SALU_CYCLE_1)
	s_xor_b32 s2, exec_lo, s2
	s_cbranch_execnz .LBB210_564
.LBB210_559:
	s_or_b32 exec_lo, exec_lo, s2
	s_delay_alu instid0(SALU_CYCLE_1)
	s_and_b32 s0, s0, exec_lo
.LBB210_560:
	s_or_b32 exec_lo, exec_lo, s3
	s_delay_alu instid0(SALU_CYCLE_1) | instskip(SKIP_3) | instid1(SALU_CYCLE_1)
	s_and_b32 s19, s0, exec_lo
	s_and_not1_b32 s1, s1, exec_lo
	s_or_b32 exec_lo, exec_lo, s5
	s_and_saveexec_b32 s0, s1
	s_xor_b32 s0, exec_lo, s0
	s_cbranch_execz .LBB210_513
.LBB210_561:
	s_or_b32 s19, s19, exec_lo
	s_trap 2
	s_branch .LBB210_513
.LBB210_562:
	s_or_b32 s8, s8, exec_lo
	s_trap 2
	s_branch .LBB210_517
.LBB210_563:
	s_or_b32 s8, s8, exec_lo
	s_trap 2
	s_branch .LBB210_515
.LBB210_564:
	s_mov_b32 s0, exec_lo
	s_trap 2
	s_branch .LBB210_559
	.section	.rodata,"a",@progbits
	.p2align	6, 0x0
	.amdhsa_kernel _ZN2at6native6sbtopk10gatherTopKIN3c104HalfEmLi3ELb0EEEvNS_4cuda6detail10TensorInfoIKT_T0_EESA_SA_bSA_SA_NS7_IS8_SA_EESA_NS7_IlSA_EESA_PS8_
		.amdhsa_group_segment_fixed_size 5152
		.amdhsa_private_segment_fixed_size 0
		.amdhsa_kernarg_size 1568
		.amdhsa_user_sgpr_count 2
		.amdhsa_user_sgpr_dispatch_ptr 0
		.amdhsa_user_sgpr_queue_ptr 0
		.amdhsa_user_sgpr_kernarg_segment_ptr 1
		.amdhsa_user_sgpr_dispatch_id 0
		.amdhsa_user_sgpr_kernarg_preload_length 0
		.amdhsa_user_sgpr_kernarg_preload_offset 0
		.amdhsa_user_sgpr_private_segment_size 0
		.amdhsa_wavefront_size32 1
		.amdhsa_uses_dynamic_stack 0
		.amdhsa_enable_private_segment 0
		.amdhsa_system_sgpr_workgroup_id_x 1
		.amdhsa_system_sgpr_workgroup_id_y 1
		.amdhsa_system_sgpr_workgroup_id_z 1
		.amdhsa_system_sgpr_workgroup_info 0
		.amdhsa_system_vgpr_workitem_id 0
		.amdhsa_next_free_vgpr 47
		.amdhsa_next_free_sgpr 105
		.amdhsa_named_barrier_count 0
		.amdhsa_reserve_vcc 1
		.amdhsa_float_round_mode_32 0
		.amdhsa_float_round_mode_16_64 0
		.amdhsa_float_denorm_mode_32 3
		.amdhsa_float_denorm_mode_16_64 3
		.amdhsa_fp16_overflow 0
		.amdhsa_memory_ordered 1
		.amdhsa_forward_progress 1
		.amdhsa_inst_pref_size 211
		.amdhsa_round_robin_scheduling 0
		.amdhsa_exception_fp_ieee_invalid_op 0
		.amdhsa_exception_fp_denorm_src 0
		.amdhsa_exception_fp_ieee_div_zero 0
		.amdhsa_exception_fp_ieee_overflow 0
		.amdhsa_exception_fp_ieee_underflow 0
		.amdhsa_exception_fp_ieee_inexact 0
		.amdhsa_exception_int_div_zero 0
	.end_amdhsa_kernel
	.section	.text._ZN2at6native6sbtopk10gatherTopKIN3c104HalfEmLi3ELb0EEEvNS_4cuda6detail10TensorInfoIKT_T0_EESA_SA_bSA_SA_NS7_IS8_SA_EESA_NS7_IlSA_EESA_PS8_,"axG",@progbits,_ZN2at6native6sbtopk10gatherTopKIN3c104HalfEmLi3ELb0EEEvNS_4cuda6detail10TensorInfoIKT_T0_EESA_SA_bSA_SA_NS7_IS8_SA_EESA_NS7_IlSA_EESA_PS8_,comdat
.Lfunc_end210:
	.size	_ZN2at6native6sbtopk10gatherTopKIN3c104HalfEmLi3ELb0EEEvNS_4cuda6detail10TensorInfoIKT_T0_EESA_SA_bSA_SA_NS7_IS8_SA_EESA_NS7_IlSA_EESA_PS8_, .Lfunc_end210-_ZN2at6native6sbtopk10gatherTopKIN3c104HalfEmLi3ELb0EEEvNS_4cuda6detail10TensorInfoIKT_T0_EESA_SA_bSA_SA_NS7_IS8_SA_EESA_NS7_IlSA_EESA_PS8_
                                        ; -- End function
	.set _ZN2at6native6sbtopk10gatherTopKIN3c104HalfEmLi3ELb0EEEvNS_4cuda6detail10TensorInfoIKT_T0_EESA_SA_bSA_SA_NS7_IS8_SA_EESA_NS7_IlSA_EESA_PS8_.num_vgpr, 47
	.set _ZN2at6native6sbtopk10gatherTopKIN3c104HalfEmLi3ELb0EEEvNS_4cuda6detail10TensorInfoIKT_T0_EESA_SA_bSA_SA_NS7_IS8_SA_EESA_NS7_IlSA_EESA_PS8_.num_agpr, 0
	.set _ZN2at6native6sbtopk10gatherTopKIN3c104HalfEmLi3ELb0EEEvNS_4cuda6detail10TensorInfoIKT_T0_EESA_SA_bSA_SA_NS7_IS8_SA_EESA_NS7_IlSA_EESA_PS8_.numbered_sgpr, 105
	.set _ZN2at6native6sbtopk10gatherTopKIN3c104HalfEmLi3ELb0EEEvNS_4cuda6detail10TensorInfoIKT_T0_EESA_SA_bSA_SA_NS7_IS8_SA_EESA_NS7_IlSA_EESA_PS8_.num_named_barrier, 0
	.set _ZN2at6native6sbtopk10gatherTopKIN3c104HalfEmLi3ELb0EEEvNS_4cuda6detail10TensorInfoIKT_T0_EESA_SA_bSA_SA_NS7_IS8_SA_EESA_NS7_IlSA_EESA_PS8_.private_seg_size, 0
	.set _ZN2at6native6sbtopk10gatherTopKIN3c104HalfEmLi3ELb0EEEvNS_4cuda6detail10TensorInfoIKT_T0_EESA_SA_bSA_SA_NS7_IS8_SA_EESA_NS7_IlSA_EESA_PS8_.uses_vcc, 1
	.set _ZN2at6native6sbtopk10gatherTopKIN3c104HalfEmLi3ELb0EEEvNS_4cuda6detail10TensorInfoIKT_T0_EESA_SA_bSA_SA_NS7_IS8_SA_EESA_NS7_IlSA_EESA_PS8_.uses_flat_scratch, 0
	.set _ZN2at6native6sbtopk10gatherTopKIN3c104HalfEmLi3ELb0EEEvNS_4cuda6detail10TensorInfoIKT_T0_EESA_SA_bSA_SA_NS7_IS8_SA_EESA_NS7_IlSA_EESA_PS8_.has_dyn_sized_stack, 0
	.set _ZN2at6native6sbtopk10gatherTopKIN3c104HalfEmLi3ELb0EEEvNS_4cuda6detail10TensorInfoIKT_T0_EESA_SA_bSA_SA_NS7_IS8_SA_EESA_NS7_IlSA_EESA_PS8_.has_recursion, 0
	.set _ZN2at6native6sbtopk10gatherTopKIN3c104HalfEmLi3ELb0EEEvNS_4cuda6detail10TensorInfoIKT_T0_EESA_SA_bSA_SA_NS7_IS8_SA_EESA_NS7_IlSA_EESA_PS8_.has_indirect_call, 0
	.section	.AMDGPU.csdata,"",@progbits
; Kernel info:
; codeLenInByte = 26884
; TotalNumSgprs: 107
; NumVgprs: 47
; ScratchSize: 0
; MemoryBound: 0
; FloatMode: 240
; IeeeMode: 1
; LDSByteSize: 5152 bytes/workgroup (compile time only)
; SGPRBlocks: 0
; VGPRBlocks: 2
; NumSGPRsForWavesPerEU: 107
; NumVGPRsForWavesPerEU: 47
; NamedBarCnt: 0
; Occupancy: 16
; WaveLimiterHint : 1
; COMPUTE_PGM_RSRC2:SCRATCH_EN: 0
; COMPUTE_PGM_RSRC2:USER_SGPR: 2
; COMPUTE_PGM_RSRC2:TRAP_HANDLER: 0
; COMPUTE_PGM_RSRC2:TGID_X_EN: 1
; COMPUTE_PGM_RSRC2:TGID_Y_EN: 1
; COMPUTE_PGM_RSRC2:TGID_Z_EN: 1
; COMPUTE_PGM_RSRC2:TIDIG_COMP_CNT: 0
	.section	.text._ZN2at6native6mbtopk23computeBlockDigitCountsIN3c104HalfEmjLin1EEEvNS_4cuda6detail10TensorInfoIKT_T0_EEjPjjSA_iijT1_PSD_Ps,"axG",@progbits,_ZN2at6native6mbtopk23computeBlockDigitCountsIN3c104HalfEmjLin1EEEvNS_4cuda6detail10TensorInfoIKT_T0_EEjPjjSA_iijT1_PSD_Ps,comdat
	.protected	_ZN2at6native6mbtopk23computeBlockDigitCountsIN3c104HalfEmjLin1EEEvNS_4cuda6detail10TensorInfoIKT_T0_EEjPjjSA_iijT1_PSD_Ps ; -- Begin function _ZN2at6native6mbtopk23computeBlockDigitCountsIN3c104HalfEmjLin1EEEvNS_4cuda6detail10TensorInfoIKT_T0_EEjPjjSA_iijT1_PSD_Ps
	.globl	_ZN2at6native6mbtopk23computeBlockDigitCountsIN3c104HalfEmjLin1EEEvNS_4cuda6detail10TensorInfoIKT_T0_EEjPjjSA_iijT1_PSD_Ps
	.p2align	8
	.type	_ZN2at6native6mbtopk23computeBlockDigitCountsIN3c104HalfEmjLin1EEEvNS_4cuda6detail10TensorInfoIKT_T0_EEjPjjSA_iijT1_PSD_Ps,@function
_ZN2at6native6mbtopk23computeBlockDigitCountsIN3c104HalfEmjLin1EEEvNS_4cuda6detail10TensorInfoIKT_T0_EEjPjjSA_iijT1_PSD_Ps: ; @_ZN2at6native6mbtopk23computeBlockDigitCountsIN3c104HalfEmjLin1EEEvNS_4cuda6detail10TensorInfoIKT_T0_EEjPjjSA_iijT1_PSD_Ps
; %bb.0:
	s_load_b128 s[4:7], s[0:1], 0x1c0
	s_bfe_u32 s2, ttmp6, 0x40010
	s_and_b32 s8, ttmp7, 0xffff
	s_add_co_i32 s9, s2, 1
	s_bfe_u32 s10, ttmp6, 0x40004
	s_mul_i32 s9, s8, s9
	s_load_b64 s[2:3], s[0:1], 0x1e0
	s_add_co_i32 s10, s10, s9
	s_bfe_u32 s11, ttmp6, 0x4000c
	s_bfe_u32 s13, ttmp6, 0x40014
	s_add_co_i32 s11, s11, 1
	s_and_b32 s12, ttmp6, 15
	s_mul_i32 s11, ttmp9, s11
	s_add_co_i32 s13, s13, 1
	s_add_co_i32 s12, s12, s11
	s_getreg_b32 s14, hwreg(HW_REG_IB_STS2, 6, 4)
	s_wait_kmcnt 0x0
	s_cvt_f32_u32 s9, s6
	s_delay_alu instid0(SALU_CYCLE_3) | instskip(SKIP_1) | instid1(SALU_CYCLE_1)
	v_rcp_iflag_f32_e32 v1, s9
	s_lshr_b32 s9, ttmp7, 16
	s_mul_i32 s11, s9, s13
	s_bfe_u32 s13, ttmp6, 0x40008
	s_delay_alu instid0(SALU_CYCLE_1) | instskip(SKIP_1) | instid1(TRANS32_DEP_1)
	s_add_co_i32 s13, s13, s11
	v_nop
	v_readfirstlane_b32 s15, v1
	s_cmp_eq_u32 s14, 0
	s_cselect_b32 s9, s9, s13
	s_load_b32 s13, s[0:1], 0x1b0
	s_mul_f32 s11, s15, 0x4f7ffffe
	s_mul_i32 s3, s3, s9
	s_cselect_b32 s9, ttmp9, s12
	s_cselect_b32 s8, s8, s10
	s_cvt_u32_f32 s11, s11
	s_sub_co_i32 s10, 0, s6
	s_add_co_i32 s3, s3, s8
	s_delay_alu instid0(SALU_CYCLE_1) | instskip(SKIP_3) | instid1(SALU_CYCLE_1)
	s_mul_i32 s24, s3, s2
	s_mul_i32 s10, s10, s11
	s_add_co_i32 s24, s24, s9
	s_mul_hi_u32 s2, s11, s10
	s_add_co_i32 s11, s11, s2
	s_delay_alu instid0(SALU_CYCLE_1) | instskip(NEXT) | instid1(SALU_CYCLE_1)
	s_mul_hi_u32 s2, s24, s11
	s_mul_i32 s3, s2, s6
	s_add_co_i32 s8, s2, 1
	s_sub_co_i32 s3, s24, s3
	s_delay_alu instid0(SALU_CYCLE_1)
	s_sub_co_i32 s9, s3, s6
	s_cmp_ge_u32 s3, s6
	s_cselect_b32 s2, s8, s2
	s_cselect_b32 s3, s9, s3
	s_add_co_i32 s8, s2, 1
	s_cmp_ge_u32 s3, s6
	s_cselect_b32 s12, s8, s2
	s_wait_kmcnt 0x0
	s_cmp_ge_u32 s12, s13
	s_mov_b32 s13, 0
	s_cbranch_scc1 .LBB211_28
; %bb.1:
	s_clause 0x1
	s_load_b32 s14, s[0:1], 0x198
	s_load_b128 s[8:11], s[0:1], 0x1d0
	s_mov_b64 s[2:3], 0
	s_wait_kmcnt 0x0
	s_cmp_lt_i32 s14, 2
	s_cbranch_scc1 .LBB211_7
; %bb.2:
	s_add_co_i32 s16, s14, -1
	s_mov_b32 s17, 0
	s_add_co_i32 s25, s14, 1
	s_lshl_b64 s[2:3], s[16:17], 3
	s_mov_b64 s[20:21], s[12:13]
	s_add_nc_u64 s[14:15], s[0:1], s[2:3]
	s_mov_b64 s[2:3], 0
	s_add_nc_u64 s[18:19], s[14:15], 8
.LBB211_3:                              ; =>This Inner Loop Header: Depth=1
	s_load_b64 s[22:23], s[18:19], 0x0
	s_mov_b64 s[14:15], 0
	s_wait_kmcnt 0x0
	v_cmp_lt_u64_e64 s13, s[20:21], s[22:23]
	s_and_b32 vcc_lo, exec_lo, s13
	s_cbranch_vccnz .LBB211_5
; %bb.4:                                ;   in Loop: Header=BB211_3 Depth=1
	v_cvt_f32_u32_e32 v1, s22
	s_sub_co_i32 s14, 0, s22
	s_delay_alu instid0(VALU_DEP_1) | instskip(SKIP_1) | instid1(TRANS32_DEP_1)
	v_rcp_iflag_f32_e32 v1, v1
	v_nop
	v_mul_f32_e32 v1, 0x4f7ffffe, v1
	s_delay_alu instid0(VALU_DEP_1) | instskip(NEXT) | instid1(VALU_DEP_1)
	v_cvt_u32_f32_e32 v1, v1
	v_readfirstlane_b32 s13, v1
	s_mul_i32 s14, s14, s13
	s_delay_alu instid0(SALU_CYCLE_1) | instskip(NEXT) | instid1(SALU_CYCLE_1)
	s_mul_hi_u32 s14, s13, s14
	s_add_co_i32 s13, s13, s14
	s_delay_alu instid0(SALU_CYCLE_1) | instskip(NEXT) | instid1(SALU_CYCLE_1)
	s_mul_hi_u32 s13, s20, s13
	s_mul_i32 s14, s13, s22
	s_add_co_i32 s15, s13, 1
	s_sub_co_i32 s14, s20, s14
	s_delay_alu instid0(SALU_CYCLE_1)
	s_sub_co_i32 s16, s14, s22
	s_cmp_ge_u32 s14, s22
	s_cselect_b32 s13, s15, s13
	s_cselect_b32 s14, s16, s14
	s_add_co_i32 s15, s13, 1
	s_cmp_ge_u32 s14, s22
	s_cselect_b32 s16, s15, s13
	s_delay_alu instid0(SALU_CYCLE_1)
	s_mov_b64 s[14:15], s[16:17]
.LBB211_5:                              ;   in Loop: Header=BB211_3 Depth=1
	s_load_b64 s[26:27], s[18:19], 0xc8
	s_mul_u64 s[22:23], s[14:15], s[22:23]
	s_add_co_i32 s25, s25, -1
	s_sub_nc_u64 s[20:21], s[20:21], s[22:23]
	s_cmp_gt_u32 s25, 2
	s_wait_xcnt 0x0
	s_add_nc_u64 s[18:19], s[18:19], -8
	s_wait_kmcnt 0x0
	s_mul_u64 s[20:21], s[26:27], s[20:21]
	s_delay_alu instid0(SALU_CYCLE_1)
	s_add_nc_u64 s[2:3], s[20:21], s[2:3]
	s_cbranch_scc0 .LBB211_8
; %bb.6:                                ;   in Loop: Header=BB211_3 Depth=1
	s_mov_b64 s[20:21], s[14:15]
	s_branch .LBB211_3
.LBB211_7:
	s_mov_b64 s[14:15], s[12:13]
.LBB211_8:
	s_load_b32 s16, s[8:9], s12 offset:0x0 scale_offset
	v_cmp_gt_u32_e32 vcc_lo, 0x100, v0
	v_lshlrev_b32_e32 v1, 2, v0
	s_wait_xcnt 0x0
	s_and_saveexec_b32 s8, vcc_lo
; %bb.9:
	v_mov_b32_e32 v2, 0
	ds_store_b32 v1, v2
; %bb.10:
	s_or_b32 exec_lo, exec_lo, s8
	s_load_b32 s17, s[0:1], 0x1a0
	s_mul_i32 s8, s12, s6
	s_mov_b32 s13, 0
	s_sub_co_i32 s19, s24, s8
	s_wait_dscnt 0x0
	s_mul_i32 s8, s5, s19
	s_add_co_i32 s19, s19, 1
	s_lshl_b32 s18, s8, 8
	s_barrier_signal -1
	s_barrier_wait -1
	s_wait_kmcnt 0x0
	s_sub_co_i32 s12, s17, s18
	s_delay_alu instid0(SALU_CYCLE_1) | instskip(NEXT) | instid1(SALU_CYCLE_1)
	s_add_nc_u64 s[8:9], s[12:13], 0xff
	s_lshr_b64 s[8:9], s[8:9], 8
	s_cmp_lt_u32 s19, s6
	s_cselect_b32 s5, s5, s8
	s_delay_alu instid0(SALU_CYCLE_1)
	s_cmp_lt_i32 s5, 1
	s_cbranch_scc1 .LBB211_26
; %bb.11:
	s_clause 0x2
	s_load_b64 s[20:21], s[0:1], 0xd0
	s_load_b64 s[8:9], s[0:1], 0x1b8
	;; [unrolled: 1-line block ×3, first 2 shown]
	v_add_nc_u32_e32 v6, s18, v0
	s_lshl_b64 s[2:3], s[2:3], 1
	s_wait_kmcnt 0x0
	s_mul_u64 s[0:1], s[20:21], s[14:15]
	s_delay_alu instid0(SALU_CYCLE_1) | instskip(NEXT) | instid1(SALU_CYCLE_1)
	s_lshl_b64 s[0:1], s[0:1], 1
	s_add_nc_u64 s[14:15], s[22:23], s[0:1]
	s_and_b32 s1, s4, 0xff
	s_cmp_eq_u32 s5, 1
	s_add_nc_u64 s[2:3], s[14:15], s[2:3]
	s_cbranch_scc1 .LBB211_21
; %bb.12:
	v_dual_mov_b32 v3, 0 :: v_dual_mov_b32 v7, 1
	v_mov_b32_e32 v8, 0x8000
	v_mov_b32_e32 v2, v6
	s_and_b32 s4, s5, 0x7ffffffe
	s_mov_b32 s6, 0
	s_branch .LBB211_14
.LBB211_13:                             ;   in Loop: Header=BB211_14 Depth=1
	s_or_b32 exec_lo, exec_lo, s12
	v_add_nc_u32_e32 v2, 0x200, v2
	s_add_co_i32 s6, s6, 2
	s_delay_alu instid0(SALU_CYCLE_1)
	s_cmp_eq_u32 s4, s6
	s_cbranch_scc1 .LBB211_20
.LBB211_14:                             ; =>This Inner Loop Header: Depth=1
	s_mov_b32 s12, exec_lo
	v_cmpx_gt_u32_e64 s17, v2
	s_cbranch_execz .LBB211_17
; %bb.15:                               ;   in Loop: Header=BB211_14 Depth=1
	v_mul_u64_e32 v[4:5], s[8:9], v[2:3]
	s_delay_alu instid0(VALU_DEP_1)
	v_lshl_add_u64 v[4:5], v[4:5], 1, s[2:3]
	global_load_u16 v4, v[4:5], off
	s_wait_loadcnt 0x0
	v_cmp_lt_i16_e64 s0, -1, v4
	s_wait_xcnt 0x0
	v_and_b32_e32 v5, 0xffff, v4
	s_delay_alu instid0(VALU_DEP_2) | instskip(SKIP_1) | instid1(VALU_DEP_2)
	v_cndmask_b32_e64 v9, 0xffff, v8, s0
	v_cmp_o_f16_e64 s0, v4, v4
	v_xor_b32_e32 v5, v9, v5
	s_delay_alu instid0(VALU_DEP_1) | instskip(NEXT) | instid1(VALU_DEP_1)
	v_cndmask_b32_e64 v4, 0xffff, v5, s0
	v_bitop3_b32 v5, v4, s7, s16 bitop3:0x48
	s_delay_alu instid0(VALU_DEP_1)
	v_cmp_eq_u32_e64 s0, 0, v5
	s_and_b32 exec_lo, exec_lo, s0
; %bb.16:                               ;   in Loop: Header=BB211_14 Depth=1
	v_bfe_u32 v4, v4, s1, 8
	s_delay_alu instid0(VALU_DEP_1)
	v_lshlrev_b32_e32 v4, 2, v4
	ds_add_u32 v4, v7
.LBB211_17:                             ;   in Loop: Header=BB211_14 Depth=1
	s_or_b32 exec_lo, exec_lo, s12
	v_add_nc_u32_e32 v4, 0x100, v2
	s_mov_b32 s12, exec_lo
	s_delay_alu instid0(VALU_DEP_1)
	v_cmpx_gt_u32_e64 s17, v4
	s_cbranch_execz .LBB211_13
; %bb.18:                               ;   in Loop: Header=BB211_14 Depth=1
	v_mov_b32_e32 v5, v3
	s_delay_alu instid0(VALU_DEP_1) | instskip(NEXT) | instid1(VALU_DEP_1)
	v_mul_u64_e32 v[4:5], s[8:9], v[4:5]
	v_lshl_add_u64 v[4:5], v[4:5], 1, s[2:3]
	global_load_u16 v4, v[4:5], off
	s_wait_loadcnt 0x0
	v_cmp_lt_i16_e64 s0, -1, v4
	v_and_b32_e32 v5, 0xffff, v4
	s_delay_alu instid0(VALU_DEP_2) | instskip(SKIP_1) | instid1(VALU_DEP_2)
	v_cndmask_b32_e64 v9, 0xffff, v8, s0
	v_cmp_o_f16_e64 s0, v4, v4
	v_xor_b32_e32 v5, v9, v5
	s_delay_alu instid0(VALU_DEP_1) | instskip(NEXT) | instid1(VALU_DEP_1)
	v_cndmask_b32_e64 v4, 0xffff, v5, s0
	v_bitop3_b32 v5, v4, s7, s16 bitop3:0x48
	s_delay_alu instid0(VALU_DEP_1)
	v_cmp_eq_u32_e64 s0, 0, v5
	s_and_b32 exec_lo, exec_lo, s0
	s_cbranch_execz .LBB211_13
; %bb.19:                               ;   in Loop: Header=BB211_14 Depth=1
	v_bfe_u32 v4, v4, s1, 8
	s_delay_alu instid0(VALU_DEP_1)
	v_lshlrev_b32_e32 v4, 2, v4
	ds_add_u32 v4, v7
	s_branch .LBB211_13
.LBB211_20:
	s_lshl_b32 s13, s4, 8
.LBB211_21:
	s_bitcmp0_b32 s5, 0
	s_cbranch_scc1 .LBB211_26
; %bb.22:
	v_add_nc_u32_e32 v2, s13, v6
	s_mov_b32 s4, exec_lo
	s_delay_alu instid0(VALU_DEP_1)
	v_cmpx_gt_u32_e64 s17, v2
	s_cbranch_execz .LBB211_25
; %bb.23:
	v_mov_b32_e32 v3, 0
	s_delay_alu instid0(VALU_DEP_1) | instskip(NEXT) | instid1(VALU_DEP_1)
	v_mul_u64_e32 v[2:3], s[8:9], v[2:3]
	v_lshl_add_u64 v[2:3], v[2:3], 1, s[2:3]
	global_load_u16 v2, v[2:3], off
	s_wait_xcnt 0x0
	v_mov_b32_e32 v3, 0x8000
	s_wait_loadcnt 0x0
	v_cmp_lt_i16_e64 s0, -1, v2
	v_and_b32_e32 v4, 0xffff, v2
	s_delay_alu instid0(VALU_DEP_2) | instskip(SKIP_1) | instid1(VALU_DEP_2)
	v_cndmask_b32_e64 v3, 0xffff, v3, s0
	v_cmp_o_f16_e64 s0, v2, v2
	v_xor_b32_e32 v3, v3, v4
	s_delay_alu instid0(VALU_DEP_1) | instskip(NEXT) | instid1(VALU_DEP_1)
	v_cndmask_b32_e64 v2, 0xffff, v3, s0
	v_bitop3_b32 v3, v2, s7, s16 bitop3:0x48
	s_delay_alu instid0(VALU_DEP_1)
	v_cmp_eq_u32_e64 s0, 0, v3
	s_and_b32 exec_lo, exec_lo, s0
; %bb.24:
	v_bfe_u32 v2, v2, s1, 8
	s_delay_alu instid0(VALU_DEP_1)
	v_dual_mov_b32 v3, 1 :: v_dual_lshlrev_b32 v2, 2, v2
	ds_add_u32 v2, v3
.LBB211_25:
	s_or_b32 exec_lo, exec_lo, s4
.LBB211_26:
	s_wait_dscnt 0x0
	s_barrier_signal -1
	s_barrier_wait -1
	s_and_saveexec_b32 s0, vcc_lo
	s_cbranch_execz .LBB211_28
; %bb.27:
	ds_load_b32 v1, v1
	v_lshl_or_b32 v0, s24, 8, v0
	s_wait_dscnt 0x0
	global_store_b16 v0, v1, s[10:11] scale_offset
.LBB211_28:
	s_endpgm
	.section	.rodata,"a",@progbits
	.p2align	6, 0x0
	.amdhsa_kernel _ZN2at6native6mbtopk23computeBlockDigitCountsIN3c104HalfEmjLin1EEEvNS_4cuda6detail10TensorInfoIKT_T0_EEjPjjSA_iijT1_PSD_Ps
		.amdhsa_group_segment_fixed_size 1024
		.amdhsa_private_segment_fixed_size 0
		.amdhsa_kernarg_size 736
		.amdhsa_user_sgpr_count 2
		.amdhsa_user_sgpr_dispatch_ptr 0
		.amdhsa_user_sgpr_queue_ptr 0
		.amdhsa_user_sgpr_kernarg_segment_ptr 1
		.amdhsa_user_sgpr_dispatch_id 0
		.amdhsa_user_sgpr_kernarg_preload_length 0
		.amdhsa_user_sgpr_kernarg_preload_offset 0
		.amdhsa_user_sgpr_private_segment_size 0
		.amdhsa_wavefront_size32 1
		.amdhsa_uses_dynamic_stack 0
		.amdhsa_enable_private_segment 0
		.amdhsa_system_sgpr_workgroup_id_x 1
		.amdhsa_system_sgpr_workgroup_id_y 1
		.amdhsa_system_sgpr_workgroup_id_z 1
		.amdhsa_system_sgpr_workgroup_info 0
		.amdhsa_system_vgpr_workitem_id 0
		.amdhsa_next_free_vgpr 10
		.amdhsa_next_free_sgpr 28
		.amdhsa_named_barrier_count 0
		.amdhsa_reserve_vcc 1
		.amdhsa_float_round_mode_32 0
		.amdhsa_float_round_mode_16_64 0
		.amdhsa_float_denorm_mode_32 3
		.amdhsa_float_denorm_mode_16_64 3
		.amdhsa_fp16_overflow 0
		.amdhsa_memory_ordered 1
		.amdhsa_forward_progress 1
		.amdhsa_inst_pref_size 12
		.amdhsa_round_robin_scheduling 0
		.amdhsa_exception_fp_ieee_invalid_op 0
		.amdhsa_exception_fp_denorm_src 0
		.amdhsa_exception_fp_ieee_div_zero 0
		.amdhsa_exception_fp_ieee_overflow 0
		.amdhsa_exception_fp_ieee_underflow 0
		.amdhsa_exception_fp_ieee_inexact 0
		.amdhsa_exception_int_div_zero 0
	.end_amdhsa_kernel
	.section	.text._ZN2at6native6mbtopk23computeBlockDigitCountsIN3c104HalfEmjLin1EEEvNS_4cuda6detail10TensorInfoIKT_T0_EEjPjjSA_iijT1_PSD_Ps,"axG",@progbits,_ZN2at6native6mbtopk23computeBlockDigitCountsIN3c104HalfEmjLin1EEEvNS_4cuda6detail10TensorInfoIKT_T0_EEjPjjSA_iijT1_PSD_Ps,comdat
.Lfunc_end211:
	.size	_ZN2at6native6mbtopk23computeBlockDigitCountsIN3c104HalfEmjLin1EEEvNS_4cuda6detail10TensorInfoIKT_T0_EEjPjjSA_iijT1_PSD_Ps, .Lfunc_end211-_ZN2at6native6mbtopk23computeBlockDigitCountsIN3c104HalfEmjLin1EEEvNS_4cuda6detail10TensorInfoIKT_T0_EEjPjjSA_iijT1_PSD_Ps
                                        ; -- End function
	.set _ZN2at6native6mbtopk23computeBlockDigitCountsIN3c104HalfEmjLin1EEEvNS_4cuda6detail10TensorInfoIKT_T0_EEjPjjSA_iijT1_PSD_Ps.num_vgpr, 10
	.set _ZN2at6native6mbtopk23computeBlockDigitCountsIN3c104HalfEmjLin1EEEvNS_4cuda6detail10TensorInfoIKT_T0_EEjPjjSA_iijT1_PSD_Ps.num_agpr, 0
	.set _ZN2at6native6mbtopk23computeBlockDigitCountsIN3c104HalfEmjLin1EEEvNS_4cuda6detail10TensorInfoIKT_T0_EEjPjjSA_iijT1_PSD_Ps.numbered_sgpr, 28
	.set _ZN2at6native6mbtopk23computeBlockDigitCountsIN3c104HalfEmjLin1EEEvNS_4cuda6detail10TensorInfoIKT_T0_EEjPjjSA_iijT1_PSD_Ps.num_named_barrier, 0
	.set _ZN2at6native6mbtopk23computeBlockDigitCountsIN3c104HalfEmjLin1EEEvNS_4cuda6detail10TensorInfoIKT_T0_EEjPjjSA_iijT1_PSD_Ps.private_seg_size, 0
	.set _ZN2at6native6mbtopk23computeBlockDigitCountsIN3c104HalfEmjLin1EEEvNS_4cuda6detail10TensorInfoIKT_T0_EEjPjjSA_iijT1_PSD_Ps.uses_vcc, 1
	.set _ZN2at6native6mbtopk23computeBlockDigitCountsIN3c104HalfEmjLin1EEEvNS_4cuda6detail10TensorInfoIKT_T0_EEjPjjSA_iijT1_PSD_Ps.uses_flat_scratch, 0
	.set _ZN2at6native6mbtopk23computeBlockDigitCountsIN3c104HalfEmjLin1EEEvNS_4cuda6detail10TensorInfoIKT_T0_EEjPjjSA_iijT1_PSD_Ps.has_dyn_sized_stack, 0
	.set _ZN2at6native6mbtopk23computeBlockDigitCountsIN3c104HalfEmjLin1EEEvNS_4cuda6detail10TensorInfoIKT_T0_EEjPjjSA_iijT1_PSD_Ps.has_recursion, 0
	.set _ZN2at6native6mbtopk23computeBlockDigitCountsIN3c104HalfEmjLin1EEEvNS_4cuda6detail10TensorInfoIKT_T0_EEjPjjSA_iijT1_PSD_Ps.has_indirect_call, 0
	.section	.AMDGPU.csdata,"",@progbits
; Kernel info:
; codeLenInByte = 1436
; TotalNumSgprs: 30
; NumVgprs: 10
; ScratchSize: 0
; MemoryBound: 0
; FloatMode: 240
; IeeeMode: 1
; LDSByteSize: 1024 bytes/workgroup (compile time only)
; SGPRBlocks: 0
; VGPRBlocks: 0
; NumSGPRsForWavesPerEU: 30
; NumVGPRsForWavesPerEU: 10
; NamedBarCnt: 0
; Occupancy: 16
; WaveLimiterHint : 0
; COMPUTE_PGM_RSRC2:SCRATCH_EN: 0
; COMPUTE_PGM_RSRC2:USER_SGPR: 2
; COMPUTE_PGM_RSRC2:TRAP_HANDLER: 0
; COMPUTE_PGM_RSRC2:TGID_X_EN: 1
; COMPUTE_PGM_RSRC2:TGID_Y_EN: 1
; COMPUTE_PGM_RSRC2:TGID_Z_EN: 1
; COMPUTE_PGM_RSRC2:TIDIG_COMP_CNT: 0
	.section	.text._ZN2at6native6mbtopk10gatherTopKIN3c104HalfEmLin1EEEvNS_4cuda6detail10TensorInfoIKT_T0_EESA_SA_bjSA_NS7_IS8_SA_EESA_NS7_IlSA_EESA_jjPS8_PjSF_j,"axG",@progbits,_ZN2at6native6mbtopk10gatherTopKIN3c104HalfEmLin1EEEvNS_4cuda6detail10TensorInfoIKT_T0_EESA_SA_bjSA_NS7_IS8_SA_EESA_NS7_IlSA_EESA_jjPS8_PjSF_j,comdat
	.protected	_ZN2at6native6mbtopk10gatherTopKIN3c104HalfEmLin1EEEvNS_4cuda6detail10TensorInfoIKT_T0_EESA_SA_bjSA_NS7_IS8_SA_EESA_NS7_IlSA_EESA_jjPS8_PjSF_j ; -- Begin function _ZN2at6native6mbtopk10gatherTopKIN3c104HalfEmLin1EEEvNS_4cuda6detail10TensorInfoIKT_T0_EESA_SA_bjSA_NS7_IS8_SA_EESA_NS7_IlSA_EESA_jjPS8_PjSF_j
	.globl	_ZN2at6native6mbtopk10gatherTopKIN3c104HalfEmLin1EEEvNS_4cuda6detail10TensorInfoIKT_T0_EESA_SA_bjSA_NS7_IS8_SA_EESA_NS7_IlSA_EESA_jjPS8_PjSF_j
	.p2align	8
	.type	_ZN2at6native6mbtopk10gatherTopKIN3c104HalfEmLin1EEEvNS_4cuda6detail10TensorInfoIKT_T0_EESA_SA_bjSA_NS7_IS8_SA_EESA_NS7_IlSA_EESA_jjPS8_PjSF_j,@function
_ZN2at6native6mbtopk10gatherTopKIN3c104HalfEmLin1EEEvNS_4cuda6detail10TensorInfoIKT_T0_EESA_SA_bjSA_NS7_IS8_SA_EESA_NS7_IlSA_EESA_jjPS8_PjSF_j: ; @_ZN2at6native6mbtopk10gatherTopKIN3c104HalfEmLin1EEEvNS_4cuda6detail10TensorInfoIKT_T0_EESA_SA_bjSA_NS7_IS8_SA_EESA_NS7_IlSA_EESA_jjPS8_PjSF_j
; %bb.0:
	s_bfe_u32 s2, ttmp6, 0x40010
	s_and_b32 s4, ttmp7, 0xffff
	s_add_co_i32 s5, s2, 1
	s_clause 0x1
	s_load_b32 s6, s[0:1], 0x530
	s_load_b64 s[2:3], s[0:1], 0x538
	s_bfe_u32 s8, ttmp6, 0x4000c
	s_mul_i32 s5, s4, s5
	s_bfe_u32 s7, ttmp6, 0x40004
	s_add_co_i32 s8, s8, 1
	s_bfe_u32 s9, ttmp6, 0x40014
	s_add_co_i32 s7, s7, s5
	s_and_b32 s5, ttmp6, 15
	s_mul_i32 s8, ttmp9, s8
	s_lshr_b32 s10, ttmp7, 16
	s_add_co_i32 s9, s9, 1
	s_add_co_i32 s5, s5, s8
	s_mul_i32 s8, s10, s9
	s_bfe_u32 s9, ttmp6, 0x40008
	s_getreg_b32 s11, hwreg(HW_REG_IB_STS2, 6, 4)
	s_add_co_i32 s9, s9, s8
	s_cmp_eq_u32 s11, 0
	s_cselect_b32 s8, s10, s9
	s_cselect_b32 s4, s4, s7
	s_wait_kmcnt 0x0
	s_mul_i32 s3, s3, s8
	s_cselect_b32 s5, ttmp9, s5
	s_add_co_i32 s3, s3, s4
	s_delay_alu instid0(SALU_CYCLE_1) | instskip(NEXT) | instid1(SALU_CYCLE_1)
	s_mul_i32 s3, s3, s2
	s_add_co_i32 s3, s3, s5
	s_delay_alu instid0(SALU_CYCLE_1)
	s_cmp_ge_u32 s3, s6
	s_cbranch_scc1 .LBB212_61
; %bb.1:
	s_load_b64 s[16:17], s[0:1], 0x510
	s_wait_kmcnt 0x0
	s_cvt_f32_u32 s2, s17
	s_sub_co_i32 s4, 0, s17
	s_lshl_b32 s33, s16, 8
	s_delay_alu instid0(SALU_CYCLE_1) | instskip(SKIP_1) | instid1(TRANS32_DEP_1)
	v_rcp_iflag_f32_e32 v1, s2
	v_nop
	v_readfirstlane_b32 s2, v1
	s_mul_f32 s2, s2, 0x4f7ffffe
	s_delay_alu instid0(SALU_CYCLE_3) | instskip(NEXT) | instid1(SALU_CYCLE_3)
	s_cvt_u32_f32 s2, s2
	s_mul_i32 s4, s4, s2
	s_delay_alu instid0(SALU_CYCLE_1) | instskip(NEXT) | instid1(SALU_CYCLE_1)
	s_mul_hi_u32 s4, s2, s4
	s_add_co_i32 s2, s2, s4
	s_load_b128 s[4:7], s[0:1], 0x1a0
	s_mul_hi_u32 s2, s3, s2
	s_delay_alu instid0(SALU_CYCLE_1) | instskip(SKIP_2) | instid1(SALU_CYCLE_1)
	s_mul_i32 s8, s2, s17
	s_add_co_i32 s9, s2, 1
	s_sub_co_i32 s8, s3, s8
	s_sub_co_i32 s10, s8, s17
	s_cmp_ge_u32 s8, s17
	s_cselect_b32 s2, s9, s2
	s_cselect_b32 s8, s10, s8
	s_add_co_i32 s9, s2, 1
	s_cmp_ge_u32 s8, s17
	s_cselect_b32 s2, s9, s2
	s_delay_alu instid0(SALU_CYCLE_1) | instskip(NEXT) | instid1(SALU_CYCLE_1)
	s_mul_i32 s20, s2, s17
	s_sub_co_i32 s44, s3, s20
	s_delay_alu instid0(SALU_CYCLE_1) | instskip(NEXT) | instid1(SALU_CYCLE_1)
	s_add_co_i32 s3, s44, 1
	s_cmp_lt_u32 s3, s17
	s_cbranch_scc1 .LBB212_3
; %bb.2:
	s_mul_i32 s8, s44, s33
	s_mov_b32 s9, 0
	s_wait_kmcnt 0x0
	s_sub_nc_u64 s[10:11], s[4:5], s[8:9]
	s_delay_alu instid0(SALU_CYCLE_1) | instskip(NEXT) | instid1(SALU_CYCLE_1)
	s_add_nc_u64 s[10:11], s[10:11], 0xff
	s_ashr_i32 s3, s11, 31
	s_delay_alu instid0(SALU_CYCLE_1) | instskip(NEXT) | instid1(SALU_CYCLE_1)
	s_lshr_b32 s8, s3, 24
	s_add_nc_u64 s[8:9], s[10:11], s[8:9]
	s_delay_alu instid0(SALU_CYCLE_1) | instskip(NEXT) | instid1(SALU_CYCLE_1)
	s_lshr_b64 s[8:9], s[8:9], 8
	s_mov_b32 s16, s8
.LBB212_3:
	s_load_b32 s10, s[0:1], 0x198
	s_mov_b32 s9, 0
	s_mov_b64 s[18:19], 0
	s_mov_b32 s3, s9
	s_delay_alu instid0(SALU_CYCLE_1)
	s_mov_b64 s[22:23], s[2:3]
	s_wait_kmcnt 0x0
	s_cmp_lt_i32 s10, 2
	s_cbranch_scc1 .LBB212_9
; %bb.4:
	s_add_co_i32 s8, s10, -1
	s_add_co_i32 s21, s10, 1
	s_lshl_b64 s[12:13], s[8:9], 3
	s_delay_alu instid0(SALU_CYCLE_1)
	s_add_nc_u64 s[10:11], s[0:1], s[12:13]
	s_mov_b64 s[12:13], s[2:3]
	s_add_nc_u64 s[10:11], s[10:11], 8
.LBB212_5:                              ; =>This Inner Loop Header: Depth=1
	s_load_b64 s[14:15], s[10:11], 0x0
	s_mov_b64 s[22:23], 0
	s_wait_kmcnt 0x0
	v_cmp_lt_u64_e64 s8, s[12:13], s[14:15]
	s_and_b32 vcc_lo, exec_lo, s8
	s_cbranch_vccnz .LBB212_7
; %bb.6:                                ;   in Loop: Header=BB212_5 Depth=1
	v_cvt_f32_u32_e32 v1, s14
	s_sub_co_i32 s22, 0, s14
	s_delay_alu instid0(VALU_DEP_1) | instskip(SKIP_1) | instid1(TRANS32_DEP_1)
	v_rcp_iflag_f32_e32 v1, v1
	v_nop
	v_mul_f32_e32 v1, 0x4f7ffffe, v1
	s_delay_alu instid0(VALU_DEP_1) | instskip(NEXT) | instid1(VALU_DEP_1)
	v_cvt_u32_f32_e32 v1, v1
	v_readfirstlane_b32 s8, v1
	s_mul_i32 s22, s22, s8
	s_delay_alu instid0(SALU_CYCLE_1) | instskip(NEXT) | instid1(SALU_CYCLE_1)
	s_mul_hi_u32 s22, s8, s22
	s_add_co_i32 s8, s8, s22
	s_delay_alu instid0(SALU_CYCLE_1) | instskip(NEXT) | instid1(SALU_CYCLE_1)
	s_mul_hi_u32 s8, s12, s8
	s_mul_i32 s22, s8, s14
	s_add_co_i32 s23, s8, 1
	s_sub_co_i32 s22, s12, s22
	s_delay_alu instid0(SALU_CYCLE_1)
	s_sub_co_i32 s24, s22, s14
	s_cmp_ge_u32 s22, s14
	s_cselect_b32 s8, s23, s8
	s_cselect_b32 s22, s24, s22
	s_add_co_i32 s23, s8, 1
	s_cmp_ge_u32 s22, s14
	s_cselect_b32 s8, s23, s8
	s_delay_alu instid0(SALU_CYCLE_1)
	s_mov_b64 s[22:23], s[8:9]
.LBB212_7:                              ;   in Loop: Header=BB212_5 Depth=1
	s_load_b64 s[24:25], s[10:11], 0xc8
	s_mul_u64 s[14:15], s[22:23], s[14:15]
	s_add_co_i32 s21, s21, -1
	s_sub_nc_u64 s[12:13], s[12:13], s[14:15]
	s_cmp_gt_u32 s21, 2
	s_wait_xcnt 0x0
	s_add_nc_u64 s[10:11], s[10:11], -8
	s_wait_kmcnt 0x0
	s_mul_u64 s[12:13], s[24:25], s[12:13]
	s_delay_alu instid0(SALU_CYCLE_1)
	s_add_nc_u64 s[18:19], s[12:13], s[18:19]
	s_cbranch_scc0 .LBB212_9
; %bb.8:                                ;   in Loop: Header=BB212_5 Depth=1
	s_mov_b64 s[12:13], s[22:23]
	s_branch .LBB212_5
.LBB212_9:
	s_load_b32 s12, s[0:1], 0x358
	s_add_nc_u64 s[8:9], s[0:1], 0x1c0
	s_mov_b64 s[24:25], 0
	s_mov_b64 s[26:27], s[2:3]
	s_wait_kmcnt 0x0
	s_cmp_lt_i32 s12, 2
	s_cbranch_scc1 .LBB212_15
; %bb.10:
	s_add_co_i32 s10, s12, -1
	s_mov_b32 s11, 0
	s_add_co_i32 s21, s12, 1
	s_lshl_b64 s[14:15], s[10:11], 3
	s_delay_alu instid0(SALU_CYCLE_1)
	s_add_nc_u64 s[12:13], s[8:9], s[14:15]
	s_mov_b64 s[14:15], s[2:3]
	s_add_nc_u64 s[12:13], s[12:13], 8
.LBB212_11:                             ; =>This Inner Loop Header: Depth=1
	s_load_b64 s[28:29], s[12:13], 0x0
	s_mov_b64 s[26:27], 0
	s_wait_kmcnt 0x0
	v_cmp_lt_u64_e64 s10, s[14:15], s[28:29]
	s_and_b32 vcc_lo, exec_lo, s10
	s_cbranch_vccnz .LBB212_13
; %bb.12:                               ;   in Loop: Header=BB212_11 Depth=1
	v_cvt_f32_u32_e32 v1, s28
	s_sub_co_i32 s26, 0, s28
	s_delay_alu instid0(VALU_DEP_1) | instskip(SKIP_1) | instid1(TRANS32_DEP_1)
	v_rcp_iflag_f32_e32 v1, v1
	v_nop
	v_mul_f32_e32 v1, 0x4f7ffffe, v1
	s_delay_alu instid0(VALU_DEP_1) | instskip(NEXT) | instid1(VALU_DEP_1)
	v_cvt_u32_f32_e32 v1, v1
	v_readfirstlane_b32 s10, v1
	s_mul_i32 s26, s26, s10
	s_delay_alu instid0(SALU_CYCLE_1) | instskip(NEXT) | instid1(SALU_CYCLE_1)
	s_mul_hi_u32 s26, s10, s26
	s_add_co_i32 s10, s10, s26
	s_delay_alu instid0(SALU_CYCLE_1) | instskip(NEXT) | instid1(SALU_CYCLE_1)
	s_mul_hi_u32 s10, s14, s10
	s_mul_i32 s26, s10, s28
	s_add_co_i32 s27, s10, 1
	s_sub_co_i32 s26, s14, s26
	s_delay_alu instid0(SALU_CYCLE_1)
	s_sub_co_i32 s30, s26, s28
	s_cmp_ge_u32 s26, s28
	s_cselect_b32 s10, s27, s10
	s_cselect_b32 s26, s30, s26
	s_add_co_i32 s27, s10, 1
	s_cmp_ge_u32 s26, s28
	s_cselect_b32 s10, s27, s10
	s_delay_alu instid0(SALU_CYCLE_1)
	s_mov_b64 s[26:27], s[10:11]
.LBB212_13:                             ;   in Loop: Header=BB212_11 Depth=1
	s_load_b64 s[30:31], s[12:13], 0xc8
	s_mul_u64 s[28:29], s[26:27], s[28:29]
	s_add_co_i32 s21, s21, -1
	s_sub_nc_u64 s[14:15], s[14:15], s[28:29]
	s_cmp_gt_u32 s21, 2
	s_wait_xcnt 0x0
	s_add_nc_u64 s[12:13], s[12:13], -8
	s_wait_kmcnt 0x0
	s_mul_u64 s[14:15], s[30:31], s[14:15]
	s_delay_alu instid0(SALU_CYCLE_1)
	s_add_nc_u64 s[24:25], s[14:15], s[24:25]
	s_cbranch_scc0 .LBB212_15
; %bb.14:                               ;   in Loop: Header=BB212_11 Depth=1
	s_mov_b64 s[14:15], s[26:27]
	s_branch .LBB212_11
.LBB212_15:
	s_clause 0x1
	s_load_b64 s[30:31], s[0:1], 0xd0
	s_load_b32 s12, s[0:1], 0x500
	s_mov_b64 s[28:29], 0
	s_wait_kmcnt 0x0
	s_cmp_lt_i32 s12, 2
	s_cbranch_scc1 .LBB212_21
; %bb.16:
	s_add_co_i32 s10, s12, -1
	s_mov_b32 s11, 0
	s_add_nc_u64 s[14:15], s[0:1], 0x368
	s_lshl_b64 s[28:29], s[10:11], 3
	s_add_co_i32 s21, s12, 1
	s_add_nc_u64 s[14:15], s[14:15], s[28:29]
	s_mov_b64 s[28:29], 0
	s_add_nc_u64 s[12:13], s[14:15], 8
	s_mov_b64 s[14:15], s[2:3]
.LBB212_17:                             ; =>This Inner Loop Header: Depth=1
	s_load_b64 s[36:37], s[12:13], 0x0
	s_mov_b64 s[34:35], 0
	s_wait_kmcnt 0x0
	v_cmp_lt_u64_e64 s10, s[14:15], s[36:37]
	s_and_b32 vcc_lo, exec_lo, s10
	s_cbranch_vccnz .LBB212_19
; %bb.18:                               ;   in Loop: Header=BB212_17 Depth=1
	v_cvt_f32_u32_e32 v1, s36
	s_sub_co_i32 s34, 0, s36
	s_delay_alu instid0(VALU_DEP_1) | instskip(SKIP_1) | instid1(TRANS32_DEP_1)
	v_rcp_iflag_f32_e32 v1, v1
	v_nop
	v_mul_f32_e32 v1, 0x4f7ffffe, v1
	s_delay_alu instid0(VALU_DEP_1) | instskip(NEXT) | instid1(VALU_DEP_1)
	v_cvt_u32_f32_e32 v1, v1
	v_readfirstlane_b32 s10, v1
	s_mul_i32 s34, s34, s10
	s_delay_alu instid0(SALU_CYCLE_1) | instskip(NEXT) | instid1(SALU_CYCLE_1)
	s_mul_hi_u32 s34, s10, s34
	s_add_co_i32 s10, s10, s34
	s_delay_alu instid0(SALU_CYCLE_1) | instskip(NEXT) | instid1(SALU_CYCLE_1)
	s_mul_hi_u32 s10, s14, s10
	s_mul_i32 s34, s10, s36
	s_add_co_i32 s35, s10, 1
	s_sub_co_i32 s34, s14, s34
	s_delay_alu instid0(SALU_CYCLE_1)
	s_sub_co_i32 s38, s34, s36
	s_cmp_ge_u32 s34, s36
	s_cselect_b32 s10, s35, s10
	s_cselect_b32 s34, s38, s34
	s_add_co_i32 s35, s10, 1
	s_cmp_ge_u32 s34, s36
	s_cselect_b32 s10, s35, s10
	s_delay_alu instid0(SALU_CYCLE_1)
	s_mov_b64 s[34:35], s[10:11]
.LBB212_19:                             ;   in Loop: Header=BB212_17 Depth=1
	s_load_b64 s[38:39], s[12:13], 0xc8
	s_mul_u64 s[36:37], s[34:35], s[36:37]
	s_add_co_i32 s21, s21, -1
	s_sub_nc_u64 s[14:15], s[14:15], s[36:37]
	s_cmp_gt_u32 s21, 2
	s_wait_xcnt 0x0
	s_add_nc_u64 s[12:13], s[12:13], -8
	s_wait_kmcnt 0x0
	s_mul_u64 s[14:15], s[38:39], s[14:15]
	s_delay_alu instid0(SALU_CYCLE_1)
	s_add_nc_u64 s[28:29], s[14:15], s[28:29]
	s_cbranch_scc0 .LBB212_22
; %bb.20:                               ;   in Loop: Header=BB212_17 Depth=1
	s_mov_b64 s[14:15], s[34:35]
	s_branch .LBB212_17
.LBB212_21:
	s_mov_b64 s[34:35], s[2:3]
.LBB212_22:
	s_load_b64 s[36:37], s[8:9], 0xd0
	s_wait_xcnt 0x0
	s_load_b128 s[8:11], s[0:1], 0x518
	v_mov_b32_e32 v1, 0
	s_lshl_b64 s[2:3], s[2:3], 1
	s_mov_b32 s21, 0
	s_wait_kmcnt 0x0
	s_add_nc_u64 s[2:3], s[8:9], s[2:3]
	global_load_u16 v1, v1, s[2:3]
	s_wait_xcnt 0x0
	v_cmp_ne_u32_e64 s2, 0, v0
	v_cmp_eq_u32_e64 s3, 0, v0
	s_wait_loadcnt 0x0
	v_readfirstlane_b32 s45, v1
	s_and_saveexec_b32 s46, s3
	s_cbranch_execz .LBB212_38
; %bb.23:
	s_load_b64 s[38:39], s[0:1], 0x528
	s_lshl_b64 s[40:41], s[20:21], 2
	s_cmp_lt_u32 s17, 4
	s_cbranch_scc1 .LBB212_35
; %bb.24:
	s_mov_b64 s[8:9], 0
	s_mov_b32 s20, 0
.LBB212_25:                             ; =>This Inner Loop Header: Depth=1
	s_add_nc_u64 s[42:43], s[10:11], s[40:41]
	s_cmp_ge_u32 s20, s44
	s_load_b128 s[12:15], s[42:43], 0x0
	s_wait_kmcnt 0x0
	s_add_nc_u64 s[42:43], s[38:39], s[40:41]
	s_cbranch_scc0 .LBB212_32
; %bb.26:                               ;   in Loop: Header=BB212_25 Depth=1
	s_add_co_i32 s47, s20, 1
	s_delay_alu instid0(SALU_CYCLE_1)
	s_cmp_ge_u32 s47, s44
	s_cbranch_scc0 .LBB212_33
.LBB212_27:                             ;   in Loop: Header=BB212_25 Depth=1
	s_add_co_i32 s47, s47, 1
	s_delay_alu instid0(SALU_CYCLE_1)
	s_cmp_ge_u32 s47, s44
	s_cbranch_scc0 .LBB212_34
.LBB212_28:                             ;   in Loop: Header=BB212_25 Depth=1
	s_add_co_i32 s47, s47, 1
	s_delay_alu instid0(SALU_CYCLE_1)
	s_cmp_ge_u32 s47, s44
	s_cbranch_scc1 .LBB212_30
.LBB212_29:                             ;   in Loop: Header=BB212_25 Depth=1
	s_load_b32 s42, s[42:43], 0xc
	s_add_co_i32 s9, s15, s9
	s_wait_kmcnt 0x0
	s_add_co_i32 s8, s42, s8
.LBB212_30:                             ;   in Loop: Header=BB212_25 Depth=1
	s_add_co_i32 s12, s12, s21
	s_add_nc_u64 s[10:11], s[10:11], 16
	s_add_co_i32 s12, s12, s13
	s_add_co_i32 s13, s47, 4
	;; [unrolled: 1-line block ×3, first 2 shown]
	s_add_nc_u64 s[38:39], s[38:39], 16
	s_add_co_i32 s21, s12, s15
	s_add_co_i32 s12, s47, 1
	s_cmp_ge_u32 s13, s17
	s_cbranch_scc1 .LBB212_36
; %bb.31:                               ;   in Loop: Header=BB212_25 Depth=1
	s_mov_b32 s20, s12
	s_branch .LBB212_25
.LBB212_32:                             ;   in Loop: Header=BB212_25 Depth=1
	s_load_b32 s47, s[42:43], 0x0
	s_add_co_i32 s9, s12, s9
	s_wait_kmcnt 0x0
	s_add_co_i32 s8, s47, s8
	s_add_co_i32 s47, s20, 1
	s_delay_alu instid0(SALU_CYCLE_1)
	s_cmp_ge_u32 s47, s44
	s_cbranch_scc1 .LBB212_27
.LBB212_33:                             ;   in Loop: Header=BB212_25 Depth=1
	s_load_b32 s48, s[42:43], 0x4
	s_add_co_i32 s9, s13, s9
	s_wait_kmcnt 0x0
	s_add_co_i32 s8, s48, s8
	s_add_co_i32 s47, s47, 1
	s_delay_alu instid0(SALU_CYCLE_1)
	s_cmp_ge_u32 s47, s44
	s_cbranch_scc1 .LBB212_28
.LBB212_34:                             ;   in Loop: Header=BB212_25 Depth=1
	s_load_b32 s48, s[42:43], 0x8
	s_add_co_i32 s9, s14, s9
	s_wait_kmcnt 0x0
	s_add_co_i32 s8, s48, s8
	s_add_co_i32 s47, s47, 1
	s_delay_alu instid0(SALU_CYCLE_1)
	s_cmp_ge_u32 s47, s44
	s_cbranch_scc0 .LBB212_29
	s_branch .LBB212_30
.LBB212_35:
	s_mov_b64 s[8:9], 0
	s_add_nc_u64 s[10:11], s[10:11], s[40:41]
	s_wait_kmcnt 0x0
	s_add_nc_u64 s[12:13], s[38:39], s[40:41]
	s_mov_b32 s14, 0
	s_delay_alu instid0(SALU_CYCLE_1)
	s_cmp_ge_u32 s14, s17
	s_cbranch_scc0 .LBB212_59
	s_branch .LBB212_37
.LBB212_36:
	s_add_co_i32 s14, s20, 4
	s_add_nc_u64 s[12:13], s[38:39], s[40:41]
	s_add_nc_u64 s[10:11], s[10:11], s[40:41]
	s_cmp_ge_u32 s14, s17
	s_cbranch_scc0 .LBB212_59
.LBB212_37:
	v_dual_mov_b32 v2, s8 :: v_dual_mov_b32 v3, s21
	v_dual_mov_b32 v4, s9 :: v_dual_mov_b32 v1, 0
	ds_store_b96 v1, v[2:4] offset:1056
.LBB212_38:
	s_or_b32 exec_lo, exec_lo, s46
	s_clause 0x3
	s_load_b64 s[10:11], s[0:1], 0x438
	s_load_b64 s[14:15], s[0:1], 0x0
	;; [unrolled: 1-line block ×4, first 2 shown]
	s_cmp_eq_u32 s16, 0
	s_wait_dscnt 0x0
	s_barrier_signal -1
	s_barrier_wait -1
	s_cbranch_scc1 .LBB212_61
; %bb.39:
	v_dual_mov_b32 v1, 0 :: v_dual_lshrrev_b32 v5, 3, v0
	s_mul_u64 s[20:21], s[30:31], s[22:23]
	s_mul_u64 s[22:23], s[36:37], s[26:27]
	s_lshl_b64 s[20:21], s[20:21], 1
	ds_load_b96 v[2:4], v1 offset:1056
	s_wait_kmcnt 0x0
	s_mul_u64 s[26:27], s[10:11], s[34:35]
	s_add_nc_u64 s[10:11], s[14:15], s[20:21]
	s_lshl_b64 s[14:15], s[18:19], 1
	s_lshl_b64 s[18:19], s[22:23], 1
	;; [unrolled: 1-line block ×3, first 2 shown]
	s_add_nc_u64 s[18:19], s[8:9], s[18:19]
	s_sext_i32_i16 s17, s45
	s_add_nc_u64 s[8:9], s[10:11], s[14:15]
	s_add_nc_u64 s[10:11], s[18:19], s[20:21]
	s_lshl_b64 s[14:15], s[26:27], 3
	s_lshl_b64 s[20:21], s[28:29], 3
	s_and_b32 s18, 0xffff, s45
	s_cmp_gt_i32 s17, -1
	s_mov_b32 s17, 0x8000
	s_add_nc_u64 s[22:23], s[12:13], s[14:15]
	s_cselect_b32 s17, s17, 0xffff
	v_dual_add_nc_u32 v6, -1, v0 :: v_dual_bitop2_b32 v5, 28, v5 bitop3:0x40
	s_xor_b32 s17, s17, s18
	s_clause 0x3
	s_load_b32 s24, s[0:1], 0x1b0
	s_load_b64 s[12:13], s[0:1], 0x1b8
	s_load_b64 s[14:15], s[0:1], 0x360
	;; [unrolled: 1-line block ×3, first 2 shown]
	s_wait_dscnt 0x0
	v_add_nc_u32_e32 v2, v2, v3
	v_lshl_add_u32 v5, v0, 2, v5
	v_lshrrev_b32_e32 v7, 3, v6
	v_and_b32_e32 v3, 0xfc, v0
	v_lshlrev_b32_e32 v10, 5, v0
	s_wait_xcnt 0x0
	v_cmp_gt_u32_e64 s0, 32, v0
	v_mad_u32 v0, s44, s33, v0
	v_and_b32_e32 v7, 0x1ffffffc, v7
	v_mbcnt_lo_u32_b32 v8, -1, 0
	s_cmp_o_f16 s45, s45
	v_add_nc_u32_e32 v10, v3, v10
	v_mov_b32_e32 v14, 0x8000
	v_lshl_add_u32 v9, v6, 2, v7
	v_and_b32_e32 v11, 15, v8
	v_bfe_i32 v12, v8, 4, 1
	v_add_nc_u32_e32 v13, -1, v8
	s_cselect_b32 s17, s17, 0xffff
	s_wait_kmcnt 0x0
	s_bitcmp1_b32 s24, 0
	s_add_nc_u64 s[20:21], s[22:23], s[20:21]
	s_cselect_b32 s1, -1, 0
                                        ; implicit-def: $vgpr15
	s_branch .LBB212_42
.LBB212_40:                             ;   in Loop: Header=BB212_42 Depth=1
	s_wait_xcnt 0x0
	s_or_b32 exec_lo, exec_lo, s22
	v_add_nc_u32_e32 v2, v3, v2
.LBB212_41:                             ;   in Loop: Header=BB212_42 Depth=1
	v_add_nc_u32_e32 v4, v16, v4
	v_add_nc_u32_e32 v0, 0x100, v0
	s_add_co_i32 s16, s16, -1
	s_delay_alu instid0(SALU_CYCLE_1)
	s_cmp_lg_u32 s16, 0
	s_cbranch_scc0 .LBB212_61
.LBB212_42:                             ; =>This Inner Loop Header: Depth=1
	v_dual_mov_b32 v3, v1 :: v_dual_mov_b32 v6, v1
	s_mov_b32 s22, exec_lo
	v_cmpx_gt_u64_e64 s[4:5], v[0:1]
	s_cbranch_execz .LBB212_44
; %bb.43:                               ;   in Loop: Header=BB212_42 Depth=1
	v_mul_u64_e32 v[6:7], s[12:13], v[0:1]
	s_delay_alu instid0(VALU_DEP_1)
	v_lshl_add_u64 v[6:7], v[6:7], 1, s[8:9]
	global_load_u16 v15, v[6:7], off
	s_wait_loadcnt 0x0
	v_cmp_lt_i16_e32 vcc_lo, -1, v15
	v_and_b32_e32 v3, 0xffff, v15
	s_wait_xcnt 0x0
	v_cndmask_b32_e32 v6, 0xffff, v14, vcc_lo
	v_cmp_o_f16_e32 vcc_lo, v15, v15
	s_delay_alu instid0(VALU_DEP_2) | instskip(NEXT) | instid1(VALU_DEP_1)
	v_xor_b32_e32 v3, v6, v3
	v_cndmask_b32_e32 v6, 0xffff, v3, vcc_lo
	s_delay_alu instid0(VALU_DEP_1) | instskip(SKIP_4) | instid1(VALU_DEP_2)
	v_cmp_lt_u32_e32 vcc_lo, s17, v6
	v_cndmask_b32_e64 v3, 0, 1, vcc_lo
	v_cmp_gt_u32_e32 vcc_lo, s17, v6
	v_cndmask_b32_e64 v7, 0, 1, vcc_lo
	v_cmp_eq_u32_e32 vcc_lo, s17, v6
	v_cndmask_b32_e64 v3, v7, v3, s1
	v_cndmask_b32_e64 v6, 0, 1, vcc_lo
	s_delay_alu instid0(VALU_DEP_2)
	v_and_b32_e32 v3, 1, v3
.LBB212_44:                             ;   in Loop: Header=BB212_42 Depth=1
	s_or_b32 exec_lo, exec_lo, s22
	ds_store_b32 v5, v3
	s_wait_dscnt 0x0
	s_barrier_signal -1
	s_barrier_wait -1
	s_and_saveexec_b32 s22, s0
	s_cbranch_execz .LBB212_46
; %bb.45:                               ;   in Loop: Header=BB212_42 Depth=1
	ds_load_2addr_b32 v[16:17], v10 offset1:1
	ds_load_2addr_b32 v[18:19], v10 offset0:2 offset1:3
	ds_load_2addr_b32 v[20:21], v10 offset0:4 offset1:5
	;; [unrolled: 1-line block ×3, first 2 shown]
	v_cmp_ne_u32_e32 vcc_lo, 0, v11
	; wave barrier
	s_wait_dscnt 0x3
	v_add_nc_u32_e32 v7, v17, v16
	s_wait_dscnt 0x2
	s_delay_alu instid0(VALU_DEP_1) | instskip(SKIP_1) | instid1(VALU_DEP_1)
	v_add3_u32 v7, v7, v18, v19
	s_wait_dscnt 0x1
	v_add3_u32 v7, v7, v20, v21
	s_wait_dscnt 0x0
	s_delay_alu instid0(VALU_DEP_1) | instskip(NEXT) | instid1(VALU_DEP_1)
	v_add3_u32 v7, v7, v22, v23
	v_mov_b32_dpp v17, v7 row_shr:1 row_mask:0xf bank_mask:0xf
	s_delay_alu instid0(VALU_DEP_1) | instskip(SKIP_1) | instid1(VALU_DEP_2)
	v_cndmask_b32_e32 v17, 0, v17, vcc_lo
	v_cmp_lt_u32_e32 vcc_lo, 1, v11
	v_add_nc_u32_e32 v7, v17, v7
	s_delay_alu instid0(VALU_DEP_1) | instskip(NEXT) | instid1(VALU_DEP_1)
	v_mov_b32_dpp v17, v7 row_shr:2 row_mask:0xf bank_mask:0xf
	v_cndmask_b32_e32 v17, 0, v17, vcc_lo
	v_cmp_lt_u32_e32 vcc_lo, 3, v11
	s_delay_alu instid0(VALU_DEP_2) | instskip(NEXT) | instid1(VALU_DEP_1)
	v_add_nc_u32_e32 v7, v7, v17
	v_mov_b32_dpp v17, v7 row_shr:4 row_mask:0xf bank_mask:0xf
	s_delay_alu instid0(VALU_DEP_1) | instskip(SKIP_1) | instid1(VALU_DEP_2)
	v_cndmask_b32_e32 v17, 0, v17, vcc_lo
	v_cmp_lt_u32_e32 vcc_lo, 7, v11
	v_add_nc_u32_e32 v7, v7, v17
	s_delay_alu instid0(VALU_DEP_1) | instskip(NEXT) | instid1(VALU_DEP_1)
	v_mov_b32_dpp v17, v7 row_shr:8 row_mask:0xf bank_mask:0xf
	v_cndmask_b32_e32 v17, 0, v17, vcc_lo
	v_cmp_gt_i32_e32 vcc_lo, 0, v13
	s_delay_alu instid0(VALU_DEP_2) | instskip(SKIP_3) | instid1(VALU_DEP_1)
	v_dual_cndmask_b32 v18, v13, v8 :: v_dual_add_nc_u32 v7, v7, v17
	ds_swizzle_b32 v17, v7 offset:swizzle(BROADCAST,32,15)
	s_wait_dscnt 0x0
	v_dual_lshlrev_b32 v18, 2, v18 :: v_dual_bitop2_b32 v17, v12, v17 bitop3:0x40
	v_add_nc_u32_e32 v7, v7, v17
	ds_bpermute_b32 v7, v18, v7
	s_wait_dscnt 0x0
	v_add_nc_u32_e32 v7, v7, v16
	s_delay_alu instid0(VALU_DEP_1)
	v_cndmask_b32_e64 v7, v7, v3, s3
	ds_store_b32 v10, v7
	; wave barrier
	ds_load_2addr_b32 v[16:17], v10 offset0:1 offset1:2
	ds_load_2addr_b32 v[18:19], v10 offset0:3 offset1:4
	;; [unrolled: 1-line block ×3, first 2 shown]
	ds_load_b32 v22, v10 offset:28
	s_wait_dscnt 0x3
	v_add_nc_u32_e32 v7, v16, v7
	s_delay_alu instid0(VALU_DEP_1) | instskip(SKIP_1) | instid1(VALU_DEP_1)
	v_add_nc_u32_e32 v16, v17, v7
	s_wait_dscnt 0x2
	v_add_nc_u32_e32 v17, v18, v16
	s_delay_alu instid0(VALU_DEP_1) | instskip(SKIP_1) | instid1(VALU_DEP_1)
	v_add_nc_u32_e32 v18, v19, v17
	;; [unrolled: 4-line block ×3, first 2 shown]
	s_wait_dscnt 0x0
	v_add_nc_u32_e32 v21, v22, v20
	ds_store_2addr_b32 v10, v7, v16 offset0:1 offset1:2
	ds_store_2addr_b32 v10, v17, v18 offset0:3 offset1:4
	;; [unrolled: 1-line block ×3, first 2 shown]
	ds_store_b32 v10, v21 offset:28
.LBB212_46:                             ;   in Loop: Header=BB212_42 Depth=1
	s_or_b32 exec_lo, exec_lo, s22
	v_mov_b32_e32 v7, 0
	s_wait_dscnt 0x0
	s_barrier_signal -1
	s_barrier_wait -1
	s_and_saveexec_b32 s22, s2
; %bb.47:                               ;   in Loop: Header=BB212_42 Depth=1
	ds_load_b32 v7, v9
; %bb.48:                               ;   in Loop: Header=BB212_42 Depth=1
	s_or_b32 exec_lo, exec_lo, s22
	ds_load_b32 v16, v1 offset:1048
	s_mov_b32 s22, exec_lo
	s_wait_dscnt 0x0
	s_barrier_signal -1
	s_barrier_wait -1
	v_cmpx_ne_u32_e32 0, v3
	s_cbranch_execz .LBB212_50
; %bb.49:                               ;   in Loop: Header=BB212_42 Depth=1
	v_dual_mov_b32 v19, v1 :: v_dual_add_nc_u32 v18, v7, v4
	s_delay_alu instid0(VALU_DEP_1) | instskip(SKIP_1) | instid1(VALU_DEP_2)
	v_mul_u64_e32 v[20:21], s[14:15], v[18:19]
	v_mul_u64_e32 v[18:19], s[18:19], v[18:19]
	v_lshl_add_u64 v[20:21], v[20:21], 1, s[10:11]
	s_delay_alu instid0(VALU_DEP_2)
	v_lshl_add_u64 v[18:19], v[18:19], 3, s[20:21]
	global_store_b16 v[20:21], v15, off
	global_store_b64 v[18:19], v[0:1], off
.LBB212_50:                             ;   in Loop: Header=BB212_42 Depth=1
	s_wait_xcnt 0x0
	s_or_b32 exec_lo, exec_lo, s22
	v_mov_b32_e32 v3, v1
	s_delay_alu instid0(VALU_DEP_1)
	v_cmp_le_u64_e32 vcc_lo, s[6:7], v[2:3]
	s_cbranch_vccnz .LBB212_41
; %bb.51:                               ;   in Loop: Header=BB212_42 Depth=1
	ds_store_b32 v5, v6
	s_wait_storecnt_dscnt 0x0
	s_barrier_signal -1
	s_barrier_wait -1
	s_and_saveexec_b32 s22, s0
	s_cbranch_execz .LBB212_53
; %bb.52:                               ;   in Loop: Header=BB212_42 Depth=1
	ds_load_2addr_b32 v[18:19], v10 offset1:1
	ds_load_2addr_b32 v[20:21], v10 offset0:2 offset1:3
	ds_load_2addr_b32 v[22:23], v10 offset0:4 offset1:5
	;; [unrolled: 1-line block ×3, first 2 shown]
	v_cmp_ne_u32_e32 vcc_lo, 0, v11
	; wave barrier
	s_wait_dscnt 0x3
	v_add_nc_u32_e32 v3, v19, v18
	s_wait_dscnt 0x2
	s_delay_alu instid0(VALU_DEP_1) | instskip(SKIP_1) | instid1(VALU_DEP_1)
	v_add3_u32 v3, v3, v20, v21
	s_wait_dscnt 0x1
	v_add3_u32 v3, v3, v22, v23
	s_wait_dscnt 0x0
	s_delay_alu instid0(VALU_DEP_1) | instskip(NEXT) | instid1(VALU_DEP_1)
	v_add3_u32 v3, v3, v24, v25
	v_mov_b32_dpp v7, v3 row_shr:1 row_mask:0xf bank_mask:0xf
	s_delay_alu instid0(VALU_DEP_1) | instskip(SKIP_1) | instid1(VALU_DEP_2)
	v_cndmask_b32_e32 v7, 0, v7, vcc_lo
	v_cmp_lt_u32_e32 vcc_lo, 1, v11
	v_add_nc_u32_e32 v3, v7, v3
	s_delay_alu instid0(VALU_DEP_1) | instskip(NEXT) | instid1(VALU_DEP_1)
	v_mov_b32_dpp v7, v3 row_shr:2 row_mask:0xf bank_mask:0xf
	v_cndmask_b32_e32 v7, 0, v7, vcc_lo
	v_cmp_lt_u32_e32 vcc_lo, 3, v11
	s_delay_alu instid0(VALU_DEP_2) | instskip(NEXT) | instid1(VALU_DEP_1)
	v_add_nc_u32_e32 v3, v3, v7
	v_mov_b32_dpp v7, v3 row_shr:4 row_mask:0xf bank_mask:0xf
	s_delay_alu instid0(VALU_DEP_1) | instskip(SKIP_1) | instid1(VALU_DEP_2)
	v_cndmask_b32_e32 v7, 0, v7, vcc_lo
	v_cmp_lt_u32_e32 vcc_lo, 7, v11
	v_add_nc_u32_e32 v3, v3, v7
	s_delay_alu instid0(VALU_DEP_1) | instskip(NEXT) | instid1(VALU_DEP_1)
	v_mov_b32_dpp v7, v3 row_shr:8 row_mask:0xf bank_mask:0xf
	v_cndmask_b32_e32 v7, 0, v7, vcc_lo
	v_cmp_gt_i32_e32 vcc_lo, 0, v13
	s_delay_alu instid0(VALU_DEP_2) | instskip(SKIP_3) | instid1(VALU_DEP_1)
	v_dual_add_nc_u32 v3, v3, v7 :: v_dual_cndmask_b32 v17, v13, v8, vcc_lo
	ds_swizzle_b32 v7, v3 offset:swizzle(BROADCAST,32,15)
	s_wait_dscnt 0x0
	v_dual_lshlrev_b32 v17, 2, v17 :: v_dual_bitop2_b32 v7, v12, v7 bitop3:0x40
	v_add_nc_u32_e32 v3, v3, v7
	ds_bpermute_b32 v3, v17, v3
	s_wait_dscnt 0x0
	v_add_nc_u32_e32 v3, v3, v18
	s_delay_alu instid0(VALU_DEP_1)
	v_cndmask_b32_e64 v3, v3, v6, s3
	ds_store_b32 v10, v3
	; wave barrier
	ds_load_2addr_b32 v[18:19], v10 offset0:1 offset1:2
	ds_load_2addr_b32 v[20:21], v10 offset0:3 offset1:4
	;; [unrolled: 1-line block ×3, first 2 shown]
	ds_load_b32 v7, v10 offset:28
	s_wait_dscnt 0x3
	v_add_nc_u32_e32 v3, v18, v3
	s_delay_alu instid0(VALU_DEP_1) | instskip(SKIP_1) | instid1(VALU_DEP_1)
	v_add_nc_u32_e32 v17, v19, v3
	s_wait_dscnt 0x2
	v_add_nc_u32_e32 v18, v20, v17
	s_delay_alu instid0(VALU_DEP_1) | instskip(SKIP_1) | instid1(VALU_DEP_1)
	v_add_nc_u32_e32 v19, v21, v18
	;; [unrolled: 4-line block ×3, first 2 shown]
	s_wait_dscnt 0x0
	v_add_nc_u32_e32 v7, v7, v21
	ds_store_2addr_b32 v10, v3, v17 offset0:1 offset1:2
	ds_store_2addr_b32 v10, v18, v19 offset0:3 offset1:4
	;; [unrolled: 1-line block ×3, first 2 shown]
	ds_store_b32 v10, v7 offset:28
.LBB212_53:                             ;   in Loop: Header=BB212_42 Depth=1
	s_or_b32 exec_lo, exec_lo, s22
	v_mov_b32_e32 v7, 0
	s_wait_dscnt 0x0
	s_barrier_signal -1
	s_barrier_wait -1
	s_and_saveexec_b32 s22, s2
; %bb.54:                               ;   in Loop: Header=BB212_42 Depth=1
	ds_load_b32 v7, v9
; %bb.55:                               ;   in Loop: Header=BB212_42 Depth=1
	s_or_b32 exec_lo, exec_lo, s22
	ds_load_b32 v3, v1 offset:1048
	s_mov_b32 s22, exec_lo
	s_wait_dscnt 0x0
	s_barrier_signal -1
	s_barrier_wait -1
	v_cmpx_ne_u32_e32 0, v6
	s_cbranch_execz .LBB212_40
; %bb.56:                               ;   in Loop: Header=BB212_42 Depth=1
	v_dual_mov_b32 v7, v1 :: v_dual_add_nc_u32 v6, v7, v2
	s_delay_alu instid0(VALU_DEP_1)
	v_cmp_gt_u64_e32 vcc_lo, s[6:7], v[6:7]
	s_and_b32 exec_lo, exec_lo, vcc_lo
	s_cbranch_execz .LBB212_40
; %bb.57:                               ;   in Loop: Header=BB212_42 Depth=1
	v_mul_u64_e32 v[18:19], s[14:15], v[6:7]
	v_mul_u64_e32 v[6:7], s[18:19], v[6:7]
	s_delay_alu instid0(VALU_DEP_2) | instskip(NEXT) | instid1(VALU_DEP_2)
	v_lshl_add_u64 v[18:19], v[18:19], 1, s[10:11]
	v_lshl_add_u64 v[6:7], v[6:7], 3, s[20:21]
	global_store_b16 v[18:19], v15, off
	global_store_b64 v[6:7], v[0:1], off
	s_branch .LBB212_40
.LBB212_58:                             ;   in Loop: Header=BB212_59 Depth=1
	s_add_co_i32 s14, s14, 1
	s_wait_kmcnt 0x0
	s_add_co_i32 s21, s15, s21
	s_add_nc_u64 s[10:11], s[10:11], 4
	s_cmp_lt_u32 s14, s17
	s_add_nc_u64 s[12:13], s[12:13], 4
	s_cbranch_scc0 .LBB212_37
.LBB212_59:                             ; =>This Inner Loop Header: Depth=1
	s_load_b32 s15, s[10:11], 0x0
	s_cmp_ge_u32 s14, s44
	s_cbranch_scc1 .LBB212_58
; %bb.60:                               ;   in Loop: Header=BB212_59 Depth=1
	s_load_b32 s20, s[12:13], 0x0
	s_wait_kmcnt 0x0
	s_add_co_i32 s9, s15, s9
	s_add_co_i32 s8, s20, s8
	s_branch .LBB212_58
.LBB212_61:
	s_endpgm
	.section	.rodata,"a",@progbits
	.p2align	6, 0x0
	.amdhsa_kernel _ZN2at6native6mbtopk10gatherTopKIN3c104HalfEmLin1EEEvNS_4cuda6detail10TensorInfoIKT_T0_EESA_SA_bjSA_NS7_IS8_SA_EESA_NS7_IlSA_EESA_jjPS8_PjSF_j
		.amdhsa_group_segment_fixed_size 1068
		.amdhsa_private_segment_fixed_size 0
		.amdhsa_kernarg_size 1592
		.amdhsa_user_sgpr_count 2
		.amdhsa_user_sgpr_dispatch_ptr 0
		.amdhsa_user_sgpr_queue_ptr 0
		.amdhsa_user_sgpr_kernarg_segment_ptr 1
		.amdhsa_user_sgpr_dispatch_id 0
		.amdhsa_user_sgpr_kernarg_preload_length 0
		.amdhsa_user_sgpr_kernarg_preload_offset 0
		.amdhsa_user_sgpr_private_segment_size 0
		.amdhsa_wavefront_size32 1
		.amdhsa_uses_dynamic_stack 0
		.amdhsa_enable_private_segment 0
		.amdhsa_system_sgpr_workgroup_id_x 1
		.amdhsa_system_sgpr_workgroup_id_y 1
		.amdhsa_system_sgpr_workgroup_id_z 1
		.amdhsa_system_sgpr_workgroup_info 0
		.amdhsa_system_vgpr_workitem_id 0
		.amdhsa_next_free_vgpr 26
		.amdhsa_next_free_sgpr 49
		.amdhsa_named_barrier_count 0
		.amdhsa_reserve_vcc 1
		.amdhsa_float_round_mode_32 0
		.amdhsa_float_round_mode_16_64 0
		.amdhsa_float_denorm_mode_32 3
		.amdhsa_float_denorm_mode_16_64 3
		.amdhsa_fp16_overflow 0
		.amdhsa_memory_ordered 1
		.amdhsa_forward_progress 1
		.amdhsa_inst_pref_size 27
		.amdhsa_round_robin_scheduling 0
		.amdhsa_exception_fp_ieee_invalid_op 0
		.amdhsa_exception_fp_denorm_src 0
		.amdhsa_exception_fp_ieee_div_zero 0
		.amdhsa_exception_fp_ieee_overflow 0
		.amdhsa_exception_fp_ieee_underflow 0
		.amdhsa_exception_fp_ieee_inexact 0
		.amdhsa_exception_int_div_zero 0
	.end_amdhsa_kernel
	.section	.text._ZN2at6native6mbtopk10gatherTopKIN3c104HalfEmLin1EEEvNS_4cuda6detail10TensorInfoIKT_T0_EESA_SA_bjSA_NS7_IS8_SA_EESA_NS7_IlSA_EESA_jjPS8_PjSF_j,"axG",@progbits,_ZN2at6native6mbtopk10gatherTopKIN3c104HalfEmLin1EEEvNS_4cuda6detail10TensorInfoIKT_T0_EESA_SA_bjSA_NS7_IS8_SA_EESA_NS7_IlSA_EESA_jjPS8_PjSF_j,comdat
.Lfunc_end212:
	.size	_ZN2at6native6mbtopk10gatherTopKIN3c104HalfEmLin1EEEvNS_4cuda6detail10TensorInfoIKT_T0_EESA_SA_bjSA_NS7_IS8_SA_EESA_NS7_IlSA_EESA_jjPS8_PjSF_j, .Lfunc_end212-_ZN2at6native6mbtopk10gatherTopKIN3c104HalfEmLin1EEEvNS_4cuda6detail10TensorInfoIKT_T0_EESA_SA_bjSA_NS7_IS8_SA_EESA_NS7_IlSA_EESA_jjPS8_PjSF_j
                                        ; -- End function
	.set _ZN2at6native6mbtopk10gatherTopKIN3c104HalfEmLin1EEEvNS_4cuda6detail10TensorInfoIKT_T0_EESA_SA_bjSA_NS7_IS8_SA_EESA_NS7_IlSA_EESA_jjPS8_PjSF_j.num_vgpr, 26
	.set _ZN2at6native6mbtopk10gatherTopKIN3c104HalfEmLin1EEEvNS_4cuda6detail10TensorInfoIKT_T0_EESA_SA_bjSA_NS7_IS8_SA_EESA_NS7_IlSA_EESA_jjPS8_PjSF_j.num_agpr, 0
	.set _ZN2at6native6mbtopk10gatherTopKIN3c104HalfEmLin1EEEvNS_4cuda6detail10TensorInfoIKT_T0_EESA_SA_bjSA_NS7_IS8_SA_EESA_NS7_IlSA_EESA_jjPS8_PjSF_j.numbered_sgpr, 49
	.set _ZN2at6native6mbtopk10gatherTopKIN3c104HalfEmLin1EEEvNS_4cuda6detail10TensorInfoIKT_T0_EESA_SA_bjSA_NS7_IS8_SA_EESA_NS7_IlSA_EESA_jjPS8_PjSF_j.num_named_barrier, 0
	.set _ZN2at6native6mbtopk10gatherTopKIN3c104HalfEmLin1EEEvNS_4cuda6detail10TensorInfoIKT_T0_EESA_SA_bjSA_NS7_IS8_SA_EESA_NS7_IlSA_EESA_jjPS8_PjSF_j.private_seg_size, 0
	.set _ZN2at6native6mbtopk10gatherTopKIN3c104HalfEmLin1EEEvNS_4cuda6detail10TensorInfoIKT_T0_EESA_SA_bjSA_NS7_IS8_SA_EESA_NS7_IlSA_EESA_jjPS8_PjSF_j.uses_vcc, 1
	.set _ZN2at6native6mbtopk10gatherTopKIN3c104HalfEmLin1EEEvNS_4cuda6detail10TensorInfoIKT_T0_EESA_SA_bjSA_NS7_IS8_SA_EESA_NS7_IlSA_EESA_jjPS8_PjSF_j.uses_flat_scratch, 0
	.set _ZN2at6native6mbtopk10gatherTopKIN3c104HalfEmLin1EEEvNS_4cuda6detail10TensorInfoIKT_T0_EESA_SA_bjSA_NS7_IS8_SA_EESA_NS7_IlSA_EESA_jjPS8_PjSF_j.has_dyn_sized_stack, 0
	.set _ZN2at6native6mbtopk10gatherTopKIN3c104HalfEmLin1EEEvNS_4cuda6detail10TensorInfoIKT_T0_EESA_SA_bjSA_NS7_IS8_SA_EESA_NS7_IlSA_EESA_jjPS8_PjSF_j.has_recursion, 0
	.set _ZN2at6native6mbtopk10gatherTopKIN3c104HalfEmLin1EEEvNS_4cuda6detail10TensorInfoIKT_T0_EESA_SA_bjSA_NS7_IS8_SA_EESA_NS7_IlSA_EESA_jjPS8_PjSF_j.has_indirect_call, 0
	.section	.AMDGPU.csdata,"",@progbits
; Kernel info:
; codeLenInByte = 3428
; TotalNumSgprs: 51
; NumVgprs: 26
; ScratchSize: 0
; MemoryBound: 0
; FloatMode: 240
; IeeeMode: 1
; LDSByteSize: 1068 bytes/workgroup (compile time only)
; SGPRBlocks: 0
; VGPRBlocks: 1
; NumSGPRsForWavesPerEU: 51
; NumVGPRsForWavesPerEU: 26
; NamedBarCnt: 0
; Occupancy: 16
; WaveLimiterHint : 1
; COMPUTE_PGM_RSRC2:SCRATCH_EN: 0
; COMPUTE_PGM_RSRC2:USER_SGPR: 2
; COMPUTE_PGM_RSRC2:TRAP_HANDLER: 0
; COMPUTE_PGM_RSRC2:TGID_X_EN: 1
; COMPUTE_PGM_RSRC2:TGID_Y_EN: 1
; COMPUTE_PGM_RSRC2:TGID_Z_EN: 1
; COMPUTE_PGM_RSRC2:TIDIG_COMP_CNT: 0
	.section	.text._ZN2at6native6sbtopk10gatherTopKIN3c104HalfEmLin1ELb0EEEvNS_4cuda6detail10TensorInfoIKT_T0_EESA_SA_bSA_SA_NS7_IS8_SA_EESA_NS7_IlSA_EESA_PS8_,"axG",@progbits,_ZN2at6native6sbtopk10gatherTopKIN3c104HalfEmLin1ELb0EEEvNS_4cuda6detail10TensorInfoIKT_T0_EESA_SA_bSA_SA_NS7_IS8_SA_EESA_NS7_IlSA_EESA_PS8_,comdat
	.protected	_ZN2at6native6sbtopk10gatherTopKIN3c104HalfEmLin1ELb0EEEvNS_4cuda6detail10TensorInfoIKT_T0_EESA_SA_bSA_SA_NS7_IS8_SA_EESA_NS7_IlSA_EESA_PS8_ ; -- Begin function _ZN2at6native6sbtopk10gatherTopKIN3c104HalfEmLin1ELb0EEEvNS_4cuda6detail10TensorInfoIKT_T0_EESA_SA_bSA_SA_NS7_IS8_SA_EESA_NS7_IlSA_EESA_PS8_
	.globl	_ZN2at6native6sbtopk10gatherTopKIN3c104HalfEmLin1ELb0EEEvNS_4cuda6detail10TensorInfoIKT_T0_EESA_SA_bSA_SA_NS7_IS8_SA_EESA_NS7_IlSA_EESA_PS8_
	.p2align	8
	.type	_ZN2at6native6sbtopk10gatherTopKIN3c104HalfEmLin1ELb0EEEvNS_4cuda6detail10TensorInfoIKT_T0_EESA_SA_bSA_SA_NS7_IS8_SA_EESA_NS7_IlSA_EESA_PS8_,@function
_ZN2at6native6sbtopk10gatherTopKIN3c104HalfEmLin1ELb0EEEvNS_4cuda6detail10TensorInfoIKT_T0_EESA_SA_bSA_SA_NS7_IS8_SA_EESA_NS7_IlSA_EESA_PS8_: ; @_ZN2at6native6sbtopk10gatherTopKIN3c104HalfEmLin1ELb0EEEvNS_4cuda6detail10TensorInfoIKT_T0_EESA_SA_bSA_SA_NS7_IS8_SA_EESA_NS7_IlSA_EESA_PS8_
; %bb.0:
	s_clause 0x1
	s_load_b128 s[28:31], s[0:1], 0x1b8
	s_load_b64 s[8:9], s[0:1], 0x520
	s_bfe_u32 s2, ttmp6, 0x40010
	s_and_b32 s3, ttmp7, 0xffff
	s_add_co_i32 s2, s2, 1
	s_bfe_u32 s5, ttmp6, 0x4000c
	s_mul_i32 s2, s3, s2
	s_bfe_u32 s4, ttmp6, 0x40004
	s_add_co_i32 s5, s5, 1
	s_bfe_u32 s6, ttmp6, 0x40014
	s_add_co_i32 s4, s4, s2
	s_and_b32 s2, ttmp6, 15
	s_mul_i32 s5, ttmp9, s5
	s_lshr_b32 s7, ttmp7, 16
	s_add_co_i32 s6, s6, 1
	s_add_co_i32 s2, s2, s5
	s_mul_i32 s5, s7, s6
	s_bfe_u32 s6, ttmp6, 0x40008
	s_getreg_b32 s10, hwreg(HW_REG_IB_STS2, 6, 4)
	s_add_co_i32 s6, s6, s5
	s_cmp_eq_u32 s10, 0
	s_cselect_b32 s5, s7, s6
	s_cselect_b32 s3, s3, s4
	s_wait_kmcnt 0x0
	s_mul_i32 s5, s9, s5
	s_cselect_b32 s9, ttmp9, s2
	s_add_co_i32 s2, s5, s3
	s_mov_b32 s5, 0
	s_mul_i32 s2, s2, s8
	s_delay_alu instid0(SALU_CYCLE_1) | instskip(NEXT) | instid1(SALU_CYCLE_1)
	s_add_co_i32 s4, s2, s9
	v_cmp_le_u64_e64 s2, s[28:29], s[4:5]
	s_and_b32 vcc_lo, exec_lo, s2
	s_cbranch_vccnz .LBB213_513
; %bb.1:
	s_load_b32 s12, s[0:1], 0x198
	s_mov_b64 s[2:3], 0
	s_mov_b64 s[6:7], s[4:5]
	s_wait_kmcnt 0x0
	s_cmp_lt_i32 s12, 2
	s_cbranch_scc1 .LBB213_9
; %bb.2:
	s_add_co_i32 s10, s12, -1
	s_mov_b32 s11, 0
	s_add_co_i32 s18, s12, 1
	s_lshl_b64 s[2:3], s[10:11], 3
	s_mov_b64 s[14:15], s[4:5]
	s_add_nc_u64 s[6:7], s[0:1], s[2:3]
	s_mov_b64 s[2:3], 0
	s_add_nc_u64 s[12:13], s[6:7], 8
.LBB213_3:                              ; =>This Inner Loop Header: Depth=1
	s_load_b64 s[16:17], s[12:13], 0x0
	s_mov_b32 s10, -1
	s_wait_kmcnt 0x0
	s_or_b64 s[6:7], s[14:15], s[16:17]
	s_delay_alu instid0(SALU_CYCLE_1) | instskip(NEXT) | instid1(SALU_CYCLE_1)
	s_and_b64 s[6:7], s[6:7], 0xffffffff00000000
	s_cmp_lg_u64 s[6:7], 0
                                        ; implicit-def: $sgpr6_sgpr7
	s_cbranch_scc0 .LBB213_5
; %bb.4:                                ;   in Loop: Header=BB213_3 Depth=1
	s_cvt_f32_u32 s6, s16
	s_cvt_f32_u32 s7, s17
	s_sub_nc_u64 s[20:21], 0, s[16:17]
	s_delay_alu instid0(SALU_CYCLE_2) | instskip(NEXT) | instid1(SALU_CYCLE_3)
	s_fmamk_f32 s6, s7, 0x4f800000, s6
	v_s_rcp_f32 s6, s6
	s_delay_alu instid0(TRANS32_DEP_1) | instskip(NEXT) | instid1(SALU_CYCLE_3)
	s_mul_f32 s6, s6, 0x5f7ffffc
	s_mul_f32 s7, s6, 0x2f800000
	s_delay_alu instid0(SALU_CYCLE_3) | instskip(NEXT) | instid1(SALU_CYCLE_3)
	s_trunc_f32 s7, s7
	s_fmamk_f32 s6, s7, 0xcf800000, s6
	s_cvt_u32_f32 s7, s7
	s_delay_alu instid0(SALU_CYCLE_2) | instskip(NEXT) | instid1(SALU_CYCLE_3)
	s_cvt_u32_f32 s6, s6
	s_mul_u64 s[22:23], s[20:21], s[6:7]
	s_delay_alu instid0(SALU_CYCLE_1)
	s_mul_hi_u32 s25, s6, s23
	s_mul_i32 s24, s6, s23
	s_mul_hi_u32 s10, s6, s22
	s_mul_i32 s26, s7, s22
	s_add_nc_u64 s[24:25], s[10:11], s[24:25]
	s_mul_hi_u32 s19, s7, s22
	s_mul_hi_u32 s27, s7, s23
	s_add_co_u32 s10, s24, s26
	s_add_co_ci_u32 s10, s25, s19
	s_mul_i32 s22, s7, s23
	s_add_co_ci_u32 s23, s27, 0
	s_delay_alu instid0(SALU_CYCLE_1) | instskip(NEXT) | instid1(SALU_CYCLE_1)
	s_add_nc_u64 s[22:23], s[10:11], s[22:23]
	s_add_co_u32 s6, s6, s22
	s_cselect_b32 s10, -1, 0
	s_delay_alu instid0(SALU_CYCLE_1) | instskip(SKIP_1) | instid1(SALU_CYCLE_1)
	s_cmp_lg_u32 s10, 0
	s_add_co_ci_u32 s7, s7, s23
	s_mul_u64 s[20:21], s[20:21], s[6:7]
	s_delay_alu instid0(SALU_CYCLE_1)
	s_mul_hi_u32 s23, s6, s21
	s_mul_i32 s22, s6, s21
	s_mul_hi_u32 s10, s6, s20
	s_mul_i32 s24, s7, s20
	s_add_nc_u64 s[22:23], s[10:11], s[22:23]
	s_mul_hi_u32 s19, s7, s20
	s_mul_hi_u32 s25, s7, s21
	s_add_co_u32 s10, s22, s24
	s_add_co_ci_u32 s10, s23, s19
	s_mul_i32 s20, s7, s21
	s_add_co_ci_u32 s21, s25, 0
	s_delay_alu instid0(SALU_CYCLE_1) | instskip(NEXT) | instid1(SALU_CYCLE_1)
	s_add_nc_u64 s[20:21], s[10:11], s[20:21]
	s_add_co_u32 s6, s6, s20
	s_cselect_b32 s19, -1, 0
	s_mul_hi_u32 s10, s14, s6
	s_cmp_lg_u32 s19, 0
	s_mul_hi_u32 s19, s15, s6
	s_add_co_ci_u32 s20, s7, s21
	s_mul_i32 s21, s15, s6
	s_mul_hi_u32 s7, s14, s20
	s_mul_i32 s6, s14, s20
	s_mul_hi_u32 s22, s15, s20
	s_add_nc_u64 s[6:7], s[10:11], s[6:7]
	s_mul_i32 s20, s15, s20
	s_add_co_u32 s6, s6, s21
	s_add_co_ci_u32 s10, s7, s19
	s_add_co_ci_u32 s21, s22, 0
	s_delay_alu instid0(SALU_CYCLE_1) | instskip(NEXT) | instid1(SALU_CYCLE_1)
	s_add_nc_u64 s[6:7], s[10:11], s[20:21]
	s_and_b64 s[20:21], s[6:7], 0xffffffff00000000
	s_delay_alu instid0(SALU_CYCLE_1) | instskip(NEXT) | instid1(SALU_CYCLE_1)
	s_or_b32 s20, s20, s6
	s_mul_u64 s[6:7], s[16:17], s[20:21]
	s_delay_alu instid0(SALU_CYCLE_1)
	s_sub_co_u32 s6, s14, s6
	s_cselect_b32 s10, -1, 0
	s_sub_co_i32 s19, s15, s7
	s_cmp_lg_u32 s10, 0
	s_sub_co_ci_u32 s19, s19, s17
	s_sub_co_u32 s22, s6, s16
	s_cselect_b32 s23, -1, 0
	s_delay_alu instid0(SALU_CYCLE_1) | instskip(SKIP_1) | instid1(SALU_CYCLE_1)
	s_cmp_lg_u32 s23, 0
	s_sub_co_ci_u32 s19, s19, 0
	s_cmp_ge_u32 s19, s17
	s_cselect_b32 s24, -1, 0
	s_cmp_ge_u32 s22, s16
	s_add_nc_u64 s[22:23], s[20:21], 1
	s_cselect_b32 s25, -1, 0
	s_cmp_eq_u32 s19, s17
	s_cselect_b32 s19, s25, s24
	s_add_nc_u64 s[24:25], s[20:21], 2
	s_cmp_lg_u32 s19, 0
	s_cselect_b32 s19, s24, s22
	s_cselect_b32 s22, s25, s23
	s_cmp_lg_u32 s10, 0
	s_sub_co_ci_u32 s7, s15, s7
	s_delay_alu instid0(SALU_CYCLE_1)
	s_cmp_ge_u32 s7, s17
	s_cselect_b32 s10, -1, 0
	s_cmp_ge_u32 s6, s16
	s_cselect_b32 s6, -1, 0
	s_cmp_eq_u32 s7, s17
	s_cselect_b32 s6, s6, s10
	s_mov_b32 s10, 0
	s_cmp_lg_u32 s6, 0
	s_cselect_b32 s7, s22, s21
	s_cselect_b32 s6, s19, s20
.LBB213_5:                              ;   in Loop: Header=BB213_3 Depth=1
	s_and_not1_b32 vcc_lo, exec_lo, s10
	s_cbranch_vccnz .LBB213_7
; %bb.6:                                ;   in Loop: Header=BB213_3 Depth=1
	v_cvt_f32_u32_e32 v1, s16
	s_sub_co_i32 s7, 0, s16
	s_delay_alu instid0(VALU_DEP_1) | instskip(SKIP_1) | instid1(TRANS32_DEP_1)
	v_rcp_iflag_f32_e32 v1, v1
	v_nop
	v_mul_f32_e32 v1, 0x4f7ffffe, v1
	s_delay_alu instid0(VALU_DEP_1) | instskip(NEXT) | instid1(VALU_DEP_1)
	v_cvt_u32_f32_e32 v1, v1
	v_readfirstlane_b32 s6, v1
	s_mul_i32 s7, s7, s6
	s_delay_alu instid0(SALU_CYCLE_1) | instskip(NEXT) | instid1(SALU_CYCLE_1)
	s_mul_hi_u32 s7, s6, s7
	s_add_co_i32 s6, s6, s7
	s_delay_alu instid0(SALU_CYCLE_1) | instskip(NEXT) | instid1(SALU_CYCLE_1)
	s_mul_hi_u32 s6, s14, s6
	s_mul_i32 s7, s6, s16
	s_add_co_i32 s10, s6, 1
	s_sub_co_i32 s7, s14, s7
	s_delay_alu instid0(SALU_CYCLE_1)
	s_sub_co_i32 s19, s7, s16
	s_cmp_ge_u32 s7, s16
	s_cselect_b32 s6, s10, s6
	s_cselect_b32 s7, s19, s7
	s_add_co_i32 s10, s6, 1
	s_cmp_ge_u32 s7, s16
	s_cselect_b32 s10, s10, s6
	s_delay_alu instid0(SALU_CYCLE_1)
	s_mov_b64 s[6:7], s[10:11]
.LBB213_7:                              ;   in Loop: Header=BB213_3 Depth=1
	s_load_b64 s[20:21], s[12:13], 0xc8
	s_mul_u64 s[16:17], s[6:7], s[16:17]
	s_add_co_i32 s18, s18, -1
	s_sub_nc_u64 s[14:15], s[14:15], s[16:17]
	s_cmp_gt_u32 s18, 2
	s_wait_xcnt 0x0
	s_add_nc_u64 s[12:13], s[12:13], -8
	s_wait_kmcnt 0x0
	s_mul_u64 s[14:15], s[20:21], s[14:15]
	s_delay_alu instid0(SALU_CYCLE_1)
	s_add_nc_u64 s[2:3], s[14:15], s[2:3]
	s_cbranch_scc0 .LBB213_9
; %bb.8:                                ;   in Loop: Header=BB213_3 Depth=1
	s_mov_b64 s[14:15], s[6:7]
	s_branch .LBB213_3
.LBB213_9:
	s_load_b32 s16, s[0:1], 0x360
	s_add_nc_u64 s[10:11], s[0:1], 0x520
	s_add_nc_u64 s[12:13], s[0:1], 0x1c8
	s_mov_b64 s[34:35], 0
	s_mov_b64 s[42:43], s[4:5]
	s_wait_kmcnt 0x0
	s_cmp_lt_i32 s16, 2
	s_cbranch_scc1 .LBB213_17
; %bb.10:
	s_add_co_i32 s14, s16, -1
	s_mov_b32 s15, 0
	s_add_co_i32 s22, s16, 1
	s_lshl_b64 s[18:19], s[14:15], 3
	s_delay_alu instid0(SALU_CYCLE_1)
	s_add_nc_u64 s[16:17], s[12:13], s[18:19]
	s_mov_b64 s[18:19], s[4:5]
	s_add_nc_u64 s[16:17], s[16:17], 8
.LBB213_11:                             ; =>This Inner Loop Header: Depth=1
	s_load_b64 s[20:21], s[16:17], 0x0
	s_mov_b32 s14, -1
                                        ; implicit-def: $sgpr42_sgpr43
	s_wait_kmcnt 0x0
	s_or_b64 s[24:25], s[18:19], s[20:21]
	s_delay_alu instid0(SALU_CYCLE_1) | instskip(NEXT) | instid1(SALU_CYCLE_1)
	s_and_b64 s[24:25], s[24:25], 0xffffffff00000000
	s_cmp_lg_u64 s[24:25], 0
	s_cbranch_scc0 .LBB213_13
; %bb.12:                               ;   in Loop: Header=BB213_11 Depth=1
	s_cvt_f32_u32 s14, s20
	s_cvt_f32_u32 s23, s21
	s_sub_nc_u64 s[26:27], 0, s[20:21]
	s_delay_alu instid0(SALU_CYCLE_2) | instskip(NEXT) | instid1(SALU_CYCLE_3)
	s_fmamk_f32 s14, s23, 0x4f800000, s14
	v_s_rcp_f32 s14, s14
	s_delay_alu instid0(TRANS32_DEP_1) | instskip(NEXT) | instid1(SALU_CYCLE_3)
	s_mul_f32 s14, s14, 0x5f7ffffc
	s_mul_f32 s23, s14, 0x2f800000
	s_delay_alu instid0(SALU_CYCLE_3) | instskip(NEXT) | instid1(SALU_CYCLE_3)
	s_trunc_f32 s23, s23
	s_fmamk_f32 s14, s23, 0xcf800000, s14
	s_cvt_u32_f32 s25, s23
	s_delay_alu instid0(SALU_CYCLE_2) | instskip(NEXT) | instid1(SALU_CYCLE_3)
	s_cvt_u32_f32 s24, s14
	s_mul_u64 s[28:29], s[26:27], s[24:25]
	s_delay_alu instid0(SALU_CYCLE_1)
	s_mul_hi_u32 s37, s24, s29
	s_mul_i32 s36, s24, s29
	s_mul_hi_u32 s14, s24, s28
	s_mul_i32 s33, s25, s28
	s_add_nc_u64 s[36:37], s[14:15], s[36:37]
	s_mul_hi_u32 s23, s25, s28
	s_mul_hi_u32 s38, s25, s29
	s_add_co_u32 s14, s36, s33
	s_add_co_ci_u32 s14, s37, s23
	s_mul_i32 s28, s25, s29
	s_add_co_ci_u32 s29, s38, 0
	s_delay_alu instid0(SALU_CYCLE_1) | instskip(NEXT) | instid1(SALU_CYCLE_1)
	s_add_nc_u64 s[28:29], s[14:15], s[28:29]
	s_add_co_u32 s24, s24, s28
	s_cselect_b32 s14, -1, 0
	s_delay_alu instid0(SALU_CYCLE_1) | instskip(SKIP_1) | instid1(SALU_CYCLE_1)
	s_cmp_lg_u32 s14, 0
	s_add_co_ci_u32 s25, s25, s29
	s_mul_u64 s[26:27], s[26:27], s[24:25]
	s_delay_alu instid0(SALU_CYCLE_1)
	s_mul_hi_u32 s29, s24, s27
	s_mul_i32 s28, s24, s27
	s_mul_hi_u32 s14, s24, s26
	s_mul_i32 s33, s25, s26
	s_add_nc_u64 s[28:29], s[14:15], s[28:29]
	s_mul_hi_u32 s23, s25, s26
	s_mul_hi_u32 s36, s25, s27
	s_add_co_u32 s14, s28, s33
	s_add_co_ci_u32 s14, s29, s23
	s_mul_i32 s26, s25, s27
	s_add_co_ci_u32 s27, s36, 0
	s_delay_alu instid0(SALU_CYCLE_1) | instskip(NEXT) | instid1(SALU_CYCLE_1)
	s_add_nc_u64 s[26:27], s[14:15], s[26:27]
	s_add_co_u32 s23, s24, s26
	s_cselect_b32 s24, -1, 0
	s_mul_hi_u32 s14, s18, s23
	s_cmp_lg_u32 s24, 0
	s_mul_hi_u32 s28, s19, s23
	s_add_co_ci_u32 s26, s25, s27
	s_mul_i32 s23, s19, s23
	s_mul_hi_u32 s25, s18, s26
	s_mul_i32 s24, s18, s26
	s_mul_hi_u32 s27, s19, s26
	s_add_nc_u64 s[24:25], s[14:15], s[24:25]
	s_mul_i32 s26, s19, s26
	s_add_co_u32 s14, s24, s23
	s_add_co_ci_u32 s14, s25, s28
	s_add_co_ci_u32 s27, s27, 0
	s_delay_alu instid0(SALU_CYCLE_1) | instskip(NEXT) | instid1(SALU_CYCLE_1)
	s_add_nc_u64 s[24:25], s[14:15], s[26:27]
	s_and_b64 s[26:27], s[24:25], 0xffffffff00000000
	s_delay_alu instid0(SALU_CYCLE_1) | instskip(NEXT) | instid1(SALU_CYCLE_1)
	s_or_b32 s26, s26, s24
	s_mul_u64 s[24:25], s[20:21], s[26:27]
	s_delay_alu instid0(SALU_CYCLE_1)
	s_sub_co_u32 s14, s18, s24
	s_cselect_b32 s23, -1, 0
	s_sub_co_i32 s24, s19, s25
	s_cmp_lg_u32 s23, 0
	s_sub_co_ci_u32 s24, s24, s21
	s_sub_co_u32 s28, s14, s20
	s_cselect_b32 s29, -1, 0
	s_delay_alu instid0(SALU_CYCLE_1) | instskip(SKIP_1) | instid1(SALU_CYCLE_1)
	s_cmp_lg_u32 s29, 0
	s_sub_co_ci_u32 s24, s24, 0
	s_cmp_ge_u32 s24, s21
	s_cselect_b32 s33, -1, 0
	s_cmp_ge_u32 s28, s20
	s_add_nc_u64 s[28:29], s[26:27], 1
	s_cselect_b32 s36, -1, 0
	s_cmp_eq_u32 s24, s21
	s_cselect_b32 s24, s36, s33
	s_add_nc_u64 s[36:37], s[26:27], 2
	s_cmp_lg_u32 s24, 0
	s_cselect_b32 s24, s36, s28
	s_cselect_b32 s28, s37, s29
	s_cmp_lg_u32 s23, 0
	s_sub_co_ci_u32 s23, s19, s25
	s_delay_alu instid0(SALU_CYCLE_1)
	s_cmp_ge_u32 s23, s21
	s_cselect_b32 s25, -1, 0
	s_cmp_ge_u32 s14, s20
	s_cselect_b32 s14, -1, 0
	s_cmp_eq_u32 s23, s21
	s_cselect_b32 s14, s14, s25
	s_delay_alu instid0(SALU_CYCLE_1)
	s_cmp_lg_u32 s14, 0
	s_mov_b32 s14, 0
	s_cselect_b32 s43, s28, s27
	s_cselect_b32 s42, s24, s26
.LBB213_13:                             ;   in Loop: Header=BB213_11 Depth=1
	s_and_not1_b32 vcc_lo, exec_lo, s14
	s_cbranch_vccnz .LBB213_15
; %bb.14:                               ;   in Loop: Header=BB213_11 Depth=1
	v_cvt_f32_u32_e32 v1, s20
	s_sub_co_i32 s23, 0, s20
	s_delay_alu instid0(VALU_DEP_1) | instskip(SKIP_1) | instid1(TRANS32_DEP_1)
	v_rcp_iflag_f32_e32 v1, v1
	v_nop
	v_mul_f32_e32 v1, 0x4f7ffffe, v1
	s_delay_alu instid0(VALU_DEP_1) | instskip(NEXT) | instid1(VALU_DEP_1)
	v_cvt_u32_f32_e32 v1, v1
	v_readfirstlane_b32 s14, v1
	s_mul_i32 s23, s23, s14
	s_delay_alu instid0(SALU_CYCLE_1) | instskip(NEXT) | instid1(SALU_CYCLE_1)
	s_mul_hi_u32 s23, s14, s23
	s_add_co_i32 s14, s14, s23
	s_delay_alu instid0(SALU_CYCLE_1) | instskip(NEXT) | instid1(SALU_CYCLE_1)
	s_mul_hi_u32 s14, s18, s14
	s_mul_i32 s23, s14, s20
	s_add_co_i32 s24, s14, 1
	s_sub_co_i32 s23, s18, s23
	s_delay_alu instid0(SALU_CYCLE_1)
	s_sub_co_i32 s25, s23, s20
	s_cmp_ge_u32 s23, s20
	s_cselect_b32 s14, s24, s14
	s_cselect_b32 s23, s25, s23
	s_add_co_i32 s24, s14, 1
	s_cmp_ge_u32 s23, s20
	s_cselect_b32 s14, s24, s14
	s_delay_alu instid0(SALU_CYCLE_1)
	s_mov_b64 s[42:43], s[14:15]
.LBB213_15:                             ;   in Loop: Header=BB213_11 Depth=1
	s_load_b64 s[24:25], s[16:17], 0xc8
	s_mul_u64 s[20:21], s[42:43], s[20:21]
	s_add_co_i32 s22, s22, -1
	s_sub_nc_u64 s[18:19], s[18:19], s[20:21]
	s_cmp_gt_u32 s22, 2
	s_wait_xcnt 0x0
	s_add_nc_u64 s[16:17], s[16:17], -8
	s_wait_kmcnt 0x0
	s_mul_u64 s[18:19], s[24:25], s[18:19]
	s_delay_alu instid0(SALU_CYCLE_1)
	s_add_nc_u64 s[34:35], s[18:19], s[34:35]
	s_cbranch_scc0 .LBB213_17
; %bb.16:                               ;   in Loop: Header=BB213_11 Depth=1
	s_mov_b64 s[18:19], s[42:43]
	s_branch .LBB213_11
.LBB213_17:
	s_clause 0x1
	s_load_b64 s[14:15], s[0:1], 0xd0
	s_load_b32 s18, s[0:1], 0x508
	s_mov_b64 s[46:47], 0
	s_wait_kmcnt 0x0
	s_cmp_lt_i32 s18, 2
	s_cbranch_scc1 .LBB213_25
; %bb.18:
	s_add_co_i32 s16, s18, -1
	s_mov_b32 s17, 0
	s_add_nc_u64 s[20:21], s[0:1], 0x370
	s_lshl_b64 s[22:23], s[16:17], 3
	s_delay_alu instid0(SALU_CYCLE_1)
	s_add_nc_u64 s[20:21], s[20:21], s[22:23]
	s_add_co_i32 s22, s18, 1
	s_add_nc_u64 s[18:19], s[20:21], 8
.LBB213_19:                             ; =>This Inner Loop Header: Depth=1
	s_load_b64 s[20:21], s[18:19], 0x0
	s_mov_b32 s16, -1
                                        ; implicit-def: $sgpr50_sgpr51
	s_wait_kmcnt 0x0
	s_or_b64 s[24:25], s[4:5], s[20:21]
	s_delay_alu instid0(SALU_CYCLE_1) | instskip(NEXT) | instid1(SALU_CYCLE_1)
	s_and_b64 s[24:25], s[24:25], 0xffffffff00000000
	s_cmp_lg_u64 s[24:25], 0
	s_cbranch_scc0 .LBB213_21
; %bb.20:                               ;   in Loop: Header=BB213_19 Depth=1
	s_cvt_f32_u32 s16, s20
	s_cvt_f32_u32 s23, s21
	s_sub_nc_u64 s[26:27], 0, s[20:21]
	s_delay_alu instid0(SALU_CYCLE_2) | instskip(NEXT) | instid1(SALU_CYCLE_3)
	s_fmamk_f32 s16, s23, 0x4f800000, s16
	v_s_rcp_f32 s16, s16
	s_delay_alu instid0(TRANS32_DEP_1) | instskip(NEXT) | instid1(SALU_CYCLE_3)
	s_mul_f32 s16, s16, 0x5f7ffffc
	s_mul_f32 s23, s16, 0x2f800000
	s_delay_alu instid0(SALU_CYCLE_3) | instskip(NEXT) | instid1(SALU_CYCLE_3)
	s_trunc_f32 s23, s23
	s_fmamk_f32 s16, s23, 0xcf800000, s16
	s_cvt_u32_f32 s25, s23
	s_delay_alu instid0(SALU_CYCLE_2) | instskip(NEXT) | instid1(SALU_CYCLE_3)
	s_cvt_u32_f32 s24, s16
	s_mul_u64 s[28:29], s[26:27], s[24:25]
	s_delay_alu instid0(SALU_CYCLE_1)
	s_mul_hi_u32 s37, s24, s29
	s_mul_i32 s36, s24, s29
	s_mul_hi_u32 s16, s24, s28
	s_mul_i32 s33, s25, s28
	s_add_nc_u64 s[36:37], s[16:17], s[36:37]
	s_mul_hi_u32 s23, s25, s28
	s_mul_hi_u32 s38, s25, s29
	s_add_co_u32 s16, s36, s33
	s_add_co_ci_u32 s16, s37, s23
	s_mul_i32 s28, s25, s29
	s_add_co_ci_u32 s29, s38, 0
	s_delay_alu instid0(SALU_CYCLE_1) | instskip(NEXT) | instid1(SALU_CYCLE_1)
	s_add_nc_u64 s[28:29], s[16:17], s[28:29]
	s_add_co_u32 s24, s24, s28
	s_cselect_b32 s16, -1, 0
	s_delay_alu instid0(SALU_CYCLE_1) | instskip(SKIP_1) | instid1(SALU_CYCLE_1)
	s_cmp_lg_u32 s16, 0
	s_add_co_ci_u32 s25, s25, s29
	s_mul_u64 s[26:27], s[26:27], s[24:25]
	s_delay_alu instid0(SALU_CYCLE_1)
	s_mul_hi_u32 s29, s24, s27
	s_mul_i32 s28, s24, s27
	s_mul_hi_u32 s16, s24, s26
	s_mul_i32 s33, s25, s26
	s_add_nc_u64 s[28:29], s[16:17], s[28:29]
	s_mul_hi_u32 s23, s25, s26
	s_mul_hi_u32 s36, s25, s27
	s_add_co_u32 s16, s28, s33
	s_add_co_ci_u32 s16, s29, s23
	s_mul_i32 s26, s25, s27
	s_add_co_ci_u32 s27, s36, 0
	s_delay_alu instid0(SALU_CYCLE_1) | instskip(NEXT) | instid1(SALU_CYCLE_1)
	s_add_nc_u64 s[26:27], s[16:17], s[26:27]
	s_add_co_u32 s23, s24, s26
	s_cselect_b32 s24, -1, 0
	s_mul_hi_u32 s16, s4, s23
	s_cmp_lg_u32 s24, 0
	s_mul_hi_u32 s28, s5, s23
	s_add_co_ci_u32 s26, s25, s27
	s_mul_i32 s23, s5, s23
	s_mul_hi_u32 s25, s4, s26
	s_mul_i32 s24, s4, s26
	s_mul_hi_u32 s27, s5, s26
	s_add_nc_u64 s[24:25], s[16:17], s[24:25]
	s_mul_i32 s26, s5, s26
	s_add_co_u32 s16, s24, s23
	s_add_co_ci_u32 s16, s25, s28
	s_add_co_ci_u32 s27, s27, 0
	s_delay_alu instid0(SALU_CYCLE_1) | instskip(NEXT) | instid1(SALU_CYCLE_1)
	s_add_nc_u64 s[24:25], s[16:17], s[26:27]
	s_and_b64 s[26:27], s[24:25], 0xffffffff00000000
	s_delay_alu instid0(SALU_CYCLE_1) | instskip(NEXT) | instid1(SALU_CYCLE_1)
	s_or_b32 s26, s26, s24
	s_mul_u64 s[24:25], s[20:21], s[26:27]
	s_delay_alu instid0(SALU_CYCLE_1)
	s_sub_co_u32 s16, s4, s24
	s_cselect_b32 s23, -1, 0
	s_sub_co_i32 s24, s5, s25
	s_cmp_lg_u32 s23, 0
	s_sub_co_ci_u32 s24, s24, s21
	s_sub_co_u32 s28, s16, s20
	s_cselect_b32 s29, -1, 0
	s_delay_alu instid0(SALU_CYCLE_1) | instskip(SKIP_1) | instid1(SALU_CYCLE_1)
	s_cmp_lg_u32 s29, 0
	s_sub_co_ci_u32 s24, s24, 0
	s_cmp_ge_u32 s24, s21
	s_cselect_b32 s33, -1, 0
	s_cmp_ge_u32 s28, s20
	s_add_nc_u64 s[28:29], s[26:27], 1
	s_cselect_b32 s36, -1, 0
	s_cmp_eq_u32 s24, s21
	s_cselect_b32 s24, s36, s33
	s_add_nc_u64 s[36:37], s[26:27], 2
	s_cmp_lg_u32 s24, 0
	s_cselect_b32 s24, s36, s28
	s_cselect_b32 s28, s37, s29
	s_cmp_lg_u32 s23, 0
	s_sub_co_ci_u32 s23, s5, s25
	s_delay_alu instid0(SALU_CYCLE_1)
	s_cmp_ge_u32 s23, s21
	s_cselect_b32 s25, -1, 0
	s_cmp_ge_u32 s16, s20
	s_cselect_b32 s16, -1, 0
	s_cmp_eq_u32 s23, s21
	s_cselect_b32 s16, s16, s25
	s_delay_alu instid0(SALU_CYCLE_1)
	s_cmp_lg_u32 s16, 0
	s_mov_b32 s16, 0
	s_cselect_b32 s51, s28, s27
	s_cselect_b32 s50, s24, s26
.LBB213_21:                             ;   in Loop: Header=BB213_19 Depth=1
	s_and_not1_b32 vcc_lo, exec_lo, s16
	s_cbranch_vccnz .LBB213_23
; %bb.22:                               ;   in Loop: Header=BB213_19 Depth=1
	v_cvt_f32_u32_e32 v1, s20
	s_sub_co_i32 s23, 0, s20
	s_delay_alu instid0(VALU_DEP_1) | instskip(SKIP_1) | instid1(TRANS32_DEP_1)
	v_rcp_iflag_f32_e32 v1, v1
	v_nop
	v_mul_f32_e32 v1, 0x4f7ffffe, v1
	s_delay_alu instid0(VALU_DEP_1) | instskip(NEXT) | instid1(VALU_DEP_1)
	v_cvt_u32_f32_e32 v1, v1
	v_readfirstlane_b32 s16, v1
	s_mul_i32 s23, s23, s16
	s_delay_alu instid0(SALU_CYCLE_1) | instskip(NEXT) | instid1(SALU_CYCLE_1)
	s_mul_hi_u32 s23, s16, s23
	s_add_co_i32 s16, s16, s23
	s_delay_alu instid0(SALU_CYCLE_1) | instskip(NEXT) | instid1(SALU_CYCLE_1)
	s_mul_hi_u32 s16, s4, s16
	s_mul_i32 s23, s16, s20
	s_add_co_i32 s24, s16, 1
	s_sub_co_i32 s23, s4, s23
	s_delay_alu instid0(SALU_CYCLE_1)
	s_sub_co_i32 s25, s23, s20
	s_cmp_ge_u32 s23, s20
	s_cselect_b32 s16, s24, s16
	s_cselect_b32 s23, s25, s23
	s_add_co_i32 s24, s16, 1
	s_cmp_ge_u32 s23, s20
	s_cselect_b32 s16, s24, s16
	s_delay_alu instid0(SALU_CYCLE_1)
	s_mov_b64 s[50:51], s[16:17]
.LBB213_23:                             ;   in Loop: Header=BB213_19 Depth=1
	s_load_b64 s[24:25], s[18:19], 0xc8
	s_mul_u64 s[20:21], s[50:51], s[20:21]
	s_add_co_i32 s22, s22, -1
	s_sub_nc_u64 s[4:5], s[4:5], s[20:21]
	s_cmp_gt_u32 s22, 2
	s_wait_xcnt 0x0
	s_add_nc_u64 s[18:19], s[18:19], -8
	s_wait_kmcnt 0x0
	s_mul_u64 s[4:5], s[24:25], s[4:5]
	s_delay_alu instid0(SALU_CYCLE_1)
	s_add_nc_u64 s[46:47], s[4:5], s[46:47]
	s_cbranch_scc0 .LBB213_26
; %bb.24:                               ;   in Loop: Header=BB213_19 Depth=1
	s_mov_b64 s[4:5], s[50:51]
	s_branch .LBB213_19
.LBB213_25:
	s_mov_b64 s[50:51], s[4:5]
.LBB213_26:
	s_clause 0x1
	s_load_b64 s[4:5], s[12:13], 0xd0
	s_load_b128 s[36:39], s[0:1], 0x1a0
	s_wait_xcnt 0x0
	s_load_b64 s[12:13], s[0:1], 0x0
                                        ; implicit-def: $vgpr63 : SGPR spill to VGPR lane
	s_mov_b32 s29, 0
	s_wait_kmcnt 0x0
	v_writelane_b32 v63, s4, 0
	v_writelane_b32 v63, s5, 1
	v_cmp_eq_u32_e64 s5, 0, v0
	s_and_saveexec_b32 s4, s5
	s_cbranch_execz .LBB213_28
; %bb.27:
	v_dual_mov_b32 v2, 0 :: v_dual_mov_b32 v4, s36
	s_delay_alu instid0(VALU_DEP_1)
	v_dual_mov_b32 v5, s37 :: v_dual_mov_b32 v3, v2
	ds_store_b32 v2, v2 offset:5144
	ds_store_b128 v2, v[2:5] offset:5120
.LBB213_28:
	s_or_b32 exec_lo, exec_lo, s4
	s_lshl_b64 s[60:61], s[2:3], 1
	s_load_b64 s[2:3], s[0:1], 0x440
	v_dual_mov_b32 v3, 0 :: v_dual_add_nc_u32 v2, 2, v0
	s_wait_dscnt 0x0
	s_barrier_signal -1
	s_barrier_wait -1
	s_load_b32 s4, s[10:11], 0xc
	v_max_u64 v[4:5], s[36:37], v[2:3]
	v_mbcnt_lo_u32_b32 v13, -1, 0
	s_mul_u64 s[14:15], s[14:15], s[6:7]
	v_cmp_gt_u32_e32 vcc_lo, 32, v0
	s_lshl_b64 s[14:15], s[14:15], 1
	v_dual_mov_b32 v1, v3 :: v_dual_lshlrev_b32 v16, 2, v0
	v_cmp_gt_i32_e64 s7, 4, v13
	v_dual_mov_b32 v9, -1 :: v_dual_lshlrev_b32 v46, 1, v0
	s_delay_alu instid0(VALU_DEP_3)
	v_mul_u64_e32 v[6:7], s[30:31], v[0:1]
	v_not_b32_e32 v8, v0
	s_wait_kmcnt 0x0
	v_writelane_b32 v63, s2, 2
	s_add_nc_u64 s[16:17], s[12:13], s[14:15]
	v_lshlrev_b64_e64 v[10:11], v13, -1
	s_mov_b32 s41, s29
	s_add_nc_u64 s[62:63], s[16:17], s[60:61]
	v_writelane_b32 v63, s3, 3
	s_load_b64 s[2:3], s[0:1], 0x1c8
	v_cmp_lt_u64_e64 s33, 0x600, s[36:37]
	s_movk_i32 s18, 0x3e0
	v_cmp_gt_u64_e64 s104, s[36:37], v[0:1]
	v_mov_b64_e32 v[32:33], s[38:39]
	v_dual_mov_b32 v54, 0 :: v_dual_add_nc_u32 v47, 0xc00, v46
	v_not_b32_e32 v12, v10
	v_and_or_b32 v48, v0, s18, 0xc00
	v_lshl_or_b32 v51, v13, 3, 0xc00
	v_mov_b32_e32 v52, 0x8000
	s_mov_b32 s68, s30
	s_mov_b32 s69, s31
	;; [unrolled: 1-line block ×3, first 2 shown]
	v_add_nc_u64_e32 v[4:5], v[4:5], v[8:9]
	v_mov_b32_e32 v17, v3
	s_mov_b32 s71, s31
	v_lshlrev_b32_e32 v49, 3, v0
	s_mov_b32 s72, s30
	s_mov_b32 s73, s31
	s_wait_kmcnt 0x0
	v_writelane_b32 v63, s2, 4
	v_dual_mov_b32 v19, v5 :: v_dual_bitop2_b32 v18, -4, v4 bitop3:0x40
	v_cmp_lt_u64_e64 s52, 3, v[4:5]
	v_dual_mov_b32 v50, 0 :: v_dual_bitop2_b32 v2, 6, v49 bitop3:0x54
	v_writelane_b32 v63, s3, 5
	s_load_b64 s[2:3], s[0:1], 0x370
	v_cmp_ne_u64_e64 s81, v[4:5], v[18:19]
	v_dual_mov_b32 v53, 0 :: v_dual_bitop2_b32 v4, 4, v49 bitop3:0x54
	v_or_b32_e32 v5, 2, v49
	v_mad_nc_u64_u32 v[22:23], s30, v2, s[16:17]
	v_lshlrev_b64_e32 v[8:9], 1, v[6:7]
	s_delay_alu instid0(VALU_DEP_4)
	v_mad_nc_u64_u32 v[24:25], s30, v4, s[16:17]
	v_add_nc_u64_e32 v[20:21], v[18:19], v[0:1]
	v_mad_nc_u64_u32 v[26:27], s30, v5, s[16:17]
	v_lshl_add_u64 v[28:29], v[6:7], 3, s[16:17]
	s_mov_b32 s54, 14
	s_movk_i32 s53, 0x3c00
	v_add_nc_u64_e32 v[14:15], s[62:63], v[8:9]
	s_mov_b32 s55, 0
	s_mov_b32 s57, 0
	v_mad_u32 v23, s31, v2, v23
                                        ; implicit-def: $sgpr56
                                        ; implicit-def: $sgpr59
                                        ; implicit-def: $sgpr48
                                        ; implicit-def: $sgpr58
                                        ; implicit-def: $sgpr74
                                        ; implicit-def: $sgpr75
                                        ; implicit-def: $sgpr49
	v_mad_u32 v25, s31, v4, v25
	s_wait_kmcnt 0x0
	v_writelane_b32 v63, s2, 6
	v_mad_u32 v27, s31, v5, v27
	v_writelane_b32 v63, s3, 7
	v_cmp_eq_u32_e64 s2, 0, v13
	v_writelane_b32 v63, s0, 8
	s_load_b32 s3, s[0:1], 0x1b0
	v_writelane_b32 v63, s1, 9
	s_wait_xcnt 0x0
	v_cmp_gt_u32_e64 s0, 2, v0
	s_wait_kmcnt 0x0
	s_bitcmp1_b32 s3, 0
	s_cselect_b32 s102, -1, 0
	s_and_b32 s40, s4, 0xffff
	s_and_b32 s98, vcc_lo, s7
	s_bfe_u32 s3, s4, 0xb0005
	s_xor_b32 s99, s102, -1
	s_cmp_gt_u32 s40, 31
	s_add_nc_u64 s[64:65], s[40:41], -1
	s_cselect_b32 s100, -1, 0
	s_cmp_lt_u32 s9, s8
	s_add_nc_u64 s[8:9], s[14:15], s[60:61]
	s_cselect_b32 s28, 12, 18
	s_add_nc_u64 s[8:9], s[12:13], s[8:9]
	s_add_co_i32 s4, s3, -1
	v_writelane_b32 v63, s8, 10
	s_and_b32 s4, s4, 0xffff
	s_bfe_u32 s80, s40, 0x30005
	s_cmp_gt_u32 s4, 6
	s_add_nc_u64 s[66:67], s[64:65], s[36:37]
	s_cselect_b32 s1, -1, 0
	s_and_b32 s103, s3, 0x7f8
	v_writelane_b32 v63, s9, 11
	s_cmp_lg_u32 s80, 0
	s_add_nc_u64 s[82:83], s[10:11], s[28:29]
	s_cselect_b32 s6, -1, 0
	s_lshl_b64 s[8:9], s[30:31], 1
	s_lshl_b32 vcc_hi, s40, 1
	v_writelane_b32 v63, s8, 12
                                        ; implicit-def: $sgpr7
                                        ; implicit-def: $sgpr4
	v_writelane_b32 v63, s9, 13
	s_lshl_b64 s[8:9], s[30:31], 3
	s_delay_alu instid0(SALU_CYCLE_1) | instskip(SKIP_2) | instid1(SALU_CYCLE_1)
	v_writelane_b32 v63, s8, 14
	v_writelane_b32 v63, s9, 15
	s_add_nc_u64 s[8:9], s[12:13], s[60:61]
	s_add_nc_u64 s[12:13], s[8:9], s[14:15]
	s_mul_u64 s[8:9], s[30:31], s[40:41]
	v_writelane_b32 v63, s12, 16
	v_add_nc_u64_e32 v[30:31], s[12:13], v[8:9]
	s_lshl_b64 s[44:45], s[8:9], 1
	s_and_b64 s[8:9], s[36:37], 0xffffffff00000000
	v_writelane_b32 v63, s13, 17
	v_writelane_b32 v63, s8, 18
	;; [unrolled: 1-line block ×3, first 2 shown]
                                        ; implicit-def: $sgpr8
	s_branch .LBB213_31
.LBB213_29:                             ;   in Loop: Header=BB213_31 Depth=1
	s_or_b32 exec_lo, exec_lo, s11
	v_mov_b64_e32 v[32:33], v[4:5]
	s_and_not1_b32 s4, s4, exec_lo
	s_and_b32 s10, s10, exec_lo
	s_and_not1_b32 s7, s7, exec_lo
	s_or_b32 s4, s4, s10
	s_and_not1_b32 s49, s49, exec_lo
	s_and_not1_b32 s75, s75, exec_lo
	;; [unrolled: 1-line block ×3, first 2 shown]
	s_or_not1_b32 s9, s9, exec_lo
.LBB213_30:                             ;   in Loop: Header=BB213_31 Depth=1
	s_or_b32 exec_lo, exec_lo, s3
	s_delay_alu instid0(SALU_CYCLE_1) | instskip(NEXT) | instid1(SALU_CYCLE_1)
	s_and_b32 s3, exec_lo, s9
	s_or_b32 s55, s3, s55
	s_and_not1_b32 s3, s58, exec_lo
	s_and_b32 s9, s4, exec_lo
	s_and_not1_b32 s10, s48, exec_lo
	s_or_b32 s58, s3, s9
	s_and_b32 s3, s7, exec_lo
	s_and_not1_b32 s9, s59, exec_lo
	s_and_b32 s11, s49, exec_lo
	s_or_b32 s48, s10, s3
	s_or_b32 s59, s9, s11
	s_and_not1_b32 s3, s8, exec_lo
	s_and_b32 s8, s75, exec_lo
	s_and_not1_b32 s9, s56, exec_lo
	s_and_b32 s10, s74, exec_lo
	s_or_b32 s8, s3, s8
	s_or_b32 s56, s9, s10
	s_and_not1_b32 exec_lo, exec_lo, s55
	s_cbranch_execz .LBB213_509
.LBB213_31:                             ; =>This Loop Header: Depth=1
                                        ;     Child Loop BB213_36 Depth 2
                                        ;     Child Loop BB213_50 Depth 2
	;; [unrolled: 1-line block ×25, first 2 shown]
	ds_load_b128 v[4:7], v3 offset:5120
	s_wait_dscnt 0x0
	v_readfirstlane_b32 s85, v5
	v_readfirstlane_b32 s84, v4
	s_cmp_lg_u64 s[84:85], 0
	s_cbranch_scc1 .LBB213_63
; %bb.32:                               ;   in Loop: Header=BB213_31 Depth=1
	s_and_b32 vcc_lo, exec_lo, s33
	s_cbranch_vccz .LBB213_44
; %bb.33:                               ;   in Loop: Header=BB213_31 Depth=1
	v_cmp_gt_u64_e32 vcc_lo, 0x601, v[6:7]
	s_mov_b32 s3, 0
	s_mov_b32 s9, 0
	s_cbranch_vccz .LBB213_45
; %bb.34:                               ;   in Loop: Header=BB213_31 Depth=1
	global_load_u16 v2, v3, s[82:83]
	global_load_u16 v10, v[14:15], off
	v_readlane_b32 s12, v63, 12
	v_readlane_b32 s13, v63, 13
	;; [unrolled: 1-line block ×4, first 2 shown]
	s_wait_loadcnt 0x1
	v_and_b32_e32 v2, 0xffff, v2
	s_delay_alu instid0(VALU_DEP_1) | instskip(SKIP_1) | instid1(VALU_DEP_1)
	v_mul_u64_e32 v[4:5], s[12:13], v[2:3]
	v_add_nc_u32_e32 v8, v0, v2
	v_mad_nc_u64_u32 v[6:7], s12, v8, s[10:11]
	s_mov_b32 s11, 0
	s_delay_alu instid0(VALU_DEP_1)
	v_mad_u32 v7, s13, v8, v7
	v_mov_b64_e32 v[8:9], v[0:1]
	s_branch .LBB213_36
.LBB213_35:                             ;   in Loop: Header=BB213_36 Depth=2
	s_or_b32 exec_lo, exec_lo, s10
	v_add_nc_u64_e32 v[6:7], v[6:7], v[4:5]
	v_mov_b32_e32 v10, v11
	s_and_not1_b32 exec_lo, exec_lo, s11
	s_cbranch_execz .LBB213_118
.LBB213_36:                             ;   Parent Loop BB213_31 Depth=1
                                        ; =>  This Inner Loop Header: Depth=2
	s_delay_alu instid0(VALU_DEP_1) | instskip(SKIP_3) | instid1(VALU_DEP_2)
	v_add_nc_u64_e32 v[8:9], v[8:9], v[2:3]
	s_wait_dscnt 0x0
	v_dual_mov_b32 v34, 0 :: v_dual_mov_b32 v11, 0
	s_mov_b32 s10, exec_lo
	v_cmp_le_u64_e32 vcc_lo, s[36:37], v[8:9]
	s_wait_xcnt 0x0
	v_cmpx_gt_u64_e64 s[36:37], v[8:9]
	s_cbranch_execz .LBB213_38
; %bb.37:                               ;   in Loop: Header=BB213_36 Depth=2
	global_load_u16 v11, v[6:7], off
.LBB213_38:                             ;   in Loop: Header=BB213_36 Depth=2
	s_wait_xcnt 0x0
	s_or_b32 exec_lo, exec_lo, s10
	s_wait_loadcnt 0x0
	v_cmp_lt_i16_e64 s9, -1, v10
	v_and_b32_e32 v35, 0xffff, v10
	s_delay_alu instid0(VALU_DEP_2) | instskip(SKIP_1) | instid1(VALU_DEP_2)
	v_cndmask_b32_e64 v36, 0xffff, v52, s9
	v_cmp_o_f16_e64 s9, v10, v10
	v_xor_b32_e32 v35, v36, v35
	s_delay_alu instid0(VALU_DEP_1) | instskip(NEXT) | instid1(VALU_DEP_1)
	v_cndmask_b32_e64 v35, 0xffff, v35, s9
	v_and_b32_e32 v35, v35, v53
	s_delay_alu instid0(VALU_DEP_1) | instskip(SKIP_2) | instid1(SALU_CYCLE_1)
	v_cmp_eq_u32_e64 s9, v35, v50
	s_cmp_lg_u32 s9, 0
	s_cselect_b32 s10, -1, 0
	s_and_b32 s10, s2, s10
	s_delay_alu instid0(SALU_CYCLE_1)
	s_and_saveexec_b32 s12, s10
	s_cbranch_execz .LBB213_42
; %bb.39:                               ;   in Loop: Header=BB213_36 Depth=2
	s_mov_b32 s15, exec_lo
	s_bcnt1_i32_b32 s13, s9
	v_mbcnt_lo_u32_b32 v34, s15, 0
	s_mov_b32 s14, exec_lo
                                        ; implicit-def: $vgpr35
	s_delay_alu instid0(VALU_DEP_1)
	v_cmpx_eq_u32_e32 0, v34
; %bb.40:                               ;   in Loop: Header=BB213_36 Depth=2
	s_bcnt1_i32_b32 s10, s15
	s_delay_alu instid0(SALU_CYCLE_1) | instskip(NEXT) | instid1(SALU_CYCLE_1)
	s_mul_i32 s10, s13, s10
	v_mov_b32_e32 v35, s10
	ds_add_rtn_u32 v35, v3, v35 offset:5144
; %bb.41:                               ;   in Loop: Header=BB213_36 Depth=2
	s_or_b32 exec_lo, exec_lo, s14
	s_wait_dscnt 0x0
	v_readfirstlane_b32 s10, v35
	s_delay_alu instid0(VALU_DEP_1)
	v_mad_u32_u24 v34, s13, v34, s10
.LBB213_42:                             ;   in Loop: Header=BB213_36 Depth=2
	s_or_b32 exec_lo, exec_lo, s12
	ds_bpermute_b32 v34, v3, v34
	s_and_b32 s10, exec_lo, vcc_lo
	s_delay_alu instid0(SALU_CYCLE_1)
	s_or_b32 s11, s10, s11
	s_and_saveexec_b32 s10, s9
	s_cbranch_execz .LBB213_35
; %bb.43:                               ;   in Loop: Header=BB213_36 Depth=2
	v_and_b32_e32 v35, s9, v12
	s_delay_alu instid0(VALU_DEP_1) | instskip(NEXT) | instid1(VALU_DEP_1)
	v_bcnt_u32_b32 v35, v35, 0
	v_lshlrev_b32_e32 v35, 1, v35
	s_wait_dscnt 0x0
	s_delay_alu instid0(VALU_DEP_1)
	v_lshl_add_u32 v34, v34, 1, v35
	ds_store_b16 v34, v10
	s_branch .LBB213_35
.LBB213_44:                             ;   in Loop: Header=BB213_31 Depth=1
	s_mov_b32 s3, -1
	s_mov_b32 s9, 0
.LBB213_45:                             ;   in Loop: Header=BB213_31 Depth=1
	s_and_b32 vcc_lo, exec_lo, s3
	s_cbranch_vccz .LBB213_61
.LBB213_46:                             ;   in Loop: Header=BB213_31 Depth=1
	s_and_saveexec_b32 s3, s104
	s_cbranch_execz .LBB213_58
; %bb.47:                               ;   in Loop: Header=BB213_31 Depth=1
	global_load_u16 v4, v3, s[82:83]
	global_load_u16 v36, v[14:15], off
	s_mov_b32 s9, exec_lo
	v_mov_b32_e32 v8, v0
	s_wait_loadcnt 0x1
	v_and_b32_e32 v2, 0xffff, v4
	v_readfirstlane_b32 s10, v4
	s_delay_alu instid0(VALU_DEP_2) | instskip(SKIP_1) | instid1(VALU_DEP_1)
	v_add_nc_u32_e32 v2, v2, v0
	s_wait_xcnt 0x0
	v_cmpx_gt_u64_e64 s[36:37], v[2:3]
	s_cbranch_execz .LBB213_57
; %bb.48:                               ;   in Loop: Header=BB213_31 Depth=1
	s_and_b32 s28, s10, 0xffff
	v_mov_b64_e32 v[6:7], v[0:1]
	v_mov_b64_e32 v[4:5], v[2:3]
	s_cmp_eq_u32 s28, 1
	s_mov_b32 s11, -1
	s_cselect_b32 s10, -1, 0
                                        ; implicit-def: $vgpr8_vgpr9
	s_delay_alu instid0(SALU_CYCLE_1) | instskip(NEXT) | instid1(SALU_CYCLE_1)
	s_and_b32 s12, s52, s10
	s_and_saveexec_b32 s10, s12
	s_cbranch_execz .LBB213_52
; %bb.49:                               ;   in Loop: Header=BB213_31 Depth=1
	v_add_nc_u64_e32 v[8:9], 3, v[2:3]
	v_add_nc_u64_e32 v[6:7], 2, v[2:3]
	;; [unrolled: 1-line block ×3, first 2 shown]
	v_mov_b64_e32 v[34:35], v[18:19]
	s_wait_loadcnt 0x0
	v_dual_mov_b32 v37, v46 :: v_dual_lshlrev_b32 v38, 16, v36
	s_mov_b32 s11, 0
	v_mov_b64_e32 v[10:11], v[8:9]
	v_mov_b64_e32 v[8:9], v[6:7]
	;; [unrolled: 1-line block ×4, first 2 shown]
.LBB213_50:                             ;   Parent Loop BB213_31 Depth=1
                                        ; =>  This Inner Loop Header: Depth=2
	s_delay_alu instid0(VALU_DEP_2) | instskip(NEXT) | instid1(VALU_DEP_4)
	v_mul_u64_e32 v[40:41], s[30:31], v[6:7]
	v_mul_u64_e32 v[42:43], s[70:71], v[8:9]
	s_delay_alu instid0(VALU_DEP_3)
	v_mul_u64_e32 v[44:45], s[68:69], v[4:5]
	v_mul_u64_e32 v[56:57], s[72:73], v[10:11]
	v_add_nc_u64_e32 v[34:35], -4, v[34:35]
	v_add_nc_u64_e32 v[10:11], 4, v[10:11]
	v_add_nc_u64_e32 v[8:9], 4, v[8:9]
	;; [unrolled: 1-line block ×4, first 2 shown]
	v_cmp_eq_u64_e32 vcc_lo, 0, v[34:35]
	s_or_b32 s11, vcc_lo, s11
	v_lshl_add_u64 v[40:41], v[40:41], 1, s[62:63]
	v_lshl_add_u64 v[42:43], v[42:43], 1, s[62:63]
	;; [unrolled: 1-line block ×4, first 2 shown]
	s_clause 0x3
	global_load_u16 v39, v[40:41], off
	global_load_u16 v40, v[42:43], off
	;; [unrolled: 1-line block ×4, first 2 shown]
	s_wait_loadcnt 0x2
	v_perm_b32 v39, v40, v39, 0x5040100
	s_wait_loadcnt 0x1
	v_alignbit_b32 v38, v41, v38, 16
	s_wait_loadcnt 0x0
	v_perm_b32 v40, v36, v40, 0x5040100
	ds_store_b64 v37, v[38:39]
	v_dual_mov_b32 v38, v40 :: v_dual_add_nc_u32 v37, 8, v37
	s_wait_xcnt 0x0
	s_and_not1_b32 exec_lo, exec_lo, s11
	s_cbranch_execnz .LBB213_50
; %bb.51:                               ;   in Loop: Header=BB213_31 Depth=1
	s_or_b32 exec_lo, exec_lo, s11
	v_add_nc_u64_e32 v[4:5], v[2:3], v[18:19]
	v_mov_b64_e32 v[6:7], v[20:21]
	s_or_not1_b32 s11, s81, exec_lo
	s_delay_alu instid0(VALU_DEP_2)
	v_add_nc_u64_e32 v[8:9], -1, v[4:5]
.LBB213_52:                             ;   in Loop: Header=BB213_31 Depth=1
	s_or_b32 exec_lo, exec_lo, s10
	s_and_saveexec_b32 s14, s11
	s_cbranch_execz .LBB213_56
; %bb.53:                               ;   in Loop: Header=BB213_31 Depth=1
	v_readlane_b32 s10, v63, 10
	v_readlane_b32 s11, v63, 11
	;; [unrolled: 1-line block ×4, first 2 shown]
	s_mov_b32 s15, 0
	v_mad_nc_u64_u32 v[8:9], s12, v4, s[10:11]
	s_sub_nc_u64 s[10:11], 0, s[28:29]
	s_delay_alu instid0(VALU_DEP_1) | instskip(NEXT) | instid1(VALU_DEP_1)
	v_mad_u32 v2, s13, v4, v9
	v_mad_u32 v9, s12, v5, v2
	s_mul_u64 s[12:13], s[12:13], s[28:29]
.LBB213_54:                             ;   Parent Loop BB213_31 Depth=1
                                        ; =>  This Inner Loop Header: Depth=2
	s_wait_loadcnt 0x0
	s_delay_alu instid0(VALU_DEP_2)
	v_dual_mov_b32 v2, v36 :: v_dual_lshlrev_b32 v34, 1, v6
	global_load_u16 v36, v[8:9], off
	v_mov_b64_e32 v[10:11], v[4:5]
	s_wait_xcnt 0x0
	v_add_nc_u64_e32 v[8:9], s[12:13], v[8:9]
	ds_store_b16 v34, v2
	v_add_nc_u64_e32 v[4:5], s[28:29], v[10:11]
	v_mov_b64_e32 v[6:7], v[10:11]
	s_delay_alu instid0(VALU_DEP_2) | instskip(SKIP_1) | instid1(SALU_CYCLE_1)
	v_cmp_le_u64_e32 vcc_lo, s[36:37], v[4:5]
	s_or_b32 s15, vcc_lo, s15
	s_and_not1_b32 exec_lo, exec_lo, s15
	s_cbranch_execnz .LBB213_54
; %bb.55:                               ;   in Loop: Header=BB213_31 Depth=1
	s_or_b32 exec_lo, exec_lo, s15
	v_add_nc_u64_e32 v[8:9], s[10:11], v[4:5]
.LBB213_56:                             ;   in Loop: Header=BB213_31 Depth=1
	s_or_b32 exec_lo, exec_lo, s14
.LBB213_57:                             ;   in Loop: Header=BB213_31 Depth=1
	s_delay_alu instid0(SALU_CYCLE_1) | instskip(NEXT) | instid1(VALU_DEP_1)
	s_or_b32 exec_lo, exec_lo, s9
	v_lshlrev_b32_e32 v2, 1, v8
	s_wait_loadcnt 0x0
	ds_store_b16 v2, v36
.LBB213_58:                             ;   in Loop: Header=BB213_31 Depth=1
	s_or_b32 exec_lo, exec_lo, s3
	s_wait_dscnt 0x0
	s_barrier_signal -1
	s_barrier_wait -1
	s_and_saveexec_b32 s3, s5
; %bb.59:                               ;   in Loop: Header=BB213_31 Depth=1
	v_mov_b64_e32 v[4:5], s[36:37]
	ds_store_b64 v3, v[4:5] offset:5120
; %bb.60:                               ;   in Loop: Header=BB213_31 Depth=1
	s_or_b32 exec_lo, exec_lo, s3
	s_wait_dscnt 0x0
	s_barrier_signal -1
	s_mov_b32 s9, -1
	s_barrier_wait -1
.LBB213_61:                             ;   in Loop: Header=BB213_31 Depth=1
	s_and_b32 vcc_lo, exec_lo, s9
	s_mov_b64 s[84:85], 0
	s_cbranch_vccz .LBB213_63
; %bb.62:                               ;   in Loop: Header=BB213_31 Depth=1
	ds_load_b64 v[4:5], v3 offset:5120
	s_wait_dscnt 0x0
	v_readfirstlane_b32 s84, v4
	v_readfirstlane_b32 s85, v5
.LBB213_63:                             ;   in Loop: Header=BB213_31 Depth=1
	s_delay_alu instid0(VALU_DEP_2)
	s_cmp_lt_i32 s84, 1
	s_mov_b32 s3, -1
                                        ; implicit-def: $vgpr4_vgpr5
                                        ; implicit-def: $vgpr8_vgpr9
	s_cbranch_scc1 .LBB213_73
; %bb.64:                               ;   in Loop: Header=BB213_31 Depth=1
	s_and_b32 vcc_lo, exec_lo, s3
	s_cbranch_vccnz .LBB213_87
.LBB213_65:                             ;   in Loop: Header=BB213_31 Depth=1
	s_lshl_b32 s3, s57, 7
	s_and_saveexec_b32 s9, s2
	s_cbranch_execz .LBB213_67
.LBB213_66:                             ;   in Loop: Header=BB213_31 Depth=1
	v_lshl_add_u32 v2, s3, 3, v48
	ds_store_b128 v2, v[4:7]
	ds_store_b128 v2, v[8:11] offset:16
.LBB213_67:                             ;   in Loop: Header=BB213_31 Depth=1
	s_or_b32 exec_lo, exec_lo, s9
	s_wait_dscnt 0x0
	s_barrier_signal -1
	s_barrier_wait -1
	s_and_saveexec_b32 s9, s98
	s_cbranch_execz .LBB213_101
; %bb.68:                               ;   in Loop: Header=BB213_31 Depth=1
	v_mov_b64_e32 v[4:5], 0
	s_and_not1_b32 vcc_lo, exec_lo, s100
	s_cbranch_vccnz .LBB213_100
; %bb.69:                               ;   in Loop: Header=BB213_31 Depth=1
	v_mov_b64_e32 v[4:5], 0
	s_and_not1_b32 vcc_lo, exec_lo, s1
	s_cbranch_vccnz .LBB213_97
; %bb.70:                               ;   in Loop: Header=BB213_31 Depth=1
	v_lshl_add_u32 v2, s57, 10, v51
	s_mov_b32 s10, 0
.LBB213_71:                             ;   Parent Loop BB213_31 Depth=1
                                        ; =>  This Inner Loop Header: Depth=2
	ds_load_2addr_b64 v[6:9], v2 offset1:4
	ds_load_2addr_b64 v[34:37], v2 offset0:8 offset1:12
	s_add_co_i32 s10, s10, 8
	s_delay_alu instid0(SALU_CYCLE_1) | instskip(SKIP_2) | instid1(VALU_DEP_1)
	s_cmp_eq_u32 s103, s10
	s_wait_dscnt 0x1
	v_add_nc_u64_e32 v[4:5], v[6:7], v[4:5]
	v_add_nc_u64_e32 v[8:9], v[8:9], v[4:5]
	ds_load_2addr_b64 v[4:7], v2 offset0:16 offset1:20
	s_wait_dscnt 0x1
	v_add_nc_u64_e32 v[8:9], v[34:35], v[8:9]
	s_delay_alu instid0(VALU_DEP_1) | instskip(SKIP_4) | instid1(VALU_DEP_1)
	v_add_nc_u64_e32 v[34:35], v[36:37], v[8:9]
	ds_load_2addr_b64 v[8:11], v2 offset0:24 offset1:28
	v_add_nc_u32_e32 v2, 0x100, v2
	s_wait_dscnt 0x1
	v_add_nc_u64_e32 v[4:5], v[4:5], v[34:35]
	v_add_nc_u64_e32 v[4:5], v[6:7], v[4:5]
	s_wait_dscnt 0x0
	s_delay_alu instid0(VALU_DEP_1) | instskip(NEXT) | instid1(VALU_DEP_1)
	v_add_nc_u64_e32 v[4:5], v[8:9], v[4:5]
	v_add_nc_u64_e32 v[4:5], v[10:11], v[4:5]
	s_cbranch_scc0 .LBB213_71
; %bb.72:                               ;   in Loop: Header=BB213_31 Depth=1
	s_mov_b32 s10, s103
	s_and_not1_b32 vcc_lo, exec_lo, s6
	s_cbranch_vccz .LBB213_98
	s_branch .LBB213_100
.LBB213_73:                             ;   in Loop: Header=BB213_31 Depth=1
	global_load_u16 v2, v3, s[82:83]
	v_readlane_b32 s10, v63, 18
	v_readlane_b32 s11, v63, 19
	s_mov_b32 s87, s29
	s_wait_loadcnt 0x0
	v_readfirstlane_b32 s3, v2
	s_and_b32 s3, 0xffff, s3
	s_delay_alu instid0(SALU_CYCLE_1)
	s_lshl_b32 s86, s3, 2
	s_cmp_lg_u64 s[10:11], 0
	s_cbranch_scc0 .LBB213_96
; %bb.74:                               ;   in Loop: Header=BB213_31 Depth=1
	s_cvt_f32_u32 s3, s86
	s_mov_b32 s9, 0x4f800000
	s_sub_nc_u64 s[12:13], 0, s[86:87]
	s_delay_alu instid0(SALU_CYCLE_1) | instskip(NEXT) | instid1(SALU_CYCLE_3)
	s_fmamk_f32 s3, s9, 0x0, s3
	v_s_rcp_f32 s3, s3
	s_delay_alu instid0(TRANS32_DEP_1) | instskip(NEXT) | instid1(SALU_CYCLE_3)
	s_mul_f32 s3, s3, 0x5f7ffffc
	s_mul_f32 s9, s3, 0x2f800000
	s_delay_alu instid0(SALU_CYCLE_3) | instskip(NEXT) | instid1(SALU_CYCLE_3)
	s_trunc_f32 s9, s9
	s_fmamk_f32 s3, s9, 0xcf800000, s3
	s_cvt_u32_f32 s11, s9
	s_delay_alu instid0(SALU_CYCLE_2) | instskip(NEXT) | instid1(SALU_CYCLE_3)
	s_cvt_u32_f32 s10, s3
	s_mul_u64 s[14:15], s[12:13], s[10:11]
	s_delay_alu instid0(SALU_CYCLE_1)
	s_mul_hi_u32 s17, s10, s15
	s_mul_i32 s16, s10, s15
	s_mul_hi_u32 s28, s10, s14
	s_mul_i32 s9, s11, s14
	s_add_nc_u64 s[16:17], s[28:29], s[16:17]
	s_mul_hi_u32 s3, s11, s14
	s_mul_hi_u32 s18, s11, s15
	s_add_co_u32 s9, s16, s9
	s_add_co_ci_u32 s28, s17, s3
	s_mul_i32 s14, s11, s15
	s_add_co_ci_u32 s15, s18, 0
	s_delay_alu instid0(SALU_CYCLE_1) | instskip(NEXT) | instid1(SALU_CYCLE_1)
	s_add_nc_u64 s[14:15], s[28:29], s[14:15]
	s_add_co_u32 s10, s10, s14
	s_cselect_b32 s3, -1, 0
	s_delay_alu instid0(SALU_CYCLE_1) | instskip(SKIP_1) | instid1(SALU_CYCLE_1)
	s_cmp_lg_u32 s3, 0
	s_add_co_ci_u32 s11, s11, s15
	s_mul_u64 s[12:13], s[12:13], s[10:11]
	s_delay_alu instid0(SALU_CYCLE_1)
	s_mul_hi_u32 s15, s10, s13
	s_mul_i32 s14, s10, s13
	s_mul_hi_u32 s28, s10, s12
	s_mul_i32 s9, s11, s12
	s_add_nc_u64 s[14:15], s[28:29], s[14:15]
	s_mul_hi_u32 s3, s11, s12
	s_mul_hi_u32 s16, s11, s13
	s_add_co_u32 s9, s14, s9
	s_add_co_ci_u32 s28, s15, s3
	s_mul_i32 s12, s11, s13
	s_add_co_ci_u32 s13, s16, 0
	s_delay_alu instid0(SALU_CYCLE_1) | instskip(NEXT) | instid1(SALU_CYCLE_1)
	s_add_nc_u64 s[12:13], s[28:29], s[12:13]
	s_add_co_u32 s3, s10, s12
	s_cselect_b32 s9, -1, 0
	s_mul_hi_u32 s28, s36, s3
	s_cmp_lg_u32 s9, 0
	s_mul_hi_u32 s9, s37, s3
	s_add_co_ci_u32 s12, s11, s13
	s_mul_i32 s3, s37, s3
	s_mul_hi_u32 s11, s36, s12
	s_mul_i32 s10, s36, s12
	s_mul_hi_u32 s13, s37, s12
	s_add_nc_u64 s[10:11], s[28:29], s[10:11]
	s_mul_i32 s12, s37, s12
	s_add_co_u32 s3, s10, s3
	s_add_co_ci_u32 s28, s11, s9
	s_add_co_ci_u32 s13, s13, 0
	s_delay_alu instid0(SALU_CYCLE_1) | instskip(NEXT) | instid1(SALU_CYCLE_1)
	s_add_nc_u64 s[10:11], s[28:29], s[12:13]
	s_and_b64 s[12:13], s[10:11], 0xffffffff00000000
	s_delay_alu instid0(SALU_CYCLE_1) | instskip(NEXT) | instid1(SALU_CYCLE_1)
	s_or_b32 s12, s12, s10
	s_mul_u64 s[10:11], s[86:87], s[12:13]
	s_delay_alu instid0(SALU_CYCLE_1) | instskip(SKIP_1) | instid1(SALU_CYCLE_1)
	s_sub_co_u32 s3, s36, s10
	s_cselect_b32 s9, -1, 0
	s_cmp_lg_u32 s9, 0
	s_sub_co_ci_u32 s9, s37, s11
	s_sub_co_u32 s10, s3, s86
	s_cselect_b32 s11, -1, 0
	s_delay_alu instid0(SALU_CYCLE_1) | instskip(SKIP_3) | instid1(SALU_CYCLE_1)
	s_cmp_lg_u32 s11, 0
	s_sub_co_ci_u32 s11, s9, 0
	s_sub_co_u32 s12, s10, s86
	s_cselect_b32 s13, -1, 0
	s_cmp_lg_u32 s13, 0
	s_sub_co_ci_u32 s13, s11, 0
	s_cmp_ge_u32 s10, s86
	s_cselect_b32 s14, -1, 0
	s_cmp_eq_u32 s11, 0
	s_cselect_b32 s14, s14, -1
	s_delay_alu instid0(SALU_CYCLE_1)
	s_cmp_lg_u32 s14, 0
	s_cselect_b32 s11, s13, s11
	s_cselect_b32 s10, s12, s10
	s_cmp_ge_u32 s3, s86
	s_cselect_b32 s12, -1, 0
	s_cmp_eq_u32 s9, 0
	s_cselect_b32 s12, s12, -1
	s_delay_alu instid0(SALU_CYCLE_1)
	s_cmp_lg_u32 s12, 0
	s_cselect_b32 s11, s11, s9
	s_cselect_b32 s10, s10, s3
	s_cbranch_execnz .LBB213_76
.LBB213_75:                             ;   in Loop: Header=BB213_31 Depth=1
	v_cvt_f32_u32_e32 v4, s86
	s_sub_co_i32 s9, 0, s86
	s_delay_alu instid0(VALU_DEP_1) | instskip(SKIP_1) | instid1(TRANS32_DEP_1)
	v_rcp_iflag_f32_e32 v4, v4
	v_nop
	v_mul_f32_e32 v4, 0x4f7ffffe, v4
	s_delay_alu instid0(VALU_DEP_1) | instskip(NEXT) | instid1(VALU_DEP_1)
	v_cvt_u32_f32_e32 v4, v4
	v_readfirstlane_b32 s3, v4
	s_mul_i32 s9, s9, s3
	s_delay_alu instid0(SALU_CYCLE_1) | instskip(NEXT) | instid1(SALU_CYCLE_1)
	s_mul_hi_u32 s9, s3, s9
	s_add_co_i32 s3, s3, s9
	s_delay_alu instid0(SALU_CYCLE_1) | instskip(NEXT) | instid1(SALU_CYCLE_1)
	s_mul_hi_u32 s3, s36, s3
	s_mul_i32 s3, s3, s86
	s_delay_alu instid0(SALU_CYCLE_1) | instskip(NEXT) | instid1(SALU_CYCLE_1)
	s_sub_co_i32 s3, s36, s3
	s_sub_co_i32 s9, s3, s86
	s_cmp_ge_u32 s3, s86
	s_cselect_b32 s3, s9, s3
	s_delay_alu instid0(SALU_CYCLE_1) | instskip(SKIP_2) | instid1(SALU_CYCLE_1)
	s_sub_co_i32 s9, s3, s86
	s_cmp_ge_u32 s3, s86
	s_cselect_b32 s28, s9, s3
	s_mov_b64 s[10:11], s[28:29]
.LBB213_76:                             ;   in Loop: Header=BB213_31 Depth=1
	v_mov_b64_e32 v[4:5], 0
	v_mov_b64_e32 v[6:7], 0
	;; [unrolled: 1-line block ×4, first 2 shown]
	v_and_b32_e32 v2, 0xffff, v2
	s_sub_nc_u64 s[88:89], s[36:37], s[10:11]
	s_mov_b32 s3, exec_lo
	v_cmpx_gt_u64_e64 s[88:89], v[16:17]
	s_cbranch_execz .LBB213_80
; %bb.77:                               ;   in Loop: Header=BB213_31 Depth=1
	v_readlane_b32 s10, v63, 14
	v_readlane_b32 s11, v63, 15
	v_mov_b64_e32 v[36:37], v[28:29]
	v_mov_b64_e32 v[38:39], v[26:27]
	;; [unrolled: 1-line block ×4, first 2 shown]
	v_mul_u64_e32 v[34:35], s[10:11], v[2:3]
	v_mov_b64_e32 v[44:45], v[16:17]
	s_mov_b64 s[90:91], 0
	s_mov_b32 s101, 0
	s_mov_b64 s[92:93], 0
	s_mov_b64 s[94:95], 0
	;; [unrolled: 1-line block ×3, first 2 shown]
.LBB213_78:                             ;   Parent Loop BB213_31 Depth=1
                                        ; =>  This Inner Loop Header: Depth=2
	v_add_nc_u64_e32 v[4:5], s[60:61], v[36:37]
	v_add_nc_u64_e32 v[6:7], s[60:61], v[38:39]
	;; [unrolled: 1-line block ×7, first 2 shown]
	global_load_u16 v4, v[4:5], off
	global_load_u16 v5, v[6:7], off
	;; [unrolled: 1-line block ×4, first 2 shown]
	v_add_nc_u64_e32 v[38:39], v[38:39], v[34:35]
	v_add_nc_u64_e32 v[36:37], v[36:37], v[34:35]
	v_cmp_le_u64_e32 vcc_lo, s[88:89], v[44:45]
	s_wait_loadcnt 0x3
	v_cmp_lt_i16_e64 s9, -1, v4
	s_wait_loadcnt 0x2
	v_cmp_lt_i16_e64 s10, -1, v5
	;; [unrolled: 2-line block ×4, first 2 shown]
	v_and_b32_e32 v8, 0xffff, v4
	v_and_b32_e32 v9, 0xffff, v5
	v_cmp_o_f16_e64 s13, v5, v5
	v_cmp_o_f16_e64 s16, v4, v4
	v_cndmask_b32_e64 v4, 0xffff, v52, s9
	v_cndmask_b32_e64 v5, 0xffff, v52, s10
	v_and_b32_e32 v10, 0xffff, v6
	v_cmp_o_f16_e64 s14, v6, v6
	v_cndmask_b32_e64 v6, 0xffff, v52, s11
	v_and_b32_e32 v11, 0xffff, v7
	v_cmp_o_f16_e64 s15, v7, v7
	v_cndmask_b32_e64 v7, 0xffff, v52, s12
	v_xor_b32_e32 v4, v4, v8
	v_xor_b32_e32 v5, v5, v9
	;; [unrolled: 1-line block ×3, first 2 shown]
	s_delay_alu instid0(VALU_DEP_4) | instskip(NEXT) | instid1(VALU_DEP_4)
	v_xor_b32_e32 v7, v7, v11
	v_cndmask_b32_e64 v4, 0xffff, v4, s16
	s_delay_alu instid0(VALU_DEP_4) | instskip(NEXT) | instid1(VALU_DEP_4)
	v_cndmask_b32_e64 v5, 0xffff, v5, s13
	v_cndmask_b32_e64 v6, 0xffff, v6, s14
	s_delay_alu instid0(VALU_DEP_4) | instskip(NEXT) | instid1(VALU_DEP_4)
	v_cndmask_b32_e64 v7, 0xffff, v7, s15
	v_and_b32_e32 v8, v4, v53
	s_delay_alu instid0(VALU_DEP_4)
	v_and_b32_e32 v9, v5, v53
	v_bfe_u32 v4, v4, s54, 2
	v_bfe_u32 v5, v5, s54, 2
	v_and_b32_e32 v10, v6, v53
	v_bfe_u32 v6, v6, s54, 2
	v_and_b32_e32 v11, v7, v53
	v_bfe_u32 v7, v7, s54, 2
	v_cmp_eq_u32_e64 s9, v8, v50
	v_cmp_eq_u32_e64 s10, v9, v50
	;; [unrolled: 1-line block ×15, first 2 shown]
	s_and_b32 s13, s9, s13
	s_and_b32 s14, s10, s14
	v_cmp_eq_u32_e64 s20, 1, v7
	v_cmp_eq_u32_e64 s23, 2, v6
	;; [unrolled: 1-line block ×3, first 2 shown]
	s_and_b32 s15, s11, s15
	s_and_b32 s17, s9, s17
	;; [unrolled: 1-line block ×3, first 2 shown]
	v_cndmask_b32_e64 v4, 0, 1, s13
	v_cndmask_b32_e64 v5, 0, 1, s14
	v_cmp_eq_u32_e64 s24, 2, v7
	v_cmp_eq_u32_e64 s28, 3, v7
	s_and_b32 s16, s12, s16
	s_and_b32 s19, s11, s19
	;; [unrolled: 1-line block ×4, first 2 shown]
	v_cndmask_b32_e64 v6, 0, 1, s15
	v_cndmask_b32_e64 v8, 0, 1, s17
	;; [unrolled: 1-line block ×3, first 2 shown]
	s_and_b32 s9, s9, s25
	s_and_b32 s10, s10, s26
	;; [unrolled: 1-line block ×4, first 2 shown]
	v_cndmask_b32_e64 v7, 0, 1, s16
	v_cndmask_b32_e64 v10, 0, 1, s19
	;; [unrolled: 1-line block ×4, first 2 shown]
	s_and_b32 s11, s11, s27
	v_cndmask_b32_e64 v59, 0, 1, s9
	v_cndmask_b32_e64 v60, 0, 1, s10
	v_cmp_ne_u32_e64 s9, 0, v4
	v_cmp_ne_u32_e64 s10, 0, v5
	s_and_b32 s24, s12, s24
	v_cndmask_b32_e64 v11, 0, 1, s20
	v_cndmask_b32_e64 v57, 0, 1, s23
	s_and_b32 s12, s12, s28
	v_cndmask_b32_e64 v61, 0, 1, s11
	v_cmp_ne_u32_e64 s11, 0, v6
	v_cmp_ne_u32_e64 s13, 0, v8
	;; [unrolled: 1-line block ×3, first 2 shown]
	v_cndmask_b32_e64 v58, 0, 1, s24
	v_cndmask_b32_e64 v62, 0, 1, s12
	v_cmp_ne_u32_e64 s12, 0, v7
	v_cmp_ne_u32_e64 s15, 0, v10
	;; [unrolled: 1-line block ×4, first 2 shown]
	s_bcnt1_i32_b32 s9, s9
	s_bcnt1_i32_b32 s10, s10
	v_cmp_ne_u32_e64 s16, 0, v11
	v_cmp_ne_u32_e64 s19, 0, v57
	;; [unrolled: 1-line block ×4, first 2 shown]
	s_bcnt1_i32_b32 s11, s11
	s_bcnt1_i32_b32 s13, s13
	;; [unrolled: 1-line block ×3, first 2 shown]
	s_add_co_i32 s9, s10, s9
	v_cmp_ne_u32_e64 s20, 0, v58
	v_cmp_ne_u32_e64 s23, 0, v61
	s_bcnt1_i32_b32 s12, s12
	s_bcnt1_i32_b32 s15, s15
	;; [unrolled: 1-line block ×4, first 2 shown]
	s_add_co_i32 s10, s14, s13
	s_add_co_i32 s9, s9, s11
	v_cmp_ne_u32_e64 s24, 0, v62
	s_bcnt1_i32_b32 s16, s16
	s_bcnt1_i32_b32 s19, s19
	;; [unrolled: 1-line block ×4, first 2 shown]
	s_add_co_i32 s13, s18, s17
	s_add_co_i32 s10, s10, s15
	;; [unrolled: 1-line block ×3, first 2 shown]
	s_bcnt1_i32_b32 s20, s20
	s_bcnt1_i32_b32 s23, s23
	s_add_co_i32 s14, s22, s21
	s_add_co_i32 s11, s13, s19
	s_add_nc_u64 s[96:97], s[96:97], s[28:29]
	s_add_co_i32 s28, s10, s16
	s_bcnt1_i32_b32 s24, s24
	s_add_co_i32 s13, s14, s23
	s_add_nc_u64 s[94:95], s[94:95], s[28:29]
	s_add_co_i32 s28, s11, s20
	v_mov_b64_e32 v[4:5], s[96:97]
	s_add_nc_u64 s[92:93], s[92:93], s[28:29]
	s_add_co_i32 s28, s13, s24
	v_mov_b64_e32 v[6:7], s[94:95]
	s_add_nc_u64 s[90:91], s[90:91], s[28:29]
	v_mov_b64_e32 v[8:9], s[92:93]
	v_mov_b64_e32 v[10:11], s[90:91]
	s_or_b32 s101, vcc_lo, s101
	s_delay_alu instid0(SALU_CYCLE_1)
	s_and_not1_b32 exec_lo, exec_lo, s101
	s_cbranch_execnz .LBB213_78
; %bb.79:                               ;   in Loop: Header=BB213_31 Depth=1
	s_or_b32 exec_lo, exec_lo, s101
.LBB213_80:                             ;   in Loop: Header=BB213_31 Depth=1
	s_delay_alu instid0(SALU_CYCLE_1) | instskip(SKIP_2) | instid1(VALU_DEP_1)
	s_or_b32 exec_lo, exec_lo, s3
	v_add_nc_u64_e32 v[34:35], s[88:89], v[0:1]
	s_mov_b32 s3, exec_lo
	v_cmpx_gt_u64_e64 s[36:37], v[34:35]
	s_cbranch_execz .LBB213_86
; %bb.81:                               ;   in Loop: Header=BB213_31 Depth=1
	v_mul_u64_e32 v[36:37], s[30:31], v[34:35]
	s_mov_b32 s12, 0
	s_delay_alu instid0(VALU_DEP_1)
	v_lshl_add_u64 v[36:37], v[36:37], 1, s[62:63]
	global_load_u16 v37, v[36:37], off
	s_branch .LBB213_83
.LBB213_82:                             ;   in Loop: Header=BB213_83 Depth=2
	s_wait_xcnt 0x0
	s_or_b32 exec_lo, exec_lo, s10
	s_wait_loadcnt 0x0
	v_cmp_lt_i16_e64 s9, -1, v37
	v_and_b32_e32 v38, 0xffff, v37
	s_and_b32 s11, exec_lo, vcc_lo
	s_delay_alu instid0(SALU_CYCLE_1) | instskip(SKIP_2) | instid1(VALU_DEP_2)
	s_or_b32 s12, s11, s12
	v_cndmask_b32_e64 v39, 0xffff, v52, s9
	v_cmp_o_f16_e64 s9, v37, v37
	v_xor_b32_e32 v38, v39, v38
	s_delay_alu instid0(VALU_DEP_1) | instskip(NEXT) | instid1(VALU_DEP_1)
	v_cndmask_b32_e64 v37, 0xffff, v38, s9
	v_and_b32_e32 v38, v37, v53
	v_bfe_u32 v37, v37, s54, 2
	s_delay_alu instid0(VALU_DEP_2) | instskip(NEXT) | instid1(VALU_DEP_2)
	v_cmp_eq_u32_e64 s9, v38, v50
	v_cmp_eq_u32_e64 s10, 0, v37
	v_cmp_eq_u32_e32 vcc_lo, 1, v37
	s_and_b32 s10, s9, s10
	s_and_b32 s11, s9, vcc_lo
	v_cndmask_b32_e64 v38, 0, 1, s10
	v_cmp_eq_u32_e64 s10, 2, v37
	v_cmp_eq_u32_e32 vcc_lo, 3, v37
	v_cndmask_b32_e64 v39, 0, 1, s11
	s_delay_alu instid0(VALU_DEP_4)
	v_cmp_ne_u32_e64 s11, 0, v38
	s_and_b32 s10, s9, s10
	s_and_b32 s9, s9, vcc_lo
	v_cndmask_b32_e64 v37, 0, 1, s10
	v_cndmask_b32_e64 v38, 0, 1, s9
	v_cmp_ne_u32_e64 s10, 0, v39
	s_bcnt1_i32_b32 s28, s11
	v_cmp_ne_u32_e32 vcc_lo, 0, v37
	v_cmp_ne_u32_e64 s9, 0, v38
	v_add_nc_u64_e32 v[4:5], s[28:29], v[4:5]
	s_bcnt1_i32_b32 s28, s10
	v_mov_b32_e32 v37, v36
	v_add_nc_u64_e32 v[6:7], s[28:29], v[6:7]
	s_bcnt1_i32_b32 s28, vcc_lo
	s_delay_alu instid0(SALU_CYCLE_1) | instskip(SKIP_1) | instid1(SALU_CYCLE_1)
	v_add_nc_u64_e32 v[8:9], s[28:29], v[8:9]
	s_bcnt1_i32_b32 s28, s9
	v_add_nc_u64_e32 v[10:11], s[28:29], v[10:11]
	s_and_not1_b32 exec_lo, exec_lo, s12
	s_cbranch_execz .LBB213_85
.LBB213_83:                             ;   Parent Loop BB213_31 Depth=1
                                        ; =>  This Inner Loop Header: Depth=2
	v_add_nc_u64_e32 v[34:35], v[34:35], v[2:3]
	s_wait_xcnt 0x0
	v_mov_b32_e32 v36, 0
	s_mov_b32 s10, exec_lo
	s_delay_alu instid0(VALU_DEP_2)
	v_cmp_le_u64_e32 vcc_lo, s[36:37], v[34:35]
	v_cmpx_gt_u64_e64 s[36:37], v[34:35]
	s_cbranch_execz .LBB213_82
; %bb.84:                               ;   in Loop: Header=BB213_83 Depth=2
	v_mul_u64_e32 v[38:39], s[30:31], v[34:35]
	s_delay_alu instid0(VALU_DEP_1)
	v_lshl_add_u64 v[38:39], v[38:39], 1, s[62:63]
	global_load_u16 v36, v[38:39], off
	s_branch .LBB213_82
.LBB213_85:                             ;   in Loop: Header=BB213_31 Depth=1
	s_or_b32 exec_lo, exec_lo, s12
.LBB213_86:                             ;   in Loop: Header=BB213_31 Depth=1
	s_delay_alu instid0(SALU_CYCLE_1)
	s_or_b32 exec_lo, exec_lo, s3
	s_branch .LBB213_65
.LBB213_87:                             ;   in Loop: Header=BB213_31 Depth=1
	global_load_u16 v2, v3, s[82:83]
	s_mov_b32 s25, s29
	v_mov_b64_e32 v[6:7], 0
	v_mov_b64_e32 v[8:9], 0
	;; [unrolled: 1-line block ×3, first 2 shown]
	s_mov_b32 s23, exec_lo
	s_wait_loadcnt 0x0
	v_readfirstlane_b32 s3, v2
	v_and_b32_e32 v2, 0xffff, v2
	s_and_b32 s3, 0xffff, s3
	s_delay_alu instid0(SALU_CYCLE_1) | instskip(NEXT) | instid1(SALU_CYCLE_1)
	s_lshl_b32 s26, s3, 2
	s_cvt_f32_u32 s9, s26
	s_sub_co_i32 s10, 0, s26
	s_delay_alu instid0(SALU_CYCLE_2) | instskip(SKIP_1) | instid1(TRANS32_DEP_1)
	v_rcp_iflag_f32_e32 v4, s9
	v_nop
	v_readfirstlane_b32 s9, v4
	s_mul_f32 s9, s9, 0x4f7ffffe
	s_delay_alu instid0(SALU_CYCLE_3) | instskip(NEXT) | instid1(SALU_CYCLE_3)
	s_cvt_u32_f32 s9, s9
	s_mul_i32 s10, s10, s9
	s_delay_alu instid0(SALU_CYCLE_1) | instskip(NEXT) | instid1(SALU_CYCLE_1)
	s_mul_hi_u32 s10, s9, s10
	s_add_co_i32 s9, s9, s10
	s_delay_alu instid0(SALU_CYCLE_1) | instskip(NEXT) | instid1(SALU_CYCLE_1)
	s_mul_hi_u32 s9, s84, s9
	s_mul_i32 s10, s9, s26
	s_add_co_i32 s11, s9, 1
	s_sub_co_i32 s10, s84, s10
	s_delay_alu instid0(SALU_CYCLE_1)
	s_sub_co_i32 s12, s10, s26
	s_cmp_ge_u32 s10, s26
	s_cselect_b32 s9, s11, s9
	s_cselect_b32 s10, s12, s10
	s_add_co_i32 s11, s9, 1
	s_cmp_ge_u32 s10, s26
	s_cselect_b32 s24, s11, s9
	s_delay_alu instid0(SALU_CYCLE_1) | instskip(NEXT) | instid1(VALU_DEP_1)
	v_mul_u64_e32 v[4:5], s[24:25], v[2:3]
	v_lshlrev_b64_e32 v[34:35], 2, v[4:5]
	v_mov_b64_e32 v[4:5], 0
	s_delay_alu instid0(VALU_DEP_2)
	v_cmpx_gt_u64_e64 v[34:35], v[16:17]
	s_cbranch_execz .LBB213_91
; %bb.88:                               ;   in Loop: Header=BB213_31 Depth=1
	v_mov_b64_e32 v[36:37], v[16:17]
	v_mov_b32_e32 v38, v49
	s_mov_b32 s27, s29
	s_lshl_b32 s25, s3, 3
	s_mov_b64 s[86:87], 0
	s_mov_b32 s94, 0
	s_mov_b64 s[88:89], 0
	s_mov_b64 s[90:91], 0
	;; [unrolled: 1-line block ×3, first 2 shown]
.LBB213_89:                             ;   Parent Loop BB213_31 Depth=1
                                        ; =>  This Inner Loop Header: Depth=2
	ds_load_b64 v[4:5], v38
	v_add_nc_u32_e32 v38, s25, v38
	v_add_nc_u64_e32 v[36:37], s[26:27], v[36:37]
	s_delay_alu instid0(VALU_DEP_1)
	v_cmp_ge_u64_e32 vcc_lo, v[36:37], v[34:35]
	s_wait_dscnt 0x0
	v_cmp_lt_i16_e64 s9, -1, v4
	v_lshrrev_b32_e32 v6, 16, v4
	v_cmp_lt_i16_e64 s10, -1, v5
	v_cmp_o_f16_e64 s12, v4, v4
	v_cmp_o_f16_e64 s11, v5, v5
	v_cndmask_b32_e64 v8, 0xffff, v52, s9
	v_cmp_lt_i16_e64 s9, -1, v6
	v_cndmask_b32_e64 v9, 0xffff, v52, s10
	v_cmp_o_f16_e64 s14, v6, v6
	s_delay_alu instid0(VALU_DEP_4) | instskip(NEXT) | instid1(VALU_DEP_4)
	v_bitop3_b32 v4, v8, v4, 0xffff bitop3:0x78
	v_cndmask_b32_e64 v10, 0xffff, v52, s9
	v_lshrrev_b32_e32 v7, 16, v5
	v_bitop3_b32 v5, v9, v5, 0xffff bitop3:0x78
	s_delay_alu instid0(VALU_DEP_4) | instskip(NEXT) | instid1(VALU_DEP_4)
	v_cndmask_b32_e64 v4, 0xffff, v4, s12
	v_xor_b32_e32 v6, v10, v6
	s_delay_alu instid0(VALU_DEP_4) | instskip(NEXT) | instid1(VALU_DEP_4)
	v_cmp_lt_i16_e64 s10, -1, v7
	v_cndmask_b32_e64 v5, 0xffff, v5, s11
	v_cmp_o_f16_e64 s13, v7, v7
	s_delay_alu instid0(VALU_DEP_4) | instskip(NEXT) | instid1(VALU_DEP_4)
	v_cndmask_b32_e64 v6, 0xffff, v6, s14
	v_cndmask_b32_e64 v8, 0xffff, v52, s10
	s_delay_alu instid0(VALU_DEP_4) | instskip(SKIP_1) | instid1(VALU_DEP_3)
	v_and_b32_e32 v9, v5, v53
	v_bfe_u32 v5, v5, s54, 2
	v_xor_b32_e32 v7, v8, v7
	v_and_b32_e32 v8, v4, v53
	v_bfe_u32 v4, v4, s54, 2
	v_cmp_eq_u32_e64 s10, v9, v50
	v_cmp_eq_u32_e64 s12, 0, v5
	v_cndmask_b32_e64 v7, 0xffff, v7, s13
	v_cmp_eq_u32_e64 s9, v8, v50
	v_and_b32_e32 v8, v6, v53
	v_bfe_u32 v6, v6, s54, 2
	v_cmp_eq_u32_e64 s11, 0, v4
	v_cmp_eq_u32_e64 s13, 1, v4
	;; [unrolled: 1-line block ×5, first 2 shown]
	v_and_b32_e32 v9, v7, v53
	v_bfe_u32 v7, v7, s54, 2
	v_cmp_eq_u32_e64 s15, 2, v4
	v_cmp_eq_u32_e64 s17, 3, v4
	v_cmp_eq_u32_e64 s19, v8, v50
	v_cmp_eq_u32_e64 s21, 0, v6
	s_and_b32 s28, s9, s11
	v_cmp_eq_u32_e64 s11, 1, v6
	s_and_b32 s77, s9, s13
	v_cndmask_b32_e64 v4, 0, 1, s28
	s_and_b32 s76, s10, s12
	s_and_b32 s78, s10, s14
	;; [unrolled: 1-line block ×4, first 2 shown]
	v_cmp_eq_u32_e64 s20, v9, v50
	v_cmp_eq_u32_e64 s22, 0, v7
	;; [unrolled: 1-line block ×3, first 2 shown]
	s_and_b32 s79, s9, s15
	v_cmp_eq_u32_e64 s15, 3, v6
	s_and_b32 s9, s9, s17
	v_cndmask_b32_e64 v6, 0, 1, s77
	v_cndmask_b32_e64 v11, 0, 1, s10
	s_and_b32 s10, s19, s21
	v_cmp_eq_u32_e64 s12, 1, v7
	v_cndmask_b32_e64 v5, 0, 1, s76
	v_cndmask_b32_e64 v8, 0, 1, s79
	;; [unrolled: 1-line block ×3, first 2 shown]
	s_and_b32 s18, s19, s11
	v_cmp_ne_u32_e64 s9, 0, v4
	v_cndmask_b32_e64 v4, 0, 1, s10
	v_cmp_eq_u32_e64 s14, 2, v7
	v_cmp_eq_u32_e64 s16, 3, v7
	v_cndmask_b32_e64 v7, 0, 1, s78
	s_and_b32 s17, s20, s22
	s_and_b32 s22, s19, s13
	s_and_b32 s19, s19, s15
	v_cmp_ne_u32_e64 s11, 0, v6
	v_cndmask_b32_e64 v6, 0, 1, s18
	v_cndmask_b32_e64 v9, 0, 1, s95
	s_and_b32 s21, s20, s12
	v_cmp_ne_u32_e64 s10, 0, v5
	v_cndmask_b32_e64 v5, 0, 1, s17
	v_cmp_ne_u32_e64 s13, 0, v8
	v_cndmask_b32_e64 v8, 0, 1, s22
	v_cmp_ne_u32_e64 s15, 0, v10
	v_cndmask_b32_e64 v10, 0, 1, s19
	s_bcnt1_i32_b32 s17, s9
	v_cmp_ne_u32_e64 s9, 0, v4
	s_and_b32 s28, s20, s14
	v_cmp_ne_u32_e64 s12, 0, v7
	v_cndmask_b32_e64 v7, 0, 1, s21
	s_bcnt1_i32_b32 s19, s11
	v_cmp_ne_u32_e64 s11, 0, v6
	s_and_b32 s20, s20, s16
	v_cmp_ne_u32_e64 s14, 0, v9
	v_cndmask_b32_e64 v9, 0, 1, s28
	s_bcnt1_i32_b32 s18, s10
	v_cmp_ne_u32_e64 s10, 0, v5
	s_bcnt1_i32_b32 s21, s13
	v_cmp_ne_u32_e64 s13, 0, v8
	;; [unrolled: 2-line block ×3, first 2 shown]
	v_cmp_ne_u32_e64 s16, 0, v11
	v_cndmask_b32_e64 v11, 0, 1, s20
	s_bcnt1_i32_b32 s9, s9
	s_bcnt1_i32_b32 s20, s12
	v_cmp_ne_u32_e64 s12, 0, v7
	s_bcnt1_i32_b32 s11, s11
	s_add_co_i32 s9, s9, s17
	s_bcnt1_i32_b32 s22, s14
	v_cmp_ne_u32_e64 s14, 0, v9
	s_bcnt1_i32_b32 s10, s10
	s_bcnt1_i32_b32 s13, s13
	s_bcnt1_i32_b32 s15, s15
	s_add_co_i32 s11, s11, s19
	s_add_co_i32 s9, s9, s18
	s_bcnt1_i32_b32 s76, s16
	v_cmp_ne_u32_e64 s16, 0, v11
	s_bcnt1_i32_b32 s12, s12
	s_add_co_i32 s13, s13, s21
	s_add_co_i32 s15, s15, s28
	;; [unrolled: 1-line block ×4, first 2 shown]
	s_bcnt1_i32_b32 s14, s14
	s_add_co_i32 s13, s13, s22
	s_add_nc_u64 s[92:93], s[92:93], s[28:29]
	s_add_co_i32 s28, s11, s12
	s_bcnt1_i32_b32 s16, s16
	s_add_co_i32 s15, s15, s76
	s_add_nc_u64 s[90:91], s[90:91], s[28:29]
	s_add_co_i32 s28, s13, s14
	v_mov_b64_e32 v[4:5], s[92:93]
	s_add_nc_u64 s[88:89], s[88:89], s[28:29]
	s_add_co_i32 s28, s15, s16
	v_mov_b64_e32 v[6:7], s[90:91]
	s_add_nc_u64 s[86:87], s[86:87], s[28:29]
	v_mov_b64_e32 v[8:9], s[88:89]
	v_mov_b64_e32 v[10:11], s[86:87]
	s_or_b32 s94, vcc_lo, s94
	s_delay_alu instid0(SALU_CYCLE_1)
	s_and_not1_b32 exec_lo, exec_lo, s94
	s_cbranch_execnz .LBB213_89
; %bb.90:                               ;   in Loop: Header=BB213_31 Depth=1
	s_or_b32 exec_lo, exec_lo, s94
.LBB213_91:                             ;   in Loop: Header=BB213_31 Depth=1
	s_delay_alu instid0(SALU_CYCLE_1) | instskip(SKIP_3) | instid1(VALU_DEP_1)
	s_or_b32 exec_lo, exec_lo, s23
	v_add_nc_u64_e32 v[34:35], v[34:35], v[0:1]
	s_and_b64 s[14:15], s[84:85], 0x7fffffff
	s_mov_b32 s16, exec_lo
	v_cmpx_gt_u64_e64 s[14:15], v[34:35]
	s_cbranch_execz .LBB213_95
; %bb.92:                               ;   in Loop: Header=BB213_31 Depth=1
	s_mul_i32 s9, s24, s3
	s_lshl_b32 s17, s3, 1
	v_lshl_add_u32 v36, s9, 3, v46
	s_mov_b32 s3, 0
.LBB213_93:                             ;   Parent Loop BB213_31 Depth=1
                                        ; =>  This Inner Loop Header: Depth=2
	ds_load_u16 v37, v36
	v_add_nc_u64_e32 v[34:35], v[34:35], v[2:3]
	v_add_nc_u32_e32 v36, s17, v36
	s_delay_alu instid0(VALU_DEP_2) | instskip(SKIP_3) | instid1(VALU_DEP_2)
	v_cmp_le_u64_e32 vcc_lo, s[14:15], v[34:35]
	s_wait_dscnt 0x0
	v_cmp_lt_i16_e64 s9, -1, v37
	v_and_b32_e32 v38, 0xffff, v37
	v_cndmask_b32_e64 v39, 0xffff, v52, s9
	v_cmp_o_f16_e64 s9, v37, v37
	s_delay_alu instid0(VALU_DEP_2) | instskip(NEXT) | instid1(VALU_DEP_1)
	v_xor_b32_e32 v38, v39, v38
	v_cndmask_b32_e64 v37, 0xffff, v38, s9
	s_delay_alu instid0(VALU_DEP_1) | instskip(SKIP_1) | instid1(VALU_DEP_2)
	v_and_b32_e32 v38, v37, v53
	v_bfe_u32 v37, v37, s54, 2
	v_cmp_eq_u32_e64 s9, v38, v50
	s_delay_alu instid0(VALU_DEP_2) | instskip(SKIP_4) | instid1(SALU_CYCLE_1)
	v_cmp_eq_u32_e64 s10, 0, v37
	v_cmp_eq_u32_e64 s11, 1, v37
	;; [unrolled: 1-line block ×4, first 2 shown]
	s_and_b32 s10, s9, s10
	v_cndmask_b32_e64 v37, 0, 1, s10
	s_and_b32 s10, s9, s11
	s_delay_alu instid0(SALU_CYCLE_1)
	v_cndmask_b32_e64 v38, 0, 1, s10
	s_and_b32 s10, s9, s12
	s_and_b32 s9, s9, s13
	v_cndmask_b32_e64 v39, 0, 1, s10
	v_cndmask_b32_e64 v40, 0, 1, s9
	v_cmp_ne_u32_e64 s9, 0, v37
	v_cmp_ne_u32_e64 s10, 0, v38
	s_delay_alu instid0(VALU_DEP_4) | instskip(NEXT) | instid1(VALU_DEP_4)
	v_cmp_ne_u32_e64 s11, 0, v39
	v_cmp_ne_u32_e64 s12, 0, v40
	s_bcnt1_i32_b32 s28, s9
	s_delay_alu instid0(SALU_CYCLE_1) | instskip(SKIP_1) | instid1(SALU_CYCLE_1)
	v_add_nc_u64_e32 v[4:5], s[28:29], v[4:5]
	s_bcnt1_i32_b32 s28, s10
	v_add_nc_u64_e32 v[6:7], s[28:29], v[6:7]
	s_bcnt1_i32_b32 s28, s11
	s_delay_alu instid0(SALU_CYCLE_1)
	v_add_nc_u64_e32 v[8:9], s[28:29], v[8:9]
	s_bcnt1_i32_b32 s28, s12
	s_or_b32 s3, vcc_lo, s3
	v_add_nc_u64_e32 v[10:11], s[28:29], v[10:11]
	s_and_not1_b32 exec_lo, exec_lo, s3
	s_cbranch_execnz .LBB213_93
; %bb.94:                               ;   in Loop: Header=BB213_31 Depth=1
	s_or_b32 exec_lo, exec_lo, s3
.LBB213_95:                             ;   in Loop: Header=BB213_31 Depth=1
	s_delay_alu instid0(SALU_CYCLE_1)
	s_or_b32 exec_lo, exec_lo, s16
	s_lshl_b32 s3, s57, 7
	s_and_saveexec_b32 s9, s2
	s_cbranch_execnz .LBB213_66
	s_branch .LBB213_67
.LBB213_96:                             ;   in Loop: Header=BB213_31 Depth=1
                                        ; implicit-def: $sgpr10_sgpr11
	s_branch .LBB213_75
.LBB213_97:                             ;   in Loop: Header=BB213_31 Depth=1
	s_mov_b32 s10, 0
	s_and_not1_b32 vcc_lo, exec_lo, s6
	s_cbranch_vccnz .LBB213_100
.LBB213_98:                             ;   in Loop: Header=BB213_31 Depth=1
	s_lshl_b32 s11, s57, 10
	s_lshl_b32 s10, s10, 5
	s_delay_alu instid0(SALU_CYCLE_1)
	v_add3_u32 v2, s11, s10, v51
	s_mov_b32 s10, s80
.LBB213_99:                             ;   Parent Loop BB213_31 Depth=1
                                        ; =>  This Inner Loop Header: Depth=2
	ds_load_b64 v[6:7], v2
	v_add_nc_u32_e32 v2, 32, v2
	s_add_co_i32 s10, s10, -1
	s_delay_alu instid0(SALU_CYCLE_1)
	s_cmp_lg_u32 s10, 0
	s_wait_dscnt 0x0
	v_add_nc_u64_e32 v[4:5], v[6:7], v[4:5]
	s_cbranch_scc1 .LBB213_99
.LBB213_100:                            ;   in Loop: Header=BB213_31 Depth=1
	v_add_lshl_u32 v2, s3, v13, 3
	ds_store_b64 v2, v[4:5] offset:3072
.LBB213_101:                            ;   in Loop: Header=BB213_31 Depth=1
	s_or_b32 exec_lo, exec_lo, s9
	s_lshl_b32 s3, s3, 3
	s_wait_dscnt 0x0
	v_mov_b32_e32 v2, s3
	s_barrier_signal -1
	s_barrier_wait -1
	v_cmp_eq_u64_e64 s9, 1, v[32:33]
	ds_load_b128 v[4:7], v2 offset:3072
	ds_load_b128 v[8:11], v2 offset:3088
	s_lshl_b32 s24, 3, s54
	s_mov_b32 s87, -1
	s_not_b32 s25, s24
	s_mov_b32 s26, 0
	s_and_not1_b32 vcc_lo, exec_lo, s99
	s_mov_b32 s84, 0
	s_mov_b32 s27, 0
                                        ; implicit-def: $sgpr85
                                        ; implicit-def: $sgpr86
                                        ; implicit-def: $vgpr2
	s_wait_dscnt 0x1
	v_readfirstlane_b32 s13, v5
	v_readfirstlane_b32 s12, v4
	;; [unrolled: 1-line block ×4, first 2 shown]
	s_wait_dscnt 0x0
	v_readfirstlane_b32 s17, v9
	v_readfirstlane_b32 s16, v8
	;; [unrolled: 1-line block ×4, first 2 shown]
                                        ; implicit-def: $vgpr4_vgpr5
                                        ; implicit-def: $vgpr10
                                        ; implicit-def: $vgpr11
                                        ; implicit-def: $vgpr8
	s_cbranch_vccnz .LBB213_304
; %bb.102:                              ;   in Loop: Header=BB213_31 Depth=1
	s_cmp_eq_u64 s[12:13], 1
	v_dual_mov_b32 v10, v50 :: v_dual_mov_b32 v11, v53
	v_mov_b32_e32 v8, v54
	s_cselect_b32 s3, -1, 0
                                        ; implicit-def: $sgpr86
                                        ; implicit-def: $sgpr85
	s_delay_alu instid0(SALU_CYCLE_1)
	s_and_b32 s89, s3, s9
	s_mov_b32 s3, -1
	s_and_saveexec_b32 s27, s89
	s_cbranch_execz .LBB213_139
; %bb.103:                              ;   in Loop: Header=BB213_31 Depth=1
	ds_load_b64 v[4:5], v3 offset:5120
	s_wait_dscnt 0x0
	s_barrier_signal -1
	s_barrier_wait -1
	v_readfirstlane_b32 s10, v4
	v_readfirstlane_b32 s11, v5
	s_and_saveexec_b32 s3, s0
; %bb.104:                              ;   in Loop: Header=BB213_31 Depth=1
	ds_store_b16 v47, v3
; %bb.105:                              ;   in Loop: Header=BB213_31 Depth=1
	s_or_b32 exec_lo, exec_lo, s3
	v_and_b32_e32 v10, s25, v50
	v_or_b32_e32 v11, s24, v53
	s_mov_b32 s85, -1
	s_mov_b32 s86, 0
	s_cmp_eq_u64 s[10:11], 0
	s_mov_b32 s3, 0
	s_mov_b32 s22, -1
	s_wait_dscnt 0x0
	s_barrier_signal -1
	s_barrier_wait -1
                                        ; implicit-def: $vgpr8
	s_cbranch_scc1 .LBB213_123
; %bb.106:                              ;   in Loop: Header=BB213_31 Depth=1
	s_add_nc_u64 s[20:21], s[10:11], s[64:65]
	s_delay_alu instid0(SALU_CYCLE_1) | instskip(NEXT) | instid1(SALU_CYCLE_1)
	s_and_b64 s[22:23], s[20:21], 0xffffffff00000000
	s_cmp_lg_u64 s[22:23], 0
	s_cbranch_scc0 .LBB213_166
; %bb.107:                              ;   in Loop: Header=BB213_31 Depth=1
	s_cvt_f32_u32 s3, s40
	s_mov_b32 s22, 0x4f800000
	s_sub_nc_u64 s[76:77], 0, s[40:41]
	s_delay_alu instid0(SALU_CYCLE_1) | instskip(NEXT) | instid1(SALU_CYCLE_3)
	s_fmamk_f32 s3, s22, 0x0, s3
	v_s_rcp_f32 s3, s3
	s_delay_alu instid0(TRANS32_DEP_1) | instskip(NEXT) | instid1(SALU_CYCLE_3)
	s_mul_f32 s3, s3, 0x5f7ffffc
	s_mul_f32 s22, s3, 0x2f800000
	s_delay_alu instid0(SALU_CYCLE_3) | instskip(NEXT) | instid1(SALU_CYCLE_3)
	s_trunc_f32 s22, s22
	s_fmamk_f32 s3, s22, 0xcf800000, s3
	s_cvt_u32_f32 s23, s22
	s_delay_alu instid0(SALU_CYCLE_2) | instskip(NEXT) | instid1(SALU_CYCLE_3)
	s_cvt_u32_f32 s22, s3
	s_mul_u64 s[78:79], s[76:77], s[22:23]
	s_delay_alu instid0(SALU_CYCLE_1)
	s_mul_hi_u32 s91, s22, s79
	s_mul_i32 s90, s22, s79
	s_mul_hi_u32 s28, s22, s78
	s_mul_i32 s84, s23, s78
	s_add_nc_u64 s[90:91], s[28:29], s[90:91]
	s_mul_hi_u32 s3, s23, s78
	s_mul_hi_u32 s87, s23, s79
	s_add_co_u32 s28, s90, s84
	s_add_co_ci_u32 s28, s91, s3
	s_mul_i32 s78, s23, s79
	s_add_co_ci_u32 s79, s87, 0
	s_delay_alu instid0(SALU_CYCLE_1) | instskip(NEXT) | instid1(SALU_CYCLE_1)
	s_add_nc_u64 s[78:79], s[28:29], s[78:79]
	s_add_co_u32 s22, s22, s78
	s_cselect_b32 s3, -1, 0
	s_delay_alu instid0(SALU_CYCLE_1) | instskip(SKIP_1) | instid1(SALU_CYCLE_1)
	s_cmp_lg_u32 s3, 0
	s_add_co_ci_u32 s23, s23, s79
	s_mul_u64 s[76:77], s[76:77], s[22:23]
	s_delay_alu instid0(SALU_CYCLE_1)
	s_mul_hi_u32 s79, s22, s77
	s_mul_i32 s78, s22, s77
	s_mul_hi_u32 s28, s22, s76
	s_mul_i32 s84, s23, s76
	s_add_nc_u64 s[78:79], s[28:29], s[78:79]
	s_mul_hi_u32 s3, s23, s76
	s_mul_hi_u32 s87, s23, s77
	s_add_co_u32 s28, s78, s84
	s_add_co_ci_u32 s28, s79, s3
	s_mul_i32 s76, s23, s77
	s_add_co_ci_u32 s77, s87, 0
	s_delay_alu instid0(SALU_CYCLE_1) | instskip(NEXT) | instid1(SALU_CYCLE_1)
	s_add_nc_u64 s[76:77], s[28:29], s[76:77]
	s_add_co_u32 s3, s22, s76
	s_cselect_b32 s22, -1, 0
	s_mul_hi_u32 s28, s20, s3
	s_cmp_lg_u32 s22, 0
	s_mul_hi_u32 s78, s21, s3
	s_add_co_ci_u32 s76, s23, s77
	s_mul_i32 s3, s21, s3
	s_mul_hi_u32 s23, s20, s76
	s_mul_i32 s22, s20, s76
	s_mul_hi_u32 s77, s21, s76
	s_add_nc_u64 s[22:23], s[28:29], s[22:23]
	s_mul_i32 s76, s21, s76
	s_add_co_u32 s3, s22, s3
	s_add_co_ci_u32 s28, s23, s78
	s_add_co_ci_u32 s77, s77, 0
	s_delay_alu instid0(SALU_CYCLE_1) | instskip(NEXT) | instid1(SALU_CYCLE_1)
	s_add_nc_u64 s[22:23], s[28:29], s[76:77]
	s_and_b64 s[76:77], s[22:23], 0xffffffff00000000
	s_delay_alu instid0(SALU_CYCLE_1) | instskip(NEXT) | instid1(SALU_CYCLE_1)
	s_or_b32 s76, s76, s22
	s_mul_u64 s[22:23], s[40:41], s[76:77]
	s_delay_alu instid0(SALU_CYCLE_1) | instskip(SKIP_1) | instid1(SALU_CYCLE_1)
	s_sub_co_u32 s3, s20, s22
	s_cselect_b32 s22, -1, 0
	s_cmp_lg_u32 s22, 0
	s_sub_co_ci_u32 s22, s21, s23
	s_sub_co_u32 s23, s3, s40
	s_cselect_b32 s28, -1, 0
	s_delay_alu instid0(SALU_CYCLE_1) | instskip(SKIP_3) | instid1(SALU_CYCLE_1)
	s_cmp_lg_u32 s28, 0
	s_sub_co_ci_u32 s28, s22, 0
	s_sub_co_u32 s76, s23, s40
	s_cselect_b32 s77, -1, 0
	s_cmp_lg_u32 s77, 0
	s_sub_co_ci_u32 s77, s28, 0
	s_cmp_ge_u32 s23, s40
	s_cselect_b32 s78, -1, 0
	s_cmp_eq_u32 s28, 0
	s_cselect_b32 s78, s78, -1
	s_delay_alu instid0(SALU_CYCLE_1)
	s_cmp_lg_u32 s78, 0
	s_cselect_b32 s28, s77, s28
	s_cselect_b32 s76, s76, s23
	s_cmp_ge_u32 s3, s40
	s_cselect_b32 s23, -1, 0
	s_cmp_eq_u32 s22, 0
	s_cselect_b32 s23, s23, -1
	s_delay_alu instid0(SALU_CYCLE_1)
	s_cmp_lg_u32 s23, 0
	s_cselect_b32 s23, s28, s22
	s_cselect_b32 s22, s76, s3
	s_cbranch_execnz .LBB213_109
.LBB213_108:                            ;   in Loop: Header=BB213_31 Depth=1
	v_cvt_f32_u32_e32 v2, s40
	s_sub_co_i32 s22, 0, s40
	s_delay_alu instid0(VALU_DEP_1) | instskip(SKIP_1) | instid1(TRANS32_DEP_1)
	v_rcp_iflag_f32_e32 v2, v2
	v_nop
	v_mul_f32_e32 v2, 0x4f7ffffe, v2
	s_delay_alu instid0(VALU_DEP_1) | instskip(NEXT) | instid1(VALU_DEP_1)
	v_cvt_u32_f32_e32 v2, v2
	v_readfirstlane_b32 s3, v2
	s_mul_i32 s22, s22, s3
	s_delay_alu instid0(SALU_CYCLE_1) | instskip(NEXT) | instid1(SALU_CYCLE_1)
	s_mul_hi_u32 s22, s3, s22
	s_add_co_i32 s3, s3, s22
	s_delay_alu instid0(SALU_CYCLE_1) | instskip(NEXT) | instid1(SALU_CYCLE_1)
	s_mul_hi_u32 s3, s20, s3
	s_mul_i32 s3, s3, s40
	s_delay_alu instid0(SALU_CYCLE_1) | instskip(NEXT) | instid1(SALU_CYCLE_1)
	s_sub_co_i32 s3, s20, s3
	s_sub_co_i32 s22, s3, s40
	s_cmp_ge_u32 s3, s40
	s_cselect_b32 s3, s22, s3
	s_delay_alu instid0(SALU_CYCLE_1) | instskip(SKIP_2) | instid1(SALU_CYCLE_1)
	s_sub_co_i32 s22, s3, s40
	s_cmp_ge_u32 s3, s40
	s_cselect_b32 s28, s22, s3
	s_mov_b64 s[22:23], s[28:29]
.LBB213_109:                            ;   in Loop: Header=BB213_31 Depth=1
	s_delay_alu instid0(SALU_CYCLE_1)
	s_sub_nc_u64 s[20:21], s[20:21], s[22:23]
	s_mov_b32 s22, 0
	s_mov_b32 s3, 0
	s_mov_b32 s23, exec_lo
                                        ; implicit-def: $vgpr8
	v_cmpx_gt_u64_e64 s[20:21], v[0:1]
	s_cbranch_execz .LBB213_122
; %bb.110:                              ;   in Loop: Header=BB213_31 Depth=1
	v_mov_b64_e32 v[4:5], v[0:1]
	v_mov_b32_e32 v2, v46
                                        ; implicit-def: $sgpr28
	s_branch .LBB213_114
.LBB213_111:                            ;   in Loop: Header=BB213_114 Depth=2
	s_or_b32 exec_lo, exec_lo, s84
	s_wait_dscnt 0x0
	s_barrier_signal -1
	s_barrier_wait -1
	ds_load_b32 v6, v3 offset:3072
	s_wait_dscnt 0x0
	s_barrier_signal -1
	s_barrier_wait -1
	v_cmp_neq_f16_e32 vcc_lo, 0, v6
	s_cbranch_vccnz .LBB213_117
; %bb.112:                              ;   in Loop: Header=BB213_114 Depth=2
	v_add_nc_u64_e32 v[4:5], s[40:41], v[4:5]
	v_add_nc_u32_e32 v2, vcc_hi, v2
	s_mov_b32 s84, 0
	s_delay_alu instid0(VALU_DEP_2)
	v_cmp_le_u64_e32 vcc_lo, s[20:21], v[4:5]
	s_or_not1_b32 s87, vcc_lo, exec_lo
.LBB213_113:                            ;   in Loop: Header=BB213_114 Depth=2
	s_delay_alu instid0(SALU_CYCLE_1) | instskip(NEXT) | instid1(SALU_CYCLE_1)
	s_and_b32 s76, exec_lo, s87
	s_or_b32 s3, s76, s3
	s_and_not1_b32 s28, s28, exec_lo
	s_and_b32 s76, s84, exec_lo
	s_delay_alu instid0(SALU_CYCLE_1)
	s_or_b32 s28, s28, s76
	s_and_not1_b32 exec_lo, exec_lo, s3
	s_cbranch_execz .LBB213_121
.LBB213_114:                            ;   Parent Loop BB213_31 Depth=1
                                        ; =>  This Inner Loop Header: Depth=2
	s_mov_b32 s84, exec_lo
	s_delay_alu instid0(VALU_DEP_2)
	v_cmpx_gt_u64_e64 s[10:11], v[4:5]
	s_cbranch_execz .LBB213_111
; %bb.115:                              ;   in Loop: Header=BB213_114 Depth=2
	ds_load_u16 v6, v2
	s_wait_dscnt 0x0
	v_cmp_lt_i16_e32 vcc_lo, -1, v6
	v_and_b32_e32 v7, 0xffff, v6
	v_cndmask_b32_e32 v8, 0xffff, v52, vcc_lo
	v_cmp_o_f16_e32 vcc_lo, v6, v6
	s_delay_alu instid0(VALU_DEP_2) | instskip(NEXT) | instid1(VALU_DEP_1)
	v_xor_b32_e32 v7, v8, v7
	v_cndmask_b32_e32 v7, 0xffff, v7, vcc_lo
	s_delay_alu instid0(VALU_DEP_1) | instskip(NEXT) | instid1(VALU_DEP_1)
	v_and_b32_e32 v7, v7, v11
	v_cmp_eq_u32_e32 vcc_lo, v7, v10
	s_and_b32 exec_lo, exec_lo, vcc_lo
	s_cbranch_execz .LBB213_111
; %bb.116:                              ;   in Loop: Header=BB213_114 Depth=2
	v_perm_b32 v6, v6, s53, 0x5040100
	ds_store_b32 v3, v6 offset:3072
	s_branch .LBB213_111
.LBB213_117:                            ;   in Loop: Header=BB213_114 Depth=2
	s_mov_b32 s87, -1
	s_mov_b32 s84, -1
                                        ; implicit-def: $vgpr4_vgpr5
                                        ; implicit-def: $vgpr2
	s_branch .LBB213_113
.LBB213_118:                            ;   in Loop: Header=BB213_31 Depth=1
	s_or_b32 exec_lo, exec_lo, s11
	s_wait_dscnt 0x0
	s_barrier_signal -1
	s_barrier_wait -1
	s_and_saveexec_b32 s9, s5
	s_cbranch_execz .LBB213_120
; %bb.119:                              ;   in Loop: Header=BB213_31 Depth=1
	ds_load_b32 v4, v3 offset:5144
	s_wait_dscnt 0x0
	v_ashrrev_i32_e32 v5, 31, v4
	ds_store_b64 v3, v[4:5] offset:5120
.LBB213_120:                            ;   in Loop: Header=BB213_31 Depth=1
	s_or_b32 exec_lo, exec_lo, s9
	s_wait_dscnt 0x0
	s_barrier_signal -1
	s_mov_b32 s9, -1
	s_barrier_wait -1
	s_and_b32 vcc_lo, exec_lo, s3
	s_cbranch_vccnz .LBB213_46
	s_branch .LBB213_61
.LBB213_121:                            ;   in Loop: Header=BB213_31 Depth=1
	s_or_b32 exec_lo, exec_lo, s3
	v_lshrrev_b32_e32 v8, 16, v6
	s_and_b32 s3, s28, exec_lo
.LBB213_122:                            ;   in Loop: Header=BB213_31 Depth=1
	s_or_b32 exec_lo, exec_lo, s23
.LBB213_123:                            ;   in Loop: Header=BB213_31 Depth=1
	s_delay_alu instid0(SALU_CYCLE_1)
	s_and_b32 vcc_lo, exec_lo, s22
	s_cbranch_vccz .LBB213_138
; %bb.124:                              ;   in Loop: Header=BB213_31 Depth=1
	s_and_b64 s[10:11], s[66:67], 0xffffffff00000000
	s_delay_alu instid0(SALU_CYCLE_1)
	s_cmp_lg_u64 s[10:11], 0
	s_cbranch_scc0 .LBB213_167
; %bb.125:                              ;   in Loop: Header=BB213_31 Depth=1
	s_cvt_f32_u32 s10, s40
	s_mov_b32 s11, 0x4f800000
	s_sub_nc_u64 s[20:21], 0, s[40:41]
	s_delay_alu instid0(SALU_CYCLE_1) | instskip(NEXT) | instid1(SALU_CYCLE_3)
	s_fmamk_f32 s10, s11, 0x0, s10
	v_s_rcp_f32 s10, s10
	s_delay_alu instid0(TRANS32_DEP_1) | instskip(NEXT) | instid1(SALU_CYCLE_3)
	s_mul_f32 s10, s10, 0x5f7ffffc
	s_mul_f32 s11, s10, 0x2f800000
	s_delay_alu instid0(SALU_CYCLE_3) | instskip(NEXT) | instid1(SALU_CYCLE_3)
	s_trunc_f32 s11, s11
	s_fmamk_f32 s10, s11, 0xcf800000, s10
	s_cvt_u32_f32 s11, s11
	s_delay_alu instid0(SALU_CYCLE_2) | instskip(NEXT) | instid1(SALU_CYCLE_3)
	s_cvt_u32_f32 s10, s10
	s_mul_u64 s[22:23], s[20:21], s[10:11]
	s_delay_alu instid0(SALU_CYCLE_1)
	s_mul_hi_u32 s77, s10, s23
	s_mul_i32 s76, s10, s23
	s_mul_hi_u32 s28, s10, s22
	s_mul_i32 s79, s11, s22
	s_add_nc_u64 s[76:77], s[28:29], s[76:77]
	s_mul_hi_u32 s78, s11, s22
	s_mul_hi_u32 s84, s11, s23
	s_mul_i32 s22, s11, s23
	s_add_co_u32 s23, s76, s79
	s_add_co_ci_u32 s28, s77, s78
	s_add_co_ci_u32 s23, s84, 0
	s_delay_alu instid0(SALU_CYCLE_1) | instskip(NEXT) | instid1(SALU_CYCLE_1)
	s_add_nc_u64 s[22:23], s[28:29], s[22:23]
	s_add_co_u32 s10, s10, s22
	s_cselect_b32 s22, -1, 0
	s_delay_alu instid0(SALU_CYCLE_1) | instskip(SKIP_1) | instid1(SALU_CYCLE_1)
	s_cmp_lg_u32 s22, 0
	s_add_co_ci_u32 s11, s11, s23
	s_mul_u64 s[20:21], s[20:21], s[10:11]
	s_delay_alu instid0(SALU_CYCLE_1)
	s_mul_hi_u32 s23, s10, s21
	s_mul_i32 s22, s10, s21
	s_mul_hi_u32 s28, s10, s20
	s_mul_i32 s77, s11, s20
	s_add_nc_u64 s[22:23], s[28:29], s[22:23]
	s_mul_hi_u32 s76, s11, s20
	s_mul_hi_u32 s78, s11, s21
	s_mul_i32 s20, s11, s21
	s_add_co_u32 s21, s22, s77
	s_add_co_ci_u32 s28, s23, s76
	s_add_co_ci_u32 s21, s78, 0
	s_delay_alu instid0(SALU_CYCLE_1) | instskip(NEXT) | instid1(SALU_CYCLE_1)
	s_add_nc_u64 s[20:21], s[28:29], s[20:21]
	s_add_co_u32 s10, s10, s20
	s_cselect_b32 s20, -1, 0
	s_mul_hi_u32 s28, s66, s10
	s_cmp_lg_u32 s20, 0
	s_mul_hi_u32 s22, s67, s10
	s_add_co_ci_u32 s20, s11, s21
	s_mul_i32 s21, s67, s10
	s_mul_hi_u32 s11, s66, s20
	s_mul_i32 s10, s66, s20
	s_mul_hi_u32 s23, s67, s20
	s_add_nc_u64 s[10:11], s[28:29], s[10:11]
	s_mul_i32 s20, s67, s20
	s_add_co_u32 s10, s10, s21
	s_add_co_ci_u32 s28, s11, s22
	s_add_co_ci_u32 s21, s23, 0
	s_delay_alu instid0(SALU_CYCLE_1) | instskip(NEXT) | instid1(SALU_CYCLE_1)
	s_add_nc_u64 s[10:11], s[28:29], s[20:21]
	s_and_b64 s[20:21], s[10:11], 0xffffffff00000000
	s_delay_alu instid0(SALU_CYCLE_1) | instskip(NEXT) | instid1(SALU_CYCLE_1)
	s_or_b32 s20, s20, s10
	s_mul_u64 s[10:11], s[40:41], s[20:21]
	s_delay_alu instid0(SALU_CYCLE_1) | instskip(SKIP_1) | instid1(SALU_CYCLE_1)
	s_sub_co_u32 s10, s66, s10
	s_cselect_b32 s20, -1, 0
	s_cmp_lg_u32 s20, 0
	s_sub_co_ci_u32 s11, s67, s11
	s_sub_co_u32 s20, s10, s40
	s_cselect_b32 s21, -1, 0
	s_delay_alu instid0(SALU_CYCLE_1) | instskip(SKIP_3) | instid1(SALU_CYCLE_1)
	s_cmp_lg_u32 s21, 0
	s_sub_co_ci_u32 s21, s11, 0
	s_sub_co_u32 s22, s20, s40
	s_cselect_b32 s23, -1, 0
	s_cmp_lg_u32 s23, 0
	s_sub_co_ci_u32 s23, s21, 0
	s_cmp_ge_u32 s20, s40
	s_cselect_b32 s28, -1, 0
	s_cmp_eq_u32 s21, 0
	s_cselect_b32 s28, s28, -1
	s_delay_alu instid0(SALU_CYCLE_1)
	s_cmp_lg_u32 s28, 0
	s_cselect_b32 s21, s23, s21
	s_cselect_b32 s20, s22, s20
	s_cmp_ge_u32 s10, s40
	s_cselect_b32 s22, -1, 0
	s_cmp_eq_u32 s11, 0
	s_cselect_b32 s22, s22, -1
	s_delay_alu instid0(SALU_CYCLE_1)
	s_cmp_lg_u32 s22, 0
	s_cselect_b32 s11, s21, s11
	s_cselect_b32 s10, s20, s10
	s_cbranch_execnz .LBB213_127
.LBB213_126:                            ;   in Loop: Header=BB213_31 Depth=1
	v_cvt_f32_u32_e32 v2, s40
	s_sub_co_i32 s11, 0, s40
	s_delay_alu instid0(VALU_DEP_1) | instskip(SKIP_1) | instid1(TRANS32_DEP_1)
	v_rcp_iflag_f32_e32 v2, v2
	v_nop
	v_mul_f32_e32 v2, 0x4f7ffffe, v2
	s_delay_alu instid0(VALU_DEP_1) | instskip(NEXT) | instid1(VALU_DEP_1)
	v_cvt_u32_f32_e32 v2, v2
	v_readfirstlane_b32 s10, v2
	s_mul_i32 s11, s11, s10
	s_delay_alu instid0(SALU_CYCLE_1) | instskip(NEXT) | instid1(SALU_CYCLE_1)
	s_mul_hi_u32 s11, s10, s11
	s_add_co_i32 s10, s10, s11
	s_delay_alu instid0(SALU_CYCLE_1) | instskip(NEXT) | instid1(SALU_CYCLE_1)
	s_mul_hi_u32 s10, s66, s10
	s_mul_i32 s10, s10, s40
	s_delay_alu instid0(SALU_CYCLE_1) | instskip(NEXT) | instid1(SALU_CYCLE_1)
	s_sub_co_i32 s10, s66, s10
	s_sub_co_i32 s11, s10, s40
	s_cmp_ge_u32 s10, s40
	s_cselect_b32 s10, s11, s10
	s_delay_alu instid0(SALU_CYCLE_1) | instskip(SKIP_2) | instid1(SALU_CYCLE_1)
	s_sub_co_i32 s11, s10, s40
	s_cmp_ge_u32 s10, s40
	s_cselect_b32 s28, s11, s10
	s_mov_b64 s[10:11], s[28:29]
.LBB213_127:                            ;   in Loop: Header=BB213_31 Depth=1
	s_delay_alu instid0(SALU_CYCLE_1)
	s_sub_nc_u64 s[10:11], s[66:67], s[10:11]
	s_mov_b32 s20, exec_lo
                                        ; implicit-def: $vgpr8
	v_nop
	v_cmpx_gt_u64_e64 s[10:11], v[0:1]
	s_cbranch_execz .LBB213_137
; %bb.128:                              ;   in Loop: Header=BB213_31 Depth=1
	v_mov_b64_e32 v[4:5], v[30:31]
	v_mov_b64_e32 v[6:7], v[0:1]
	s_mov_b32 s21, 0
                                        ; implicit-def: $sgpr22
	s_branch .LBB213_132
.LBB213_129:                            ;   in Loop: Header=BB213_132 Depth=2
	s_or_b32 exec_lo, exec_lo, s23
	s_wait_dscnt 0x0
	s_barrier_signal -1
	s_barrier_wait -1
	ds_load_b32 v2, v3 offset:3072
	s_wait_dscnt 0x0
	s_barrier_signal -1
	s_barrier_wait -1
	v_cmp_neq_f16_e32 vcc_lo, 0, v2
	s_cbranch_vccnz .LBB213_135
; %bb.130:                              ;   in Loop: Header=BB213_132 Depth=2
	v_add_nc_u64_e32 v[6:7], s[40:41], v[6:7]
	v_add_nc_u64_e32 v[4:5], s[44:45], v[4:5]
	s_mov_b32 s23, 0
	s_delay_alu instid0(VALU_DEP_2)
	v_cmp_le_u64_e32 vcc_lo, s[10:11], v[6:7]
	s_or_not1_b32 s28, vcc_lo, exec_lo
.LBB213_131:                            ;   in Loop: Header=BB213_132 Depth=2
	s_delay_alu instid0(SALU_CYCLE_1) | instskip(NEXT) | instid1(SALU_CYCLE_1)
	s_and_b32 s28, exec_lo, s28
	s_or_b32 s21, s28, s21
	s_and_not1_b32 s22, s22, exec_lo
	s_and_b32 s23, s23, exec_lo
	s_delay_alu instid0(SALU_CYCLE_1)
	s_or_b32 s22, s22, s23
	s_and_not1_b32 exec_lo, exec_lo, s21
	s_cbranch_execz .LBB213_136
.LBB213_132:                            ;   Parent Loop BB213_31 Depth=1
                                        ; =>  This Inner Loop Header: Depth=2
	s_mov_b32 s23, exec_lo
	s_delay_alu instid0(VALU_DEP_1)
	v_cmpx_gt_u64_e64 s[36:37], v[6:7]
	s_cbranch_execz .LBB213_129
; %bb.133:                              ;   in Loop: Header=BB213_132 Depth=2
	global_load_u16 v2, v[4:5], off
	s_wait_loadcnt 0x0
	v_cmp_lt_i16_e32 vcc_lo, -1, v2
	v_and_b32_e32 v8, 0xffff, v2
	v_cndmask_b32_e32 v9, 0xffff, v52, vcc_lo
	v_cmp_o_f16_e32 vcc_lo, v2, v2
	s_delay_alu instid0(VALU_DEP_2) | instskip(NEXT) | instid1(VALU_DEP_1)
	v_xor_b32_e32 v8, v9, v8
	v_cndmask_b32_e32 v8, 0xffff, v8, vcc_lo
	s_delay_alu instid0(VALU_DEP_1) | instskip(NEXT) | instid1(VALU_DEP_1)
	v_and_b32_e32 v8, v8, v11
	v_cmp_eq_u32_e32 vcc_lo, v8, v10
	s_and_b32 exec_lo, exec_lo, vcc_lo
	s_cbranch_execz .LBB213_129
; %bb.134:                              ;   in Loop: Header=BB213_132 Depth=2
	v_perm_b32 v2, v2, s53, 0x5040100
	ds_store_b32 v3, v2 offset:3072
	s_branch .LBB213_129
.LBB213_135:                            ;   in Loop: Header=BB213_132 Depth=2
	s_mov_b32 s28, -1
	s_mov_b32 s23, -1
                                        ; implicit-def: $vgpr6_vgpr7
                                        ; implicit-def: $vgpr4_vgpr5
	s_branch .LBB213_131
.LBB213_136:                            ;   in Loop: Header=BB213_31 Depth=1
	s_or_b32 exec_lo, exec_lo, s21
	v_lshrrev_b32_e32 v8, 16, v2
	s_and_not1_b32 s3, s3, exec_lo
	s_and_b32 s10, s22, exec_lo
	s_delay_alu instid0(SALU_CYCLE_1)
	s_or_b32 s3, s3, s10
.LBB213_137:                            ;   in Loop: Header=BB213_31 Depth=1
	s_or_b32 exec_lo, exec_lo, s20
	s_mov_b32 s85, 0
	s_mov_b32 s86, -1
.LBB213_138:                            ;   in Loop: Header=BB213_31 Depth=1
	s_or_not1_b32 s3, s3, exec_lo
.LBB213_139:                            ;   in Loop: Header=BB213_31 Depth=1
	s_or_b32 exec_lo, exec_lo, s27
	s_mov_b32 s87, 0
	s_mov_b32 s84, 0
	;; [unrolled: 1-line block ×3, first 2 shown]
                                        ; implicit-def: $vgpr4_vgpr5
                                        ; implicit-def: $vgpr2
	s_and_saveexec_b32 s88, s3
	s_cbranch_execz .LBB213_303
; %bb.140:                              ;   in Loop: Header=BB213_31 Depth=1
	v_mov_b64_e32 v[4:5], 1
	v_mov_b32_e32 v2, 1
	s_xor_b32 s11, s89, -1
	s_mov_b32 s10, 0
	s_and_saveexec_b32 s3, s11
	s_cbranch_execz .LBB213_149
; %bb.141:                              ;   in Loop: Header=BB213_31 Depth=1
	s_mov_b32 s10, exec_lo
	v_cmpx_ge_u64_e64 s[12:13], v[32:33]
	s_xor_b32 s10, exec_lo, s10
	s_cbranch_execz .LBB213_146
; %bb.142:                              ;   in Loop: Header=BB213_31 Depth=1
	ds_load_b64 v[4:5], v3 offset:5120
	v_and_b32_e32 v10, s25, v10
	v_or_b32_e32 v11, s24, v11
	s_wait_dscnt 0x0
	v_cmp_ne_u64_e32 vcc_lo, 0, v[4:5]
	s_cbranch_vccnz .LBB213_146
; %bb.143:                              ;   in Loop: Header=BB213_31 Depth=1
	s_and_saveexec_b32 s11, s5
; %bb.144:                              ;   in Loop: Header=BB213_31 Depth=1
	v_mov_b64_e32 v[4:5], s[12:13]
	ds_store_b64 v3, v[4:5] offset:5128
; %bb.145:                              ;   in Loop: Header=BB213_31 Depth=1
	s_or_b32 exec_lo, exec_lo, s11
	s_wait_dscnt 0x0
	s_barrier_signal -1
	s_barrier_wait -1
.LBB213_146:                            ;   in Loop: Header=BB213_31 Depth=1
	s_or_saveexec_b32 s10, s10
	v_mov_b64_e32 v[4:5], v[32:33]
	v_mov_b32_e32 v2, 8
	s_mov_b32 s11, 0
	s_xor_b32 exec_lo, exec_lo, s10
; %bb.147:                              ;   in Loop: Header=BB213_31 Depth=1
	v_sub_nc_u64_e64 v[4:5], v[32:33], s[12:13]
	v_mov_b32_e32 v2, 0
	s_mov_b32 s11, exec_lo
; %bb.148:                              ;   in Loop: Header=BB213_31 Depth=1
	s_or_b32 exec_lo, exec_lo, s10
	s_delay_alu instid0(SALU_CYCLE_1)
	s_and_b32 s10, s11, exec_lo
.LBB213_149:                            ;   in Loop: Header=BB213_31 Depth=1
	s_or_b32 exec_lo, exec_lo, s3
	s_mov_b32 s3, -1
                                        ; implicit-def: $sgpr84
                                        ; implicit-def: $sgpr89
	s_and_saveexec_b32 s11, s10
	s_delay_alu instid0(SALU_CYCLE_1)
	s_xor_b32 s27, exec_lo, s11
	s_cbranch_execz .LBB213_300
; %bb.150:                              ;   in Loop: Header=BB213_31 Depth=1
	v_cmp_eq_u64_e32 vcc_lo, 1, v[4:5]
	s_cmp_eq_u64 s[14:15], 1
                                        ; implicit-def: $sgpr89
                                        ; implicit-def: $sgpr84
	s_cselect_b32 s3, -1, 0
	s_delay_alu instid0(SALU_CYCLE_1)
	s_and_b32 s91, s3, vcc_lo
	s_mov_b32 s3, -1
	s_and_saveexec_b32 s90, s91
	s_cbranch_execz .LBB213_186
; %bb.151:                              ;   in Loop: Header=BB213_31 Depth=1
	ds_load_b64 v[6:7], v3 offset:5120
	s_wait_dscnt 0x0
	s_barrier_signal -1
	s_barrier_wait -1
	v_readfirstlane_b32 s10, v6
	v_readfirstlane_b32 s11, v7
	s_and_saveexec_b32 s3, s0
; %bb.152:                              ;   in Loop: Header=BB213_31 Depth=1
	ds_store_b16 v47, v3
; %bb.153:                              ;   in Loop: Header=BB213_31 Depth=1
	s_or_b32 exec_lo, exec_lo, s3
	s_lshl_b32 s3, 1, s54
	v_or_b32_e32 v11, s24, v11
	v_and_or_b32 v10, v10, s25, s3
	s_mov_b32 s84, -1
	s_mov_b32 s89, 0
	s_cmp_eq_u64 s[10:11], 0
	s_mov_b32 s3, 0
	s_mov_b32 s22, -1
	s_wait_dscnt 0x0
	s_barrier_signal -1
	s_barrier_wait -1
                                        ; implicit-def: $vgpr8
	s_cbranch_scc1 .LBB213_170
; %bb.154:                              ;   in Loop: Header=BB213_31 Depth=1
	s_add_nc_u64 s[20:21], s[10:11], s[64:65]
	s_delay_alu instid0(SALU_CYCLE_1) | instskip(NEXT) | instid1(SALU_CYCLE_1)
	s_and_b64 s[22:23], s[20:21], 0xffffffff00000000
	s_cmp_lg_u64 s[22:23], 0
	s_cbranch_scc0 .LBB213_213
; %bb.155:                              ;   in Loop: Header=BB213_31 Depth=1
	s_cvt_f32_u32 s3, s40
	s_mov_b32 s22, 0x4f800000
	s_sub_nc_u64 s[92:93], 0, s[40:41]
	s_delay_alu instid0(SALU_CYCLE_1) | instskip(NEXT) | instid1(SALU_CYCLE_3)
	s_fmamk_f32 s3, s22, 0x0, s3
	v_s_rcp_f32 s3, s3
	s_delay_alu instid0(TRANS32_DEP_1) | instskip(NEXT) | instid1(SALU_CYCLE_3)
	s_mul_f32 s3, s3, 0x5f7ffffc
	s_mul_f32 s22, s3, 0x2f800000
	s_delay_alu instid0(SALU_CYCLE_3) | instskip(NEXT) | instid1(SALU_CYCLE_3)
	s_trunc_f32 s22, s22
	s_fmamk_f32 s3, s22, 0xcf800000, s3
	s_cvt_u32_f32 s23, s22
	s_delay_alu instid0(SALU_CYCLE_2) | instskip(NEXT) | instid1(SALU_CYCLE_3)
	s_cvt_u32_f32 s22, s3
	s_mul_u64 s[94:95], s[92:93], s[22:23]
	s_delay_alu instid0(SALU_CYCLE_1)
	s_mul_hi_u32 s97, s22, s95
	s_mul_i32 s96, s22, s95
	s_mul_hi_u32 s28, s22, s94
	s_mul_i32 s76, s23, s94
	s_add_nc_u64 s[96:97], s[28:29], s[96:97]
	s_mul_hi_u32 s3, s23, s94
	s_mul_hi_u32 s77, s23, s95
	s_add_co_u32 s28, s96, s76
	s_add_co_ci_u32 s28, s97, s3
	s_mul_i32 s94, s23, s95
	s_add_co_ci_u32 s95, s77, 0
	s_delay_alu instid0(SALU_CYCLE_1) | instskip(NEXT) | instid1(SALU_CYCLE_1)
	s_add_nc_u64 s[94:95], s[28:29], s[94:95]
	s_add_co_u32 s22, s22, s94
	s_cselect_b32 s3, -1, 0
	s_delay_alu instid0(SALU_CYCLE_1) | instskip(SKIP_1) | instid1(SALU_CYCLE_1)
	s_cmp_lg_u32 s3, 0
	s_add_co_ci_u32 s23, s23, s95
	s_mul_u64 s[92:93], s[92:93], s[22:23]
	s_delay_alu instid0(SALU_CYCLE_1)
	s_mul_hi_u32 s95, s22, s93
	s_mul_i32 s94, s22, s93
	s_mul_hi_u32 s28, s22, s92
	s_mul_i32 s76, s23, s92
	s_add_nc_u64 s[94:95], s[28:29], s[94:95]
	s_mul_hi_u32 s3, s23, s92
	s_mul_hi_u32 s77, s23, s93
	s_add_co_u32 s28, s94, s76
	s_add_co_ci_u32 s28, s95, s3
	s_mul_i32 s92, s23, s93
	s_add_co_ci_u32 s93, s77, 0
	s_delay_alu instid0(SALU_CYCLE_1) | instskip(NEXT) | instid1(SALU_CYCLE_1)
	s_add_nc_u64 s[92:93], s[28:29], s[92:93]
	s_add_co_u32 s3, s22, s92
	s_cselect_b32 s22, -1, 0
	s_mul_hi_u32 s28, s20, s3
	s_cmp_lg_u32 s22, 0
	s_mul_hi_u32 s76, s21, s3
	s_add_co_ci_u32 s77, s23, s93
	s_mul_i32 s3, s21, s3
	s_mul_hi_u32 s23, s20, s77
	s_mul_i32 s22, s20, s77
	s_mul_hi_u32 s78, s21, s77
	s_add_nc_u64 s[22:23], s[28:29], s[22:23]
	s_mul_i32 s92, s21, s77
	s_add_co_u32 s3, s22, s3
	s_add_co_ci_u32 s28, s23, s76
	s_add_co_ci_u32 s93, s78, 0
	s_delay_alu instid0(SALU_CYCLE_1) | instskip(NEXT) | instid1(SALU_CYCLE_1)
	s_add_nc_u64 s[22:23], s[28:29], s[92:93]
	s_and_b64 s[92:93], s[22:23], 0xffffffff00000000
	s_delay_alu instid0(SALU_CYCLE_1) | instskip(NEXT) | instid1(SALU_CYCLE_1)
	s_or_b32 s92, s92, s22
	s_mul_u64 s[22:23], s[40:41], s[92:93]
	s_delay_alu instid0(SALU_CYCLE_1) | instskip(SKIP_1) | instid1(SALU_CYCLE_1)
	s_sub_co_u32 s3, s20, s22
	s_cselect_b32 s22, -1, 0
	s_cmp_lg_u32 s22, 0
	s_sub_co_ci_u32 s22, s21, s23
	s_sub_co_u32 s23, s3, s40
	s_cselect_b32 s28, -1, 0
	s_delay_alu instid0(SALU_CYCLE_1) | instskip(SKIP_3) | instid1(SALU_CYCLE_1)
	s_cmp_lg_u32 s28, 0
	s_sub_co_ci_u32 s28, s22, 0
	s_sub_co_u32 s76, s23, s40
	s_cselect_b32 s77, -1, 0
	s_cmp_lg_u32 s77, 0
	s_sub_co_ci_u32 s77, s28, 0
	s_cmp_ge_u32 s23, s40
	s_cselect_b32 s78, -1, 0
	s_cmp_eq_u32 s28, 0
	s_cselect_b32 s78, s78, -1
	s_delay_alu instid0(SALU_CYCLE_1)
	s_cmp_lg_u32 s78, 0
	s_cselect_b32 s28, s77, s28
	s_cselect_b32 s76, s76, s23
	s_cmp_ge_u32 s3, s40
	s_cselect_b32 s23, -1, 0
	s_cmp_eq_u32 s22, 0
	s_cselect_b32 s23, s23, -1
	s_delay_alu instid0(SALU_CYCLE_1)
	s_cmp_lg_u32 s23, 0
	s_cselect_b32 s23, s28, s22
	s_cselect_b32 s22, s76, s3
	s_cbranch_execnz .LBB213_157
.LBB213_156:                            ;   in Loop: Header=BB213_31 Depth=1
	v_cvt_f32_u32_e32 v6, s40
	s_sub_co_i32 s22, 0, s40
	s_delay_alu instid0(VALU_DEP_1) | instskip(SKIP_1) | instid1(TRANS32_DEP_1)
	v_rcp_iflag_f32_e32 v6, v6
	v_nop
	v_mul_f32_e32 v6, 0x4f7ffffe, v6
	s_delay_alu instid0(VALU_DEP_1) | instskip(NEXT) | instid1(VALU_DEP_1)
	v_cvt_u32_f32_e32 v6, v6
	v_readfirstlane_b32 s3, v6
	s_mul_i32 s22, s22, s3
	s_delay_alu instid0(SALU_CYCLE_1) | instskip(NEXT) | instid1(SALU_CYCLE_1)
	s_mul_hi_u32 s22, s3, s22
	s_add_co_i32 s3, s3, s22
	s_delay_alu instid0(SALU_CYCLE_1) | instskip(NEXT) | instid1(SALU_CYCLE_1)
	s_mul_hi_u32 s3, s20, s3
	s_mul_i32 s3, s3, s40
	s_delay_alu instid0(SALU_CYCLE_1) | instskip(NEXT) | instid1(SALU_CYCLE_1)
	s_sub_co_i32 s3, s20, s3
	s_sub_co_i32 s22, s3, s40
	s_cmp_ge_u32 s3, s40
	s_cselect_b32 s3, s22, s3
	s_delay_alu instid0(SALU_CYCLE_1) | instskip(SKIP_2) | instid1(SALU_CYCLE_1)
	s_sub_co_i32 s22, s3, s40
	s_cmp_ge_u32 s3, s40
	s_cselect_b32 s28, s22, s3
	s_mov_b64 s[22:23], s[28:29]
.LBB213_157:                            ;   in Loop: Header=BB213_31 Depth=1
	s_delay_alu instid0(SALU_CYCLE_1)
	s_sub_nc_u64 s[20:21], s[20:21], s[22:23]
	s_mov_b32 s22, 0
	s_mov_b32 s3, 0
	s_mov_b32 s23, exec_lo
                                        ; implicit-def: $vgpr8
	v_cmpx_gt_u64_e64 s[20:21], v[0:1]
	s_cbranch_execz .LBB213_169
; %bb.158:                              ;   in Loop: Header=BB213_31 Depth=1
	v_mov_b64_e32 v[6:7], v[0:1]
	v_mov_b32_e32 v8, v46
                                        ; implicit-def: $sgpr28
	s_branch .LBB213_162
.LBB213_159:                            ;   in Loop: Header=BB213_162 Depth=2
	s_or_b32 exec_lo, exec_lo, s92
	s_wait_dscnt 0x0
	s_barrier_signal -1
	s_barrier_wait -1
	ds_load_b32 v9, v3 offset:3072
	s_wait_dscnt 0x0
	s_barrier_signal -1
	s_barrier_wait -1
	v_cmp_neq_f16_e32 vcc_lo, 0, v9
	s_cbranch_vccnz .LBB213_165
; %bb.160:                              ;   in Loop: Header=BB213_162 Depth=2
	v_add_nc_u64_e32 v[6:7], s[40:41], v[6:7]
	v_add_nc_u32_e32 v8, vcc_hi, v8
	s_mov_b32 s92, 0
	s_delay_alu instid0(VALU_DEP_2)
	v_cmp_le_u64_e32 vcc_lo, s[20:21], v[6:7]
	s_or_not1_b32 s93, vcc_lo, exec_lo
.LBB213_161:                            ;   in Loop: Header=BB213_162 Depth=2
	s_delay_alu instid0(SALU_CYCLE_1) | instskip(NEXT) | instid1(SALU_CYCLE_1)
	s_and_b32 s76, exec_lo, s93
	s_or_b32 s3, s76, s3
	s_and_not1_b32 s28, s28, exec_lo
	s_and_b32 s76, s92, exec_lo
	s_delay_alu instid0(SALU_CYCLE_1)
	s_or_b32 s28, s28, s76
	s_and_not1_b32 exec_lo, exec_lo, s3
	s_cbranch_execz .LBB213_168
.LBB213_162:                            ;   Parent Loop BB213_31 Depth=1
                                        ; =>  This Inner Loop Header: Depth=2
	s_mov_b32 s92, exec_lo
	s_delay_alu instid0(VALU_DEP_2)
	v_cmpx_gt_u64_e64 s[10:11], v[6:7]
	s_cbranch_execz .LBB213_159
; %bb.163:                              ;   in Loop: Header=BB213_162 Depth=2
	ds_load_u16 v9, v8
	s_wait_dscnt 0x0
	v_cmp_lt_i16_e32 vcc_lo, -1, v9
	v_and_b32_e32 v34, 0xffff, v9
	v_cndmask_b32_e32 v35, 0xffff, v52, vcc_lo
	v_cmp_o_f16_e32 vcc_lo, v9, v9
	s_delay_alu instid0(VALU_DEP_2) | instskip(NEXT) | instid1(VALU_DEP_1)
	v_xor_b32_e32 v34, v35, v34
	v_cndmask_b32_e32 v34, 0xffff, v34, vcc_lo
	s_delay_alu instid0(VALU_DEP_1) | instskip(NEXT) | instid1(VALU_DEP_1)
	v_and_b32_e32 v34, v34, v11
	v_cmp_eq_u32_e32 vcc_lo, v34, v10
	s_and_b32 exec_lo, exec_lo, vcc_lo
	s_cbranch_execz .LBB213_159
; %bb.164:                              ;   in Loop: Header=BB213_162 Depth=2
	v_perm_b32 v9, v9, s53, 0x5040100
	ds_store_b32 v3, v9 offset:3072
	s_branch .LBB213_159
.LBB213_165:                            ;   in Loop: Header=BB213_162 Depth=2
	s_mov_b32 s93, -1
	s_mov_b32 s92, -1
                                        ; implicit-def: $vgpr6_vgpr7
                                        ; implicit-def: $vgpr8
	s_branch .LBB213_161
.LBB213_166:                            ;   in Loop: Header=BB213_31 Depth=1
                                        ; implicit-def: $sgpr22_sgpr23
	s_branch .LBB213_108
.LBB213_167:                            ;   in Loop: Header=BB213_31 Depth=1
                                        ; implicit-def: $sgpr10_sgpr11
	s_branch .LBB213_126
.LBB213_168:                            ;   in Loop: Header=BB213_31 Depth=1
	s_or_b32 exec_lo, exec_lo, s3
	v_lshrrev_b32_e32 v8, 16, v9
	s_and_b32 s3, s28, exec_lo
.LBB213_169:                            ;   in Loop: Header=BB213_31 Depth=1
	s_or_b32 exec_lo, exec_lo, s23
.LBB213_170:                            ;   in Loop: Header=BB213_31 Depth=1
	s_delay_alu instid0(SALU_CYCLE_1)
	s_and_b32 vcc_lo, exec_lo, s22
	s_cbranch_vccz .LBB213_185
; %bb.171:                              ;   in Loop: Header=BB213_31 Depth=1
	s_and_b64 s[10:11], s[66:67], 0xffffffff00000000
	s_delay_alu instid0(SALU_CYCLE_1)
	s_cmp_lg_u64 s[10:11], 0
	s_cbranch_scc0 .LBB213_214
; %bb.172:                              ;   in Loop: Header=BB213_31 Depth=1
	s_cvt_f32_u32 s10, s40
	s_mov_b32 s11, 0x4f800000
	s_sub_nc_u64 s[20:21], 0, s[40:41]
	s_delay_alu instid0(SALU_CYCLE_1) | instskip(NEXT) | instid1(SALU_CYCLE_3)
	s_fmamk_f32 s10, s11, 0x0, s10
	v_s_rcp_f32 s10, s10
	s_delay_alu instid0(TRANS32_DEP_1) | instskip(NEXT) | instid1(SALU_CYCLE_3)
	s_mul_f32 s10, s10, 0x5f7ffffc
	s_mul_f32 s11, s10, 0x2f800000
	s_delay_alu instid0(SALU_CYCLE_3) | instskip(NEXT) | instid1(SALU_CYCLE_3)
	s_trunc_f32 s11, s11
	s_fmamk_f32 s10, s11, 0xcf800000, s10
	s_cvt_u32_f32 s11, s11
	s_delay_alu instid0(SALU_CYCLE_2) | instskip(NEXT) | instid1(SALU_CYCLE_3)
	s_cvt_u32_f32 s10, s10
	s_mul_u64 s[22:23], s[20:21], s[10:11]
	s_delay_alu instid0(SALU_CYCLE_1)
	s_mul_hi_u32 s93, s10, s23
	s_mul_i32 s92, s10, s23
	s_mul_hi_u32 s28, s10, s22
	s_mul_i32 s77, s11, s22
	s_add_nc_u64 s[92:93], s[28:29], s[92:93]
	s_mul_hi_u32 s76, s11, s22
	s_mul_hi_u32 s78, s11, s23
	s_mul_i32 s22, s11, s23
	s_add_co_u32 s23, s92, s77
	s_add_co_ci_u32 s28, s93, s76
	s_add_co_ci_u32 s23, s78, 0
	s_delay_alu instid0(SALU_CYCLE_1) | instskip(NEXT) | instid1(SALU_CYCLE_1)
	s_add_nc_u64 s[22:23], s[28:29], s[22:23]
	s_add_co_u32 s10, s10, s22
	s_cselect_b32 s22, -1, 0
	s_delay_alu instid0(SALU_CYCLE_1) | instskip(SKIP_1) | instid1(SALU_CYCLE_1)
	s_cmp_lg_u32 s22, 0
	s_add_co_ci_u32 s11, s11, s23
	s_mul_u64 s[20:21], s[20:21], s[10:11]
	s_delay_alu instid0(SALU_CYCLE_1)
	s_mul_hi_u32 s23, s10, s21
	s_mul_i32 s22, s10, s21
	s_mul_hi_u32 s28, s10, s20
	s_mul_i32 s77, s11, s20
	s_add_nc_u64 s[22:23], s[28:29], s[22:23]
	s_mul_hi_u32 s76, s11, s20
	s_mul_hi_u32 s78, s11, s21
	s_mul_i32 s20, s11, s21
	s_add_co_u32 s21, s22, s77
	s_add_co_ci_u32 s28, s23, s76
	s_add_co_ci_u32 s21, s78, 0
	s_delay_alu instid0(SALU_CYCLE_1) | instskip(NEXT) | instid1(SALU_CYCLE_1)
	s_add_nc_u64 s[20:21], s[28:29], s[20:21]
	s_add_co_u32 s10, s10, s20
	s_cselect_b32 s20, -1, 0
	s_mul_hi_u32 s28, s66, s10
	s_cmp_lg_u32 s20, 0
	s_mul_hi_u32 s22, s67, s10
	s_add_co_ci_u32 s20, s11, s21
	s_mul_i32 s21, s67, s10
	s_mul_hi_u32 s11, s66, s20
	s_mul_i32 s10, s66, s20
	s_mul_hi_u32 s23, s67, s20
	s_add_nc_u64 s[10:11], s[28:29], s[10:11]
	s_mul_i32 s20, s67, s20
	s_add_co_u32 s10, s10, s21
	s_add_co_ci_u32 s28, s11, s22
	s_add_co_ci_u32 s21, s23, 0
	s_delay_alu instid0(SALU_CYCLE_1) | instskip(NEXT) | instid1(SALU_CYCLE_1)
	s_add_nc_u64 s[10:11], s[28:29], s[20:21]
	s_and_b64 s[20:21], s[10:11], 0xffffffff00000000
	s_delay_alu instid0(SALU_CYCLE_1) | instskip(NEXT) | instid1(SALU_CYCLE_1)
	s_or_b32 s20, s20, s10
	s_mul_u64 s[10:11], s[40:41], s[20:21]
	s_delay_alu instid0(SALU_CYCLE_1) | instskip(SKIP_1) | instid1(SALU_CYCLE_1)
	s_sub_co_u32 s10, s66, s10
	s_cselect_b32 s20, -1, 0
	s_cmp_lg_u32 s20, 0
	s_sub_co_ci_u32 s11, s67, s11
	s_sub_co_u32 s20, s10, s40
	s_cselect_b32 s21, -1, 0
	s_delay_alu instid0(SALU_CYCLE_1) | instskip(SKIP_3) | instid1(SALU_CYCLE_1)
	s_cmp_lg_u32 s21, 0
	s_sub_co_ci_u32 s21, s11, 0
	s_sub_co_u32 s22, s20, s40
	s_cselect_b32 s23, -1, 0
	s_cmp_lg_u32 s23, 0
	s_sub_co_ci_u32 s23, s21, 0
	s_cmp_ge_u32 s20, s40
	s_cselect_b32 s28, -1, 0
	s_cmp_eq_u32 s21, 0
	s_cselect_b32 s28, s28, -1
	s_delay_alu instid0(SALU_CYCLE_1)
	s_cmp_lg_u32 s28, 0
	s_cselect_b32 s21, s23, s21
	s_cselect_b32 s20, s22, s20
	s_cmp_ge_u32 s10, s40
	s_cselect_b32 s22, -1, 0
	s_cmp_eq_u32 s11, 0
	s_cselect_b32 s22, s22, -1
	s_delay_alu instid0(SALU_CYCLE_1)
	s_cmp_lg_u32 s22, 0
	s_cselect_b32 s11, s21, s11
	s_cselect_b32 s10, s20, s10
	s_cbranch_execnz .LBB213_174
.LBB213_173:                            ;   in Loop: Header=BB213_31 Depth=1
	v_cvt_f32_u32_e32 v6, s40
	s_sub_co_i32 s11, 0, s40
	s_delay_alu instid0(VALU_DEP_1) | instskip(SKIP_1) | instid1(TRANS32_DEP_1)
	v_rcp_iflag_f32_e32 v6, v6
	v_nop
	v_mul_f32_e32 v6, 0x4f7ffffe, v6
	s_delay_alu instid0(VALU_DEP_1) | instskip(NEXT) | instid1(VALU_DEP_1)
	v_cvt_u32_f32_e32 v6, v6
	v_readfirstlane_b32 s10, v6
	s_mul_i32 s11, s11, s10
	s_delay_alu instid0(SALU_CYCLE_1) | instskip(NEXT) | instid1(SALU_CYCLE_1)
	s_mul_hi_u32 s11, s10, s11
	s_add_co_i32 s10, s10, s11
	s_delay_alu instid0(SALU_CYCLE_1) | instskip(NEXT) | instid1(SALU_CYCLE_1)
	s_mul_hi_u32 s10, s66, s10
	s_mul_i32 s10, s10, s40
	s_delay_alu instid0(SALU_CYCLE_1) | instskip(NEXT) | instid1(SALU_CYCLE_1)
	s_sub_co_i32 s10, s66, s10
	s_sub_co_i32 s11, s10, s40
	s_cmp_ge_u32 s10, s40
	s_cselect_b32 s10, s11, s10
	s_delay_alu instid0(SALU_CYCLE_1) | instskip(SKIP_2) | instid1(SALU_CYCLE_1)
	s_sub_co_i32 s11, s10, s40
	s_cmp_ge_u32 s10, s40
	s_cselect_b32 s28, s11, s10
	s_mov_b64 s[10:11], s[28:29]
.LBB213_174:                            ;   in Loop: Header=BB213_31 Depth=1
	s_delay_alu instid0(SALU_CYCLE_1)
	s_sub_nc_u64 s[10:11], s[66:67], s[10:11]
	s_mov_b32 s20, exec_lo
                                        ; implicit-def: $vgpr8
	v_nop
	v_cmpx_gt_u64_e64 s[10:11], v[0:1]
	s_cbranch_execz .LBB213_184
; %bb.175:                              ;   in Loop: Header=BB213_31 Depth=1
	v_mov_b64_e32 v[6:7], v[30:31]
	v_mov_b64_e32 v[8:9], v[0:1]
	s_mov_b32 s21, 0
                                        ; implicit-def: $sgpr22
	s_branch .LBB213_179
.LBB213_176:                            ;   in Loop: Header=BB213_179 Depth=2
	s_or_b32 exec_lo, exec_lo, s23
	s_wait_dscnt 0x0
	s_barrier_signal -1
	s_barrier_wait -1
	ds_load_b32 v34, v3 offset:3072
	s_wait_dscnt 0x0
	s_barrier_signal -1
	s_barrier_wait -1
	v_cmp_eq_f16_e32 vcc_lo, 0, v34
	s_cbranch_vccz .LBB213_182
; %bb.177:                              ;   in Loop: Header=BB213_179 Depth=2
	v_add_nc_u64_e32 v[8:9], s[40:41], v[8:9]
	v_add_nc_u64_e32 v[6:7], s[44:45], v[6:7]
	s_mov_b32 s23, 0
	s_delay_alu instid0(VALU_DEP_2)
	v_cmp_le_u64_e32 vcc_lo, s[10:11], v[8:9]
	s_or_not1_b32 s28, vcc_lo, exec_lo
.LBB213_178:                            ;   in Loop: Header=BB213_179 Depth=2
	s_delay_alu instid0(SALU_CYCLE_1) | instskip(NEXT) | instid1(SALU_CYCLE_1)
	s_and_b32 s28, exec_lo, s28
	s_or_b32 s21, s28, s21
	s_and_not1_b32 s22, s22, exec_lo
	s_and_b32 s23, s23, exec_lo
	s_delay_alu instid0(SALU_CYCLE_1)
	s_or_b32 s22, s22, s23
	s_and_not1_b32 exec_lo, exec_lo, s21
	s_cbranch_execz .LBB213_183
.LBB213_179:                            ;   Parent Loop BB213_31 Depth=1
                                        ; =>  This Inner Loop Header: Depth=2
	s_mov_b32 s23, exec_lo
	s_delay_alu instid0(VALU_DEP_1)
	v_cmpx_gt_u64_e64 s[36:37], v[8:9]
	s_cbranch_execz .LBB213_176
; %bb.180:                              ;   in Loop: Header=BB213_179 Depth=2
	global_load_u16 v34, v[6:7], off
	s_wait_loadcnt 0x0
	v_cmp_lt_i16_e32 vcc_lo, -1, v34
	v_and_b32_e32 v35, 0xffff, v34
	v_cndmask_b32_e32 v36, 0xffff, v52, vcc_lo
	v_cmp_o_f16_e32 vcc_lo, v34, v34
	s_delay_alu instid0(VALU_DEP_2) | instskip(NEXT) | instid1(VALU_DEP_1)
	v_xor_b32_e32 v35, v36, v35
	v_cndmask_b32_e32 v35, 0xffff, v35, vcc_lo
	s_delay_alu instid0(VALU_DEP_1) | instskip(NEXT) | instid1(VALU_DEP_1)
	v_and_b32_e32 v35, v35, v11
	v_cmp_eq_u32_e32 vcc_lo, v35, v10
	s_and_b32 exec_lo, exec_lo, vcc_lo
	s_cbranch_execz .LBB213_176
; %bb.181:                              ;   in Loop: Header=BB213_179 Depth=2
	v_perm_b32 v34, v34, s53, 0x5040100
	ds_store_b32 v3, v34 offset:3072
	s_branch .LBB213_176
.LBB213_182:                            ;   in Loop: Header=BB213_179 Depth=2
	s_mov_b32 s28, -1
	s_mov_b32 s23, -1
                                        ; implicit-def: $vgpr8_vgpr9
                                        ; implicit-def: $vgpr6_vgpr7
	s_branch .LBB213_178
.LBB213_183:                            ;   in Loop: Header=BB213_31 Depth=1
	s_or_b32 exec_lo, exec_lo, s21
	v_lshrrev_b32_e32 v8, 16, v34
	s_and_not1_b32 s3, s3, exec_lo
	s_and_b32 s10, s22, exec_lo
	s_delay_alu instid0(SALU_CYCLE_1)
	s_or_b32 s3, s3, s10
.LBB213_184:                            ;   in Loop: Header=BB213_31 Depth=1
	s_or_b32 exec_lo, exec_lo, s20
	s_mov_b32 s84, 0
	s_mov_b32 s89, -1
.LBB213_185:                            ;   in Loop: Header=BB213_31 Depth=1
	s_or_not1_b32 s3, s3, exec_lo
.LBB213_186:                            ;   in Loop: Header=BB213_31 Depth=1
	s_or_b32 exec_lo, exec_lo, s90
	s_mov_b32 s10, 0
	s_and_saveexec_b32 s90, s3
	s_cbranch_execz .LBB213_299
; %bb.187:                              ;   in Loop: Header=BB213_31 Depth=1
	v_mov_b64_e32 v[6:7], 1
	v_mov_b32_e32 v2, 1
	s_xor_b32 s11, s91, -1
	s_delay_alu instid0(SALU_CYCLE_1)
	s_and_saveexec_b32 s3, s11
	s_cbranch_execz .LBB213_196
; %bb.188:                              ;   in Loop: Header=BB213_31 Depth=1
	s_mov_b32 s10, exec_lo
	v_cmpx_ge_u64_e64 s[14:15], v[4:5]
	s_xor_b32 s10, exec_lo, s10
	s_cbranch_execz .LBB213_193
; %bb.189:                              ;   in Loop: Header=BB213_31 Depth=1
	ds_load_b64 v[6:7], v3 offset:5120
	s_lshl_b32 s11, 1, s54
	v_or_b32_e32 v11, s24, v11
	v_and_or_b32 v10, v10, s25, s11
	s_wait_dscnt 0x0
	v_cmp_ne_u64_e32 vcc_lo, 0, v[6:7]
	s_cbranch_vccnz .LBB213_193
; %bb.190:                              ;   in Loop: Header=BB213_31 Depth=1
	s_and_saveexec_b32 s11, s5
; %bb.191:                              ;   in Loop: Header=BB213_31 Depth=1
	v_mov_b64_e32 v[6:7], s[14:15]
	ds_store_b64 v3, v[6:7] offset:5128
; %bb.192:                              ;   in Loop: Header=BB213_31 Depth=1
	s_or_b32 exec_lo, exec_lo, s11
	s_wait_dscnt 0x0
	s_barrier_signal -1
	s_barrier_wait -1
.LBB213_193:                            ;   in Loop: Header=BB213_31 Depth=1
	s_or_saveexec_b32 s10, s10
	v_mov_b32_e32 v2, 8
	s_mov_b32 s11, 0
	s_xor_b32 exec_lo, exec_lo, s10
; %bb.194:                              ;   in Loop: Header=BB213_31 Depth=1
	v_sub_nc_u64_e64 v[4:5], v[4:5], s[14:15]
	v_mov_b32_e32 v2, 0
	s_mov_b32 s11, exec_lo
; %bb.195:                              ;   in Loop: Header=BB213_31 Depth=1
	s_or_b32 exec_lo, exec_lo, s10
	s_delay_alu instid0(VALU_DEP_2)
	v_mov_b64_e32 v[6:7], v[4:5]
	s_and_b32 s10, s11, exec_lo
.LBB213_196:                            ;   in Loop: Header=BB213_31 Depth=1
	s_or_b32 exec_lo, exec_lo, s3
	s_mov_b32 s3, -1
                                        ; implicit-def: $sgpr92
                                        ; implicit-def: $sgpr93
	s_and_saveexec_b32 s91, s10
	s_cbranch_execz .LBB213_298
; %bb.197:                              ;   in Loop: Header=BB213_31 Depth=1
	s_delay_alu instid0(VALU_DEP_1) | instskip(SKIP_2) | instid1(SALU_CYCLE_1)
	v_cmp_eq_u64_e32 vcc_lo, 1, v[6:7]
	s_cmp_eq_u64 s[16:17], 1
                                        ; implicit-def: $sgpr93
                                        ; implicit-def: $sgpr92
	s_cselect_b32 s3, -1, 0
	s_and_b32 s95, s3, vcc_lo
	s_mov_b32 s3, -1
	s_and_saveexec_b32 s94, s95
	s_cbranch_execz .LBB213_233
; %bb.198:                              ;   in Loop: Header=BB213_31 Depth=1
	ds_load_b64 v[4:5], v3 offset:5120
	s_wait_dscnt 0x0
	s_barrier_signal -1
	s_barrier_wait -1
	v_readfirstlane_b32 s10, v4
	v_readfirstlane_b32 s11, v5
	s_and_saveexec_b32 s3, s0
; %bb.199:                              ;   in Loop: Header=BB213_31 Depth=1
	ds_store_b16 v47, v3
; %bb.200:                              ;   in Loop: Header=BB213_31 Depth=1
	s_or_b32 exec_lo, exec_lo, s3
	s_lshl_b32 s3, 2, s54
	v_or_b32_e32 v11, s24, v11
	v_and_or_b32 v10, v10, s25, s3
	s_mov_b32 s92, -1
	s_mov_b32 s93, 0
	s_cmp_eq_u64 s[10:11], 0
	s_mov_b32 s3, 0
	s_mov_b32 s22, -1
	s_wait_dscnt 0x0
	s_barrier_signal -1
	s_barrier_wait -1
                                        ; implicit-def: $vgpr8
	s_cbranch_scc1 .LBB213_217
; %bb.201:                              ;   in Loop: Header=BB213_31 Depth=1
	s_add_nc_u64 s[20:21], s[10:11], s[64:65]
	s_mov_b32 s92, s0
	s_and_b64 s[22:23], s[20:21], 0xffffffff00000000
	s_mov_b32 s0, s1
	s_mov_b32 s1, s6
	;; [unrolled: 1-line block ×10, first 2 shown]
	s_cmp_lg_u64 s[22:23], 0
	s_cbranch_scc0 .LBB213_250
; %bb.202:                              ;   in Loop: Header=BB213_31 Depth=1
	s_cvt_f32_u32 s3, s40
	s_mov_b32 s22, 0x4f800000
	s_sub_nc_u64 s[96:97], 0, s[40:41]
	s_delay_alu instid0(SALU_CYCLE_1) | instskip(NEXT) | instid1(SALU_CYCLE_3)
	s_fmamk_f32 s3, s22, 0x0, s3
	v_s_rcp_f32 s3, s3
	s_delay_alu instid0(TRANS32_DEP_1) | instskip(NEXT) | instid1(SALU_CYCLE_3)
	s_mul_f32 s3, s3, 0x5f7ffffc
	s_mul_f32 s22, s3, 0x2f800000
	s_delay_alu instid0(SALU_CYCLE_3) | instskip(NEXT) | instid1(SALU_CYCLE_3)
	s_trunc_f32 s22, s22
	s_fmamk_f32 s3, s22, 0xcf800000, s3
	s_cvt_u32_f32 s23, s22
	s_delay_alu instid0(SALU_CYCLE_2) | instskip(NEXT) | instid1(SALU_CYCLE_3)
	s_cvt_u32_f32 s22, s3
	s_mul_u64 s[78:79], s[96:97], s[22:23]
	s_delay_alu instid0(SALU_CYCLE_1)
	s_mul_hi_u32 s77, s22, s79
	s_mul_i32 s76, s22, s79
	s_mul_hi_u32 s28, s22, s78
	s_mul_i32 s101, s23, s78
	s_add_nc_u64 s[76:77], s[28:29], s[76:77]
	s_mul_hi_u32 s3, s23, s78
	s_mul_hi_u32 s102, s23, s79
	s_add_co_u32 s28, s76, s101
	s_add_co_ci_u32 s28, s77, s3
	s_mul_i32 s78, s23, s79
	s_add_co_ci_u32 s79, s102, 0
	s_delay_alu instid0(SALU_CYCLE_1) | instskip(NEXT) | instid1(SALU_CYCLE_1)
	s_add_nc_u64 s[76:77], s[28:29], s[78:79]
	s_add_co_u32 s22, s22, s76
	s_cselect_b32 s3, -1, 0
	s_delay_alu instid0(SALU_CYCLE_1) | instskip(SKIP_1) | instid1(SALU_CYCLE_1)
	s_cmp_lg_u32 s3, 0
	s_add_co_ci_u32 s23, s23, s77
	s_mul_u64 s[76:77], s[96:97], s[22:23]
	s_delay_alu instid0(SALU_CYCLE_1)
	s_mul_hi_u32 s79, s22, s77
	s_mul_i32 s78, s22, s77
	s_mul_hi_u32 s28, s22, s76
	s_mul_i32 s96, s23, s76
	s_add_nc_u64 s[78:79], s[28:29], s[78:79]
	s_mul_hi_u32 s3, s23, s76
	s_mul_hi_u32 s97, s23, s77
	s_add_co_u32 s28, s78, s96
	s_add_co_ci_u32 s28, s79, s3
	s_mul_i32 s76, s23, s77
	s_add_co_ci_u32 s77, s97, 0
	s_delay_alu instid0(SALU_CYCLE_1) | instskip(NEXT) | instid1(SALU_CYCLE_1)
	s_add_nc_u64 s[76:77], s[28:29], s[76:77]
	s_add_co_u32 s3, s22, s76
	s_cselect_b32 s22, -1, 0
	s_mul_hi_u32 s28, s20, s3
	s_cmp_lg_u32 s22, 0
	s_mul_hi_u32 s78, s21, s3
	s_add_co_ci_u32 s76, s23, s77
	s_mul_i32 s3, s21, s3
	s_mul_hi_u32 s23, s20, s76
	s_mul_i32 s22, s20, s76
	s_mul_hi_u32 s77, s21, s76
	s_add_nc_u64 s[22:23], s[28:29], s[22:23]
	s_mul_i32 s76, s21, s76
	s_add_co_u32 s3, s22, s3
	s_add_co_ci_u32 s28, s23, s78
	s_add_co_ci_u32 s77, s77, 0
	s_delay_alu instid0(SALU_CYCLE_1) | instskip(NEXT) | instid1(SALU_CYCLE_1)
	s_add_nc_u64 s[22:23], s[28:29], s[76:77]
	s_and_b64 s[76:77], s[22:23], 0xffffffff00000000
	s_delay_alu instid0(SALU_CYCLE_1) | instskip(NEXT) | instid1(SALU_CYCLE_1)
	s_or_b32 s76, s76, s22
	s_mul_u64 s[22:23], s[40:41], s[76:77]
	s_delay_alu instid0(SALU_CYCLE_1) | instskip(SKIP_1) | instid1(SALU_CYCLE_1)
	s_sub_co_u32 s3, s20, s22
	s_cselect_b32 s22, -1, 0
	s_cmp_lg_u32 s22, 0
	s_sub_co_ci_u32 s22, s21, s23
	s_sub_co_u32 s23, s3, s40
	s_cselect_b32 s28, -1, 0
	s_delay_alu instid0(SALU_CYCLE_1) | instskip(SKIP_3) | instid1(SALU_CYCLE_1)
	s_cmp_lg_u32 s28, 0
	s_sub_co_ci_u32 s28, s22, 0
	s_sub_co_u32 s76, s23, s40
	s_cselect_b32 s77, -1, 0
	s_cmp_lg_u32 s77, 0
	s_sub_co_ci_u32 s77, s28, 0
	s_cmp_ge_u32 s23, s40
	s_cselect_b32 s78, -1, 0
	s_cmp_eq_u32 s28, 0
	s_cselect_b32 s78, s78, -1
	s_delay_alu instid0(SALU_CYCLE_1)
	s_cmp_lg_u32 s78, 0
	s_cselect_b32 s28, s77, s28
	s_cselect_b32 s76, s76, s23
	s_cmp_ge_u32 s3, s40
	s_cselect_b32 s23, -1, 0
	s_cmp_eq_u32 s22, 0
	s_cselect_b32 s23, s23, -1
	s_delay_alu instid0(SALU_CYCLE_1)
	s_cmp_lg_u32 s23, 0
	s_cselect_b32 s23, s28, s22
	s_cselect_b32 s22, s76, s3
	s_cbranch_execnz .LBB213_204
.LBB213_203:                            ;   in Loop: Header=BB213_31 Depth=1
	v_cvt_f32_u32_e32 v4, s40
	s_sub_co_i32 s22, 0, s40
	s_delay_alu instid0(VALU_DEP_1) | instskip(SKIP_1) | instid1(TRANS32_DEP_1)
	v_rcp_iflag_f32_e32 v4, v4
	v_nop
	v_mul_f32_e32 v4, 0x4f7ffffe, v4
	s_delay_alu instid0(VALU_DEP_1) | instskip(NEXT) | instid1(VALU_DEP_1)
	v_cvt_u32_f32_e32 v4, v4
	v_readfirstlane_b32 s3, v4
	s_mul_i32 s22, s22, s3
	s_delay_alu instid0(SALU_CYCLE_1) | instskip(NEXT) | instid1(SALU_CYCLE_1)
	s_mul_hi_u32 s22, s3, s22
	s_add_co_i32 s3, s3, s22
	s_delay_alu instid0(SALU_CYCLE_1) | instskip(NEXT) | instid1(SALU_CYCLE_1)
	s_mul_hi_u32 s3, s20, s3
	s_mul_i32 s3, s3, s40
	s_delay_alu instid0(SALU_CYCLE_1) | instskip(NEXT) | instid1(SALU_CYCLE_1)
	s_sub_co_i32 s3, s20, s3
	s_sub_co_i32 s22, s3, s40
	s_cmp_ge_u32 s3, s40
	s_cselect_b32 s3, s22, s3
	s_delay_alu instid0(SALU_CYCLE_1) | instskip(SKIP_2) | instid1(SALU_CYCLE_1)
	s_sub_co_i32 s22, s3, s40
	s_cmp_ge_u32 s3, s40
	s_cselect_b32 s28, s22, s3
	s_mov_b64 s[22:23], s[28:29]
.LBB213_204:                            ;   in Loop: Header=BB213_31 Depth=1
	s_delay_alu instid0(SALU_CYCLE_1)
	s_sub_nc_u64 s[20:21], s[20:21], s[22:23]
	s_mov_b32 s22, 0
	v_cmp_gt_u64_e32 vcc_lo, s[20:21], v[0:1]
	s_mov_b32 s3, 0
                                        ; implicit-def: $vgpr8
	s_and_saveexec_b32 s23, vcc_lo
	s_mov_b32 s102, s104
	s_mov_b32 s104, s5
	;; [unrolled: 1-line block ×11, first 2 shown]
	s_mov_b32 s92, -1
	s_cbranch_execz .LBB213_216
; %bb.205:                              ;   in Loop: Header=BB213_31 Depth=1
	v_mov_b64_e32 v[4:5], v[0:1]
	v_mov_b32_e32 v8, v46
                                        ; implicit-def: $sgpr28
	s_branch .LBB213_209
.LBB213_206:                            ;   in Loop: Header=BB213_209 Depth=2
	s_or_b32 exec_lo, exec_lo, s96
	s_wait_dscnt 0x0
	s_barrier_signal -1
	s_barrier_wait -1
	ds_load_b32 v9, v3 offset:3072
	s_wait_dscnt 0x0
	s_barrier_signal -1
	s_barrier_wait -1
	v_cmp_neq_f16_e32 vcc_lo, 0, v9
	s_cbranch_vccnz .LBB213_212
; %bb.207:                              ;   in Loop: Header=BB213_209 Depth=2
	v_add_nc_u64_e32 v[4:5], s[40:41], v[4:5]
	v_add_nc_u32_e32 v8, vcc_hi, v8
	s_mov_b32 s96, 0
	s_delay_alu instid0(VALU_DEP_2)
	v_cmp_le_u64_e32 vcc_lo, s[20:21], v[4:5]
	s_or_not1_b32 s97, vcc_lo, exec_lo
.LBB213_208:                            ;   in Loop: Header=BB213_209 Depth=2
	s_delay_alu instid0(SALU_CYCLE_1) | instskip(NEXT) | instid1(SALU_CYCLE_1)
	s_and_b32 s76, exec_lo, s97
	s_or_b32 s3, s76, s3
	s_and_not1_b32 s28, s28, exec_lo
	s_and_b32 s76, s96, exec_lo
	s_delay_alu instid0(SALU_CYCLE_1)
	s_or_b32 s28, s28, s76
	s_and_not1_b32 exec_lo, exec_lo, s3
	s_cbranch_execz .LBB213_215
.LBB213_209:                            ;   Parent Loop BB213_31 Depth=1
                                        ; =>  This Inner Loop Header: Depth=2
	s_mov_b32 s96, exec_lo
	s_delay_alu instid0(VALU_DEP_2)
	v_cmpx_gt_u64_e64 s[10:11], v[4:5]
	s_cbranch_execz .LBB213_206
; %bb.210:                              ;   in Loop: Header=BB213_209 Depth=2
	ds_load_u16 v9, v8
	s_wait_dscnt 0x0
	v_cmp_lt_i16_e32 vcc_lo, -1, v9
	v_and_b32_e32 v34, 0xffff, v9
	v_cndmask_b32_e32 v35, 0xffff, v52, vcc_lo
	v_cmp_o_f16_e32 vcc_lo, v9, v9
	s_delay_alu instid0(VALU_DEP_2) | instskip(NEXT) | instid1(VALU_DEP_1)
	v_xor_b32_e32 v34, v35, v34
	v_cndmask_b32_e32 v34, 0xffff, v34, vcc_lo
	s_delay_alu instid0(VALU_DEP_1) | instskip(NEXT) | instid1(VALU_DEP_1)
	v_and_b32_e32 v34, v34, v11
	v_cmp_eq_u32_e32 vcc_lo, v34, v10
	s_and_b32 exec_lo, exec_lo, vcc_lo
	s_cbranch_execz .LBB213_206
; %bb.211:                              ;   in Loop: Header=BB213_209 Depth=2
	v_perm_b32 v9, v9, s53, 0x5040100
	ds_store_b32 v3, v9 offset:3072
	s_branch .LBB213_206
.LBB213_212:                            ;   in Loop: Header=BB213_209 Depth=2
	s_mov_b32 s97, -1
	s_mov_b32 s96, -1
                                        ; implicit-def: $vgpr4_vgpr5
                                        ; implicit-def: $vgpr8
	s_branch .LBB213_208
.LBB213_213:                            ;   in Loop: Header=BB213_31 Depth=1
                                        ; implicit-def: $sgpr22_sgpr23
	s_branch .LBB213_156
.LBB213_214:                            ;   in Loop: Header=BB213_31 Depth=1
                                        ; implicit-def: $sgpr10_sgpr11
	s_branch .LBB213_173
.LBB213_215:                            ;   in Loop: Header=BB213_31 Depth=1
	s_or_b32 exec_lo, exec_lo, s3
	v_lshrrev_b32_e32 v8, 16, v9
	s_and_b32 s3, s28, exec_lo
.LBB213_216:                            ;   in Loop: Header=BB213_31 Depth=1
	s_or_b32 exec_lo, exec_lo, s23
.LBB213_217:                            ;   in Loop: Header=BB213_31 Depth=1
	s_delay_alu instid0(SALU_CYCLE_1)
	s_and_b32 vcc_lo, exec_lo, s22
	s_cbranch_vccz .LBB213_232
; %bb.218:                              ;   in Loop: Header=BB213_31 Depth=1
	s_and_b64 s[10:11], s[66:67], 0xffffffff00000000
	s_delay_alu instid0(SALU_CYCLE_1)
	s_cmp_lg_u64 s[10:11], 0
	s_cbranch_scc0 .LBB213_251
; %bb.219:                              ;   in Loop: Header=BB213_31 Depth=1
	s_cvt_f32_u32 s10, s40
	s_mov_b32 s11, 0x4f800000
	s_sub_nc_u64 s[20:21], 0, s[40:41]
	s_delay_alu instid0(SALU_CYCLE_1) | instskip(NEXT) | instid1(SALU_CYCLE_3)
	s_fmamk_f32 s10, s11, 0x0, s10
	v_s_rcp_f32 s10, s10
	s_delay_alu instid0(TRANS32_DEP_1) | instskip(NEXT) | instid1(SALU_CYCLE_3)
	s_mul_f32 s10, s10, 0x5f7ffffc
	s_mul_f32 s11, s10, 0x2f800000
	s_delay_alu instid0(SALU_CYCLE_3) | instskip(NEXT) | instid1(SALU_CYCLE_3)
	s_trunc_f32 s11, s11
	s_fmamk_f32 s10, s11, 0xcf800000, s10
	s_cvt_u32_f32 s11, s11
	s_delay_alu instid0(SALU_CYCLE_2) | instskip(NEXT) | instid1(SALU_CYCLE_3)
	s_cvt_u32_f32 s10, s10
	s_mul_u64 s[22:23], s[20:21], s[10:11]
	s_delay_alu instid0(SALU_CYCLE_1)
	s_mul_hi_u32 s77, s10, s23
	s_mul_i32 s76, s10, s23
	s_mul_hi_u32 s28, s10, s22
	s_mul_i32 s79, s11, s22
	s_add_nc_u64 s[76:77], s[28:29], s[76:77]
	s_mul_hi_u32 s78, s11, s22
	s_mul_hi_u32 s92, s11, s23
	s_mul_i32 s22, s11, s23
	s_add_co_u32 s23, s76, s79
	s_add_co_ci_u32 s28, s77, s78
	s_add_co_ci_u32 s23, s92, 0
	s_delay_alu instid0(SALU_CYCLE_1) | instskip(NEXT) | instid1(SALU_CYCLE_1)
	s_add_nc_u64 s[22:23], s[28:29], s[22:23]
	s_add_co_u32 s10, s10, s22
	s_cselect_b32 s22, -1, 0
	s_delay_alu instid0(SALU_CYCLE_1) | instskip(SKIP_1) | instid1(SALU_CYCLE_1)
	s_cmp_lg_u32 s22, 0
	s_add_co_ci_u32 s11, s11, s23
	s_mul_u64 s[20:21], s[20:21], s[10:11]
	s_delay_alu instid0(SALU_CYCLE_1)
	s_mul_hi_u32 s23, s10, s21
	s_mul_i32 s22, s10, s21
	s_mul_hi_u32 s28, s10, s20
	s_mul_i32 s77, s11, s20
	s_add_nc_u64 s[22:23], s[28:29], s[22:23]
	s_mul_hi_u32 s76, s11, s20
	s_mul_hi_u32 s78, s11, s21
	s_mul_i32 s20, s11, s21
	s_add_co_u32 s21, s22, s77
	s_add_co_ci_u32 s28, s23, s76
	s_add_co_ci_u32 s21, s78, 0
	s_delay_alu instid0(SALU_CYCLE_1) | instskip(NEXT) | instid1(SALU_CYCLE_1)
	s_add_nc_u64 s[20:21], s[28:29], s[20:21]
	s_add_co_u32 s10, s10, s20
	s_cselect_b32 s20, -1, 0
	s_mul_hi_u32 s28, s66, s10
	s_cmp_lg_u32 s20, 0
	s_mul_hi_u32 s22, s67, s10
	s_add_co_ci_u32 s20, s11, s21
	s_mul_i32 s21, s67, s10
	s_mul_hi_u32 s11, s66, s20
	s_mul_i32 s10, s66, s20
	s_mul_hi_u32 s23, s67, s20
	s_add_nc_u64 s[10:11], s[28:29], s[10:11]
	s_mul_i32 s20, s67, s20
	s_add_co_u32 s10, s10, s21
	s_add_co_ci_u32 s28, s11, s22
	s_add_co_ci_u32 s21, s23, 0
	s_delay_alu instid0(SALU_CYCLE_1) | instskip(NEXT) | instid1(SALU_CYCLE_1)
	s_add_nc_u64 s[10:11], s[28:29], s[20:21]
	s_and_b64 s[20:21], s[10:11], 0xffffffff00000000
	s_delay_alu instid0(SALU_CYCLE_1) | instskip(NEXT) | instid1(SALU_CYCLE_1)
	s_or_b32 s20, s20, s10
	s_mul_u64 s[10:11], s[40:41], s[20:21]
	s_delay_alu instid0(SALU_CYCLE_1) | instskip(SKIP_1) | instid1(SALU_CYCLE_1)
	s_sub_co_u32 s10, s66, s10
	s_cselect_b32 s20, -1, 0
	s_cmp_lg_u32 s20, 0
	s_sub_co_ci_u32 s11, s67, s11
	s_sub_co_u32 s20, s10, s40
	s_cselect_b32 s21, -1, 0
	s_delay_alu instid0(SALU_CYCLE_1) | instskip(SKIP_3) | instid1(SALU_CYCLE_1)
	s_cmp_lg_u32 s21, 0
	s_sub_co_ci_u32 s21, s11, 0
	s_sub_co_u32 s22, s20, s40
	s_cselect_b32 s23, -1, 0
	s_cmp_lg_u32 s23, 0
	s_sub_co_ci_u32 s23, s21, 0
	s_cmp_ge_u32 s20, s40
	s_cselect_b32 s28, -1, 0
	s_cmp_eq_u32 s21, 0
	s_cselect_b32 s28, s28, -1
	s_delay_alu instid0(SALU_CYCLE_1)
	s_cmp_lg_u32 s28, 0
	s_cselect_b32 s21, s23, s21
	s_cselect_b32 s20, s22, s20
	s_cmp_ge_u32 s10, s40
	s_cselect_b32 s22, -1, 0
	s_cmp_eq_u32 s11, 0
	s_cselect_b32 s22, s22, -1
	s_delay_alu instid0(SALU_CYCLE_1)
	s_cmp_lg_u32 s22, 0
	s_cselect_b32 s11, s21, s11
	s_cselect_b32 s10, s20, s10
	s_cbranch_execnz .LBB213_221
.LBB213_220:                            ;   in Loop: Header=BB213_31 Depth=1
	v_cvt_f32_u32_e32 v4, s40
	s_sub_co_i32 s11, 0, s40
	s_delay_alu instid0(VALU_DEP_1) | instskip(SKIP_1) | instid1(TRANS32_DEP_1)
	v_rcp_iflag_f32_e32 v4, v4
	v_nop
	v_mul_f32_e32 v4, 0x4f7ffffe, v4
	s_delay_alu instid0(VALU_DEP_1) | instskip(NEXT) | instid1(VALU_DEP_1)
	v_cvt_u32_f32_e32 v4, v4
	v_readfirstlane_b32 s10, v4
	s_mul_i32 s11, s11, s10
	s_delay_alu instid0(SALU_CYCLE_1) | instskip(NEXT) | instid1(SALU_CYCLE_1)
	s_mul_hi_u32 s11, s10, s11
	s_add_co_i32 s10, s10, s11
	s_delay_alu instid0(SALU_CYCLE_1) | instskip(NEXT) | instid1(SALU_CYCLE_1)
	s_mul_hi_u32 s10, s66, s10
	s_mul_i32 s10, s10, s40
	s_delay_alu instid0(SALU_CYCLE_1) | instskip(NEXT) | instid1(SALU_CYCLE_1)
	s_sub_co_i32 s10, s66, s10
	s_sub_co_i32 s11, s10, s40
	s_cmp_ge_u32 s10, s40
	s_cselect_b32 s10, s11, s10
	s_delay_alu instid0(SALU_CYCLE_1) | instskip(SKIP_2) | instid1(SALU_CYCLE_1)
	s_sub_co_i32 s11, s10, s40
	s_cmp_ge_u32 s10, s40
	s_cselect_b32 s28, s11, s10
	s_mov_b64 s[10:11], s[28:29]
.LBB213_221:                            ;   in Loop: Header=BB213_31 Depth=1
	s_delay_alu instid0(SALU_CYCLE_1)
	s_sub_nc_u64 s[10:11], s[66:67], s[10:11]
	s_mov_b32 s20, exec_lo
                                        ; implicit-def: $vgpr8
	v_nop
	v_cmpx_gt_u64_e64 s[10:11], v[0:1]
	s_cbranch_execz .LBB213_231
; %bb.222:                              ;   in Loop: Header=BB213_31 Depth=1
	v_mov_b64_e32 v[4:5], v[30:31]
	v_mov_b64_e32 v[8:9], v[0:1]
	s_mov_b32 s21, 0
                                        ; implicit-def: $sgpr22
	s_branch .LBB213_226
.LBB213_223:                            ;   in Loop: Header=BB213_226 Depth=2
	s_or_b32 exec_lo, exec_lo, s23
	s_wait_dscnt 0x0
	s_barrier_signal -1
	s_barrier_wait -1
	ds_load_b32 v34, v3 offset:3072
	s_wait_dscnt 0x0
	s_barrier_signal -1
	s_barrier_wait -1
	v_cmp_eq_f16_e32 vcc_lo, 0, v34
	s_cbranch_vccz .LBB213_229
; %bb.224:                              ;   in Loop: Header=BB213_226 Depth=2
	v_add_nc_u64_e32 v[8:9], s[40:41], v[8:9]
	v_add_nc_u64_e32 v[4:5], s[44:45], v[4:5]
	s_mov_b32 s23, 0
	s_delay_alu instid0(VALU_DEP_2)
	v_cmp_le_u64_e32 vcc_lo, s[10:11], v[8:9]
	s_or_not1_b32 s28, vcc_lo, exec_lo
.LBB213_225:                            ;   in Loop: Header=BB213_226 Depth=2
	s_delay_alu instid0(SALU_CYCLE_1) | instskip(NEXT) | instid1(SALU_CYCLE_1)
	s_and_b32 s28, exec_lo, s28
	s_or_b32 s21, s28, s21
	s_and_not1_b32 s22, s22, exec_lo
	s_and_b32 s23, s23, exec_lo
	s_delay_alu instid0(SALU_CYCLE_1)
	s_or_b32 s22, s22, s23
	s_and_not1_b32 exec_lo, exec_lo, s21
	s_cbranch_execz .LBB213_230
.LBB213_226:                            ;   Parent Loop BB213_31 Depth=1
                                        ; =>  This Inner Loop Header: Depth=2
	s_mov_b32 s23, exec_lo
	s_delay_alu instid0(VALU_DEP_1)
	v_cmpx_gt_u64_e64 s[36:37], v[8:9]
	s_cbranch_execz .LBB213_223
; %bb.227:                              ;   in Loop: Header=BB213_226 Depth=2
	global_load_u16 v34, v[4:5], off
	s_wait_loadcnt 0x0
	v_cmp_lt_i16_e32 vcc_lo, -1, v34
	v_and_b32_e32 v35, 0xffff, v34
	v_cndmask_b32_e32 v36, 0xffff, v52, vcc_lo
	v_cmp_o_f16_e32 vcc_lo, v34, v34
	s_delay_alu instid0(VALU_DEP_2) | instskip(NEXT) | instid1(VALU_DEP_1)
	v_xor_b32_e32 v35, v36, v35
	v_cndmask_b32_e32 v35, 0xffff, v35, vcc_lo
	s_delay_alu instid0(VALU_DEP_1) | instskip(NEXT) | instid1(VALU_DEP_1)
	v_and_b32_e32 v35, v35, v11
	v_cmp_eq_u32_e32 vcc_lo, v35, v10
	s_and_b32 exec_lo, exec_lo, vcc_lo
	s_cbranch_execz .LBB213_223
; %bb.228:                              ;   in Loop: Header=BB213_226 Depth=2
	v_perm_b32 v34, v34, s53, 0x5040100
	ds_store_b32 v3, v34 offset:3072
	s_branch .LBB213_223
.LBB213_229:                            ;   in Loop: Header=BB213_226 Depth=2
	s_mov_b32 s28, -1
	s_mov_b32 s23, -1
                                        ; implicit-def: $vgpr8_vgpr9
                                        ; implicit-def: $vgpr4_vgpr5
	s_branch .LBB213_225
.LBB213_230:                            ;   in Loop: Header=BB213_31 Depth=1
	s_or_b32 exec_lo, exec_lo, s21
	v_lshrrev_b32_e32 v8, 16, v34
	s_and_not1_b32 s3, s3, exec_lo
	s_and_b32 s10, s22, exec_lo
	s_delay_alu instid0(SALU_CYCLE_1)
	s_or_b32 s3, s3, s10
.LBB213_231:                            ;   in Loop: Header=BB213_31 Depth=1
	s_or_b32 exec_lo, exec_lo, s20
	s_mov_b32 s92, 0
	s_mov_b32 s93, -1
.LBB213_232:                            ;   in Loop: Header=BB213_31 Depth=1
	s_or_not1_b32 s3, s3, exec_lo
.LBB213_233:                            ;   in Loop: Header=BB213_31 Depth=1
	s_or_b32 exec_lo, exec_lo, s94
	s_mov_b32 s10, 0
	s_and_saveexec_b32 s94, s3
	s_cbranch_execz .LBB213_297
; %bb.234:                              ;   in Loop: Header=BB213_31 Depth=1
	v_mov_b64_e32 v[4:5], 1
	v_mov_b32_e32 v2, 1
	s_xor_b32 s10, s95, -1
	s_mov_b32 s11, 0
	s_and_saveexec_b32 s3, s10
	s_cbranch_execz .LBB213_243
; %bb.235:                              ;   in Loop: Header=BB213_31 Depth=1
	s_mov_b32 s10, exec_lo
	v_cmpx_ge_u64_e64 s[16:17], v[6:7]
	s_xor_b32 s10, exec_lo, s10
	s_cbranch_execz .LBB213_240
; %bb.236:                              ;   in Loop: Header=BB213_31 Depth=1
	ds_load_b64 v[4:5], v3 offset:5120
	s_lshl_b32 s11, 2, s54
	v_or_b32_e32 v11, s24, v11
	v_and_or_b32 v10, v10, s25, s11
	s_wait_dscnt 0x0
	v_cmp_ne_u64_e32 vcc_lo, 0, v[4:5]
	s_cbranch_vccnz .LBB213_240
; %bb.237:                              ;   in Loop: Header=BB213_31 Depth=1
	s_and_saveexec_b32 s11, s5
; %bb.238:                              ;   in Loop: Header=BB213_31 Depth=1
	v_mov_b64_e32 v[4:5], s[16:17]
	ds_store_b64 v3, v[4:5] offset:5128
; %bb.239:                              ;   in Loop: Header=BB213_31 Depth=1
	s_or_b32 exec_lo, exec_lo, s11
	s_wait_dscnt 0x0
	s_barrier_signal -1
	s_barrier_wait -1
.LBB213_240:                            ;   in Loop: Header=BB213_31 Depth=1
	s_or_saveexec_b32 s10, s10
	v_mov_b32_e32 v2, 8
	s_mov_b32 s11, 0
	s_xor_b32 exec_lo, exec_lo, s10
; %bb.241:                              ;   in Loop: Header=BB213_31 Depth=1
	v_sub_nc_u64_e64 v[6:7], v[6:7], s[16:17]
	v_mov_b32_e32 v2, 0
	s_mov_b32 s11, exec_lo
; %bb.242:                              ;   in Loop: Header=BB213_31 Depth=1
	s_or_b32 exec_lo, exec_lo, s10
	s_delay_alu instid0(VALU_DEP_2)
	v_mov_b64_e32 v[4:5], v[6:7]
	s_and_b32 s11, s11, exec_lo
.LBB213_243:                            ;   in Loop: Header=BB213_31 Depth=1
	s_or_b32 exec_lo, exec_lo, s3
	s_mov_b32 s10, -1
                                        ; implicit-def: $sgpr101
                                        ; implicit-def: $sgpr3
	s_and_saveexec_b32 s95, s11
	s_cbranch_execz .LBB213_296
; %bb.244:                              ;   in Loop: Header=BB213_31 Depth=1
	s_delay_alu instid0(VALU_DEP_1) | instskip(SKIP_3) | instid1(SALU_CYCLE_1)
	v_cmp_eq_u64_e32 vcc_lo, 1, v[4:5]
	s_cmp_eq_u64 s[18:19], 1
	s_mov_b32 s11, -1
	s_cselect_b32 s3, -1, 0
                                        ; implicit-def: $sgpr101
	s_and_b32 s97, s3, vcc_lo
                                        ; implicit-def: $sgpr3
	s_delay_alu instid0(SALU_CYCLE_1)
	s_and_saveexec_b32 s76, s97
	s_cbranch_execz .LBB213_284
; %bb.245:                              ;   in Loop: Header=BB213_31 Depth=1
	ds_load_b64 v[6:7], v3 offset:5120
	s_wait_dscnt 0x0
	s_barrier_signal -1
	s_barrier_wait -1
	v_readfirstlane_b32 s10, v6
	v_readfirstlane_b32 s11, v7
	s_and_saveexec_b32 s3, s0
; %bb.246:                              ;   in Loop: Header=BB213_31 Depth=1
	ds_store_b16 v47, v3
; %bb.247:                              ;   in Loop: Header=BB213_31 Depth=1
	s_or_b32 exec_lo, exec_lo, s3
	v_or_b32_e32 v10, s24, v10
	v_or_b32_e32 v11, s24, v11
	s_mov_b32 s3, -1
	s_mov_b32 s101, 0
	s_cmp_eq_u64 s[10:11], 0
	s_mov_b32 s22, 0
	s_mov_b32 s23, -1
	s_wait_dscnt 0x0
	s_barrier_signal -1
	s_barrier_wait -1
                                        ; implicit-def: $vgpr8
	s_cbranch_scc1 .LBB213_266
; %bb.248:                              ;   in Loop: Header=BB213_31 Depth=1
	v_writelane_b32 v63, s76, 20
	s_add_nc_u64 s[20:21], s[10:11], s[64:65]
	s_delay_alu instid0(SALU_CYCLE_1) | instskip(NEXT) | instid1(SALU_CYCLE_1)
	s_and_b64 s[22:23], s[20:21], 0xffffffff00000000
	s_cmp_lg_u64 s[22:23], 0
	v_writelane_b32 v63, s52, 21
	s_mov_b32 s52, s81
	s_mov_b32 s81, s97
	v_writelane_b32 v63, s102, 22
	v_writelane_b32 v63, s104, 23
	s_cbranch_scc0 .LBB213_252
; %bb.249:                              ;   in Loop: Header=BB213_31 Depth=1
	s_cvt_f32_u32 s22, s40
	s_mov_b32 s23, 0x4f800000
	s_sub_nc_u64 s[76:77], 0, s[40:41]
	s_delay_alu instid0(SALU_CYCLE_1) | instskip(NEXT) | instid1(SALU_CYCLE_3)
	s_fmamk_f32 s22, s23, 0x0, s22
	v_s_rcp_f32 s22, s22
	s_delay_alu instid0(TRANS32_DEP_1) | instskip(NEXT) | instid1(SALU_CYCLE_3)
	s_mul_f32 s22, s22, 0x5f7ffffc
	s_mul_f32 s23, s22, 0x2f800000
	s_delay_alu instid0(SALU_CYCLE_3) | instskip(NEXT) | instid1(SALU_CYCLE_3)
	s_trunc_f32 s23, s23
	s_fmamk_f32 s22, s23, 0xcf800000, s22
	s_cvt_u32_f32 s23, s23
	s_delay_alu instid0(SALU_CYCLE_2) | instskip(NEXT) | instid1(SALU_CYCLE_3)
	s_cvt_u32_f32 s22, s22
	s_mul_u64 s[78:79], s[76:77], s[22:23]
	s_delay_alu instid0(SALU_CYCLE_1)
	s_mul_hi_u32 s97, s22, s79
	s_mul_i32 s96, s22, s79
	s_mul_hi_u32 s28, s22, s78
	s_mul_i32 vcc_lo, s23, s78
	s_add_nc_u64 s[96:97], s[28:29], s[96:97]
	s_mul_hi_u32 s102, s23, s78
	s_mul_hi_u32 s104, s23, s79
	s_add_co_u32 s28, s96, vcc_lo
	s_add_co_ci_u32 s28, s97, s102
	s_mul_i32 s78, s23, s79
	s_add_co_ci_u32 s79, s104, 0
	s_delay_alu instid0(SALU_CYCLE_1) | instskip(NEXT) | instid1(SALU_CYCLE_1)
	s_add_nc_u64 s[78:79], s[28:29], s[78:79]
	s_add_co_u32 s22, s22, s78
	s_cselect_b32 s28, -1, 0
	s_delay_alu instid0(SALU_CYCLE_1) | instskip(SKIP_1) | instid1(SALU_CYCLE_1)
	s_cmp_lg_u32 s28, 0
	s_add_co_ci_u32 s23, s23, s79
	s_mul_u64 s[76:77], s[76:77], s[22:23]
	s_delay_alu instid0(SALU_CYCLE_1)
	s_mul_hi_u32 s79, s22, s77
	s_mul_i32 s78, s22, s77
	s_mul_hi_u32 s28, s22, s76
	s_mul_i32 s97, s23, s76
	s_add_nc_u64 s[78:79], s[28:29], s[78:79]
	s_mul_hi_u32 s96, s23, s76
	s_mul_hi_u32 s102, s23, s77
	s_add_co_u32 s28, s78, s97
	s_add_co_ci_u32 s28, s79, s96
	s_mul_i32 s76, s23, s77
	s_add_co_ci_u32 s77, s102, 0
	s_delay_alu instid0(SALU_CYCLE_1) | instskip(NEXT) | instid1(SALU_CYCLE_1)
	s_add_nc_u64 s[76:77], s[28:29], s[76:77]
	s_add_co_u32 s22, s22, s76
	s_cselect_b32 s76, -1, 0
	s_mul_hi_u32 s28, s20, s22
	s_cmp_lg_u32 s76, 0
	s_mul_hi_u32 s78, s21, s22
	s_add_co_ci_u32 s76, s23, s77
	s_mul_i32 s77, s21, s22
	s_mul_hi_u32 s23, s20, s76
	s_mul_i32 s22, s20, s76
	s_mul_hi_u32 s79, s21, s76
	s_add_nc_u64 s[22:23], s[28:29], s[22:23]
	s_mul_i32 s76, s21, s76
	s_add_co_u32 s22, s22, s77
	s_add_co_ci_u32 s28, s23, s78
	s_add_co_ci_u32 s77, s79, 0
	s_delay_alu instid0(SALU_CYCLE_1) | instskip(NEXT) | instid1(SALU_CYCLE_1)
	s_add_nc_u64 s[22:23], s[28:29], s[76:77]
	s_and_b64 s[76:77], s[22:23], 0xffffffff00000000
	s_delay_alu instid0(SALU_CYCLE_1) | instskip(NEXT) | instid1(SALU_CYCLE_1)
	s_or_b32 s76, s76, s22
	s_mul_u64 s[22:23], s[40:41], s[76:77]
	s_delay_alu instid0(SALU_CYCLE_1) | instskip(SKIP_1) | instid1(SALU_CYCLE_1)
	s_sub_co_u32 s22, s20, s22
	s_cselect_b32 s28, -1, 0
	s_cmp_lg_u32 s28, 0
	s_sub_co_ci_u32 s23, s21, s23
	s_sub_co_u32 s28, s22, s40
	s_cselect_b32 s76, -1, 0
	s_delay_alu instid0(SALU_CYCLE_1) | instskip(SKIP_3) | instid1(SALU_CYCLE_1)
	s_cmp_lg_u32 s76, 0
	s_sub_co_ci_u32 s76, s23, 0
	s_sub_co_u32 s77, s28, s40
	s_cselect_b32 s78, -1, 0
	s_cmp_lg_u32 s78, 0
	s_sub_co_ci_u32 s78, s76, 0
	s_cmp_ge_u32 s28, s40
	s_cselect_b32 s79, -1, 0
	s_cmp_eq_u32 s76, 0
	s_cselect_b32 s79, s79, -1
	s_delay_alu instid0(SALU_CYCLE_1)
	s_cmp_lg_u32 s79, 0
	s_cselect_b32 s76, s78, s76
	s_cselect_b32 s28, s77, s28
	s_cmp_ge_u32 s22, s40
	s_cselect_b32 s77, -1, 0
	s_cmp_eq_u32 s23, 0
	s_cselect_b32 s77, s77, -1
	s_delay_alu instid0(SALU_CYCLE_1)
	s_cmp_lg_u32 s77, 0
	s_cselect_b32 s23, s76, s23
	s_cselect_b32 s22, s28, s22
	s_mov_b32 s28, 0
	s_branch .LBB213_253
.LBB213_250:                            ;   in Loop: Header=BB213_31 Depth=1
                                        ; implicit-def: $sgpr22_sgpr23
	s_branch .LBB213_203
.LBB213_251:                            ;   in Loop: Header=BB213_31 Depth=1
                                        ; implicit-def: $sgpr10_sgpr11
	s_branch .LBB213_220
.LBB213_252:                            ;   in Loop: Header=BB213_31 Depth=1
	s_mov_b32 s28, -1
                                        ; implicit-def: $sgpr22_sgpr23
.LBB213_253:                            ;   in Loop: Header=BB213_31 Depth=1
	s_delay_alu instid0(SALU_CYCLE_1)
	s_and_not1_b32 vcc_lo, exec_lo, s28
	s_cbranch_vccnz .LBB213_255
; %bb.254:                              ;   in Loop: Header=BB213_31 Depth=1
	v_cvt_f32_u32_e32 v6, s40
	s_sub_co_i32 s23, 0, s40
	s_delay_alu instid0(VALU_DEP_1) | instskip(SKIP_1) | instid1(TRANS32_DEP_1)
	v_rcp_iflag_f32_e32 v6, v6
	v_nop
	v_mul_f32_e32 v6, 0x4f7ffffe, v6
	s_delay_alu instid0(VALU_DEP_1) | instskip(NEXT) | instid1(VALU_DEP_1)
	v_cvt_u32_f32_e32 v6, v6
	v_readfirstlane_b32 s22, v6
	s_mul_i32 s23, s23, s22
	s_delay_alu instid0(SALU_CYCLE_1) | instskip(NEXT) | instid1(SALU_CYCLE_1)
	s_mul_hi_u32 s23, s22, s23
	s_add_co_i32 s22, s22, s23
	s_delay_alu instid0(SALU_CYCLE_1) | instskip(NEXT) | instid1(SALU_CYCLE_1)
	s_mul_hi_u32 s22, s20, s22
	s_mul_i32 s22, s22, s40
	s_delay_alu instid0(SALU_CYCLE_1) | instskip(NEXT) | instid1(SALU_CYCLE_1)
	s_sub_co_i32 s22, s20, s22
	s_sub_co_i32 s23, s22, s40
	s_cmp_ge_u32 s22, s40
	s_cselect_b32 s22, s23, s22
	s_delay_alu instid0(SALU_CYCLE_1) | instskip(SKIP_2) | instid1(SALU_CYCLE_1)
	s_sub_co_i32 s23, s22, s40
	s_cmp_ge_u32 s22, s40
	s_cselect_b32 s28, s23, s22
	s_mov_b64 s[22:23], s[28:29]
.LBB213_255:                            ;   in Loop: Header=BB213_31 Depth=1
	s_delay_alu instid0(SALU_CYCLE_1)
	s_sub_nc_u64 s[20:21], s[20:21], s[22:23]
	s_mov_b32 s23, 0
	s_mov_b32 s22, 0
	s_mov_b32 s28, exec_lo
                                        ; implicit-def: $vgpr8
	v_cmpx_gt_u64_e64 s[20:21], v[0:1]
	v_readlane_b32 s104, v63, 23
	s_mov_b32 s97, s81
	s_mov_b32 s81, s52
	v_readlane_b32 s52, v63, 21
	s_cbranch_execz .LBB213_265
; %bb.256:                              ;   in Loop: Header=BB213_31 Depth=1
	v_mov_b64_e32 v[6:7], v[0:1]
	v_mov_b32_e32 v8, v46
                                        ; implicit-def: $sgpr96
	s_branch .LBB213_260
.LBB213_257:                            ;   in Loop: Header=BB213_260 Depth=2
	s_or_b32 exec_lo, exec_lo, s102
	s_wait_dscnt 0x0
	s_barrier_signal -1
	s_barrier_wait -1
	ds_load_b32 v9, v3 offset:3072
	s_wait_dscnt 0x0
	s_barrier_signal -1
	s_barrier_wait -1
	v_cmp_neq_f16_e32 vcc_lo, 0, v9
	s_cbranch_vccnz .LBB213_263
; %bb.258:                              ;   in Loop: Header=BB213_260 Depth=2
	v_add_nc_u64_e32 v[6:7], s[40:41], v[6:7]
	v_add_nc_u32_e32 v8, vcc_hi, v8
	s_mov_b32 s102, 0
	s_delay_alu instid0(VALU_DEP_2)
	v_cmp_le_u64_e32 vcc_lo, s[20:21], v[6:7]
	s_or_not1_b32 vcc_lo, vcc_lo, exec_lo
.LBB213_259:                            ;   in Loop: Header=BB213_260 Depth=2
	s_delay_alu instid0(SALU_CYCLE_1) | instskip(NEXT) | instid1(SALU_CYCLE_1)
	s_and_b32 s76, exec_lo, vcc_lo
	s_or_b32 s22, s76, s22
	s_and_not1_b32 s76, s96, exec_lo
	s_and_b32 s77, s102, exec_lo
	s_delay_alu instid0(SALU_CYCLE_1)
	s_or_b32 s96, s76, s77
	s_and_not1_b32 exec_lo, exec_lo, s22
	s_cbranch_execz .LBB213_264
.LBB213_260:                            ;   Parent Loop BB213_31 Depth=1
                                        ; =>  This Inner Loop Header: Depth=2
	s_mov_b32 s102, exec_lo
	s_delay_alu instid0(VALU_DEP_2)
	v_cmpx_gt_u64_e64 s[10:11], v[6:7]
	s_cbranch_execz .LBB213_257
; %bb.261:                              ;   in Loop: Header=BB213_260 Depth=2
	ds_load_u16 v9, v8
	s_wait_dscnt 0x0
	v_cmp_lt_i16_e32 vcc_lo, -1, v9
	v_and_b32_e32 v34, 0xffff, v9
	v_cndmask_b32_e32 v35, 0xffff, v52, vcc_lo
	v_cmp_o_f16_e32 vcc_lo, v9, v9
	s_delay_alu instid0(VALU_DEP_2) | instskip(NEXT) | instid1(VALU_DEP_1)
	v_xor_b32_e32 v34, v35, v34
	v_cndmask_b32_e32 v34, 0xffff, v34, vcc_lo
	s_delay_alu instid0(VALU_DEP_1) | instskip(NEXT) | instid1(VALU_DEP_1)
	v_and_b32_e32 v34, v34, v11
	v_cmp_eq_u32_e32 vcc_lo, v34, v10
	s_and_b32 exec_lo, exec_lo, vcc_lo
	s_cbranch_execz .LBB213_257
; %bb.262:                              ;   in Loop: Header=BB213_260 Depth=2
	v_perm_b32 v9, v9, s53, 0x5040100
	ds_store_b32 v3, v9 offset:3072
	s_branch .LBB213_257
.LBB213_263:                            ;   in Loop: Header=BB213_260 Depth=2
	s_mov_b32 vcc_lo, -1
	s_mov_b32 s102, -1
                                        ; implicit-def: $vgpr6_vgpr7
                                        ; implicit-def: $vgpr8
	s_branch .LBB213_259
.LBB213_264:                            ;   in Loop: Header=BB213_31 Depth=1
	s_or_b32 exec_lo, exec_lo, s22
	v_lshrrev_b32_e32 v8, 16, v9
	s_and_b32 s22, s96, exec_lo
.LBB213_265:                            ;   in Loop: Header=BB213_31 Depth=1
	s_or_b32 exec_lo, exec_lo, s28
	v_readlane_b32 s102, v63, 22
	v_readlane_b32 s76, v63, 20
.LBB213_266:                            ;   in Loop: Header=BB213_31 Depth=1
	s_and_b32 vcc_lo, exec_lo, s23
	s_cbranch_vccz .LBB213_283
; %bb.267:                              ;   in Loop: Header=BB213_31 Depth=1
	s_and_b64 s[10:11], s[66:67], 0xffffffff00000000
	s_delay_alu instid0(SALU_CYCLE_1)
	s_cmp_lg_u64 s[10:11], 0
	s_cbranch_scc0 .LBB213_269
; %bb.268:                              ;   in Loop: Header=BB213_31 Depth=1
	s_cvt_f32_u32 s3, s40
	s_mov_b32 s10, 0x4f800000
	s_sub_nc_u64 s[20:21], 0, s[40:41]
	s_mov_b32 s101, s76
	s_fmamk_f32 s3, s10, 0x0, s3
	s_delay_alu instid0(SALU_CYCLE_3) | instskip(NEXT) | instid1(TRANS32_DEP_1)
	v_s_rcp_f32 s3, s3
	s_mul_f32 s3, s3, 0x5f7ffffc
	s_delay_alu instid0(SALU_CYCLE_3) | instskip(NEXT) | instid1(SALU_CYCLE_3)
	s_mul_f32 s10, s3, 0x2f800000
	s_trunc_f32 s10, s10
	s_delay_alu instid0(SALU_CYCLE_3) | instskip(SKIP_1) | instid1(SALU_CYCLE_2)
	s_fmamk_f32 s3, s10, 0xcf800000, s3
	s_cvt_u32_f32 s11, s10
	s_cvt_u32_f32 s10, s3
	s_delay_alu instid0(SALU_CYCLE_3) | instskip(NEXT) | instid1(SALU_CYCLE_1)
	s_mul_u64 s[76:77], s[20:21], s[10:11]
	s_mul_hi_u32 s79, s10, s77
	s_mul_i32 s78, s10, s77
	s_mul_hi_u32 s28, s10, s76
	s_mul_i32 s23, s11, s76
	s_add_nc_u64 s[78:79], s[28:29], s[78:79]
	s_mul_hi_u32 s3, s11, s76
	s_mul_hi_u32 s96, s11, s77
	s_add_co_u32 s23, s78, s23
	s_add_co_ci_u32 s28, s79, s3
	s_mul_i32 s76, s11, s77
	s_add_co_ci_u32 s77, s96, 0
	s_delay_alu instid0(SALU_CYCLE_1) | instskip(NEXT) | instid1(SALU_CYCLE_1)
	s_add_nc_u64 s[76:77], s[28:29], s[76:77]
	s_add_co_u32 s10, s10, s76
	s_cselect_b32 s3, -1, 0
	s_delay_alu instid0(SALU_CYCLE_1) | instskip(SKIP_1) | instid1(SALU_CYCLE_1)
	s_cmp_lg_u32 s3, 0
	s_add_co_ci_u32 s11, s11, s77
	s_mul_u64 s[20:21], s[20:21], s[10:11]
	s_delay_alu instid0(SALU_CYCLE_1)
	s_mul_hi_u32 s77, s10, s21
	s_mul_i32 s76, s10, s21
	s_mul_hi_u32 s28, s10, s20
	s_mul_i32 s23, s11, s20
	s_add_nc_u64 s[76:77], s[28:29], s[76:77]
	s_mul_hi_u32 s3, s11, s20
	s_mul_hi_u32 s78, s11, s21
	s_mul_i32 s20, s11, s21
	s_add_co_u32 s21, s76, s23
	s_add_co_ci_u32 s28, s77, s3
	s_add_co_ci_u32 s21, s78, 0
	s_mov_b32 s76, s101
	s_add_nc_u64 s[20:21], s[28:29], s[20:21]
	s_delay_alu instid0(SALU_CYCLE_1)
	s_add_co_u32 s3, s10, s20
	s_cselect_b32 s10, -1, 0
	s_mul_hi_u32 s28, s66, s3
	s_cmp_lg_u32 s10, 0
	s_mul_hi_u32 s23, s67, s3
	s_add_co_ci_u32 s20, s11, s21
	s_mul_i32 s3, s67, s3
	s_mul_hi_u32 s11, s66, s20
	s_mul_i32 s10, s66, s20
	s_mul_hi_u32 s21, s67, s20
	s_add_nc_u64 s[10:11], s[28:29], s[10:11]
	s_mul_i32 s20, s67, s20
	s_add_co_u32 s3, s10, s3
	s_add_co_ci_u32 s28, s11, s23
	s_add_co_ci_u32 s21, s21, 0
	s_delay_alu instid0(SALU_CYCLE_1) | instskip(NEXT) | instid1(SALU_CYCLE_1)
	s_add_nc_u64 s[10:11], s[28:29], s[20:21]
	s_and_b64 s[20:21], s[10:11], 0xffffffff00000000
	s_delay_alu instid0(SALU_CYCLE_1) | instskip(NEXT) | instid1(SALU_CYCLE_1)
	s_or_b32 s20, s20, s10
	s_mul_u64 s[10:11], s[40:41], s[20:21]
	s_delay_alu instid0(SALU_CYCLE_1) | instskip(SKIP_1) | instid1(SALU_CYCLE_1)
	s_sub_co_u32 s3, s66, s10
	s_cselect_b32 s10, -1, 0
	s_cmp_lg_u32 s10, 0
	s_sub_co_ci_u32 s10, s67, s11
	s_sub_co_u32 s11, s3, s40
	s_cselect_b32 s20, -1, 0
	s_delay_alu instid0(SALU_CYCLE_1) | instskip(SKIP_3) | instid1(SALU_CYCLE_1)
	s_cmp_lg_u32 s20, 0
	s_sub_co_ci_u32 s20, s10, 0
	s_sub_co_u32 s21, s11, s40
	s_cselect_b32 s23, -1, 0
	s_cmp_lg_u32 s23, 0
	s_sub_co_ci_u32 s23, s20, 0
	s_cmp_ge_u32 s11, s40
	s_cselect_b32 s28, -1, 0
	s_cmp_eq_u32 s20, 0
	s_cselect_b32 s28, s28, -1
	s_delay_alu instid0(SALU_CYCLE_1)
	s_cmp_lg_u32 s28, 0
	s_cselect_b32 s20, s23, s20
	s_cselect_b32 s21, s21, s11
	s_cmp_ge_u32 s3, s40
	s_cselect_b32 s11, -1, 0
	s_cmp_eq_u32 s10, 0
	s_cselect_b32 s11, s11, -1
	s_delay_alu instid0(SALU_CYCLE_1)
	s_cmp_lg_u32 s11, 0
	s_cselect_b32 s11, s20, s10
	s_cselect_b32 s10, s21, s3
	s_mov_b32 s3, 0
	s_branch .LBB213_270
.LBB213_269:                            ;   in Loop: Header=BB213_31 Depth=1
	s_mov_b32 s3, -1
                                        ; implicit-def: $sgpr10_sgpr11
.LBB213_270:                            ;   in Loop: Header=BB213_31 Depth=1
	s_delay_alu instid0(SALU_CYCLE_1)
	s_and_not1_b32 vcc_lo, exec_lo, s3
	s_cbranch_vccnz .LBB213_272
; %bb.271:                              ;   in Loop: Header=BB213_31 Depth=1
	v_cvt_f32_u32_e32 v6, s40
	s_sub_co_i32 s10, 0, s40
	s_delay_alu instid0(VALU_DEP_1) | instskip(SKIP_1) | instid1(TRANS32_DEP_1)
	v_rcp_iflag_f32_e32 v6, v6
	v_nop
	v_mul_f32_e32 v6, 0x4f7ffffe, v6
	s_delay_alu instid0(VALU_DEP_1) | instskip(NEXT) | instid1(VALU_DEP_1)
	v_cvt_u32_f32_e32 v6, v6
	v_readfirstlane_b32 s3, v6
	s_mul_i32 s10, s10, s3
	s_delay_alu instid0(SALU_CYCLE_1) | instskip(NEXT) | instid1(SALU_CYCLE_1)
	s_mul_hi_u32 s10, s3, s10
	s_add_co_i32 s3, s3, s10
	s_delay_alu instid0(SALU_CYCLE_1) | instskip(NEXT) | instid1(SALU_CYCLE_1)
	s_mul_hi_u32 s3, s66, s3
	s_mul_i32 s3, s3, s40
	s_delay_alu instid0(SALU_CYCLE_1) | instskip(NEXT) | instid1(SALU_CYCLE_1)
	s_sub_co_i32 s3, s66, s3
	s_sub_co_i32 s10, s3, s40
	s_cmp_ge_u32 s3, s40
	s_cselect_b32 s3, s10, s3
	s_delay_alu instid0(SALU_CYCLE_1) | instskip(SKIP_2) | instid1(SALU_CYCLE_1)
	s_sub_co_i32 s10, s3, s40
	s_cmp_ge_u32 s3, s40
	s_cselect_b32 s28, s10, s3
	s_mov_b64 s[10:11], s[28:29]
.LBB213_272:                            ;   in Loop: Header=BB213_31 Depth=1
	s_delay_alu instid0(SALU_CYCLE_1)
	s_sub_nc_u64 s[10:11], s[66:67], s[10:11]
	s_mov_b32 s3, exec_lo
                                        ; implicit-def: $vgpr8
	v_cmpx_gt_u64_e64 s[10:11], v[0:1]
	s_cbranch_execz .LBB213_282
; %bb.273:                              ;   in Loop: Header=BB213_31 Depth=1
	v_mov_b64_e32 v[6:7], v[30:31]
	v_mov_b64_e32 v[8:9], v[0:1]
	s_mov_b32 s20, 0
                                        ; implicit-def: $sgpr21
	s_branch .LBB213_277
.LBB213_274:                            ;   in Loop: Header=BB213_277 Depth=2
	s_or_b32 exec_lo, exec_lo, s23
	s_wait_dscnt 0x0
	s_barrier_signal -1
	s_barrier_wait -1
	ds_load_b32 v34, v3 offset:3072
	s_wait_dscnt 0x0
	s_barrier_signal -1
	s_barrier_wait -1
	v_cmp_eq_f16_e32 vcc_lo, 0, v34
	s_cbranch_vccz .LBB213_280
; %bb.275:                              ;   in Loop: Header=BB213_277 Depth=2
	v_add_nc_u64_e32 v[8:9], s[40:41], v[8:9]
	v_add_nc_u64_e32 v[6:7], s[44:45], v[6:7]
	s_mov_b32 s23, 0
	s_delay_alu instid0(VALU_DEP_2)
	v_cmp_le_u64_e32 vcc_lo, s[10:11], v[8:9]
	s_or_not1_b32 s28, vcc_lo, exec_lo
.LBB213_276:                            ;   in Loop: Header=BB213_277 Depth=2
	s_delay_alu instid0(SALU_CYCLE_1) | instskip(NEXT) | instid1(SALU_CYCLE_1)
	s_and_b32 s28, exec_lo, s28
	s_or_b32 s20, s28, s20
	s_and_not1_b32 s21, s21, exec_lo
	s_and_b32 s23, s23, exec_lo
	s_delay_alu instid0(SALU_CYCLE_1)
	s_or_b32 s21, s21, s23
	s_and_not1_b32 exec_lo, exec_lo, s20
	s_cbranch_execz .LBB213_281
.LBB213_277:                            ;   Parent Loop BB213_31 Depth=1
                                        ; =>  This Inner Loop Header: Depth=2
	s_mov_b32 s23, exec_lo
	s_delay_alu instid0(VALU_DEP_1)
	v_cmpx_gt_u64_e64 s[36:37], v[8:9]
	s_cbranch_execz .LBB213_274
; %bb.278:                              ;   in Loop: Header=BB213_277 Depth=2
	global_load_u16 v34, v[6:7], off
	s_wait_loadcnt 0x0
	v_cmp_lt_i16_e32 vcc_lo, -1, v34
	v_and_b32_e32 v35, 0xffff, v34
	v_cndmask_b32_e32 v36, 0xffff, v52, vcc_lo
	v_cmp_o_f16_e32 vcc_lo, v34, v34
	s_delay_alu instid0(VALU_DEP_2) | instskip(NEXT) | instid1(VALU_DEP_1)
	v_xor_b32_e32 v35, v36, v35
	v_cndmask_b32_e32 v35, 0xffff, v35, vcc_lo
	s_delay_alu instid0(VALU_DEP_1) | instskip(NEXT) | instid1(VALU_DEP_1)
	v_and_b32_e32 v35, v35, v11
	v_cmp_eq_u32_e32 vcc_lo, v35, v10
	s_and_b32 exec_lo, exec_lo, vcc_lo
	s_cbranch_execz .LBB213_274
; %bb.279:                              ;   in Loop: Header=BB213_277 Depth=2
	v_perm_b32 v34, v34, s53, 0x5040100
	ds_store_b32 v3, v34 offset:3072
	s_branch .LBB213_274
.LBB213_280:                            ;   in Loop: Header=BB213_277 Depth=2
	s_mov_b32 s28, -1
	s_mov_b32 s23, -1
                                        ; implicit-def: $vgpr8_vgpr9
                                        ; implicit-def: $vgpr6_vgpr7
	s_branch .LBB213_276
.LBB213_281:                            ;   in Loop: Header=BB213_31 Depth=1
	s_or_b32 exec_lo, exec_lo, s20
	v_lshrrev_b32_e32 v8, 16, v34
	s_and_not1_b32 s10, s22, exec_lo
	s_and_b32 s11, s21, exec_lo
	s_delay_alu instid0(SALU_CYCLE_1)
	s_or_b32 s22, s10, s11
.LBB213_282:                            ;   in Loop: Header=BB213_31 Depth=1
	s_or_b32 exec_lo, exec_lo, s3
	s_mov_b32 s3, 0
	s_mov_b32 s101, -1
.LBB213_283:                            ;   in Loop: Header=BB213_31 Depth=1
	s_or_not1_b32 s11, s22, exec_lo
.LBB213_284:                            ;   in Loop: Header=BB213_31 Depth=1
	s_delay_alu instid0(VALU_DEP_1)
	s_or_b32 exec_lo, exec_lo, s76
	s_mov_b32 s20, 0
	s_and_saveexec_b32 s10, s11
	s_cbranch_execz .LBB213_295
; %bb.285:                              ;   in Loop: Header=BB213_31 Depth=1
	v_mov_b64_e32 v[6:7], 1
	v_mov_b32_e32 v2, 1
	s_xor_b32 s20, s97, -1
	s_delay_alu instid0(SALU_CYCLE_1)
	s_and_saveexec_b32 s11, s20
	s_cbranch_execz .LBB213_294
; %bb.286:                              ;   in Loop: Header=BB213_31 Depth=1
	s_mov_b32 s20, exec_lo
	v_cmpx_ge_u64_e64 s[18:19], v[4:5]
	s_xor_b32 s20, exec_lo, s20
	s_cbranch_execz .LBB213_291
; %bb.287:                              ;   in Loop: Header=BB213_31 Depth=1
	ds_load_b64 v[6:7], v3 offset:5120
	v_or_b32_e32 v10, s24, v10
	v_or_b32_e32 v11, s24, v11
	s_wait_dscnt 0x0
	v_cmp_ne_u64_e32 vcc_lo, 0, v[6:7]
	s_cbranch_vccnz .LBB213_291
; %bb.288:                              ;   in Loop: Header=BB213_31 Depth=1
	s_and_saveexec_b32 s21, s5
; %bb.289:                              ;   in Loop: Header=BB213_31 Depth=1
	v_mov_b64_e32 v[6:7], s[18:19]
	ds_store_b64 v3, v[6:7] offset:5128
; %bb.290:                              ;   in Loop: Header=BB213_31 Depth=1
	s_or_b32 exec_lo, exec_lo, s21
	s_wait_dscnt 0x0
	s_barrier_signal -1
	s_barrier_wait -1
.LBB213_291:                            ;   in Loop: Header=BB213_31 Depth=1
	s_and_not1_saveexec_b32 s20, s20
; %bb.292:                              ;   in Loop: Header=BB213_31 Depth=1
	v_sub_nc_u64_e64 v[4:5], v[4:5], s[18:19]
; %bb.293:                              ;   in Loop: Header=BB213_31 Depth=1
	s_or_b32 exec_lo, exec_lo, s20
	s_delay_alu instid0(VALU_DEP_1)
	v_mov_b64_e32 v[6:7], v[4:5]
	v_mov_b32_e32 v2, 8
.LBB213_294:                            ;   in Loop: Header=BB213_31 Depth=1
	s_or_b32 exec_lo, exec_lo, s11
	s_delay_alu instid0(VALU_DEP_2)
	v_mov_b64_e32 v[4:5], v[6:7]
	s_mov_b32 s20, exec_lo
.LBB213_295:                            ;   in Loop: Header=BB213_31 Depth=1
	s_or_b32 exec_lo, exec_lo, s10
	s_delay_alu instid0(SALU_CYCLE_1)
	s_or_not1_b32 s10, s20, exec_lo
.LBB213_296:                            ;   in Loop: Header=BB213_31 Depth=1
	s_or_b32 exec_lo, exec_lo, s95
	s_delay_alu instid0(VALU_DEP_1)
	v_mov_b64_e32 v[6:7], v[4:5]
	s_and_not1_b32 s11, s93, exec_lo
	s_and_b32 s20, s101, exec_lo
	s_and_not1_b32 s21, s92, exec_lo
	s_and_b32 s3, s3, exec_lo
	s_or_b32 s93, s11, s20
	s_or_b32 s92, s21, s3
	s_and_b32 s10, s10, exec_lo
.LBB213_297:                            ;   in Loop: Header=BB213_31 Depth=1
	s_or_b32 exec_lo, exec_lo, s94
	s_delay_alu instid0(SALU_CYCLE_1)
	s_or_not1_b32 s3, s10, exec_lo
.LBB213_298:                            ;   in Loop: Header=BB213_31 Depth=1
	s_or_b32 exec_lo, exec_lo, s91
	v_mov_b64_e32 v[4:5], v[6:7]
	s_and_not1_b32 s10, s89, exec_lo
	s_and_b32 s11, s93, exec_lo
	s_and_not1_b32 s20, s84, exec_lo
	s_and_b32 s21, s92, exec_lo
	s_or_b32 s89, s10, s11
	s_or_b32 s84, s20, s21
	s_and_b32 s10, s3, exec_lo
.LBB213_299:                            ;   in Loop: Header=BB213_31 Depth=1
	s_or_b32 exec_lo, exec_lo, s90
	s_delay_alu instid0(SALU_CYCLE_1)
	s_or_not1_b32 s3, s10, exec_lo
.LBB213_300:                            ;   in Loop: Header=BB213_31 Depth=1
	s_or_b32 exec_lo, exec_lo, s27
	s_mov_b32 s10, 0
	s_mov_b32 s11, 0
	s_and_saveexec_b32 s20, s3
	s_delay_alu instid0(SALU_CYCLE_1)
	s_xor_b32 s3, exec_lo, s20
; %bb.301:                              ;   in Loop: Header=BB213_31 Depth=1
	v_cmp_ne_u32_e32 vcc_lo, 8, v2
	v_cmp_eq_u32_e64 s10, 8, v2
	s_and_b32 s11, vcc_lo, exec_lo
	s_and_b32 s10, s10, exec_lo
; %bb.302:                              ;   in Loop: Header=BB213_31 Depth=1
	s_or_b32 exec_lo, exec_lo, s3
	s_delay_alu instid0(SALU_CYCLE_1)
	s_and_not1_b32 s3, s86, exec_lo
	s_and_b32 s20, s89, exec_lo
	s_and_not1_b32 s21, s85, exec_lo
	s_and_b32 s22, s84, exec_lo
	s_or_b32 s86, s3, s20
	s_or_b32 s85, s21, s22
	s_and_b32 s27, s11, exec_lo
	s_and_b32 s84, s10, exec_lo
.LBB213_303:                            ;   in Loop: Header=BB213_31 Depth=1
	s_or_b32 exec_lo, exec_lo, s88
.LBB213_304:                            ;   in Loop: Header=BB213_31 Depth=1
	s_delay_alu instid0(SALU_CYCLE_1)
	s_and_b32 vcc_lo, exec_lo, s87
	s_cbranch_vccz .LBB213_321
; %bb.305:                              ;   in Loop: Header=BB213_31 Depth=1
	s_cmp_eq_u64 s[18:19], 1
                                        ; implicit-def: $sgpr87
                                        ; implicit-def: $sgpr26
	s_cselect_b32 s3, -1, 0
	s_delay_alu instid0(SALU_CYCLE_1)
	s_and_b32 s9, s3, s9
	s_mov_b32 s3, -1
	s_and_saveexec_b32 s85, s9
	s_cbranch_execz .LBB213_340
; %bb.306:                              ;   in Loop: Header=BB213_31 Depth=1
	ds_load_b64 v[4:5], v3 offset:5120
	s_wait_dscnt 0x0
	s_barrier_signal -1
	s_barrier_wait -1
	v_readfirstlane_b32 s10, v4
	v_readfirstlane_b32 s11, v5
	s_and_saveexec_b32 s3, s0
; %bb.307:                              ;   in Loop: Header=BB213_31 Depth=1
	ds_store_b16 v47, v3
; %bb.308:                              ;   in Loop: Header=BB213_31 Depth=1
	s_or_b32 exec_lo, exec_lo, s3
	v_or_b32_e32 v50, s24, v50
	v_or_b32_e32 v53, s24, v53
	s_mov_b32 s26, -1
	s_mov_b32 s87, 0
	s_cmp_eq_u64 s[10:11], 0
	s_mov_b32 s3, 0
	s_mov_b32 s22, -1
	s_wait_dscnt 0x0
	s_barrier_signal -1
	s_barrier_wait -1
                                        ; implicit-def: $vgpr54
	s_cbranch_scc1 .LBB213_324
; %bb.309:                              ;   in Loop: Header=BB213_31 Depth=1
	s_add_nc_u64 s[20:21], s[10:11], s[64:65]
	s_delay_alu instid0(SALU_CYCLE_1) | instskip(NEXT) | instid1(SALU_CYCLE_1)
	s_and_b64 s[22:23], s[20:21], 0xffffffff00000000
	s_cmp_lg_u64 s[22:23], 0
	s_cbranch_scc0 .LBB213_367
; %bb.310:                              ;   in Loop: Header=BB213_31 Depth=1
	s_cvt_f32_u32 s3, s40
	s_mov_b32 s22, 0x4f800000
	s_sub_nc_u64 s[88:89], 0, s[40:41]
	s_delay_alu instid0(SALU_CYCLE_1) | instskip(NEXT) | instid1(SALU_CYCLE_3)
	s_fmamk_f32 s3, s22, 0x0, s3
	v_s_rcp_f32 s3, s3
	s_delay_alu instid0(TRANS32_DEP_1) | instskip(NEXT) | instid1(SALU_CYCLE_3)
	s_mul_f32 s3, s3, 0x5f7ffffc
	s_mul_f32 s22, s3, 0x2f800000
	s_delay_alu instid0(SALU_CYCLE_3) | instskip(NEXT) | instid1(SALU_CYCLE_3)
	s_trunc_f32 s22, s22
	s_fmamk_f32 s3, s22, 0xcf800000, s3
	s_cvt_u32_f32 s23, s22
	s_delay_alu instid0(SALU_CYCLE_2) | instskip(NEXT) | instid1(SALU_CYCLE_3)
	s_cvt_u32_f32 s22, s3
	s_mul_u64 s[90:91], s[88:89], s[22:23]
	s_delay_alu instid0(SALU_CYCLE_1)
	s_mul_hi_u32 s93, s22, s91
	s_mul_i32 s92, s22, s91
	s_mul_hi_u32 s28, s22, s90
	s_mul_i32 s76, s23, s90
	s_add_nc_u64 s[92:93], s[28:29], s[92:93]
	s_mul_hi_u32 s3, s23, s90
	s_mul_hi_u32 s77, s23, s91
	s_add_co_u32 s28, s92, s76
	s_add_co_ci_u32 s28, s93, s3
	s_mul_i32 s90, s23, s91
	s_add_co_ci_u32 s91, s77, 0
	s_delay_alu instid0(SALU_CYCLE_1) | instskip(NEXT) | instid1(SALU_CYCLE_1)
	s_add_nc_u64 s[90:91], s[28:29], s[90:91]
	s_add_co_u32 s22, s22, s90
	s_cselect_b32 s3, -1, 0
	s_delay_alu instid0(SALU_CYCLE_1) | instskip(SKIP_1) | instid1(SALU_CYCLE_1)
	s_cmp_lg_u32 s3, 0
	s_add_co_ci_u32 s23, s23, s91
	s_mul_u64 s[88:89], s[88:89], s[22:23]
	s_delay_alu instid0(SALU_CYCLE_1)
	s_mul_hi_u32 s91, s22, s89
	s_mul_i32 s90, s22, s89
	s_mul_hi_u32 s28, s22, s88
	s_mul_i32 s76, s23, s88
	s_add_nc_u64 s[90:91], s[28:29], s[90:91]
	s_mul_hi_u32 s3, s23, s88
	s_mul_hi_u32 s77, s23, s89
	s_add_co_u32 s28, s90, s76
	s_add_co_ci_u32 s28, s91, s3
	s_mul_i32 s88, s23, s89
	s_add_co_ci_u32 s89, s77, 0
	s_delay_alu instid0(SALU_CYCLE_1) | instskip(NEXT) | instid1(SALU_CYCLE_1)
	s_add_nc_u64 s[88:89], s[28:29], s[88:89]
	s_add_co_u32 s3, s22, s88
	s_cselect_b32 s22, -1, 0
	s_mul_hi_u32 s28, s20, s3
	s_cmp_lg_u32 s22, 0
	s_mul_hi_u32 s76, s21, s3
	s_add_co_ci_u32 s77, s23, s89
	s_mul_i32 s3, s21, s3
	s_mul_hi_u32 s23, s20, s77
	s_mul_i32 s22, s20, s77
	s_mul_hi_u32 s78, s21, s77
	s_add_nc_u64 s[22:23], s[28:29], s[22:23]
	s_mul_i32 s88, s21, s77
	s_add_co_u32 s3, s22, s3
	s_add_co_ci_u32 s28, s23, s76
	s_add_co_ci_u32 s89, s78, 0
	s_delay_alu instid0(SALU_CYCLE_1) | instskip(NEXT) | instid1(SALU_CYCLE_1)
	s_add_nc_u64 s[22:23], s[28:29], s[88:89]
	s_and_b64 s[88:89], s[22:23], 0xffffffff00000000
	s_delay_alu instid0(SALU_CYCLE_1) | instskip(NEXT) | instid1(SALU_CYCLE_1)
	s_or_b32 s88, s88, s22
	s_mul_u64 s[22:23], s[40:41], s[88:89]
	s_delay_alu instid0(SALU_CYCLE_1) | instskip(SKIP_1) | instid1(SALU_CYCLE_1)
	s_sub_co_u32 s3, s20, s22
	s_cselect_b32 s22, -1, 0
	s_cmp_lg_u32 s22, 0
	s_sub_co_ci_u32 s22, s21, s23
	s_sub_co_u32 s23, s3, s40
	s_cselect_b32 s28, -1, 0
	s_delay_alu instid0(SALU_CYCLE_1) | instskip(SKIP_3) | instid1(SALU_CYCLE_1)
	s_cmp_lg_u32 s28, 0
	s_sub_co_ci_u32 s28, s22, 0
	s_sub_co_u32 s76, s23, s40
	s_cselect_b32 s77, -1, 0
	s_cmp_lg_u32 s77, 0
	s_sub_co_ci_u32 s77, s28, 0
	s_cmp_ge_u32 s23, s40
	s_cselect_b32 s78, -1, 0
	s_cmp_eq_u32 s28, 0
	s_cselect_b32 s78, s78, -1
	s_delay_alu instid0(SALU_CYCLE_1)
	s_cmp_lg_u32 s78, 0
	s_cselect_b32 s28, s77, s28
	s_cselect_b32 s76, s76, s23
	s_cmp_ge_u32 s3, s40
	s_cselect_b32 s23, -1, 0
	s_cmp_eq_u32 s22, 0
	s_cselect_b32 s23, s23, -1
	s_delay_alu instid0(SALU_CYCLE_1)
	s_cmp_lg_u32 s23, 0
	s_cselect_b32 s23, s28, s22
	s_cselect_b32 s22, s76, s3
	s_cbranch_execnz .LBB213_312
.LBB213_311:                            ;   in Loop: Header=BB213_31 Depth=1
	v_cvt_f32_u32_e32 v2, s40
	s_sub_co_i32 s22, 0, s40
	s_delay_alu instid0(VALU_DEP_1) | instskip(SKIP_1) | instid1(TRANS32_DEP_1)
	v_rcp_iflag_f32_e32 v2, v2
	v_nop
	v_mul_f32_e32 v2, 0x4f7ffffe, v2
	s_delay_alu instid0(VALU_DEP_1) | instskip(NEXT) | instid1(VALU_DEP_1)
	v_cvt_u32_f32_e32 v2, v2
	v_readfirstlane_b32 s3, v2
	s_mul_i32 s22, s22, s3
	s_delay_alu instid0(SALU_CYCLE_1) | instskip(NEXT) | instid1(SALU_CYCLE_1)
	s_mul_hi_u32 s22, s3, s22
	s_add_co_i32 s3, s3, s22
	s_delay_alu instid0(SALU_CYCLE_1) | instskip(NEXT) | instid1(SALU_CYCLE_1)
	s_mul_hi_u32 s3, s20, s3
	s_mul_i32 s3, s3, s40
	s_delay_alu instid0(SALU_CYCLE_1) | instskip(NEXT) | instid1(SALU_CYCLE_1)
	s_sub_co_i32 s3, s20, s3
	s_sub_co_i32 s22, s3, s40
	s_cmp_ge_u32 s3, s40
	s_cselect_b32 s3, s22, s3
	s_delay_alu instid0(SALU_CYCLE_1) | instskip(SKIP_2) | instid1(SALU_CYCLE_1)
	s_sub_co_i32 s22, s3, s40
	s_cmp_ge_u32 s3, s40
	s_cselect_b32 s28, s22, s3
	s_mov_b64 s[22:23], s[28:29]
.LBB213_312:                            ;   in Loop: Header=BB213_31 Depth=1
	s_delay_alu instid0(SALU_CYCLE_1)
	s_sub_nc_u64 s[20:21], s[20:21], s[22:23]
	s_mov_b32 s22, 0
	s_mov_b32 s3, 0
	s_mov_b32 s23, exec_lo
                                        ; implicit-def: $vgpr54
	v_cmpx_gt_u64_e64 s[20:21], v[0:1]
	s_cbranch_execz .LBB213_323
; %bb.313:                              ;   in Loop: Header=BB213_31 Depth=1
	v_mov_b64_e32 v[4:5], v[0:1]
	v_mov_b32_e32 v2, v46
                                        ; implicit-def: $sgpr28
	s_branch .LBB213_317
.LBB213_314:                            ;   in Loop: Header=BB213_317 Depth=2
	s_or_b32 exec_lo, exec_lo, s86
	s_wait_dscnt 0x0
	s_barrier_signal -1
	s_barrier_wait -1
	ds_load_b32 v6, v3 offset:3072
	s_wait_dscnt 0x0
	s_barrier_signal -1
	s_barrier_wait -1
	v_cmp_neq_f16_e32 vcc_lo, 0, v6
	s_cbranch_vccnz .LBB213_320
; %bb.315:                              ;   in Loop: Header=BB213_317 Depth=2
	v_add_nc_u64_e32 v[4:5], s[40:41], v[4:5]
	v_add_nc_u32_e32 v2, vcc_hi, v2
	s_mov_b32 s86, 0
	s_delay_alu instid0(VALU_DEP_2)
	v_cmp_le_u64_e32 vcc_lo, s[20:21], v[4:5]
	s_or_not1_b32 s88, vcc_lo, exec_lo
.LBB213_316:                            ;   in Loop: Header=BB213_317 Depth=2
	s_delay_alu instid0(SALU_CYCLE_1) | instskip(NEXT) | instid1(SALU_CYCLE_1)
	s_and_b32 s76, exec_lo, s88
	s_or_b32 s3, s76, s3
	s_and_not1_b32 s28, s28, exec_lo
	s_and_b32 s76, s86, exec_lo
	s_delay_alu instid0(SALU_CYCLE_1)
	s_or_b32 s28, s28, s76
	s_and_not1_b32 exec_lo, exec_lo, s3
	s_cbranch_execz .LBB213_322
.LBB213_317:                            ;   Parent Loop BB213_31 Depth=1
                                        ; =>  This Inner Loop Header: Depth=2
	s_mov_b32 s86, exec_lo
	s_delay_alu instid0(VALU_DEP_2)
	v_cmpx_gt_u64_e64 s[10:11], v[4:5]
	s_cbranch_execz .LBB213_314
; %bb.318:                              ;   in Loop: Header=BB213_317 Depth=2
	ds_load_u16 v6, v2
	s_wait_dscnt 0x0
	v_cmp_lt_i16_e32 vcc_lo, -1, v6
	v_and_b32_e32 v7, 0xffff, v6
	v_cndmask_b32_e32 v8, 0xffff, v52, vcc_lo
	v_cmp_o_f16_e32 vcc_lo, v6, v6
	s_delay_alu instid0(VALU_DEP_2) | instskip(NEXT) | instid1(VALU_DEP_1)
	v_xor_b32_e32 v7, v8, v7
	v_cndmask_b32_e32 v7, 0xffff, v7, vcc_lo
	s_delay_alu instid0(VALU_DEP_1) | instskip(NEXT) | instid1(VALU_DEP_1)
	v_and_b32_e32 v7, v7, v53
	v_cmp_eq_u32_e32 vcc_lo, v7, v50
	s_and_b32 exec_lo, exec_lo, vcc_lo
	s_cbranch_execz .LBB213_314
; %bb.319:                              ;   in Loop: Header=BB213_317 Depth=2
	v_perm_b32 v6, v6, s53, 0x5040100
	ds_store_b32 v3, v6 offset:3072
	s_branch .LBB213_314
.LBB213_320:                            ;   in Loop: Header=BB213_317 Depth=2
	s_mov_b32 s88, -1
	s_mov_b32 s86, -1
                                        ; implicit-def: $vgpr4_vgpr5
                                        ; implicit-def: $vgpr2
	s_branch .LBB213_316
.LBB213_321:                            ;   in Loop: Header=BB213_31 Depth=1
	v_dual_mov_b32 v50, v10 :: v_dual_mov_b32 v53, v11
	v_mov_b32_e32 v54, v8
	s_mov_b32 s87, 0
	s_and_saveexec_b32 s3, s84
	s_cbranch_execnz .LBB213_505
	s_branch .LBB213_506
.LBB213_322:                            ;   in Loop: Header=BB213_31 Depth=1
	s_or_b32 exec_lo, exec_lo, s3
	v_lshrrev_b32_e32 v54, 16, v6
	s_and_b32 s3, s28, exec_lo
.LBB213_323:                            ;   in Loop: Header=BB213_31 Depth=1
	s_or_b32 exec_lo, exec_lo, s23
.LBB213_324:                            ;   in Loop: Header=BB213_31 Depth=1
	s_delay_alu instid0(SALU_CYCLE_1)
	s_and_b32 vcc_lo, exec_lo, s22
	s_cbranch_vccz .LBB213_339
; %bb.325:                              ;   in Loop: Header=BB213_31 Depth=1
	s_and_b64 s[10:11], s[66:67], 0xffffffff00000000
	s_delay_alu instid0(SALU_CYCLE_1)
	s_cmp_lg_u64 s[10:11], 0
	s_cbranch_scc0 .LBB213_368
; %bb.326:                              ;   in Loop: Header=BB213_31 Depth=1
	s_cvt_f32_u32 s10, s40
	s_mov_b32 s11, 0x4f800000
	s_sub_nc_u64 s[20:21], 0, s[40:41]
	s_delay_alu instid0(SALU_CYCLE_1) | instskip(NEXT) | instid1(SALU_CYCLE_3)
	s_fmamk_f32 s10, s11, 0x0, s10
	v_s_rcp_f32 s10, s10
	s_delay_alu instid0(TRANS32_DEP_1) | instskip(NEXT) | instid1(SALU_CYCLE_3)
	s_mul_f32 s10, s10, 0x5f7ffffc
	s_mul_f32 s11, s10, 0x2f800000
	s_delay_alu instid0(SALU_CYCLE_3) | instskip(NEXT) | instid1(SALU_CYCLE_3)
	s_trunc_f32 s11, s11
	s_fmamk_f32 s10, s11, 0xcf800000, s10
	s_cvt_u32_f32 s11, s11
	s_delay_alu instid0(SALU_CYCLE_2) | instskip(NEXT) | instid1(SALU_CYCLE_3)
	s_cvt_u32_f32 s10, s10
	s_mul_u64 s[22:23], s[20:21], s[10:11]
	s_delay_alu instid0(SALU_CYCLE_1)
	s_mul_hi_u32 s87, s10, s23
	s_mul_i32 s86, s10, s23
	s_mul_hi_u32 s28, s10, s22
	s_mul_i32 s76, s11, s22
	s_add_nc_u64 s[86:87], s[28:29], s[86:87]
	s_mul_hi_u32 s26, s11, s22
	s_mul_hi_u32 s77, s11, s23
	s_mul_i32 s22, s11, s23
	s_add_co_u32 s23, s86, s76
	s_add_co_ci_u32 s28, s87, s26
	s_add_co_ci_u32 s23, s77, 0
	s_delay_alu instid0(SALU_CYCLE_1) | instskip(NEXT) | instid1(SALU_CYCLE_1)
	s_add_nc_u64 s[22:23], s[28:29], s[22:23]
	s_add_co_u32 s10, s10, s22
	s_cselect_b32 s22, -1, 0
	s_delay_alu instid0(SALU_CYCLE_1) | instskip(SKIP_1) | instid1(SALU_CYCLE_1)
	s_cmp_lg_u32 s22, 0
	s_add_co_ci_u32 s11, s11, s23
	s_mul_u64 s[20:21], s[20:21], s[10:11]
	s_delay_alu instid0(SALU_CYCLE_1)
	s_mul_hi_u32 s23, s10, s21
	s_mul_i32 s22, s10, s21
	s_mul_hi_u32 s28, s10, s20
	s_mul_i32 s76, s11, s20
	s_add_nc_u64 s[22:23], s[28:29], s[22:23]
	s_mul_hi_u32 s26, s11, s20
	s_mul_hi_u32 s77, s11, s21
	s_mul_i32 s20, s11, s21
	s_add_co_u32 s21, s22, s76
	s_add_co_ci_u32 s28, s23, s26
	s_add_co_ci_u32 s21, s77, 0
	s_delay_alu instid0(SALU_CYCLE_1) | instskip(NEXT) | instid1(SALU_CYCLE_1)
	s_add_nc_u64 s[20:21], s[28:29], s[20:21]
	s_add_co_u32 s10, s10, s20
	s_cselect_b32 s20, -1, 0
	s_mul_hi_u32 s28, s66, s10
	s_cmp_lg_u32 s20, 0
	s_mul_hi_u32 s22, s67, s10
	s_add_co_ci_u32 s20, s11, s21
	s_mul_i32 s21, s67, s10
	s_mul_hi_u32 s11, s66, s20
	s_mul_i32 s10, s66, s20
	s_mul_hi_u32 s23, s67, s20
	s_add_nc_u64 s[10:11], s[28:29], s[10:11]
	s_mul_i32 s20, s67, s20
	s_add_co_u32 s10, s10, s21
	s_add_co_ci_u32 s28, s11, s22
	s_add_co_ci_u32 s21, s23, 0
	s_delay_alu instid0(SALU_CYCLE_1) | instskip(NEXT) | instid1(SALU_CYCLE_1)
	s_add_nc_u64 s[10:11], s[28:29], s[20:21]
	s_and_b64 s[20:21], s[10:11], 0xffffffff00000000
	s_delay_alu instid0(SALU_CYCLE_1) | instskip(NEXT) | instid1(SALU_CYCLE_1)
	s_or_b32 s20, s20, s10
	s_mul_u64 s[10:11], s[40:41], s[20:21]
	s_delay_alu instid0(SALU_CYCLE_1) | instskip(SKIP_1) | instid1(SALU_CYCLE_1)
	s_sub_co_u32 s10, s66, s10
	s_cselect_b32 s20, -1, 0
	s_cmp_lg_u32 s20, 0
	s_sub_co_ci_u32 s11, s67, s11
	s_sub_co_u32 s20, s10, s40
	s_cselect_b32 s21, -1, 0
	s_delay_alu instid0(SALU_CYCLE_1) | instskip(SKIP_3) | instid1(SALU_CYCLE_1)
	s_cmp_lg_u32 s21, 0
	s_sub_co_ci_u32 s21, s11, 0
	s_sub_co_u32 s22, s20, s40
	s_cselect_b32 s23, -1, 0
	s_cmp_lg_u32 s23, 0
	s_sub_co_ci_u32 s23, s21, 0
	s_cmp_ge_u32 s20, s40
	s_cselect_b32 s26, -1, 0
	s_cmp_eq_u32 s21, 0
	s_cselect_b32 s26, s26, -1
	s_delay_alu instid0(SALU_CYCLE_1)
	s_cmp_lg_u32 s26, 0
	s_cselect_b32 s21, s23, s21
	s_cselect_b32 s20, s22, s20
	s_cmp_ge_u32 s10, s40
	s_cselect_b32 s22, -1, 0
	s_cmp_eq_u32 s11, 0
	s_cselect_b32 s22, s22, -1
	s_delay_alu instid0(SALU_CYCLE_1)
	s_cmp_lg_u32 s22, 0
	s_cselect_b32 s11, s21, s11
	s_cselect_b32 s10, s20, s10
	s_cbranch_execnz .LBB213_328
.LBB213_327:                            ;   in Loop: Header=BB213_31 Depth=1
	v_cvt_f32_u32_e32 v2, s40
	s_sub_co_i32 s11, 0, s40
	s_delay_alu instid0(VALU_DEP_1) | instskip(SKIP_1) | instid1(TRANS32_DEP_1)
	v_rcp_iflag_f32_e32 v2, v2
	v_nop
	v_mul_f32_e32 v2, 0x4f7ffffe, v2
	s_delay_alu instid0(VALU_DEP_1) | instskip(NEXT) | instid1(VALU_DEP_1)
	v_cvt_u32_f32_e32 v2, v2
	v_readfirstlane_b32 s10, v2
	s_mul_i32 s11, s11, s10
	s_delay_alu instid0(SALU_CYCLE_1) | instskip(NEXT) | instid1(SALU_CYCLE_1)
	s_mul_hi_u32 s11, s10, s11
	s_add_co_i32 s10, s10, s11
	s_delay_alu instid0(SALU_CYCLE_1) | instskip(NEXT) | instid1(SALU_CYCLE_1)
	s_mul_hi_u32 s10, s66, s10
	s_mul_i32 s10, s10, s40
	s_delay_alu instid0(SALU_CYCLE_1) | instskip(NEXT) | instid1(SALU_CYCLE_1)
	s_sub_co_i32 s10, s66, s10
	s_sub_co_i32 s11, s10, s40
	s_cmp_ge_u32 s10, s40
	s_cselect_b32 s10, s11, s10
	s_delay_alu instid0(SALU_CYCLE_1) | instskip(SKIP_2) | instid1(SALU_CYCLE_1)
	s_sub_co_i32 s11, s10, s40
	s_cmp_ge_u32 s10, s40
	s_cselect_b32 s28, s11, s10
	s_mov_b64 s[10:11], s[28:29]
.LBB213_328:                            ;   in Loop: Header=BB213_31 Depth=1
	s_delay_alu instid0(SALU_CYCLE_1)
	s_sub_nc_u64 s[10:11], s[66:67], s[10:11]
	s_mov_b32 s20, exec_lo
                                        ; implicit-def: $vgpr54
	v_nop
	v_cmpx_gt_u64_e64 s[10:11], v[0:1]
	s_cbranch_execz .LBB213_338
; %bb.329:                              ;   in Loop: Header=BB213_31 Depth=1
	v_mov_b64_e32 v[4:5], v[30:31]
	v_mov_b64_e32 v[6:7], v[0:1]
	s_mov_b32 s21, 0
                                        ; implicit-def: $sgpr22
	s_branch .LBB213_333
.LBB213_330:                            ;   in Loop: Header=BB213_333 Depth=2
	s_or_b32 exec_lo, exec_lo, s23
	s_wait_dscnt 0x0
	s_barrier_signal -1
	s_barrier_wait -1
	ds_load_b32 v2, v3 offset:3072
	s_wait_dscnt 0x0
	s_barrier_signal -1
	s_barrier_wait -1
	v_cmp_neq_f16_e32 vcc_lo, 0, v2
	s_cbranch_vccnz .LBB213_336
; %bb.331:                              ;   in Loop: Header=BB213_333 Depth=2
	v_add_nc_u64_e32 v[6:7], s[40:41], v[6:7]
	v_add_nc_u64_e32 v[4:5], s[44:45], v[4:5]
	s_mov_b32 s23, 0
	s_delay_alu instid0(VALU_DEP_2)
	v_cmp_le_u64_e32 vcc_lo, s[10:11], v[6:7]
	s_or_not1_b32 s26, vcc_lo, exec_lo
.LBB213_332:                            ;   in Loop: Header=BB213_333 Depth=2
	s_delay_alu instid0(SALU_CYCLE_1) | instskip(NEXT) | instid1(SALU_CYCLE_1)
	s_and_b32 s26, exec_lo, s26
	s_or_b32 s21, s26, s21
	s_and_not1_b32 s22, s22, exec_lo
	s_and_b32 s23, s23, exec_lo
	s_delay_alu instid0(SALU_CYCLE_1)
	s_or_b32 s22, s22, s23
	s_and_not1_b32 exec_lo, exec_lo, s21
	s_cbranch_execz .LBB213_337
.LBB213_333:                            ;   Parent Loop BB213_31 Depth=1
                                        ; =>  This Inner Loop Header: Depth=2
	s_mov_b32 s23, exec_lo
	s_delay_alu instid0(VALU_DEP_1)
	v_cmpx_gt_u64_e64 s[36:37], v[6:7]
	s_cbranch_execz .LBB213_330
; %bb.334:                              ;   in Loop: Header=BB213_333 Depth=2
	global_load_u16 v2, v[4:5], off
	s_wait_loadcnt 0x0
	v_cmp_lt_i16_e32 vcc_lo, -1, v2
	v_and_b32_e32 v8, 0xffff, v2
	v_cndmask_b32_e32 v9, 0xffff, v52, vcc_lo
	v_cmp_o_f16_e32 vcc_lo, v2, v2
	s_delay_alu instid0(VALU_DEP_2) | instskip(NEXT) | instid1(VALU_DEP_1)
	v_xor_b32_e32 v8, v9, v8
	v_cndmask_b32_e32 v8, 0xffff, v8, vcc_lo
	s_delay_alu instid0(VALU_DEP_1) | instskip(NEXT) | instid1(VALU_DEP_1)
	v_and_b32_e32 v8, v8, v53
	v_cmp_eq_u32_e32 vcc_lo, v8, v50
	s_and_b32 exec_lo, exec_lo, vcc_lo
	s_cbranch_execz .LBB213_330
; %bb.335:                              ;   in Loop: Header=BB213_333 Depth=2
	v_perm_b32 v2, v2, s53, 0x5040100
	ds_store_b32 v3, v2 offset:3072
	s_branch .LBB213_330
.LBB213_336:                            ;   in Loop: Header=BB213_333 Depth=2
	s_mov_b32 s26, -1
	s_mov_b32 s23, -1
                                        ; implicit-def: $vgpr6_vgpr7
                                        ; implicit-def: $vgpr4_vgpr5
	s_branch .LBB213_332
.LBB213_337:                            ;   in Loop: Header=BB213_31 Depth=1
	s_or_b32 exec_lo, exec_lo, s21
	s_delay_alu instid0(SALU_CYCLE_1)
	s_and_not1_b32 s3, s3, exec_lo
	s_and_b32 s10, s22, exec_lo
	v_lshrrev_b32_e32 v54, 16, v2
	s_or_b32 s3, s3, s10
.LBB213_338:                            ;   in Loop: Header=BB213_31 Depth=1
	s_or_b32 exec_lo, exec_lo, s20
	s_mov_b32 s26, 0
	s_mov_b32 s87, -1
.LBB213_339:                            ;   in Loop: Header=BB213_31 Depth=1
	s_or_not1_b32 s3, s3, exec_lo
.LBB213_340:                            ;   in Loop: Header=BB213_31 Depth=1
	s_or_b32 exec_lo, exec_lo, s85
                                        ; implicit-def: $vgpr4_vgpr5
                                        ; implicit-def: $vgpr2
	s_and_saveexec_b32 s22, s3
	s_cbranch_execz .LBB213_504
; %bb.341:                              ;   in Loop: Header=BB213_31 Depth=1
	v_mov_b64_e32 v[4:5], 1
	v_mov_b32_e32 v2, 1
	s_xor_b32 s10, s9, -1
	s_mov_b32 s9, 0
	s_and_saveexec_b32 s3, s10
	s_cbranch_execz .LBB213_350
; %bb.342:                              ;   in Loop: Header=BB213_31 Depth=1
	s_mov_b32 s9, exec_lo
	v_cmpx_ge_u64_e64 s[18:19], v[32:33]
	s_xor_b32 s9, exec_lo, s9
	s_cbranch_execz .LBB213_347
; %bb.343:                              ;   in Loop: Header=BB213_31 Depth=1
	ds_load_b64 v[4:5], v3 offset:5120
	v_or_b32_e32 v50, s24, v50
	v_or_b32_e32 v53, s24, v53
	s_wait_dscnt 0x0
	v_cmp_ne_u64_e32 vcc_lo, 0, v[4:5]
	s_cbranch_vccnz .LBB213_347
; %bb.344:                              ;   in Loop: Header=BB213_31 Depth=1
	s_and_saveexec_b32 s10, s5
; %bb.345:                              ;   in Loop: Header=BB213_31 Depth=1
	v_mov_b64_e32 v[4:5], s[18:19]
	ds_store_b64 v3, v[4:5] offset:5128
; %bb.346:                              ;   in Loop: Header=BB213_31 Depth=1
	s_or_b32 exec_lo, exec_lo, s10
	s_wait_dscnt 0x0
	s_barrier_signal -1
	s_barrier_wait -1
.LBB213_347:                            ;   in Loop: Header=BB213_31 Depth=1
	s_or_saveexec_b32 s9, s9
	v_mov_b32_e32 v2, 5
	s_mov_b32 s10, 0
	s_xor_b32 exec_lo, exec_lo, s9
; %bb.348:                              ;   in Loop: Header=BB213_31 Depth=1
	v_sub_nc_u64_e64 v[32:33], v[32:33], s[18:19]
	v_mov_b32_e32 v2, 0
	s_mov_b32 s10, exec_lo
; %bb.349:                              ;   in Loop: Header=BB213_31 Depth=1
	s_or_b32 exec_lo, exec_lo, s9
	s_delay_alu instid0(VALU_DEP_2)
	v_mov_b64_e32 v[4:5], v[32:33]
	s_and_b32 s9, s10, exec_lo
.LBB213_350:                            ;   in Loop: Header=BB213_31 Depth=1
	s_or_b32 exec_lo, exec_lo, s3
	s_mov_b32 s3, -1
                                        ; implicit-def: $sgpr23
                                        ; implicit-def: $sgpr85
	s_and_saveexec_b32 s10, s9
	s_delay_alu instid0(SALU_CYCLE_1)
	s_xor_b32 s9, exec_lo, s10
	s_cbranch_execz .LBB213_501
; %bb.351:                              ;   in Loop: Header=BB213_31 Depth=1
	v_cmp_eq_u64_e32 vcc_lo, 1, v[4:5]
	s_cmp_eq_u64 s[16:17], 1
                                        ; implicit-def: $sgpr85
                                        ; implicit-def: $sgpr23
	s_cselect_b32 s3, -1, 0
	s_delay_alu instid0(SALU_CYCLE_1)
	s_and_b32 s86, s3, vcc_lo
	s_mov_b32 s3, -1
	s_and_saveexec_b32 s88, s86
	s_cbranch_execz .LBB213_387
; %bb.352:                              ;   in Loop: Header=BB213_31 Depth=1
	ds_load_b64 v[6:7], v3 offset:5120
	s_wait_dscnt 0x0
	s_barrier_signal -1
	s_barrier_wait -1
	v_readfirstlane_b32 s10, v6
	v_readfirstlane_b32 s11, v7
	s_and_saveexec_b32 s3, s0
; %bb.353:                              ;   in Loop: Header=BB213_31 Depth=1
	ds_store_b16 v47, v3
; %bb.354:                              ;   in Loop: Header=BB213_31 Depth=1
	s_or_b32 exec_lo, exec_lo, s3
	s_lshl_b32 s3, 2, s54
	v_or_b32_e32 v53, s24, v53
	v_and_or_b32 v50, v50, s25, s3
	s_mov_b32 s23, -1
	s_mov_b32 s85, 0
	s_cmp_eq_u64 s[10:11], 0
	s_mov_b32 s3, 0
	s_mov_b32 s20, -1
	s_wait_dscnt 0x0
	s_barrier_signal -1
	s_barrier_wait -1
                                        ; implicit-def: $vgpr54
	s_cbranch_scc1 .LBB213_371
; %bb.355:                              ;   in Loop: Header=BB213_31 Depth=1
	s_add_nc_u64 s[18:19], s[10:11], s[64:65]
	s_delay_alu instid0(SALU_CYCLE_1) | instskip(NEXT) | instid1(SALU_CYCLE_1)
	s_and_b64 s[20:21], s[18:19], 0xffffffff00000000
	s_cmp_lg_u64 s[20:21], 0
	s_cbranch_scc0 .LBB213_414
; %bb.356:                              ;   in Loop: Header=BB213_31 Depth=1
	s_cvt_f32_u32 s3, s40
	s_mov_b32 s20, 0x4f800000
	s_sub_nc_u64 s[90:91], 0, s[40:41]
	s_delay_alu instid0(SALU_CYCLE_1) | instskip(NEXT) | instid1(SALU_CYCLE_3)
	s_fmamk_f32 s3, s20, 0x0, s3
	v_s_rcp_f32 s3, s3
	s_delay_alu instid0(TRANS32_DEP_1) | instskip(NEXT) | instid1(SALU_CYCLE_3)
	s_mul_f32 s3, s3, 0x5f7ffffc
	s_mul_f32 s20, s3, 0x2f800000
	s_delay_alu instid0(SALU_CYCLE_3) | instskip(NEXT) | instid1(SALU_CYCLE_3)
	s_trunc_f32 s20, s20
	s_fmamk_f32 s3, s20, 0xcf800000, s3
	s_cvt_u32_f32 s21, s20
	s_delay_alu instid0(SALU_CYCLE_2) | instskip(NEXT) | instid1(SALU_CYCLE_3)
	s_cvt_u32_f32 s20, s3
	s_mul_u64 s[92:93], s[90:91], s[20:21]
	s_delay_alu instid0(SALU_CYCLE_1)
	s_mul_hi_u32 s95, s20, s93
	s_mul_i32 s94, s20, s93
	s_mul_hi_u32 s28, s20, s92
	s_mul_i32 s76, s21, s92
	s_add_nc_u64 s[94:95], s[28:29], s[94:95]
	s_mul_hi_u32 s3, s21, s92
	s_mul_hi_u32 s77, s21, s93
	s_add_co_u32 s28, s94, s76
	s_add_co_ci_u32 s28, s95, s3
	s_mul_i32 s92, s21, s93
	s_add_co_ci_u32 s93, s77, 0
	s_delay_alu instid0(SALU_CYCLE_1) | instskip(NEXT) | instid1(SALU_CYCLE_1)
	s_add_nc_u64 s[92:93], s[28:29], s[92:93]
	s_add_co_u32 s20, s20, s92
	s_cselect_b32 s3, -1, 0
	s_delay_alu instid0(SALU_CYCLE_1) | instskip(SKIP_1) | instid1(SALU_CYCLE_1)
	s_cmp_lg_u32 s3, 0
	s_add_co_ci_u32 s21, s21, s93
	s_mul_u64 s[90:91], s[90:91], s[20:21]
	s_delay_alu instid0(SALU_CYCLE_1)
	s_mul_hi_u32 s93, s20, s91
	s_mul_i32 s92, s20, s91
	s_mul_hi_u32 s28, s20, s90
	s_mul_i32 s76, s21, s90
	s_add_nc_u64 s[92:93], s[28:29], s[92:93]
	s_mul_hi_u32 s3, s21, s90
	s_mul_hi_u32 s77, s21, s91
	s_add_co_u32 s28, s92, s76
	s_add_co_ci_u32 s28, s93, s3
	s_mul_i32 s90, s21, s91
	s_add_co_ci_u32 s91, s77, 0
	s_delay_alu instid0(SALU_CYCLE_1) | instskip(NEXT) | instid1(SALU_CYCLE_1)
	s_add_nc_u64 s[90:91], s[28:29], s[90:91]
	s_add_co_u32 s3, s20, s90
	s_cselect_b32 s20, -1, 0
	s_mul_hi_u32 s28, s18, s3
	s_cmp_lg_u32 s20, 0
	s_mul_hi_u32 s76, s19, s3
	s_add_co_ci_u32 s77, s21, s91
	s_mul_i32 s3, s19, s3
	s_mul_hi_u32 s21, s18, s77
	s_mul_i32 s20, s18, s77
	s_mul_hi_u32 s78, s19, s77
	s_add_nc_u64 s[20:21], s[28:29], s[20:21]
	s_mul_i32 s90, s19, s77
	s_add_co_u32 s3, s20, s3
	s_add_co_ci_u32 s28, s21, s76
	s_add_co_ci_u32 s91, s78, 0
	s_delay_alu instid0(SALU_CYCLE_1) | instskip(NEXT) | instid1(SALU_CYCLE_1)
	s_add_nc_u64 s[20:21], s[28:29], s[90:91]
	s_and_b64 s[90:91], s[20:21], 0xffffffff00000000
	s_delay_alu instid0(SALU_CYCLE_1) | instskip(NEXT) | instid1(SALU_CYCLE_1)
	s_or_b32 s90, s90, s20
	s_mul_u64 s[20:21], s[40:41], s[90:91]
	s_delay_alu instid0(SALU_CYCLE_1) | instskip(SKIP_1) | instid1(SALU_CYCLE_1)
	s_sub_co_u32 s3, s18, s20
	s_cselect_b32 s20, -1, 0
	s_cmp_lg_u32 s20, 0
	s_sub_co_ci_u32 s20, s19, s21
	s_sub_co_u32 s21, s3, s40
	s_cselect_b32 s28, -1, 0
	s_delay_alu instid0(SALU_CYCLE_1) | instskip(SKIP_3) | instid1(SALU_CYCLE_1)
	s_cmp_lg_u32 s28, 0
	s_sub_co_ci_u32 s28, s20, 0
	s_sub_co_u32 s76, s21, s40
	s_cselect_b32 s77, -1, 0
	s_cmp_lg_u32 s77, 0
	s_sub_co_ci_u32 s77, s28, 0
	s_cmp_ge_u32 s21, s40
	s_cselect_b32 s78, -1, 0
	s_cmp_eq_u32 s28, 0
	s_cselect_b32 s78, s78, -1
	s_delay_alu instid0(SALU_CYCLE_1)
	s_cmp_lg_u32 s78, 0
	s_cselect_b32 s28, s77, s28
	s_cselect_b32 s76, s76, s21
	s_cmp_ge_u32 s3, s40
	s_cselect_b32 s21, -1, 0
	s_cmp_eq_u32 s20, 0
	s_cselect_b32 s21, s21, -1
	s_delay_alu instid0(SALU_CYCLE_1)
	s_cmp_lg_u32 s21, 0
	s_cselect_b32 s21, s28, s20
	s_cselect_b32 s20, s76, s3
	s_cbranch_execnz .LBB213_358
.LBB213_357:                            ;   in Loop: Header=BB213_31 Depth=1
	v_cvt_f32_u32_e32 v6, s40
	s_sub_co_i32 s20, 0, s40
	s_delay_alu instid0(VALU_DEP_1) | instskip(SKIP_1) | instid1(TRANS32_DEP_1)
	v_rcp_iflag_f32_e32 v6, v6
	v_nop
	v_mul_f32_e32 v6, 0x4f7ffffe, v6
	s_delay_alu instid0(VALU_DEP_1) | instskip(NEXT) | instid1(VALU_DEP_1)
	v_cvt_u32_f32_e32 v6, v6
	v_readfirstlane_b32 s3, v6
	s_mul_i32 s20, s20, s3
	s_delay_alu instid0(SALU_CYCLE_1) | instskip(NEXT) | instid1(SALU_CYCLE_1)
	s_mul_hi_u32 s20, s3, s20
	s_add_co_i32 s3, s3, s20
	s_delay_alu instid0(SALU_CYCLE_1) | instskip(NEXT) | instid1(SALU_CYCLE_1)
	s_mul_hi_u32 s3, s18, s3
	s_mul_i32 s3, s3, s40
	s_delay_alu instid0(SALU_CYCLE_1) | instskip(NEXT) | instid1(SALU_CYCLE_1)
	s_sub_co_i32 s3, s18, s3
	s_sub_co_i32 s20, s3, s40
	s_cmp_ge_u32 s3, s40
	s_cselect_b32 s3, s20, s3
	s_delay_alu instid0(SALU_CYCLE_1) | instskip(SKIP_2) | instid1(SALU_CYCLE_1)
	s_sub_co_i32 s20, s3, s40
	s_cmp_ge_u32 s3, s40
	s_cselect_b32 s28, s20, s3
	s_mov_b64 s[20:21], s[28:29]
.LBB213_358:                            ;   in Loop: Header=BB213_31 Depth=1
	s_delay_alu instid0(SALU_CYCLE_1)
	s_sub_nc_u64 s[18:19], s[18:19], s[20:21]
	s_mov_b32 s20, 0
	s_mov_b32 s3, 0
	s_mov_b32 s21, exec_lo
                                        ; implicit-def: $vgpr54
	v_cmpx_gt_u64_e64 s[18:19], v[0:1]
	s_cbranch_execz .LBB213_370
; %bb.359:                              ;   in Loop: Header=BB213_31 Depth=1
	v_mov_b64_e32 v[6:7], v[0:1]
	v_mov_b32_e32 v8, v46
                                        ; implicit-def: $sgpr28
	s_branch .LBB213_363
.LBB213_360:                            ;   in Loop: Header=BB213_363 Depth=2
	s_or_b32 exec_lo, exec_lo, s89
	s_wait_dscnt 0x0
	s_barrier_signal -1
	s_barrier_wait -1
	ds_load_b32 v9, v3 offset:3072
	s_wait_dscnt 0x0
	s_barrier_signal -1
	s_barrier_wait -1
	v_cmp_neq_f16_e32 vcc_lo, 0, v9
	s_cbranch_vccnz .LBB213_366
; %bb.361:                              ;   in Loop: Header=BB213_363 Depth=2
	v_add_nc_u64_e32 v[6:7], s[40:41], v[6:7]
	v_add_nc_u32_e32 v8, vcc_hi, v8
	s_mov_b32 s89, 0
	s_delay_alu instid0(VALU_DEP_2)
	v_cmp_le_u64_e32 vcc_lo, s[18:19], v[6:7]
	s_or_not1_b32 s90, vcc_lo, exec_lo
.LBB213_362:                            ;   in Loop: Header=BB213_363 Depth=2
	s_delay_alu instid0(SALU_CYCLE_1) | instskip(NEXT) | instid1(SALU_CYCLE_1)
	s_and_b32 s76, exec_lo, s90
	s_or_b32 s3, s76, s3
	s_and_not1_b32 s28, s28, exec_lo
	s_and_b32 s76, s89, exec_lo
	s_delay_alu instid0(SALU_CYCLE_1)
	s_or_b32 s28, s28, s76
	s_and_not1_b32 exec_lo, exec_lo, s3
	s_cbranch_execz .LBB213_369
.LBB213_363:                            ;   Parent Loop BB213_31 Depth=1
                                        ; =>  This Inner Loop Header: Depth=2
	s_mov_b32 s89, exec_lo
	s_delay_alu instid0(VALU_DEP_2)
	v_cmpx_gt_u64_e64 s[10:11], v[6:7]
	s_cbranch_execz .LBB213_360
; %bb.364:                              ;   in Loop: Header=BB213_363 Depth=2
	ds_load_u16 v9, v8
	s_wait_dscnt 0x0
	v_cmp_lt_i16_e32 vcc_lo, -1, v9
	v_and_b32_e32 v10, 0xffff, v9
	v_cndmask_b32_e32 v11, 0xffff, v52, vcc_lo
	v_cmp_o_f16_e32 vcc_lo, v9, v9
	s_delay_alu instid0(VALU_DEP_2) | instskip(NEXT) | instid1(VALU_DEP_1)
	v_xor_b32_e32 v10, v11, v10
	v_cndmask_b32_e32 v10, 0xffff, v10, vcc_lo
	s_delay_alu instid0(VALU_DEP_1) | instskip(NEXT) | instid1(VALU_DEP_1)
	v_and_b32_e32 v10, v10, v53
	v_cmp_eq_u32_e32 vcc_lo, v10, v50
	s_and_b32 exec_lo, exec_lo, vcc_lo
	s_cbranch_execz .LBB213_360
; %bb.365:                              ;   in Loop: Header=BB213_363 Depth=2
	v_perm_b32 v9, v9, s53, 0x5040100
	ds_store_b32 v3, v9 offset:3072
	s_branch .LBB213_360
.LBB213_366:                            ;   in Loop: Header=BB213_363 Depth=2
	s_mov_b32 s90, -1
	s_mov_b32 s89, -1
                                        ; implicit-def: $vgpr6_vgpr7
                                        ; implicit-def: $vgpr8
	s_branch .LBB213_362
.LBB213_367:                            ;   in Loop: Header=BB213_31 Depth=1
                                        ; implicit-def: $sgpr22_sgpr23
	s_branch .LBB213_311
.LBB213_368:                            ;   in Loop: Header=BB213_31 Depth=1
                                        ; implicit-def: $sgpr10_sgpr11
	s_branch .LBB213_327
.LBB213_369:                            ;   in Loop: Header=BB213_31 Depth=1
	s_or_b32 exec_lo, exec_lo, s3
	v_lshrrev_b32_e32 v54, 16, v9
	s_and_b32 s3, s28, exec_lo
.LBB213_370:                            ;   in Loop: Header=BB213_31 Depth=1
	s_or_b32 exec_lo, exec_lo, s21
.LBB213_371:                            ;   in Loop: Header=BB213_31 Depth=1
	s_delay_alu instid0(SALU_CYCLE_1)
	s_and_b32 vcc_lo, exec_lo, s20
	s_cbranch_vccz .LBB213_386
; %bb.372:                              ;   in Loop: Header=BB213_31 Depth=1
	s_and_b64 s[10:11], s[66:67], 0xffffffff00000000
	s_delay_alu instid0(SALU_CYCLE_1)
	s_cmp_lg_u64 s[10:11], 0
	s_cbranch_scc0 .LBB213_415
; %bb.373:                              ;   in Loop: Header=BB213_31 Depth=1
	s_cvt_f32_u32 s10, s40
	s_mov_b32 s11, 0x4f800000
	s_sub_nc_u64 s[18:19], 0, s[40:41]
	s_delay_alu instid0(SALU_CYCLE_1) | instskip(NEXT) | instid1(SALU_CYCLE_3)
	s_fmamk_f32 s10, s11, 0x0, s10
	v_s_rcp_f32 s10, s10
	s_delay_alu instid0(TRANS32_DEP_1) | instskip(NEXT) | instid1(SALU_CYCLE_3)
	s_mul_f32 s10, s10, 0x5f7ffffc
	s_mul_f32 s11, s10, 0x2f800000
	s_delay_alu instid0(SALU_CYCLE_3) | instskip(NEXT) | instid1(SALU_CYCLE_3)
	s_trunc_f32 s11, s11
	s_fmamk_f32 s10, s11, 0xcf800000, s10
	s_cvt_u32_f32 s11, s11
	s_delay_alu instid0(SALU_CYCLE_2) | instskip(NEXT) | instid1(SALU_CYCLE_3)
	s_cvt_u32_f32 s10, s10
	s_mul_u64 s[20:21], s[18:19], s[10:11]
	s_delay_alu instid0(SALU_CYCLE_1)
	s_mul_hi_u32 s91, s10, s21
	s_mul_i32 s90, s10, s21
	s_mul_hi_u32 s28, s10, s20
	s_mul_i32 s76, s11, s20
	s_add_nc_u64 s[90:91], s[28:29], s[90:91]
	s_mul_hi_u32 s23, s11, s20
	s_mul_hi_u32 s77, s11, s21
	s_mul_i32 s20, s11, s21
	s_add_co_u32 s21, s90, s76
	s_add_co_ci_u32 s28, s91, s23
	s_add_co_ci_u32 s21, s77, 0
	s_delay_alu instid0(SALU_CYCLE_1) | instskip(NEXT) | instid1(SALU_CYCLE_1)
	s_add_nc_u64 s[20:21], s[28:29], s[20:21]
	s_add_co_u32 s10, s10, s20
	s_cselect_b32 s20, -1, 0
	s_delay_alu instid0(SALU_CYCLE_1) | instskip(SKIP_1) | instid1(SALU_CYCLE_1)
	s_cmp_lg_u32 s20, 0
	s_add_co_ci_u32 s11, s11, s21
	s_mul_u64 s[18:19], s[18:19], s[10:11]
	s_delay_alu instid0(SALU_CYCLE_1)
	s_mul_hi_u32 s21, s10, s19
	s_mul_i32 s20, s10, s19
	s_mul_hi_u32 s28, s10, s18
	s_mul_i32 s76, s11, s18
	s_add_nc_u64 s[20:21], s[28:29], s[20:21]
	s_mul_hi_u32 s23, s11, s18
	s_mul_hi_u32 s77, s11, s19
	s_mul_i32 s18, s11, s19
	s_add_co_u32 s19, s20, s76
	s_add_co_ci_u32 s28, s21, s23
	s_add_co_ci_u32 s19, s77, 0
	s_delay_alu instid0(SALU_CYCLE_1) | instskip(NEXT) | instid1(SALU_CYCLE_1)
	s_add_nc_u64 s[18:19], s[28:29], s[18:19]
	s_add_co_u32 s10, s10, s18
	s_cselect_b32 s18, -1, 0
	s_mul_hi_u32 s28, s66, s10
	s_cmp_lg_u32 s18, 0
	s_mul_hi_u32 s20, s67, s10
	s_add_co_ci_u32 s18, s11, s19
	s_mul_i32 s19, s67, s10
	s_mul_hi_u32 s11, s66, s18
	s_mul_i32 s10, s66, s18
	s_mul_hi_u32 s21, s67, s18
	s_add_nc_u64 s[10:11], s[28:29], s[10:11]
	s_mul_i32 s18, s67, s18
	s_add_co_u32 s10, s10, s19
	s_add_co_ci_u32 s28, s11, s20
	s_add_co_ci_u32 s19, s21, 0
	s_delay_alu instid0(SALU_CYCLE_1) | instskip(NEXT) | instid1(SALU_CYCLE_1)
	s_add_nc_u64 s[10:11], s[28:29], s[18:19]
	s_and_b64 s[18:19], s[10:11], 0xffffffff00000000
	s_delay_alu instid0(SALU_CYCLE_1) | instskip(NEXT) | instid1(SALU_CYCLE_1)
	s_or_b32 s18, s18, s10
	s_mul_u64 s[10:11], s[40:41], s[18:19]
	s_delay_alu instid0(SALU_CYCLE_1) | instskip(SKIP_1) | instid1(SALU_CYCLE_1)
	s_sub_co_u32 s10, s66, s10
	s_cselect_b32 s18, -1, 0
	s_cmp_lg_u32 s18, 0
	s_sub_co_ci_u32 s11, s67, s11
	s_sub_co_u32 s18, s10, s40
	s_cselect_b32 s19, -1, 0
	s_delay_alu instid0(SALU_CYCLE_1) | instskip(SKIP_3) | instid1(SALU_CYCLE_1)
	s_cmp_lg_u32 s19, 0
	s_sub_co_ci_u32 s19, s11, 0
	s_sub_co_u32 s20, s18, s40
	s_cselect_b32 s21, -1, 0
	s_cmp_lg_u32 s21, 0
	s_sub_co_ci_u32 s21, s19, 0
	s_cmp_ge_u32 s18, s40
	s_cselect_b32 s23, -1, 0
	s_cmp_eq_u32 s19, 0
	s_cselect_b32 s23, s23, -1
	s_delay_alu instid0(SALU_CYCLE_1)
	s_cmp_lg_u32 s23, 0
	s_cselect_b32 s19, s21, s19
	s_cselect_b32 s18, s20, s18
	s_cmp_ge_u32 s10, s40
	s_cselect_b32 s20, -1, 0
	s_cmp_eq_u32 s11, 0
	s_cselect_b32 s20, s20, -1
	s_delay_alu instid0(SALU_CYCLE_1)
	s_cmp_lg_u32 s20, 0
	s_cselect_b32 s11, s19, s11
	s_cselect_b32 s10, s18, s10
	s_cbranch_execnz .LBB213_375
.LBB213_374:                            ;   in Loop: Header=BB213_31 Depth=1
	v_cvt_f32_u32_e32 v6, s40
	s_sub_co_i32 s11, 0, s40
	s_delay_alu instid0(VALU_DEP_1) | instskip(SKIP_1) | instid1(TRANS32_DEP_1)
	v_rcp_iflag_f32_e32 v6, v6
	v_nop
	v_mul_f32_e32 v6, 0x4f7ffffe, v6
	s_delay_alu instid0(VALU_DEP_1) | instskip(NEXT) | instid1(VALU_DEP_1)
	v_cvt_u32_f32_e32 v6, v6
	v_readfirstlane_b32 s10, v6
	s_mul_i32 s11, s11, s10
	s_delay_alu instid0(SALU_CYCLE_1) | instskip(NEXT) | instid1(SALU_CYCLE_1)
	s_mul_hi_u32 s11, s10, s11
	s_add_co_i32 s10, s10, s11
	s_delay_alu instid0(SALU_CYCLE_1) | instskip(NEXT) | instid1(SALU_CYCLE_1)
	s_mul_hi_u32 s10, s66, s10
	s_mul_i32 s10, s10, s40
	s_delay_alu instid0(SALU_CYCLE_1) | instskip(NEXT) | instid1(SALU_CYCLE_1)
	s_sub_co_i32 s10, s66, s10
	s_sub_co_i32 s11, s10, s40
	s_cmp_ge_u32 s10, s40
	s_cselect_b32 s10, s11, s10
	s_delay_alu instid0(SALU_CYCLE_1) | instskip(SKIP_2) | instid1(SALU_CYCLE_1)
	s_sub_co_i32 s11, s10, s40
	s_cmp_ge_u32 s10, s40
	s_cselect_b32 s28, s11, s10
	s_mov_b64 s[10:11], s[28:29]
.LBB213_375:                            ;   in Loop: Header=BB213_31 Depth=1
	s_delay_alu instid0(SALU_CYCLE_1)
	s_sub_nc_u64 s[10:11], s[66:67], s[10:11]
	s_mov_b32 s18, exec_lo
                                        ; implicit-def: $vgpr54
	v_nop
	v_cmpx_gt_u64_e64 s[10:11], v[0:1]
	s_cbranch_execz .LBB213_385
; %bb.376:                              ;   in Loop: Header=BB213_31 Depth=1
	v_mov_b64_e32 v[6:7], v[30:31]
	v_mov_b64_e32 v[8:9], v[0:1]
	s_mov_b32 s19, 0
                                        ; implicit-def: $sgpr20
	s_branch .LBB213_380
.LBB213_377:                            ;   in Loop: Header=BB213_380 Depth=2
	s_or_b32 exec_lo, exec_lo, s21
	s_wait_dscnt 0x0
	s_barrier_signal -1
	s_barrier_wait -1
	ds_load_b32 v10, v3 offset:3072
	s_wait_dscnt 0x0
	s_barrier_signal -1
	s_barrier_wait -1
	v_cmp_eq_f16_e32 vcc_lo, 0, v10
	s_cbranch_vccz .LBB213_383
; %bb.378:                              ;   in Loop: Header=BB213_380 Depth=2
	v_add_nc_u64_e32 v[8:9], s[40:41], v[8:9]
	v_add_nc_u64_e32 v[6:7], s[44:45], v[6:7]
	s_mov_b32 s21, 0
	s_delay_alu instid0(VALU_DEP_2)
	v_cmp_le_u64_e32 vcc_lo, s[10:11], v[8:9]
	s_or_not1_b32 s23, vcc_lo, exec_lo
.LBB213_379:                            ;   in Loop: Header=BB213_380 Depth=2
	s_delay_alu instid0(SALU_CYCLE_1) | instskip(NEXT) | instid1(SALU_CYCLE_1)
	s_and_b32 s23, exec_lo, s23
	s_or_b32 s19, s23, s19
	s_and_not1_b32 s20, s20, exec_lo
	s_and_b32 s21, s21, exec_lo
	s_delay_alu instid0(SALU_CYCLE_1)
	s_or_b32 s20, s20, s21
	s_and_not1_b32 exec_lo, exec_lo, s19
	s_cbranch_execz .LBB213_384
.LBB213_380:                            ;   Parent Loop BB213_31 Depth=1
                                        ; =>  This Inner Loop Header: Depth=2
	s_mov_b32 s21, exec_lo
	s_delay_alu instid0(VALU_DEP_1)
	v_cmpx_gt_u64_e64 s[36:37], v[8:9]
	s_cbranch_execz .LBB213_377
; %bb.381:                              ;   in Loop: Header=BB213_380 Depth=2
	global_load_u16 v10, v[6:7], off
	s_wait_loadcnt 0x0
	v_cmp_lt_i16_e32 vcc_lo, -1, v10
	v_and_b32_e32 v11, 0xffff, v10
	v_cndmask_b32_e32 v32, 0xffff, v52, vcc_lo
	v_cmp_o_f16_e32 vcc_lo, v10, v10
	s_delay_alu instid0(VALU_DEP_2) | instskip(NEXT) | instid1(VALU_DEP_1)
	v_xor_b32_e32 v11, v32, v11
	v_cndmask_b32_e32 v11, 0xffff, v11, vcc_lo
	s_delay_alu instid0(VALU_DEP_1) | instskip(NEXT) | instid1(VALU_DEP_1)
	v_and_b32_e32 v11, v11, v53
	v_cmp_eq_u32_e32 vcc_lo, v11, v50
	s_and_b32 exec_lo, exec_lo, vcc_lo
	s_cbranch_execz .LBB213_377
; %bb.382:                              ;   in Loop: Header=BB213_380 Depth=2
	v_perm_b32 v10, v10, s53, 0x5040100
	ds_store_b32 v3, v10 offset:3072
	s_branch .LBB213_377
.LBB213_383:                            ;   in Loop: Header=BB213_380 Depth=2
	s_mov_b32 s23, -1
	s_mov_b32 s21, -1
                                        ; implicit-def: $vgpr8_vgpr9
                                        ; implicit-def: $vgpr6_vgpr7
	s_branch .LBB213_379
.LBB213_384:                            ;   in Loop: Header=BB213_31 Depth=1
	s_or_b32 exec_lo, exec_lo, s19
	v_lshrrev_b32_e32 v54, 16, v10
	s_and_not1_b32 s3, s3, exec_lo
	s_and_b32 s10, s20, exec_lo
	s_delay_alu instid0(SALU_CYCLE_1)
	s_or_b32 s3, s3, s10
.LBB213_385:                            ;   in Loop: Header=BB213_31 Depth=1
	s_or_b32 exec_lo, exec_lo, s18
	s_mov_b32 s23, 0
	s_mov_b32 s85, -1
.LBB213_386:                            ;   in Loop: Header=BB213_31 Depth=1
	s_or_not1_b32 s3, s3, exec_lo
.LBB213_387:                            ;   in Loop: Header=BB213_31 Depth=1
	s_or_b32 exec_lo, exec_lo, s88
	s_mov_b32 s10, 0
	s_and_saveexec_b32 s20, s3
	s_cbranch_execz .LBB213_500
; %bb.388:                              ;   in Loop: Header=BB213_31 Depth=1
	v_mov_b64_e32 v[6:7], 1
	v_mov_b32_e32 v2, 1
	s_xor_b32 s11, s86, -1
	s_delay_alu instid0(SALU_CYCLE_1)
	s_and_saveexec_b32 s3, s11
	s_cbranch_execz .LBB213_397
; %bb.389:                              ;   in Loop: Header=BB213_31 Depth=1
	s_mov_b32 s10, exec_lo
	v_cmpx_ge_u64_e64 s[16:17], v[4:5]
	s_xor_b32 s10, exec_lo, s10
	s_cbranch_execz .LBB213_394
; %bb.390:                              ;   in Loop: Header=BB213_31 Depth=1
	ds_load_b64 v[6:7], v3 offset:5120
	s_lshl_b32 s11, 2, s54
	v_or_b32_e32 v53, s24, v53
	v_and_or_b32 v50, v50, s25, s11
	s_wait_dscnt 0x0
	v_cmp_ne_u64_e32 vcc_lo, 0, v[6:7]
	s_cbranch_vccnz .LBB213_394
; %bb.391:                              ;   in Loop: Header=BB213_31 Depth=1
	s_and_saveexec_b32 s11, s5
; %bb.392:                              ;   in Loop: Header=BB213_31 Depth=1
	v_mov_b64_e32 v[6:7], s[16:17]
	ds_store_b64 v3, v[6:7] offset:5128
; %bb.393:                              ;   in Loop: Header=BB213_31 Depth=1
	s_or_b32 exec_lo, exec_lo, s11
	s_wait_dscnt 0x0
	s_barrier_signal -1
	s_barrier_wait -1
.LBB213_394:                            ;   in Loop: Header=BB213_31 Depth=1
	s_or_saveexec_b32 s10, s10
	v_mov_b32_e32 v2, 5
	s_mov_b32 s11, 0
	s_xor_b32 exec_lo, exec_lo, s10
; %bb.395:                              ;   in Loop: Header=BB213_31 Depth=1
	v_sub_nc_u64_e64 v[4:5], v[4:5], s[16:17]
	v_mov_b32_e32 v2, 0
	s_mov_b32 s11, exec_lo
; %bb.396:                              ;   in Loop: Header=BB213_31 Depth=1
	s_or_b32 exec_lo, exec_lo, s10
	s_delay_alu instid0(VALU_DEP_2)
	v_mov_b64_e32 v[6:7], v[4:5]
	s_and_b32 s10, s11, exec_lo
.LBB213_397:                            ;   in Loop: Header=BB213_31 Depth=1
	s_or_b32 exec_lo, exec_lo, s3
	s_mov_b32 s3, -1
                                        ; implicit-def: $sgpr86
                                        ; implicit-def: $sgpr88
	s_and_saveexec_b32 s21, s10
	s_cbranch_execz .LBB213_499
; %bb.398:                              ;   in Loop: Header=BB213_31 Depth=1
	s_delay_alu instid0(VALU_DEP_1) | instskip(SKIP_2) | instid1(SALU_CYCLE_1)
	v_cmp_eq_u64_e32 vcc_lo, 1, v[6:7]
	s_cmp_eq_u64 s[14:15], 1
                                        ; implicit-def: $sgpr88
                                        ; implicit-def: $sgpr86
	s_cselect_b32 s3, -1, 0
	s_and_b32 s89, s3, vcc_lo
	s_mov_b32 s3, -1
	s_and_saveexec_b32 s90, s89
	s_cbranch_execz .LBB213_434
; %bb.399:                              ;   in Loop: Header=BB213_31 Depth=1
	ds_load_b64 v[4:5], v3 offset:5120
	s_wait_dscnt 0x0
	s_barrier_signal -1
	s_barrier_wait -1
	v_readfirstlane_b32 s10, v4
	v_readfirstlane_b32 s11, v5
	s_and_saveexec_b32 s3, s0
; %bb.400:                              ;   in Loop: Header=BB213_31 Depth=1
	ds_store_b16 v47, v3
; %bb.401:                              ;   in Loop: Header=BB213_31 Depth=1
	s_or_b32 exec_lo, exec_lo, s3
	s_lshl_b32 s3, 1, s54
	v_or_b32_e32 v53, s24, v53
	v_and_or_b32 v50, v50, s25, s3
	s_mov_b32 s86, -1
	s_mov_b32 s88, 0
	s_cmp_eq_u64 s[10:11], 0
	s_mov_b32 s3, 0
	s_mov_b32 s18, -1
	s_wait_dscnt 0x0
	s_barrier_signal -1
	s_barrier_wait -1
                                        ; implicit-def: $vgpr54
	s_cbranch_scc1 .LBB213_418
; %bb.402:                              ;   in Loop: Header=BB213_31 Depth=1
	s_add_nc_u64 s[16:17], s[10:11], s[64:65]
	s_delay_alu instid0(SALU_CYCLE_1) | instskip(NEXT) | instid1(SALU_CYCLE_1)
	s_and_b64 s[18:19], s[16:17], 0xffffffff00000000
	s_cmp_lg_u64 s[18:19], 0
	s_cbranch_scc0 .LBB213_451
; %bb.403:                              ;   in Loop: Header=BB213_31 Depth=1
	s_cvt_f32_u32 s3, s40
	s_mov_b32 s18, 0x4f800000
	s_sub_nc_u64 s[92:93], 0, s[40:41]
	s_delay_alu instid0(SALU_CYCLE_1) | instskip(NEXT) | instid1(SALU_CYCLE_3)
	s_fmamk_f32 s3, s18, 0x0, s3
	v_s_rcp_f32 s3, s3
	s_delay_alu instid0(TRANS32_DEP_1) | instskip(NEXT) | instid1(SALU_CYCLE_3)
	s_mul_f32 s3, s3, 0x5f7ffffc
	s_mul_f32 s18, s3, 0x2f800000
	s_delay_alu instid0(SALU_CYCLE_3) | instskip(NEXT) | instid1(SALU_CYCLE_3)
	s_trunc_f32 s18, s18
	s_fmamk_f32 s3, s18, 0xcf800000, s3
	s_cvt_u32_f32 s19, s18
	s_delay_alu instid0(SALU_CYCLE_2) | instskip(NEXT) | instid1(SALU_CYCLE_3)
	s_cvt_u32_f32 s18, s3
	s_mul_u64 s[94:95], s[92:93], s[18:19]
	s_delay_alu instid0(SALU_CYCLE_1)
	s_mul_hi_u32 s97, s18, s95
	s_mul_i32 s96, s18, s95
	s_mul_hi_u32 s28, s18, s94
	s_mul_i32 s76, s19, s94
	s_add_nc_u64 s[96:97], s[28:29], s[96:97]
	s_mul_hi_u32 s3, s19, s94
	s_mul_hi_u32 s77, s19, s95
	s_add_co_u32 s28, s96, s76
	s_add_co_ci_u32 s28, s97, s3
	s_mul_i32 s94, s19, s95
	s_add_co_ci_u32 s95, s77, 0
	s_delay_alu instid0(SALU_CYCLE_1) | instskip(NEXT) | instid1(SALU_CYCLE_1)
	s_add_nc_u64 s[94:95], s[28:29], s[94:95]
	s_add_co_u32 s18, s18, s94
	s_cselect_b32 s3, -1, 0
	s_delay_alu instid0(SALU_CYCLE_1) | instskip(SKIP_1) | instid1(SALU_CYCLE_1)
	s_cmp_lg_u32 s3, 0
	s_add_co_ci_u32 s19, s19, s95
	s_mul_u64 s[92:93], s[92:93], s[18:19]
	s_delay_alu instid0(SALU_CYCLE_1)
	s_mul_hi_u32 s95, s18, s93
	s_mul_i32 s94, s18, s93
	s_mul_hi_u32 s28, s18, s92
	s_mul_i32 s76, s19, s92
	s_add_nc_u64 s[94:95], s[28:29], s[94:95]
	s_mul_hi_u32 s3, s19, s92
	s_mul_hi_u32 s77, s19, s93
	s_add_co_u32 s28, s94, s76
	s_add_co_ci_u32 s28, s95, s3
	s_mul_i32 s92, s19, s93
	s_add_co_ci_u32 s93, s77, 0
	s_delay_alu instid0(SALU_CYCLE_1) | instskip(NEXT) | instid1(SALU_CYCLE_1)
	s_add_nc_u64 s[92:93], s[28:29], s[92:93]
	s_add_co_u32 s3, s18, s92
	s_cselect_b32 s18, -1, 0
	s_mul_hi_u32 s28, s16, s3
	s_cmp_lg_u32 s18, 0
	s_mul_hi_u32 s76, s17, s3
	s_add_co_ci_u32 s77, s19, s93
	s_mul_i32 s3, s17, s3
	s_mul_hi_u32 s19, s16, s77
	s_mul_i32 s18, s16, s77
	s_mul_hi_u32 s78, s17, s77
	s_add_nc_u64 s[18:19], s[28:29], s[18:19]
	s_mul_i32 s92, s17, s77
	s_add_co_u32 s3, s18, s3
	s_add_co_ci_u32 s28, s19, s76
	s_add_co_ci_u32 s93, s78, 0
	s_delay_alu instid0(SALU_CYCLE_1) | instskip(NEXT) | instid1(SALU_CYCLE_1)
	s_add_nc_u64 s[18:19], s[28:29], s[92:93]
	s_and_b64 s[92:93], s[18:19], 0xffffffff00000000
	s_delay_alu instid0(SALU_CYCLE_1) | instskip(NEXT) | instid1(SALU_CYCLE_1)
	s_or_b32 s92, s92, s18
	s_mul_u64 s[18:19], s[40:41], s[92:93]
	s_delay_alu instid0(SALU_CYCLE_1) | instskip(SKIP_1) | instid1(SALU_CYCLE_1)
	s_sub_co_u32 s3, s16, s18
	s_cselect_b32 s18, -1, 0
	s_cmp_lg_u32 s18, 0
	s_sub_co_ci_u32 s18, s17, s19
	s_sub_co_u32 s19, s3, s40
	s_cselect_b32 s28, -1, 0
	s_delay_alu instid0(SALU_CYCLE_1) | instskip(SKIP_3) | instid1(SALU_CYCLE_1)
	s_cmp_lg_u32 s28, 0
	s_sub_co_ci_u32 s28, s18, 0
	s_sub_co_u32 s76, s19, s40
	s_cselect_b32 s77, -1, 0
	s_cmp_lg_u32 s77, 0
	s_sub_co_ci_u32 s77, s28, 0
	s_cmp_ge_u32 s19, s40
	s_cselect_b32 s78, -1, 0
	s_cmp_eq_u32 s28, 0
	s_cselect_b32 s78, s78, -1
	s_delay_alu instid0(SALU_CYCLE_1)
	s_cmp_lg_u32 s78, 0
	s_cselect_b32 s28, s77, s28
	s_cselect_b32 s76, s76, s19
	s_cmp_ge_u32 s3, s40
	s_cselect_b32 s19, -1, 0
	s_cmp_eq_u32 s18, 0
	s_cselect_b32 s19, s19, -1
	s_delay_alu instid0(SALU_CYCLE_1)
	s_cmp_lg_u32 s19, 0
	s_cselect_b32 s19, s28, s18
	s_cselect_b32 s18, s76, s3
	s_cbranch_execnz .LBB213_405
.LBB213_404:                            ;   in Loop: Header=BB213_31 Depth=1
	v_cvt_f32_u32_e32 v4, s40
	s_sub_co_i32 s18, 0, s40
	s_delay_alu instid0(VALU_DEP_1) | instskip(SKIP_1) | instid1(TRANS32_DEP_1)
	v_rcp_iflag_f32_e32 v4, v4
	v_nop
	v_mul_f32_e32 v4, 0x4f7ffffe, v4
	s_delay_alu instid0(VALU_DEP_1) | instskip(NEXT) | instid1(VALU_DEP_1)
	v_cvt_u32_f32_e32 v4, v4
	v_readfirstlane_b32 s3, v4
	s_mul_i32 s18, s18, s3
	s_delay_alu instid0(SALU_CYCLE_1) | instskip(NEXT) | instid1(SALU_CYCLE_1)
	s_mul_hi_u32 s18, s3, s18
	s_add_co_i32 s3, s3, s18
	s_delay_alu instid0(SALU_CYCLE_1) | instskip(NEXT) | instid1(SALU_CYCLE_1)
	s_mul_hi_u32 s3, s16, s3
	s_mul_i32 s3, s3, s40
	s_delay_alu instid0(SALU_CYCLE_1) | instskip(NEXT) | instid1(SALU_CYCLE_1)
	s_sub_co_i32 s3, s16, s3
	s_sub_co_i32 s18, s3, s40
	s_cmp_ge_u32 s3, s40
	s_cselect_b32 s3, s18, s3
	s_delay_alu instid0(SALU_CYCLE_1) | instskip(SKIP_2) | instid1(SALU_CYCLE_1)
	s_sub_co_i32 s18, s3, s40
	s_cmp_ge_u32 s3, s40
	s_cselect_b32 s28, s18, s3
	s_mov_b64 s[18:19], s[28:29]
.LBB213_405:                            ;   in Loop: Header=BB213_31 Depth=1
	s_delay_alu instid0(SALU_CYCLE_1)
	s_sub_nc_u64 s[16:17], s[16:17], s[18:19]
	s_mov_b32 s18, 0
	s_mov_b32 s3, 0
	s_mov_b32 s19, exec_lo
                                        ; implicit-def: $vgpr54
	v_cmpx_gt_u64_e64 s[16:17], v[0:1]
	s_cbranch_execz .LBB213_417
; %bb.406:                              ;   in Loop: Header=BB213_31 Depth=1
	v_mov_b64_e32 v[4:5], v[0:1]
	v_mov_b32_e32 v8, v46
                                        ; implicit-def: $sgpr28
	s_branch .LBB213_410
.LBB213_407:                            ;   in Loop: Header=BB213_410 Depth=2
	s_or_b32 exec_lo, exec_lo, s91
	s_wait_dscnt 0x0
	s_barrier_signal -1
	s_barrier_wait -1
	ds_load_b32 v9, v3 offset:3072
	s_wait_dscnt 0x0
	s_barrier_signal -1
	s_barrier_wait -1
	v_cmp_neq_f16_e32 vcc_lo, 0, v9
	s_cbranch_vccnz .LBB213_413
; %bb.408:                              ;   in Loop: Header=BB213_410 Depth=2
	v_add_nc_u64_e32 v[4:5], s[40:41], v[4:5]
	v_add_nc_u32_e32 v8, vcc_hi, v8
	s_mov_b32 s91, 0
	s_delay_alu instid0(VALU_DEP_2)
	v_cmp_le_u64_e32 vcc_lo, s[16:17], v[4:5]
	s_or_not1_b32 s92, vcc_lo, exec_lo
.LBB213_409:                            ;   in Loop: Header=BB213_410 Depth=2
	s_delay_alu instid0(SALU_CYCLE_1) | instskip(NEXT) | instid1(SALU_CYCLE_1)
	s_and_b32 s76, exec_lo, s92
	s_or_b32 s3, s76, s3
	s_and_not1_b32 s28, s28, exec_lo
	s_and_b32 s76, s91, exec_lo
	s_delay_alu instid0(SALU_CYCLE_1)
	s_or_b32 s28, s28, s76
	s_and_not1_b32 exec_lo, exec_lo, s3
	s_cbranch_execz .LBB213_416
.LBB213_410:                            ;   Parent Loop BB213_31 Depth=1
                                        ; =>  This Inner Loop Header: Depth=2
	s_mov_b32 s91, exec_lo
	s_delay_alu instid0(VALU_DEP_2)
	v_cmpx_gt_u64_e64 s[10:11], v[4:5]
	s_cbranch_execz .LBB213_407
; %bb.411:                              ;   in Loop: Header=BB213_410 Depth=2
	ds_load_u16 v9, v8
	s_wait_dscnt 0x0
	v_cmp_lt_i16_e32 vcc_lo, -1, v9
	v_and_b32_e32 v10, 0xffff, v9
	v_cndmask_b32_e32 v11, 0xffff, v52, vcc_lo
	v_cmp_o_f16_e32 vcc_lo, v9, v9
	s_delay_alu instid0(VALU_DEP_2) | instskip(NEXT) | instid1(VALU_DEP_1)
	v_xor_b32_e32 v10, v11, v10
	v_cndmask_b32_e32 v10, 0xffff, v10, vcc_lo
	s_delay_alu instid0(VALU_DEP_1) | instskip(NEXT) | instid1(VALU_DEP_1)
	v_and_b32_e32 v10, v10, v53
	v_cmp_eq_u32_e32 vcc_lo, v10, v50
	s_and_b32 exec_lo, exec_lo, vcc_lo
	s_cbranch_execz .LBB213_407
; %bb.412:                              ;   in Loop: Header=BB213_410 Depth=2
	v_perm_b32 v9, v9, s53, 0x5040100
	ds_store_b32 v3, v9 offset:3072
	s_branch .LBB213_407
.LBB213_413:                            ;   in Loop: Header=BB213_410 Depth=2
	s_mov_b32 s92, -1
	s_mov_b32 s91, -1
                                        ; implicit-def: $vgpr4_vgpr5
                                        ; implicit-def: $vgpr8
	s_branch .LBB213_409
.LBB213_414:                            ;   in Loop: Header=BB213_31 Depth=1
                                        ; implicit-def: $sgpr20_sgpr21
	s_branch .LBB213_357
.LBB213_415:                            ;   in Loop: Header=BB213_31 Depth=1
                                        ; implicit-def: $sgpr10_sgpr11
	s_branch .LBB213_374
.LBB213_416:                            ;   in Loop: Header=BB213_31 Depth=1
	s_or_b32 exec_lo, exec_lo, s3
	v_lshrrev_b32_e32 v54, 16, v9
	s_and_b32 s3, s28, exec_lo
.LBB213_417:                            ;   in Loop: Header=BB213_31 Depth=1
	s_or_b32 exec_lo, exec_lo, s19
.LBB213_418:                            ;   in Loop: Header=BB213_31 Depth=1
	s_delay_alu instid0(SALU_CYCLE_1)
	s_and_b32 vcc_lo, exec_lo, s18
	s_cbranch_vccz .LBB213_433
; %bb.419:                              ;   in Loop: Header=BB213_31 Depth=1
	s_and_b64 s[10:11], s[66:67], 0xffffffff00000000
	s_delay_alu instid0(SALU_CYCLE_1)
	s_cmp_lg_u64 s[10:11], 0
	s_cbranch_scc0 .LBB213_452
; %bb.420:                              ;   in Loop: Header=BB213_31 Depth=1
	s_cvt_f32_u32 s10, s40
	s_mov_b32 s11, 0x4f800000
	s_sub_nc_u64 s[16:17], 0, s[40:41]
	s_delay_alu instid0(SALU_CYCLE_1) | instskip(NEXT) | instid1(SALU_CYCLE_3)
	s_fmamk_f32 s10, s11, 0x0, s10
	v_s_rcp_f32 s10, s10
	s_delay_alu instid0(TRANS32_DEP_1) | instskip(NEXT) | instid1(SALU_CYCLE_3)
	s_mul_f32 s10, s10, 0x5f7ffffc
	s_mul_f32 s11, s10, 0x2f800000
	s_delay_alu instid0(SALU_CYCLE_3) | instskip(NEXT) | instid1(SALU_CYCLE_3)
	s_trunc_f32 s11, s11
	s_fmamk_f32 s10, s11, 0xcf800000, s10
	s_cvt_u32_f32 s11, s11
	s_delay_alu instid0(SALU_CYCLE_2) | instskip(NEXT) | instid1(SALU_CYCLE_3)
	s_cvt_u32_f32 s10, s10
	s_mul_u64 s[18:19], s[16:17], s[10:11]
	s_delay_alu instid0(SALU_CYCLE_1)
	s_mul_hi_u32 s93, s10, s19
	s_mul_i32 s92, s10, s19
	s_mul_hi_u32 s28, s10, s18
	s_mul_i32 s77, s11, s18
	s_add_nc_u64 s[92:93], s[28:29], s[92:93]
	s_mul_hi_u32 s76, s11, s18
	s_mul_hi_u32 s78, s11, s19
	s_mul_i32 s18, s11, s19
	s_add_co_u32 s19, s92, s77
	s_add_co_ci_u32 s28, s93, s76
	s_add_co_ci_u32 s19, s78, 0
	s_delay_alu instid0(SALU_CYCLE_1) | instskip(NEXT) | instid1(SALU_CYCLE_1)
	s_add_nc_u64 s[18:19], s[28:29], s[18:19]
	s_add_co_u32 s10, s10, s18
	s_cselect_b32 s18, -1, 0
	s_delay_alu instid0(SALU_CYCLE_1) | instskip(SKIP_1) | instid1(SALU_CYCLE_1)
	s_cmp_lg_u32 s18, 0
	s_add_co_ci_u32 s11, s11, s19
	s_mul_u64 s[16:17], s[16:17], s[10:11]
	s_delay_alu instid0(SALU_CYCLE_1)
	s_mul_hi_u32 s19, s10, s17
	s_mul_i32 s18, s10, s17
	s_mul_hi_u32 s28, s10, s16
	s_mul_i32 s77, s11, s16
	s_add_nc_u64 s[18:19], s[28:29], s[18:19]
	s_mul_hi_u32 s76, s11, s16
	s_mul_hi_u32 s78, s11, s17
	s_mul_i32 s16, s11, s17
	s_add_co_u32 s17, s18, s77
	s_add_co_ci_u32 s28, s19, s76
	s_add_co_ci_u32 s17, s78, 0
	s_delay_alu instid0(SALU_CYCLE_1) | instskip(NEXT) | instid1(SALU_CYCLE_1)
	s_add_nc_u64 s[16:17], s[28:29], s[16:17]
	s_add_co_u32 s10, s10, s16
	s_cselect_b32 s16, -1, 0
	s_mul_hi_u32 s28, s66, s10
	s_cmp_lg_u32 s16, 0
	s_mul_hi_u32 s18, s67, s10
	s_add_co_ci_u32 s16, s11, s17
	s_mul_i32 s17, s67, s10
	s_mul_hi_u32 s11, s66, s16
	s_mul_i32 s10, s66, s16
	s_mul_hi_u32 s19, s67, s16
	s_add_nc_u64 s[10:11], s[28:29], s[10:11]
	s_mul_i32 s16, s67, s16
	s_add_co_u32 s10, s10, s17
	s_add_co_ci_u32 s28, s11, s18
	s_add_co_ci_u32 s17, s19, 0
	s_delay_alu instid0(SALU_CYCLE_1) | instskip(NEXT) | instid1(SALU_CYCLE_1)
	s_add_nc_u64 s[10:11], s[28:29], s[16:17]
	s_and_b64 s[16:17], s[10:11], 0xffffffff00000000
	s_delay_alu instid0(SALU_CYCLE_1) | instskip(NEXT) | instid1(SALU_CYCLE_1)
	s_or_b32 s16, s16, s10
	s_mul_u64 s[10:11], s[40:41], s[16:17]
	s_delay_alu instid0(SALU_CYCLE_1) | instskip(SKIP_1) | instid1(SALU_CYCLE_1)
	s_sub_co_u32 s10, s66, s10
	s_cselect_b32 s16, -1, 0
	s_cmp_lg_u32 s16, 0
	s_sub_co_ci_u32 s11, s67, s11
	s_sub_co_u32 s16, s10, s40
	s_cselect_b32 s17, -1, 0
	s_delay_alu instid0(SALU_CYCLE_1) | instskip(SKIP_3) | instid1(SALU_CYCLE_1)
	s_cmp_lg_u32 s17, 0
	s_sub_co_ci_u32 s17, s11, 0
	s_sub_co_u32 s18, s16, s40
	s_cselect_b32 s19, -1, 0
	s_cmp_lg_u32 s19, 0
	s_sub_co_ci_u32 s19, s17, 0
	s_cmp_ge_u32 s16, s40
	s_cselect_b32 s28, -1, 0
	s_cmp_eq_u32 s17, 0
	s_cselect_b32 s28, s28, -1
	s_delay_alu instid0(SALU_CYCLE_1)
	s_cmp_lg_u32 s28, 0
	s_cselect_b32 s17, s19, s17
	s_cselect_b32 s16, s18, s16
	s_cmp_ge_u32 s10, s40
	s_cselect_b32 s18, -1, 0
	s_cmp_eq_u32 s11, 0
	s_cselect_b32 s18, s18, -1
	s_delay_alu instid0(SALU_CYCLE_1)
	s_cmp_lg_u32 s18, 0
	s_cselect_b32 s11, s17, s11
	s_cselect_b32 s10, s16, s10
	s_cbranch_execnz .LBB213_422
.LBB213_421:                            ;   in Loop: Header=BB213_31 Depth=1
	v_cvt_f32_u32_e32 v4, s40
	s_sub_co_i32 s11, 0, s40
	s_delay_alu instid0(VALU_DEP_1) | instskip(SKIP_1) | instid1(TRANS32_DEP_1)
	v_rcp_iflag_f32_e32 v4, v4
	v_nop
	v_mul_f32_e32 v4, 0x4f7ffffe, v4
	s_delay_alu instid0(VALU_DEP_1) | instskip(NEXT) | instid1(VALU_DEP_1)
	v_cvt_u32_f32_e32 v4, v4
	v_readfirstlane_b32 s10, v4
	s_mul_i32 s11, s11, s10
	s_delay_alu instid0(SALU_CYCLE_1) | instskip(NEXT) | instid1(SALU_CYCLE_1)
	s_mul_hi_u32 s11, s10, s11
	s_add_co_i32 s10, s10, s11
	s_delay_alu instid0(SALU_CYCLE_1) | instskip(NEXT) | instid1(SALU_CYCLE_1)
	s_mul_hi_u32 s10, s66, s10
	s_mul_i32 s10, s10, s40
	s_delay_alu instid0(SALU_CYCLE_1) | instskip(NEXT) | instid1(SALU_CYCLE_1)
	s_sub_co_i32 s10, s66, s10
	s_sub_co_i32 s11, s10, s40
	s_cmp_ge_u32 s10, s40
	s_cselect_b32 s10, s11, s10
	s_delay_alu instid0(SALU_CYCLE_1) | instskip(SKIP_2) | instid1(SALU_CYCLE_1)
	s_sub_co_i32 s11, s10, s40
	s_cmp_ge_u32 s10, s40
	s_cselect_b32 s28, s11, s10
	s_mov_b64 s[10:11], s[28:29]
.LBB213_422:                            ;   in Loop: Header=BB213_31 Depth=1
	s_delay_alu instid0(SALU_CYCLE_1)
	s_sub_nc_u64 s[10:11], s[66:67], s[10:11]
	s_mov_b32 s16, exec_lo
                                        ; implicit-def: $vgpr54
	v_nop
	v_cmpx_gt_u64_e64 s[10:11], v[0:1]
	s_cbranch_execz .LBB213_432
; %bb.423:                              ;   in Loop: Header=BB213_31 Depth=1
	v_mov_b64_e32 v[4:5], v[30:31]
	v_mov_b64_e32 v[8:9], v[0:1]
	s_mov_b32 s17, 0
                                        ; implicit-def: $sgpr18
	s_branch .LBB213_427
.LBB213_424:                            ;   in Loop: Header=BB213_427 Depth=2
	s_or_b32 exec_lo, exec_lo, s19
	s_wait_dscnt 0x0
	s_barrier_signal -1
	s_barrier_wait -1
	ds_load_b32 v10, v3 offset:3072
	s_wait_dscnt 0x0
	s_barrier_signal -1
	s_barrier_wait -1
	v_cmp_eq_f16_e32 vcc_lo, 0, v10
	s_cbranch_vccz .LBB213_430
; %bb.425:                              ;   in Loop: Header=BB213_427 Depth=2
	v_add_nc_u64_e32 v[8:9], s[40:41], v[8:9]
	v_add_nc_u64_e32 v[4:5], s[44:45], v[4:5]
	s_mov_b32 s19, 0
	s_delay_alu instid0(VALU_DEP_2)
	v_cmp_le_u64_e32 vcc_lo, s[10:11], v[8:9]
	s_or_not1_b32 s28, vcc_lo, exec_lo
.LBB213_426:                            ;   in Loop: Header=BB213_427 Depth=2
	s_delay_alu instid0(SALU_CYCLE_1) | instskip(NEXT) | instid1(SALU_CYCLE_1)
	s_and_b32 s28, exec_lo, s28
	s_or_b32 s17, s28, s17
	s_and_not1_b32 s18, s18, exec_lo
	s_and_b32 s19, s19, exec_lo
	s_delay_alu instid0(SALU_CYCLE_1)
	s_or_b32 s18, s18, s19
	s_and_not1_b32 exec_lo, exec_lo, s17
	s_cbranch_execz .LBB213_431
.LBB213_427:                            ;   Parent Loop BB213_31 Depth=1
                                        ; =>  This Inner Loop Header: Depth=2
	s_mov_b32 s19, exec_lo
	s_delay_alu instid0(VALU_DEP_1)
	v_cmpx_gt_u64_e64 s[36:37], v[8:9]
	s_cbranch_execz .LBB213_424
; %bb.428:                              ;   in Loop: Header=BB213_427 Depth=2
	global_load_u16 v10, v[4:5], off
	s_wait_loadcnt 0x0
	v_cmp_lt_i16_e32 vcc_lo, -1, v10
	v_and_b32_e32 v11, 0xffff, v10
	v_cndmask_b32_e32 v32, 0xffff, v52, vcc_lo
	v_cmp_o_f16_e32 vcc_lo, v10, v10
	s_delay_alu instid0(VALU_DEP_2) | instskip(NEXT) | instid1(VALU_DEP_1)
	v_xor_b32_e32 v11, v32, v11
	v_cndmask_b32_e32 v11, 0xffff, v11, vcc_lo
	s_delay_alu instid0(VALU_DEP_1) | instskip(NEXT) | instid1(VALU_DEP_1)
	v_and_b32_e32 v11, v11, v53
	v_cmp_eq_u32_e32 vcc_lo, v11, v50
	s_and_b32 exec_lo, exec_lo, vcc_lo
	s_cbranch_execz .LBB213_424
; %bb.429:                              ;   in Loop: Header=BB213_427 Depth=2
	v_perm_b32 v10, v10, s53, 0x5040100
	ds_store_b32 v3, v10 offset:3072
	s_branch .LBB213_424
.LBB213_430:                            ;   in Loop: Header=BB213_427 Depth=2
	s_mov_b32 s28, -1
	s_mov_b32 s19, -1
                                        ; implicit-def: $vgpr8_vgpr9
                                        ; implicit-def: $vgpr4_vgpr5
	s_branch .LBB213_426
.LBB213_431:                            ;   in Loop: Header=BB213_31 Depth=1
	s_or_b32 exec_lo, exec_lo, s17
	v_lshrrev_b32_e32 v54, 16, v10
	s_and_not1_b32 s3, s3, exec_lo
	s_and_b32 s10, s18, exec_lo
	s_delay_alu instid0(SALU_CYCLE_1)
	s_or_b32 s3, s3, s10
.LBB213_432:                            ;   in Loop: Header=BB213_31 Depth=1
	s_or_b32 exec_lo, exec_lo, s16
	s_mov_b32 s86, 0
	s_mov_b32 s88, -1
.LBB213_433:                            ;   in Loop: Header=BB213_31 Depth=1
	s_or_not1_b32 s3, s3, exec_lo
.LBB213_434:                            ;   in Loop: Header=BB213_31 Depth=1
	s_or_b32 exec_lo, exec_lo, s90
	s_mov_b32 s10, 0
	s_and_saveexec_b32 s18, s3
	s_cbranch_execz .LBB213_498
; %bb.435:                              ;   in Loop: Header=BB213_31 Depth=1
	v_mov_b64_e32 v[4:5], 1
	v_mov_b32_e32 v2, 1
	s_xor_b32 s10, s89, -1
	s_mov_b32 s11, 0
	s_and_saveexec_b32 s3, s10
	s_cbranch_execz .LBB213_444
; %bb.436:                              ;   in Loop: Header=BB213_31 Depth=1
	s_mov_b32 s10, exec_lo
	v_cmpx_ge_u64_e64 s[14:15], v[6:7]
	s_xor_b32 s10, exec_lo, s10
	s_cbranch_execz .LBB213_441
; %bb.437:                              ;   in Loop: Header=BB213_31 Depth=1
	ds_load_b64 v[4:5], v3 offset:5120
	s_lshl_b32 s11, 1, s54
	v_or_b32_e32 v53, s24, v53
	v_and_or_b32 v50, v50, s25, s11
	s_wait_dscnt 0x0
	v_cmp_ne_u64_e32 vcc_lo, 0, v[4:5]
	s_cbranch_vccnz .LBB213_441
; %bb.438:                              ;   in Loop: Header=BB213_31 Depth=1
	s_and_saveexec_b32 s11, s5
; %bb.439:                              ;   in Loop: Header=BB213_31 Depth=1
	v_mov_b64_e32 v[4:5], s[14:15]
	ds_store_b64 v3, v[4:5] offset:5128
; %bb.440:                              ;   in Loop: Header=BB213_31 Depth=1
	s_or_b32 exec_lo, exec_lo, s11
	s_wait_dscnt 0x0
	s_barrier_signal -1
	s_barrier_wait -1
.LBB213_441:                            ;   in Loop: Header=BB213_31 Depth=1
	s_or_saveexec_b32 s10, s10
	v_mov_b32_e32 v2, 5
	s_mov_b32 s11, 0
	s_xor_b32 exec_lo, exec_lo, s10
; %bb.442:                              ;   in Loop: Header=BB213_31 Depth=1
	v_sub_nc_u64_e64 v[6:7], v[6:7], s[14:15]
	v_mov_b32_e32 v2, 0
	s_mov_b32 s11, exec_lo
; %bb.443:                              ;   in Loop: Header=BB213_31 Depth=1
	s_or_b32 exec_lo, exec_lo, s10
	s_delay_alu instid0(VALU_DEP_2)
	v_mov_b64_e32 v[4:5], v[6:7]
	s_and_b32 s11, s11, exec_lo
.LBB213_444:                            ;   in Loop: Header=BB213_31 Depth=1
	s_or_b32 exec_lo, exec_lo, s3
	s_mov_b32 s10, -1
                                        ; implicit-def: $sgpr3
                                        ; implicit-def: $sgpr91
	s_and_saveexec_b32 s19, s11
	s_cbranch_execz .LBB213_497
; %bb.445:                              ;   in Loop: Header=BB213_31 Depth=1
	s_delay_alu instid0(VALU_DEP_1) | instskip(SKIP_3) | instid1(SALU_CYCLE_1)
	v_cmp_eq_u64_e32 vcc_lo, 1, v[4:5]
	s_cmp_eq_u64 s[12:13], 1
	s_mov_b32 s11, -1
	s_cselect_b32 s3, -1, 0
                                        ; implicit-def: $sgpr91
	s_and_b32 s89, s3, vcc_lo
                                        ; implicit-def: $sgpr3
	s_delay_alu instid0(SALU_CYCLE_1)
	s_and_saveexec_b32 s90, s89
	s_cbranch_execz .LBB213_485
; %bb.446:                              ;   in Loop: Header=BB213_31 Depth=1
	ds_load_b64 v[6:7], v3 offset:5120
	s_wait_dscnt 0x0
	s_barrier_signal -1
	s_barrier_wait -1
	v_readfirstlane_b32 s10, v6
	v_readfirstlane_b32 s11, v7
	s_and_saveexec_b32 s3, s0
; %bb.447:                              ;   in Loop: Header=BB213_31 Depth=1
	ds_store_b16 v47, v3
; %bb.448:                              ;   in Loop: Header=BB213_31 Depth=1
	s_or_b32 exec_lo, exec_lo, s3
	v_and_b32_e32 v50, s25, v50
	v_or_b32_e32 v53, s24, v53
	s_mov_b32 s91, -1
	s_mov_b32 s3, 0
	s_cmp_eq_u64 s[10:11], 0
	s_mov_b32 s16, 0
	s_mov_b32 s17, -1
	s_wait_dscnt 0x0
	s_barrier_signal -1
	s_barrier_wait -1
                                        ; implicit-def: $vgpr54
	s_cbranch_scc1 .LBB213_467
; %bb.449:                              ;   in Loop: Header=BB213_31 Depth=1
	s_add_nc_u64 s[14:15], s[10:11], s[64:65]
	s_delay_alu instid0(SALU_CYCLE_1) | instskip(NEXT) | instid1(SALU_CYCLE_1)
	s_and_b64 s[16:17], s[14:15], 0xffffffff00000000
	s_cmp_lg_u64 s[16:17], 0
	s_cbranch_scc0 .LBB213_453
; %bb.450:                              ;   in Loop: Header=BB213_31 Depth=1
	s_cvt_f32_u32 s16, s40
	s_mov_b32 s17, 0x4f800000
	s_sub_nc_u64 s[92:93], 0, s[40:41]
	s_delay_alu instid0(SALU_CYCLE_1) | instskip(NEXT) | instid1(SALU_CYCLE_3)
	s_fmamk_f32 s16, s17, 0x0, s16
	v_s_rcp_f32 s16, s16
	s_delay_alu instid0(TRANS32_DEP_1) | instskip(NEXT) | instid1(SALU_CYCLE_3)
	s_mul_f32 s16, s16, 0x5f7ffffc
	s_mul_f32 s17, s16, 0x2f800000
	s_delay_alu instid0(SALU_CYCLE_3) | instskip(NEXT) | instid1(SALU_CYCLE_3)
	s_trunc_f32 s17, s17
	s_fmamk_f32 s16, s17, 0xcf800000, s16
	s_cvt_u32_f32 s17, s17
	s_delay_alu instid0(SALU_CYCLE_2) | instskip(NEXT) | instid1(SALU_CYCLE_3)
	s_cvt_u32_f32 s16, s16
	s_mul_u64 s[94:95], s[92:93], s[16:17]
	s_delay_alu instid0(SALU_CYCLE_1)
	s_mul_hi_u32 s97, s16, s95
	s_mul_i32 s96, s16, s95
	s_mul_hi_u32 s28, s16, s94
	s_mul_i32 s77, s17, s94
	s_add_nc_u64 s[96:97], s[28:29], s[96:97]
	s_mul_hi_u32 s76, s17, s94
	s_mul_hi_u32 s78, s17, s95
	s_add_co_u32 s28, s96, s77
	s_add_co_ci_u32 s28, s97, s76
	s_mul_i32 s94, s17, s95
	s_add_co_ci_u32 s95, s78, 0
	s_delay_alu instid0(SALU_CYCLE_1) | instskip(NEXT) | instid1(SALU_CYCLE_1)
	s_add_nc_u64 s[94:95], s[28:29], s[94:95]
	s_add_co_u32 s16, s16, s94
	s_cselect_b32 s28, -1, 0
	s_delay_alu instid0(SALU_CYCLE_1) | instskip(SKIP_1) | instid1(SALU_CYCLE_1)
	s_cmp_lg_u32 s28, 0
	s_add_co_ci_u32 s17, s17, s95
	s_mul_u64 s[92:93], s[92:93], s[16:17]
	s_delay_alu instid0(SALU_CYCLE_1)
	s_mul_hi_u32 s95, s16, s93
	s_mul_i32 s94, s16, s93
	s_mul_hi_u32 s28, s16, s92
	s_mul_i32 s77, s17, s92
	s_add_nc_u64 s[94:95], s[28:29], s[94:95]
	s_mul_hi_u32 s76, s17, s92
	s_mul_hi_u32 s78, s17, s93
	s_add_co_u32 s28, s94, s77
	s_add_co_ci_u32 s28, s95, s76
	s_mul_i32 s92, s17, s93
	s_add_co_ci_u32 s93, s78, 0
	s_delay_alu instid0(SALU_CYCLE_1) | instskip(NEXT) | instid1(SALU_CYCLE_1)
	s_add_nc_u64 s[92:93], s[28:29], s[92:93]
	s_add_co_u32 s16, s16, s92
	s_cselect_b32 s76, -1, 0
	s_mul_hi_u32 s28, s14, s16
	s_cmp_lg_u32 s76, 0
	s_mul_hi_u32 s76, s15, s16
	s_add_co_ci_u32 s77, s17, s93
	s_mul_i32 s78, s15, s16
	s_mul_hi_u32 s17, s14, s77
	s_mul_i32 s16, s14, s77
	s_mul_hi_u32 s79, s15, s77
	s_add_nc_u64 s[16:17], s[28:29], s[16:17]
	s_mul_i32 s92, s15, s77
	s_add_co_u32 s16, s16, s78
	s_add_co_ci_u32 s28, s17, s76
	s_add_co_ci_u32 s93, s79, 0
	s_delay_alu instid0(SALU_CYCLE_1) | instskip(NEXT) | instid1(SALU_CYCLE_1)
	s_add_nc_u64 s[16:17], s[28:29], s[92:93]
	s_and_b64 s[92:93], s[16:17], 0xffffffff00000000
	s_delay_alu instid0(SALU_CYCLE_1) | instskip(NEXT) | instid1(SALU_CYCLE_1)
	s_or_b32 s92, s92, s16
	s_mul_u64 s[16:17], s[40:41], s[92:93]
	s_delay_alu instid0(SALU_CYCLE_1) | instskip(SKIP_1) | instid1(SALU_CYCLE_1)
	s_sub_co_u32 s16, s14, s16
	s_cselect_b32 s28, -1, 0
	s_cmp_lg_u32 s28, 0
	s_sub_co_ci_u32 s17, s15, s17
	s_sub_co_u32 s28, s16, s40
	s_cselect_b32 s76, -1, 0
	s_delay_alu instid0(SALU_CYCLE_1) | instskip(SKIP_3) | instid1(SALU_CYCLE_1)
	s_cmp_lg_u32 s76, 0
	s_sub_co_ci_u32 s76, s17, 0
	s_sub_co_u32 s77, s28, s40
	s_cselect_b32 s78, -1, 0
	s_cmp_lg_u32 s78, 0
	s_sub_co_ci_u32 s78, s76, 0
	s_cmp_ge_u32 s28, s40
	s_cselect_b32 s79, -1, 0
	s_cmp_eq_u32 s76, 0
	s_cselect_b32 s79, s79, -1
	s_delay_alu instid0(SALU_CYCLE_1)
	s_cmp_lg_u32 s79, 0
	s_cselect_b32 s76, s78, s76
	s_cselect_b32 s28, s77, s28
	s_cmp_ge_u32 s16, s40
	s_cselect_b32 s77, -1, 0
	s_cmp_eq_u32 s17, 0
	s_cselect_b32 s77, s77, -1
	s_delay_alu instid0(SALU_CYCLE_1)
	s_cmp_lg_u32 s77, 0
	s_cselect_b32 s17, s76, s17
	s_cselect_b32 s16, s28, s16
	s_mov_b32 s28, 0
	s_branch .LBB213_454
.LBB213_451:                            ;   in Loop: Header=BB213_31 Depth=1
                                        ; implicit-def: $sgpr18_sgpr19
	s_branch .LBB213_404
.LBB213_452:                            ;   in Loop: Header=BB213_31 Depth=1
                                        ; implicit-def: $sgpr10_sgpr11
	s_branch .LBB213_421
.LBB213_453:                            ;   in Loop: Header=BB213_31 Depth=1
	s_mov_b32 s28, -1
                                        ; implicit-def: $sgpr16_sgpr17
.LBB213_454:                            ;   in Loop: Header=BB213_31 Depth=1
	s_delay_alu instid0(SALU_CYCLE_1)
	s_and_not1_b32 vcc_lo, exec_lo, s28
	s_cbranch_vccnz .LBB213_456
; %bb.455:                              ;   in Loop: Header=BB213_31 Depth=1
	v_cvt_f32_u32_e32 v6, s40
	s_sub_co_i32 s17, 0, s40
	s_delay_alu instid0(VALU_DEP_1) | instskip(SKIP_1) | instid1(TRANS32_DEP_1)
	v_rcp_iflag_f32_e32 v6, v6
	v_nop
	v_mul_f32_e32 v6, 0x4f7ffffe, v6
	s_delay_alu instid0(VALU_DEP_1) | instskip(NEXT) | instid1(VALU_DEP_1)
	v_cvt_u32_f32_e32 v6, v6
	v_readfirstlane_b32 s16, v6
	s_mul_i32 s17, s17, s16
	s_delay_alu instid0(SALU_CYCLE_1) | instskip(NEXT) | instid1(SALU_CYCLE_1)
	s_mul_hi_u32 s17, s16, s17
	s_add_co_i32 s16, s16, s17
	s_delay_alu instid0(SALU_CYCLE_1) | instskip(NEXT) | instid1(SALU_CYCLE_1)
	s_mul_hi_u32 s16, s14, s16
	s_mul_i32 s16, s16, s40
	s_delay_alu instid0(SALU_CYCLE_1) | instskip(NEXT) | instid1(SALU_CYCLE_1)
	s_sub_co_i32 s16, s14, s16
	s_sub_co_i32 s17, s16, s40
	s_cmp_ge_u32 s16, s40
	s_cselect_b32 s16, s17, s16
	s_delay_alu instid0(SALU_CYCLE_1) | instskip(SKIP_2) | instid1(SALU_CYCLE_1)
	s_sub_co_i32 s17, s16, s40
	s_cmp_ge_u32 s16, s40
	s_cselect_b32 s28, s17, s16
	s_mov_b64 s[16:17], s[28:29]
.LBB213_456:                            ;   in Loop: Header=BB213_31 Depth=1
	s_delay_alu instid0(SALU_CYCLE_1)
	s_sub_nc_u64 s[14:15], s[14:15], s[16:17]
	s_mov_b32 s17, 0
	s_mov_b32 s16, 0
	s_mov_b32 s28, exec_lo
                                        ; implicit-def: $vgpr54
	v_cmpx_gt_u64_e64 s[14:15], v[0:1]
	s_cbranch_execz .LBB213_466
; %bb.457:                              ;   in Loop: Header=BB213_31 Depth=1
	v_mov_b64_e32 v[6:7], v[0:1]
	v_mov_b32_e32 v8, v46
                                        ; implicit-def: $sgpr92
	s_branch .LBB213_461
.LBB213_458:                            ;   in Loop: Header=BB213_461 Depth=2
	s_or_b32 exec_lo, exec_lo, s93
	s_wait_dscnt 0x0
	s_barrier_signal -1
	s_barrier_wait -1
	ds_load_b32 v9, v3 offset:3072
	s_wait_dscnt 0x0
	s_barrier_signal -1
	s_barrier_wait -1
	v_cmp_neq_f16_e32 vcc_lo, 0, v9
	s_cbranch_vccnz .LBB213_464
; %bb.459:                              ;   in Loop: Header=BB213_461 Depth=2
	v_add_nc_u64_e32 v[6:7], s[40:41], v[6:7]
	v_add_nc_u32_e32 v8, vcc_hi, v8
	s_mov_b32 s93, 0
	s_delay_alu instid0(VALU_DEP_2)
	v_cmp_le_u64_e32 vcc_lo, s[14:15], v[6:7]
	s_or_not1_b32 s94, vcc_lo, exec_lo
.LBB213_460:                            ;   in Loop: Header=BB213_461 Depth=2
	s_delay_alu instid0(SALU_CYCLE_1) | instskip(NEXT) | instid1(SALU_CYCLE_1)
	s_and_b32 s76, exec_lo, s94
	s_or_b32 s16, s76, s16
	s_and_not1_b32 s76, s92, exec_lo
	s_and_b32 s77, s93, exec_lo
	s_delay_alu instid0(SALU_CYCLE_1)
	s_or_b32 s92, s76, s77
	s_and_not1_b32 exec_lo, exec_lo, s16
	s_cbranch_execz .LBB213_465
.LBB213_461:                            ;   Parent Loop BB213_31 Depth=1
                                        ; =>  This Inner Loop Header: Depth=2
	s_mov_b32 s93, exec_lo
	s_delay_alu instid0(VALU_DEP_2)
	v_cmpx_gt_u64_e64 s[10:11], v[6:7]
	s_cbranch_execz .LBB213_458
; %bb.462:                              ;   in Loop: Header=BB213_461 Depth=2
	ds_load_u16 v9, v8
	s_wait_dscnt 0x0
	v_cmp_lt_i16_e32 vcc_lo, -1, v9
	v_and_b32_e32 v10, 0xffff, v9
	v_cndmask_b32_e32 v11, 0xffff, v52, vcc_lo
	v_cmp_o_f16_e32 vcc_lo, v9, v9
	s_delay_alu instid0(VALU_DEP_2) | instskip(NEXT) | instid1(VALU_DEP_1)
	v_xor_b32_e32 v10, v11, v10
	v_cndmask_b32_e32 v10, 0xffff, v10, vcc_lo
	s_delay_alu instid0(VALU_DEP_1) | instskip(NEXT) | instid1(VALU_DEP_1)
	v_and_b32_e32 v10, v10, v53
	v_cmp_eq_u32_e32 vcc_lo, v10, v50
	s_and_b32 exec_lo, exec_lo, vcc_lo
	s_cbranch_execz .LBB213_458
; %bb.463:                              ;   in Loop: Header=BB213_461 Depth=2
	v_perm_b32 v9, v9, s53, 0x5040100
	ds_store_b32 v3, v9 offset:3072
	s_branch .LBB213_458
.LBB213_464:                            ;   in Loop: Header=BB213_461 Depth=2
	s_mov_b32 s94, -1
	s_mov_b32 s93, -1
                                        ; implicit-def: $vgpr6_vgpr7
                                        ; implicit-def: $vgpr8
	s_branch .LBB213_460
.LBB213_465:                            ;   in Loop: Header=BB213_31 Depth=1
	s_or_b32 exec_lo, exec_lo, s16
	v_lshrrev_b32_e32 v54, 16, v9
	s_and_b32 s16, s92, exec_lo
.LBB213_466:                            ;   in Loop: Header=BB213_31 Depth=1
	s_or_b32 exec_lo, exec_lo, s28
.LBB213_467:                            ;   in Loop: Header=BB213_31 Depth=1
	s_delay_alu instid0(SALU_CYCLE_1)
	s_and_b32 vcc_lo, exec_lo, s17
	s_cbranch_vccz .LBB213_484
; %bb.468:                              ;   in Loop: Header=BB213_31 Depth=1
	s_and_b64 s[10:11], s[66:67], 0xffffffff00000000
	s_delay_alu instid0(SALU_CYCLE_1)
	s_cmp_lg_u64 s[10:11], 0
	s_cbranch_scc0 .LBB213_470
; %bb.469:                              ;   in Loop: Header=BB213_31 Depth=1
	s_cvt_f32_u32 s3, s40
	s_mov_b32 s10, 0x4f800000
	s_sub_nc_u64 s[14:15], 0, s[40:41]
	s_delay_alu instid0(SALU_CYCLE_1) | instskip(NEXT) | instid1(SALU_CYCLE_3)
	s_fmamk_f32 s3, s10, 0x0, s3
	v_s_rcp_f32 s3, s3
	s_delay_alu instid0(TRANS32_DEP_1) | instskip(NEXT) | instid1(SALU_CYCLE_3)
	s_mul_f32 s3, s3, 0x5f7ffffc
	s_mul_f32 s10, s3, 0x2f800000
	s_delay_alu instid0(SALU_CYCLE_3) | instskip(NEXT) | instid1(SALU_CYCLE_3)
	s_trunc_f32 s10, s10
	s_fmamk_f32 s3, s10, 0xcf800000, s3
	s_cvt_u32_f32 s11, s10
	s_delay_alu instid0(SALU_CYCLE_2) | instskip(NEXT) | instid1(SALU_CYCLE_3)
	s_cvt_u32_f32 s10, s3
	s_mul_u64 s[92:93], s[14:15], s[10:11]
	s_delay_alu instid0(SALU_CYCLE_1)
	s_mul_hi_u32 s95, s10, s93
	s_mul_i32 s94, s10, s93
	s_mul_hi_u32 s28, s10, s92
	s_mul_i32 s17, s11, s92
	s_add_nc_u64 s[94:95], s[28:29], s[94:95]
	s_mul_hi_u32 s3, s11, s92
	s_mul_hi_u32 s76, s11, s93
	s_add_co_u32 s17, s94, s17
	s_add_co_ci_u32 s28, s95, s3
	s_mul_i32 s92, s11, s93
	s_add_co_ci_u32 s93, s76, 0
	s_delay_alu instid0(SALU_CYCLE_1) | instskip(NEXT) | instid1(SALU_CYCLE_1)
	s_add_nc_u64 s[92:93], s[28:29], s[92:93]
	s_add_co_u32 s10, s10, s92
	s_cselect_b32 s3, -1, 0
	s_delay_alu instid0(SALU_CYCLE_1) | instskip(SKIP_1) | instid1(SALU_CYCLE_1)
	s_cmp_lg_u32 s3, 0
	s_add_co_ci_u32 s11, s11, s93
	s_mul_u64 s[14:15], s[14:15], s[10:11]
	s_delay_alu instid0(SALU_CYCLE_1)
	s_mul_hi_u32 s93, s10, s15
	s_mul_i32 s92, s10, s15
	s_mul_hi_u32 s28, s10, s14
	s_mul_i32 s17, s11, s14
	s_add_nc_u64 s[92:93], s[28:29], s[92:93]
	s_mul_hi_u32 s3, s11, s14
	s_mul_hi_u32 s76, s11, s15
	s_mul_i32 s14, s11, s15
	s_add_co_u32 s15, s92, s17
	s_add_co_ci_u32 s28, s93, s3
	s_add_co_ci_u32 s15, s76, 0
	s_delay_alu instid0(SALU_CYCLE_1) | instskip(NEXT) | instid1(SALU_CYCLE_1)
	s_add_nc_u64 s[14:15], s[28:29], s[14:15]
	s_add_co_u32 s3, s10, s14
	s_cselect_b32 s10, -1, 0
	s_mul_hi_u32 s28, s66, s3
	s_cmp_lg_u32 s10, 0
	s_mul_hi_u32 s17, s67, s3
	s_add_co_ci_u32 s14, s11, s15
	s_mul_i32 s3, s67, s3
	s_mul_hi_u32 s11, s66, s14
	s_mul_i32 s10, s66, s14
	s_mul_hi_u32 s15, s67, s14
	s_add_nc_u64 s[10:11], s[28:29], s[10:11]
	s_mul_i32 s14, s67, s14
	s_add_co_u32 s3, s10, s3
	s_add_co_ci_u32 s28, s11, s17
	s_add_co_ci_u32 s15, s15, 0
	s_delay_alu instid0(SALU_CYCLE_1) | instskip(NEXT) | instid1(SALU_CYCLE_1)
	s_add_nc_u64 s[10:11], s[28:29], s[14:15]
	s_and_b64 s[14:15], s[10:11], 0xffffffff00000000
	s_delay_alu instid0(SALU_CYCLE_1) | instskip(NEXT) | instid1(SALU_CYCLE_1)
	s_or_b32 s14, s14, s10
	s_mul_u64 s[10:11], s[40:41], s[14:15]
	s_delay_alu instid0(SALU_CYCLE_1) | instskip(SKIP_1) | instid1(SALU_CYCLE_1)
	s_sub_co_u32 s3, s66, s10
	s_cselect_b32 s10, -1, 0
	s_cmp_lg_u32 s10, 0
	s_sub_co_ci_u32 s10, s67, s11
	s_sub_co_u32 s11, s3, s40
	s_cselect_b32 s14, -1, 0
	s_delay_alu instid0(SALU_CYCLE_1) | instskip(SKIP_3) | instid1(SALU_CYCLE_1)
	s_cmp_lg_u32 s14, 0
	s_sub_co_ci_u32 s14, s10, 0
	s_sub_co_u32 s15, s11, s40
	s_cselect_b32 s17, -1, 0
	s_cmp_lg_u32 s17, 0
	s_sub_co_ci_u32 s17, s14, 0
	s_cmp_ge_u32 s11, s40
	s_cselect_b32 s28, -1, 0
	s_cmp_eq_u32 s14, 0
	s_cselect_b32 s28, s28, -1
	s_delay_alu instid0(SALU_CYCLE_1)
	s_cmp_lg_u32 s28, 0
	s_cselect_b32 s14, s17, s14
	s_cselect_b32 s15, s15, s11
	s_cmp_ge_u32 s3, s40
	s_cselect_b32 s11, -1, 0
	s_cmp_eq_u32 s10, 0
	s_cselect_b32 s11, s11, -1
	s_delay_alu instid0(SALU_CYCLE_1)
	s_cmp_lg_u32 s11, 0
	s_cselect_b32 s11, s14, s10
	s_cselect_b32 s10, s15, s3
	s_mov_b32 s3, 0
	s_branch .LBB213_471
.LBB213_470:                            ;   in Loop: Header=BB213_31 Depth=1
	s_mov_b32 s3, -1
                                        ; implicit-def: $sgpr10_sgpr11
.LBB213_471:                            ;   in Loop: Header=BB213_31 Depth=1
	s_delay_alu instid0(SALU_CYCLE_1)
	s_and_not1_b32 vcc_lo, exec_lo, s3
	s_cbranch_vccnz .LBB213_473
; %bb.472:                              ;   in Loop: Header=BB213_31 Depth=1
	v_cvt_f32_u32_e32 v6, s40
	s_sub_co_i32 s10, 0, s40
	s_delay_alu instid0(VALU_DEP_1) | instskip(SKIP_1) | instid1(TRANS32_DEP_1)
	v_rcp_iflag_f32_e32 v6, v6
	v_nop
	v_mul_f32_e32 v6, 0x4f7ffffe, v6
	s_delay_alu instid0(VALU_DEP_1) | instskip(NEXT) | instid1(VALU_DEP_1)
	v_cvt_u32_f32_e32 v6, v6
	v_readfirstlane_b32 s3, v6
	s_mul_i32 s10, s10, s3
	s_delay_alu instid0(SALU_CYCLE_1) | instskip(NEXT) | instid1(SALU_CYCLE_1)
	s_mul_hi_u32 s10, s3, s10
	s_add_co_i32 s3, s3, s10
	s_delay_alu instid0(SALU_CYCLE_1) | instskip(NEXT) | instid1(SALU_CYCLE_1)
	s_mul_hi_u32 s3, s66, s3
	s_mul_i32 s3, s3, s40
	s_delay_alu instid0(SALU_CYCLE_1) | instskip(NEXT) | instid1(SALU_CYCLE_1)
	s_sub_co_i32 s3, s66, s3
	s_sub_co_i32 s10, s3, s40
	s_cmp_ge_u32 s3, s40
	s_cselect_b32 s3, s10, s3
	s_delay_alu instid0(SALU_CYCLE_1) | instskip(SKIP_2) | instid1(SALU_CYCLE_1)
	s_sub_co_i32 s10, s3, s40
	s_cmp_ge_u32 s3, s40
	s_cselect_b32 s28, s10, s3
	s_mov_b64 s[10:11], s[28:29]
.LBB213_473:                            ;   in Loop: Header=BB213_31 Depth=1
	s_delay_alu instid0(SALU_CYCLE_1)
	s_sub_nc_u64 s[10:11], s[66:67], s[10:11]
	s_mov_b32 s3, exec_lo
                                        ; implicit-def: $vgpr54
	v_cmpx_gt_u64_e64 s[10:11], v[0:1]
	s_cbranch_execz .LBB213_483
; %bb.474:                              ;   in Loop: Header=BB213_31 Depth=1
	v_mov_b64_e32 v[6:7], v[30:31]
	v_mov_b64_e32 v[8:9], v[0:1]
	s_mov_b32 s14, 0
                                        ; implicit-def: $sgpr15
	s_branch .LBB213_478
.LBB213_475:                            ;   in Loop: Header=BB213_478 Depth=2
	s_or_b32 exec_lo, exec_lo, s17
	s_wait_dscnt 0x0
	s_barrier_signal -1
	s_barrier_wait -1
	ds_load_b32 v10, v3 offset:3072
	s_wait_dscnt 0x0
	s_barrier_signal -1
	s_barrier_wait -1
	v_cmp_eq_f16_e32 vcc_lo, 0, v10
	s_cbranch_vccz .LBB213_481
; %bb.476:                              ;   in Loop: Header=BB213_478 Depth=2
	v_add_nc_u64_e32 v[8:9], s[40:41], v[8:9]
	v_add_nc_u64_e32 v[6:7], s[44:45], v[6:7]
	s_mov_b32 s17, 0
	s_delay_alu instid0(VALU_DEP_2)
	v_cmp_le_u64_e32 vcc_lo, s[10:11], v[8:9]
	s_or_not1_b32 s28, vcc_lo, exec_lo
.LBB213_477:                            ;   in Loop: Header=BB213_478 Depth=2
	s_delay_alu instid0(SALU_CYCLE_1) | instskip(NEXT) | instid1(SALU_CYCLE_1)
	s_and_b32 s28, exec_lo, s28
	s_or_b32 s14, s28, s14
	s_and_not1_b32 s15, s15, exec_lo
	s_and_b32 s17, s17, exec_lo
	s_delay_alu instid0(SALU_CYCLE_1)
	s_or_b32 s15, s15, s17
	s_and_not1_b32 exec_lo, exec_lo, s14
	s_cbranch_execz .LBB213_482
.LBB213_478:                            ;   Parent Loop BB213_31 Depth=1
                                        ; =>  This Inner Loop Header: Depth=2
	s_mov_b32 s17, exec_lo
	s_delay_alu instid0(VALU_DEP_1)
	v_cmpx_gt_u64_e64 s[36:37], v[8:9]
	s_cbranch_execz .LBB213_475
; %bb.479:                              ;   in Loop: Header=BB213_478 Depth=2
	global_load_u16 v10, v[6:7], off
	s_wait_loadcnt 0x0
	v_cmp_lt_i16_e32 vcc_lo, -1, v10
	v_and_b32_e32 v11, 0xffff, v10
	v_cndmask_b32_e32 v32, 0xffff, v52, vcc_lo
	v_cmp_o_f16_e32 vcc_lo, v10, v10
	s_delay_alu instid0(VALU_DEP_2) | instskip(NEXT) | instid1(VALU_DEP_1)
	v_xor_b32_e32 v11, v32, v11
	v_cndmask_b32_e32 v11, 0xffff, v11, vcc_lo
	s_delay_alu instid0(VALU_DEP_1) | instskip(NEXT) | instid1(VALU_DEP_1)
	v_and_b32_e32 v11, v11, v53
	v_cmp_eq_u32_e32 vcc_lo, v11, v50
	s_and_b32 exec_lo, exec_lo, vcc_lo
	s_cbranch_execz .LBB213_475
; %bb.480:                              ;   in Loop: Header=BB213_478 Depth=2
	v_perm_b32 v10, v10, s53, 0x5040100
	ds_store_b32 v3, v10 offset:3072
	s_branch .LBB213_475
.LBB213_481:                            ;   in Loop: Header=BB213_478 Depth=2
	s_mov_b32 s28, -1
	s_mov_b32 s17, -1
                                        ; implicit-def: $vgpr8_vgpr9
                                        ; implicit-def: $vgpr6_vgpr7
	s_branch .LBB213_477
.LBB213_482:                            ;   in Loop: Header=BB213_31 Depth=1
	s_or_b32 exec_lo, exec_lo, s14
	v_lshrrev_b32_e32 v54, 16, v10
	s_and_not1_b32 s10, s16, exec_lo
	s_and_b32 s11, s15, exec_lo
	s_delay_alu instid0(SALU_CYCLE_1)
	s_or_b32 s16, s10, s11
.LBB213_483:                            ;   in Loop: Header=BB213_31 Depth=1
	s_or_b32 exec_lo, exec_lo, s3
	s_mov_b32 s91, 0
	s_mov_b32 s3, -1
.LBB213_484:                            ;   in Loop: Header=BB213_31 Depth=1
	s_or_not1_b32 s11, s16, exec_lo
.LBB213_485:                            ;   in Loop: Header=BB213_31 Depth=1
	s_or_b32 exec_lo, exec_lo, s90
	s_mov_b32 s14, 0
	s_and_saveexec_b32 s10, s11
	s_cbranch_execz .LBB213_496
; %bb.486:                              ;   in Loop: Header=BB213_31 Depth=1
	v_mov_b64_e32 v[6:7], 1
	v_mov_b32_e32 v2, 1
	s_xor_b32 s14, s89, -1
	s_delay_alu instid0(SALU_CYCLE_1)
	s_and_saveexec_b32 s11, s14
	s_cbranch_execz .LBB213_495
; %bb.487:                              ;   in Loop: Header=BB213_31 Depth=1
	s_mov_b32 s14, exec_lo
	v_cmpx_ge_u64_e64 s[12:13], v[4:5]
	s_xor_b32 s14, exec_lo, s14
	s_cbranch_execz .LBB213_492
; %bb.488:                              ;   in Loop: Header=BB213_31 Depth=1
	ds_load_b64 v[6:7], v3 offset:5120
	v_and_b32_e32 v50, s25, v50
	v_or_b32_e32 v53, s24, v53
	s_wait_dscnt 0x0
	v_cmp_ne_u64_e32 vcc_lo, 0, v[6:7]
	s_cbranch_vccnz .LBB213_492
; %bb.489:                              ;   in Loop: Header=BB213_31 Depth=1
	s_and_saveexec_b32 s15, s5
; %bb.490:                              ;   in Loop: Header=BB213_31 Depth=1
	v_mov_b64_e32 v[6:7], s[12:13]
	ds_store_b64 v3, v[6:7] offset:5128
; %bb.491:                              ;   in Loop: Header=BB213_31 Depth=1
	s_or_b32 exec_lo, exec_lo, s15
	s_wait_dscnt 0x0
	s_barrier_signal -1
	s_barrier_wait -1
.LBB213_492:                            ;   in Loop: Header=BB213_31 Depth=1
	s_and_not1_saveexec_b32 s14, s14
; %bb.493:                              ;   in Loop: Header=BB213_31 Depth=1
	v_sub_nc_u64_e64 v[4:5], v[4:5], s[12:13]
; %bb.494:                              ;   in Loop: Header=BB213_31 Depth=1
	s_or_b32 exec_lo, exec_lo, s14
	s_delay_alu instid0(VALU_DEP_1)
	v_mov_b64_e32 v[6:7], v[4:5]
	v_mov_b32_e32 v2, 5
.LBB213_495:                            ;   in Loop: Header=BB213_31 Depth=1
	s_or_b32 exec_lo, exec_lo, s11
	s_delay_alu instid0(VALU_DEP_2)
	v_mov_b64_e32 v[4:5], v[6:7]
	s_mov_b32 s14, exec_lo
.LBB213_496:                            ;   in Loop: Header=BB213_31 Depth=1
	s_or_b32 exec_lo, exec_lo, s10
	s_delay_alu instid0(SALU_CYCLE_1)
	s_or_not1_b32 s10, s14, exec_lo
.LBB213_497:                            ;   in Loop: Header=BB213_31 Depth=1
	s_or_b32 exec_lo, exec_lo, s19
	s_delay_alu instid0(SALU_CYCLE_1)
	s_and_not1_b32 s11, s88, exec_lo
	s_and_b32 s3, s3, exec_lo
	s_and_not1_b32 s12, s86, exec_lo
	s_and_b32 s13, s91, exec_lo
	v_mov_b64_e32 v[6:7], v[4:5]
	s_or_b32 s88, s11, s3
	s_or_b32 s86, s12, s13
	s_and_b32 s10, s10, exec_lo
.LBB213_498:                            ;   in Loop: Header=BB213_31 Depth=1
	s_or_b32 exec_lo, exec_lo, s18
	s_delay_alu instid0(SALU_CYCLE_1)
	s_or_not1_b32 s3, s10, exec_lo
.LBB213_499:                            ;   in Loop: Header=BB213_31 Depth=1
	s_or_b32 exec_lo, exec_lo, s21
	s_delay_alu instid0(SALU_CYCLE_1)
	s_and_not1_b32 s10, s85, exec_lo
	s_and_b32 s11, s88, exec_lo
	s_and_not1_b32 s12, s23, exec_lo
	s_and_b32 s13, s86, exec_lo
	v_mov_b64_e32 v[4:5], v[6:7]
	s_or_b32 s85, s10, s11
	s_or_b32 s23, s12, s13
	s_and_b32 s10, s3, exec_lo
.LBB213_500:                            ;   in Loop: Header=BB213_31 Depth=1
	s_or_b32 exec_lo, exec_lo, s20
	s_delay_alu instid0(SALU_CYCLE_1)
	s_or_not1_b32 s3, s10, exec_lo
.LBB213_501:                            ;   in Loop: Header=BB213_31 Depth=1
	s_or_b32 exec_lo, exec_lo, s9
	s_mov_b32 s9, s84
	s_mov_b32 s10, s27
	s_and_saveexec_b32 s11, s3
; %bb.502:                              ;   in Loop: Header=BB213_31 Depth=1
	v_cmp_ne_u32_e32 vcc_lo, 5, v2
	v_cmp_eq_u32_e64 s9, 5, v2
	s_and_not1_b32 s3, s27, exec_lo
	s_and_not1_b32 s12, s84, exec_lo
	s_and_b32 s10, vcc_lo, exec_lo
	s_and_b32 s9, s9, exec_lo
	s_or_b32 s10, s3, s10
	s_or_b32 s9, s12, s9
; %bb.503:                              ;   in Loop: Header=BB213_31 Depth=1
	s_or_b32 exec_lo, exec_lo, s11
	s_delay_alu instid0(SALU_CYCLE_1)
	s_and_not1_b32 s3, s87, exec_lo
	s_and_b32 s11, s85, exec_lo
	s_and_not1_b32 s12, s26, exec_lo
	s_and_b32 s13, s23, exec_lo
	s_or_b32 s87, s3, s11
	s_and_not1_b32 s3, s27, exec_lo
	s_and_b32 s10, s10, exec_lo
	s_and_not1_b32 s11, s84, exec_lo
	s_and_b32 s9, s9, exec_lo
	s_or_b32 s26, s12, s13
	s_or_b32 s27, s3, s10
	s_or_b32 s84, s11, s9
.LBB213_504:                            ;   in Loop: Header=BB213_31 Depth=1
	s_or_b32 exec_lo, exec_lo, s22
	s_mov_b32 s85, 0
	s_mov_b32 s86, 0
	s_and_saveexec_b32 s3, s84
.LBB213_505:                            ;   in Loop: Header=BB213_31 Depth=1
	v_mov_b32_e32 v2, 0
	s_or_b32 s27, s27, exec_lo
.LBB213_506:                            ;   in Loop: Header=BB213_31 Depth=1
	s_or_b32 exec_lo, exec_lo, s3
	v_mov_b64_e32 v[32:33], v[4:5]
	s_and_not1_b32 s3, s7, exec_lo
	s_and_b32 s7, s87, exec_lo
	s_and_not1_b32 s10, s49, exec_lo
	s_and_b32 s11, s26, exec_lo
	s_or_b32 s7, s3, s7
	s_or_b32 s49, s10, s11
	s_and_not1_b32 s3, s75, exec_lo
	s_and_b32 s10, s86, exec_lo
	s_and_not1_b32 s11, s74, exec_lo
	s_and_b32 s12, s85, exec_lo
	s_mov_b32 s9, -1
	s_and_not1_b32 s4, s4, exec_lo
	s_or_b32 s75, s3, s10
	s_or_b32 s74, s11, s12
	s_and_saveexec_b32 s3, s27
	s_delay_alu instid0(SALU_CYCLE_1)
	s_xor_b32 s3, exec_lo, s3
	s_cbranch_execz .LBB213_30
; %bb.507:                              ;   in Loop: Header=BB213_31 Depth=1
	s_mov_b32 s10, -1
	s_mov_b32 s11, exec_lo
	v_cmpx_eq_u32_e32 0, v2
	s_cbranch_execz .LBB213_29
; %bb.508:                              ;   in Loop: Header=BB213_31 Depth=1
	s_xor_b32 s57, s57, 1
	s_add_co_i32 s12, s54, -2
	s_cmp_eq_u32 s54, 0
	s_mov_b32 s54, s12
	s_cselect_b32 s9, -1, 0
	s_xor_b32 s10, exec_lo, -1
	s_or_not1_b32 s9, s9, exec_lo
	s_branch .LBB213_29
.LBB213_509:
	s_or_b32 exec_lo, exec_lo, s55
	s_xor_b32 s6, s48, -1
	s_xor_b32 s9, s59, -1
	s_xor_b32 s8, s8, -1
	s_xor_b32 s4, s56, -1
	s_xor_b32 s3, s58, -1
	s_mov_b32 s7, 0
	s_and_saveexec_b32 s10, s4
	s_delay_alu instid0(SALU_CYCLE_1)
	s_xor_b32 s4, exec_lo, s10
	s_cbranch_execnz .LBB213_514
; %bb.510:
	s_and_not1_saveexec_b32 s0, s4
	s_cbranch_execnz .LBB213_533
.LBB213_511:
	s_or_b32 exec_lo, exec_lo, s0
	s_and_saveexec_b32 s0, s7
.LBB213_512:
	; divergent unreachable
.LBB213_513:
	s_endpgm
.LBB213_514:
	s_and_saveexec_b32 s10, s8
	s_delay_alu instid0(SALU_CYCLE_1)
	s_xor_b32 s16, exec_lo, s10
	s_cbranch_execz .LBB213_531
; %bb.515:
	s_and_saveexec_b32 s8, s9
	s_delay_alu instid0(SALU_CYCLE_1)
	s_xor_b32 s17, exec_lo, s8
	s_cbranch_execz .LBB213_529
; %bb.516:
	;; [unrolled: 5-line block ×3, first 2 shown]
	s_and_saveexec_b32 s6, s3
	s_delay_alu instid0(SALU_CYCLE_1)
	s_xor_b32 s3, exec_lo, s6
; %bb.518:
	v_and_b32_e32 v2, 0x8000, v50
	v_mov_b32_e32 v3, 0xffff
	s_delay_alu instid0(VALU_DEP_2) | instskip(NEXT) | instid1(VALU_DEP_2)
	v_cmp_eq_u32_e32 vcc_lo, 0, v2
	v_cndmask_b32_e32 v2, 0x8000, v3, vcc_lo
	s_delay_alu instid0(VALU_DEP_1)
	v_xor_b32_e32 v54, v2, v50
; %bb.519:
	s_or_b32 exec_lo, exec_lo, s3
	s_and_saveexec_b32 s3, s5
	v_readlane_b32 s0, v63, 8
	v_readlane_b32 s1, v63, 9
; %bb.520:
	v_mov_b64_e32 v[2:3], 0
	v_mov_b32_e32 v4, 0
	ds_store_b64 v4, v[2:3] offset:5136
; %bb.521:
	s_or_b32 exec_lo, exec_lo, s3
	v_mov_b32_e32 v19, 0
	s_wait_dscnt 0x0
	s_barrier_signal -1
	s_barrier_wait -1
	s_and_saveexec_b32 s3, s104
	s_cbranch_execz .LBB213_523
; %bb.522:
	global_load_u16 v19, v[14:15], off
.LBB213_523:
	s_wait_xcnt 0x0
	s_or_b32 exec_lo, exec_lo, s3
	v_mov_b32_e32 v18, 0x8000
	v_cmp_lt_i16_e32 vcc_lo, -1, v54
	v_readlane_b32 s14, v63, 0
	v_readlane_b32 s15, v63, 1
	s_clause 0x1
	s_load_b64 s[6:7], s[0:1], 0x368
	s_load_b64 s[8:9], s[0:1], 0x510
	v_and_b32_e32 v2, 0xffff, v54
	v_cndmask_b32_e32 v3, 0xffff, v18, vcc_lo
	s_add_nc_u64 s[10:11], s[36:37], 31
	s_mov_b64 s[12:13], 0xffffffffffffffe0
	s_mul_u64 s[14:15], s[14:15], s[42:43]
	s_and_b64 s[10:11], s[10:11], s[12:13]
	s_lshl_b64 s[12:13], s[14:15], 1
	v_readlane_b32 s14, v63, 2
	v_readlane_b32 s15, v63, 3
	v_xor_b32_e32 v2, v3, v2
	v_cmp_o_f16_e32 vcc_lo, v54, v54
	v_readlane_b32 s20, v63, 4
	v_readlane_b32 s22, v63, 6
	;; [unrolled: 1-line block ×4, first 2 shown]
	s_mul_u64 s[14:15], s[14:15], s[50:51]
	v_cndmask_b32_e32 v13, 0xffff, v2, vcc_lo
	v_cmp_gt_u64_e32 vcc_lo, s[10:11], v[0:1]
	s_lshl_b64 s[14:15], s[14:15], 3
	s_add_nc_u64 s[12:13], s[20:21], s[12:13]
	s_lshl_b64 s[20:21], s[34:35], 1
	s_add_nc_u64 s[14:15], s[22:23], s[14:15]
	s_lshl_b64 s[22:23], s[46:47], 3
	s_wait_xcnt 0x0
	s_mov_b32 s0, -1
	s_add_nc_u64 s[12:13], s[12:13], s[20:21]
	s_add_nc_u64 s[14:15], s[14:15], s[22:23]
	s_mov_b32 s5, 0
	s_mov_b32 s1, 0
	s_and_saveexec_b32 s3, vcc_lo
	s_cbranch_execnz .LBB213_534
; %bb.524:
	s_or_b32 exec_lo, exec_lo, s3
	s_and_saveexec_b32 s3, s0
	s_cbranch_execnz .LBB213_551
.LBB213_525:
	s_or_b32 exec_lo, exec_lo, s3
	s_and_saveexec_b32 s0, s1
	s_delay_alu instid0(SALU_CYCLE_1)
	s_xor_b32 s0, exec_lo, s0
	s_cbranch_execnz .LBB213_574
.LBB213_526:
	s_or_b32 exec_lo, exec_lo, s0
	s_wait_kmcnt 0x0
	s_and_b32 s7, s5, exec_lo
.LBB213_527:
	s_and_not1_saveexec_b32 s0, s18
	s_cbranch_execnz .LBB213_576
.LBB213_528:
	s_or_b32 exec_lo, exec_lo, s0
	s_delay_alu instid0(SALU_CYCLE_1)
	s_and_b32 s7, s7, exec_lo
.LBB213_529:
	s_and_not1_saveexec_b32 s0, s17
	s_cbranch_execnz .LBB213_575
.LBB213_530:
	s_or_b32 exec_lo, exec_lo, s0
	s_delay_alu instid0(SALU_CYCLE_1)
	s_and_b32 s7, s7, exec_lo
.LBB213_531:
	s_and_not1_saveexec_b32 s0, s16
	s_cbranch_execnz .LBB213_570
.LBB213_532:
	s_or_b32 exec_lo, exec_lo, s0
	s_delay_alu instid0(SALU_CYCLE_1)
	s_and_b32 s7, s7, exec_lo
	s_and_not1_saveexec_b32 s0, s4
	s_cbranch_execz .LBB213_511
.LBB213_533:
	s_or_b32 s7, s7, exec_lo
	s_trap 2
	s_or_b32 exec_lo, exec_lo, s0
	s_and_saveexec_b32 s0, s7
	s_cbranch_execnz .LBB213_512
	s_branch .LBB213_513
.LBB213_534:
	v_add_nc_u64_e32 v[2:3], s[40:41], v[0:1]
	v_readlane_b32 s0, v63, 16
	v_readlane_b32 s1, v63, 17
	v_mov_b64_e32 v[10:11], v[0:1]
	s_mov_b32 s19, 0
                                        ; implicit-def: $sgpr20
                                        ; implicit-def: $vgpr8_vgpr9
	v_mul_u64_e32 v[4:5], s[30:31], v[2:3]
	v_mov_b32_e32 v3, 0
	s_delay_alu instid0(VALU_DEP_2)
	v_lshl_add_u64 v[4:5], v[4:5], 1, s[0:1]
	s_branch .LBB213_536
.LBB213_535:                            ;   in Loop: Header=BB213_536 Depth=1
	s_or_b32 exec_lo, exec_lo, s22
	s_xor_b32 s0, s21, -1
	s_and_b32 s1, exec_lo, s1
	v_mov_b64_e32 v[10:11], v[6:7]
	s_or_b32 s19, s1, s19
	s_wait_loadcnt 0x0
	v_mov_b32_e32 v19, v20
	s_and_not1_b32 s1, s20, exec_lo
	s_and_b32 s0, s0, exec_lo
	s_delay_alu instid0(SALU_CYCLE_1)
	s_or_b32 s20, s1, s0
	s_and_not1_b32 exec_lo, exec_lo, s19
	s_cbranch_execz .LBB213_550
.LBB213_536:                            ; =>This Inner Loop Header: Depth=1
	s_delay_alu instid0(VALU_DEP_4) | instskip(SKIP_2) | instid1(VALU_DEP_2)
	v_add_nc_u64_e32 v[6:7], s[40:41], v[10:11]
	v_mov_b32_e32 v20, 0
	s_mov_b32 s1, exec_lo
	v_cmpx_gt_u64_e64 s[36:37], v[6:7]
	s_cbranch_execz .LBB213_538
; %bb.537:                              ;   in Loop: Header=BB213_536 Depth=1
	global_load_u16 v20, v[4:5], off
.LBB213_538:                            ;   in Loop: Header=BB213_536 Depth=1
	s_wait_xcnt 0x0
	s_or_b32 exec_lo, exec_lo, s1
	s_mov_b32 s21, 0
	s_mov_b32 s1, exec_lo
	v_cmpx_gt_u64_e64 s[36:37], v[10:11]
	s_cbranch_execz .LBB213_540
; %bb.539:                              ;   in Loop: Header=BB213_536 Depth=1
	s_wait_loadcnt 0x0
	v_cmp_lt_i16_e64 s0, -1, v19
	v_and_b32_e32 v2, 0xffff, v19
	s_delay_alu instid0(VALU_DEP_2) | instskip(SKIP_1) | instid1(VALU_DEP_2)
	v_cndmask_b32_e64 v16, 0xffff, v18, s0
	v_cmp_o_f16_e64 s0, v19, v19
	v_xor_b32_e32 v2, v16, v2
	s_delay_alu instid0(VALU_DEP_1) | instskip(NEXT) | instid1(VALU_DEP_1)
	v_cndmask_b32_e64 v2, 0xffff, v2, s0
	v_cmp_gt_u32_e64 s0, v2, v13
	s_delay_alu instid0(VALU_DEP_1) | instskip(SKIP_1) | instid1(VALU_DEP_1)
	v_cndmask_b32_e64 v16, 0, 1, s0
	v_cmp_lt_u32_e64 s0, v2, v13
	v_cndmask_b32_e64 v2, 0, 1, s0
	s_delay_alu instid0(VALU_DEP_1) | instskip(NEXT) | instid1(VALU_DEP_1)
	v_cndmask_b32_e64 v2, v2, v16, s102
	v_and_b32_e32 v2, 1, v2
	s_delay_alu instid0(VALU_DEP_1)
	v_cmp_eq_u32_e64 s0, 1, v2
	s_and_b32 s21, s0, exec_lo
.LBB213_540:                            ;   in Loop: Header=BB213_536 Depth=1
	s_or_b32 exec_lo, exec_lo, s1
	v_cndmask_b32_e64 v2, 0, 1, s21
	s_delay_alu instid0(VALU_DEP_1) | instskip(SKIP_2) | instid1(SALU_CYCLE_1)
	v_cmp_ne_u32_e64 s0, 0, v2
	s_cmp_lg_u32 s0, 0
	s_cselect_b32 s1, -1, 0
	s_and_b32 s1, s2, s1
	s_delay_alu instid0(SALU_CYCLE_1)
	s_and_saveexec_b32 s22, s1
	s_cbranch_execz .LBB213_544
; %bb.541:                              ;   in Loop: Header=BB213_536 Depth=1
	s_mov_b32 s25, exec_lo
	s_bcnt1_i32_b32 s23, s0
	v_mbcnt_lo_u32_b32 v16, s25, 0
	s_mov_b32 s24, exec_lo
                                        ; implicit-def: $vgpr8_vgpr9
	s_delay_alu instid0(VALU_DEP_1)
	v_cmpx_eq_u32_e32 0, v16
	s_cbranch_execz .LBB213_543
; %bb.542:                              ;   in Loop: Header=BB213_536 Depth=1
	s_bcnt1_i32_b32 s1, s25
	s_delay_alu instid0(SALU_CYCLE_1) | instskip(NEXT) | instid1(SALU_CYCLE_1)
	s_mul_i32 s1, s23, s1
	v_mov_b32_e32 v2, s1
	s_wait_dscnt 0x0
	ds_add_rtn_u64 v[8:9], v3, v[2:3] offset:5136
.LBB213_543:                            ;   in Loop: Header=BB213_536 Depth=1
	s_or_b32 exec_lo, exec_lo, s24
	s_wait_dscnt 0x0
	v_readfirstlane_b32 s25, v9
	v_readfirstlane_b32 s24, v8
	s_delay_alu instid0(VALU_DEP_1)
	v_mad_nc_u64_u32 v[8:9], s23, v16, s[24:25]
.LBB213_544:                            ;   in Loop: Header=BB213_536 Depth=1
	s_or_b32 exec_lo, exec_lo, s22
	s_wait_dscnt 0x1
	ds_bpermute_b32 v8, v3, v8
	s_wait_dscnt 0x1
	ds_bpermute_b32 v9, v3, v9
	s_mov_b32 s1, -1
	s_mov_b32 s23, -1
	s_and_saveexec_b32 s22, s21
	s_cbranch_execz .LBB213_548
; %bb.545:                              ;   in Loop: Header=BB213_536 Depth=1
	v_and_b32_e32 v2, s0, v12
	s_mov_b32 s21, 0
	s_mov_b32 s23, exec_lo
	s_delay_alu instid0(VALU_DEP_1) | instskip(SKIP_1) | instid1(VALU_DEP_1)
	v_bcnt_u32_b32 v2, v2, 0
	s_wait_dscnt 0x0
	v_add_nc_u64_e32 v[16:17], v[8:9], v[2:3]
	s_delay_alu instid0(VALU_DEP_1)
	v_cmpx_gt_u64_e64 s[38:39], v[16:17]
	s_cbranch_execz .LBB213_547
; %bb.546:                              ;   in Loop: Header=BB213_536 Depth=1
	s_wait_kmcnt 0x0
	v_mul_u64_e32 v[22:23], s[6:7], v[16:17]
	v_mul_u64_e32 v[16:17], s[8:9], v[16:17]
	s_mov_b32 s21, exec_lo
	s_delay_alu instid0(VALU_DEP_2) | instskip(NEXT) | instid1(VALU_DEP_2)
	v_lshl_add_u64 v[22:23], v[22:23], 1, s[12:13]
	v_lshl_add_u64 v[16:17], v[16:17], 3, s[14:15]
	s_wait_loadcnt 0x0
	global_store_b16 v[22:23], v19, off
	global_store_b64 v[16:17], v[10:11], off
.LBB213_547:                            ;   in Loop: Header=BB213_536 Depth=1
	s_wait_xcnt 0x0
	s_or_b32 exec_lo, exec_lo, s23
	s_delay_alu instid0(SALU_CYCLE_1)
	s_or_not1_b32 s23, s21, exec_lo
.LBB213_548:                            ;   in Loop: Header=BB213_536 Depth=1
	s_or_b32 exec_lo, exec_lo, s22
	s_mov_b32 s21, -1
	s_and_saveexec_b32 s22, s23
	s_cbranch_execz .LBB213_535
; %bb.549:                              ;   in Loop: Header=BB213_536 Depth=1
	v_cmp_le_u64_e64 s0, s[10:11], v[6:7]
	v_add_nc_u64_e32 v[4:5], s[44:45], v[4:5]
	s_xor_b32 s21, exec_lo, -1
	s_or_not1_b32 s1, s0, exec_lo
	s_branch .LBB213_535
.LBB213_550:
	s_or_b32 exec_lo, exec_lo, s19
	s_delay_alu instid0(SALU_CYCLE_1)
	s_mov_b32 s1, exec_lo
	s_or_not1_b32 s0, s20, exec_lo
	s_or_b32 exec_lo, exec_lo, s3
	s_and_saveexec_b32 s3, s0
	s_cbranch_execz .LBB213_525
.LBB213_551:
	v_mov_b32_e32 v16, 0
	s_wait_storecnt 0x0
	s_wait_loadcnt_dscnt 0x0
	s_barrier_signal -1
	s_barrier_wait -1
	s_and_saveexec_b32 s0, s104
	s_cbranch_execz .LBB213_553
; %bb.552:
	global_load_u16 v16, v[14:15], off
.LBB213_553:
	s_wait_xcnt 0x0
	s_or_b32 exec_lo, exec_lo, s0
	s_mov_b32 s0, 0
	s_and_saveexec_b32 s5, vcc_lo
	s_cbranch_execz .LBB213_573
; %bb.554:
	v_add_nc_u64_e32 v[2:3], s[40:41], v[0:1]
	v_readlane_b32 s20, v63, 16
	v_readlane_b32 s21, v63, 17
	v_dual_mov_b32 v14, 0x8000 :: v_dual_mov_b32 v5, 0
	s_mov_b32 s19, 0
                                        ; implicit-def: $vgpr8_vgpr9
	v_mul_u64_e32 v[2:3], s[30:31], v[2:3]
	s_delay_alu instid0(VALU_DEP_1)
	v_lshl_add_u64 v[2:3], v[2:3], 1, s[20:21]
                                        ; implicit-def: $sgpr20
	s_branch .LBB213_557
.LBB213_555:                            ;   in Loop: Header=BB213_557 Depth=1
	s_or_b32 exec_lo, exec_lo, s23
	s_delay_alu instid0(SALU_CYCLE_1)
	s_or_not1_b32 s23, s21, exec_lo
	s_or_not1_b32 s22, s22, exec_lo
.LBB213_556:                            ;   in Loop: Header=BB213_557 Depth=1
	s_or_b32 exec_lo, exec_lo, s0
	s_xor_b32 s0, s23, -1
	s_and_b32 s21, exec_lo, s22
	v_mov_b64_e32 v[0:1], v[6:7]
	s_or_b32 s19, s21, s19
	v_mov_b32_e32 v16, v15
	s_and_not1_b32 s20, s20, exec_lo
	s_and_b32 s0, s0, exec_lo
	s_delay_alu instid0(SALU_CYCLE_1)
	s_or_b32 s20, s20, s0
	s_and_not1_b32 exec_lo, exec_lo, s19
	s_cbranch_execz .LBB213_571
.LBB213_557:                            ; =>This Inner Loop Header: Depth=1
	v_add_nc_u64_e32 v[6:7], s[40:41], v[0:1]
	v_mov_b32_e32 v15, 0
	s_mov_b32 s0, exec_lo
	s_delay_alu instid0(VALU_DEP_2)
	v_cmpx_gt_u64_e64 s[36:37], v[6:7]
	s_cbranch_execz .LBB213_559
; %bb.558:                              ;   in Loop: Header=BB213_557 Depth=1
	global_load_u16 v15, v[2:3], off
.LBB213_559:                            ;   in Loop: Header=BB213_557 Depth=1
	s_wait_xcnt 0x0
	s_or_b32 exec_lo, exec_lo, s0
	s_wait_loadcnt 0x0
	v_cmp_lt_i16_e32 vcc_lo, -1, v16
	v_and_b32_e32 v4, 0xffff, v16
	v_cndmask_b32_e32 v10, 0xffff, v14, vcc_lo
	v_cmp_o_f16_e32 vcc_lo, v16, v16
	s_delay_alu instid0(VALU_DEP_2) | instskip(NEXT) | instid1(VALU_DEP_1)
	v_xor_b32_e32 v4, v10, v4
	v_cndmask_b32_e32 v4, 0xffff, v4, vcc_lo
	v_cmp_gt_u64_e32 vcc_lo, s[36:37], v[0:1]
	s_delay_alu instid0(VALU_DEP_2) | instskip(SKIP_1) | instid1(SALU_CYCLE_1)
	v_cmp_eq_u32_e64 s0, v4, v13
	s_and_b32 s21, vcc_lo, s0
	v_cndmask_b32_e64 v4, 0, 1, s21
	s_delay_alu instid0(VALU_DEP_1) | instskip(SKIP_2) | instid1(SALU_CYCLE_1)
	v_cmp_ne_u32_e32 vcc_lo, 0, v4
	s_cmp_lg_u32 vcc_lo, 0
	s_cselect_b32 s0, -1, 0
	s_and_b32 s0, s2, s0
	s_delay_alu instid0(SALU_CYCLE_1)
	s_and_saveexec_b32 s22, s0
	s_cbranch_execz .LBB213_563
; %bb.560:                              ;   in Loop: Header=BB213_557 Depth=1
	s_mov_b32 s25, exec_lo
	s_bcnt1_i32_b32 s23, vcc_lo
	v_mbcnt_lo_u32_b32 v10, s25, 0
	s_mov_b32 s24, exec_lo
                                        ; implicit-def: $vgpr8_vgpr9
	s_delay_alu instid0(VALU_DEP_1)
	v_cmpx_eq_u32_e32 0, v10
; %bb.561:                              ;   in Loop: Header=BB213_557 Depth=1
	s_bcnt1_i32_b32 s0, s25
	s_delay_alu instid0(SALU_CYCLE_1) | instskip(NEXT) | instid1(SALU_CYCLE_1)
	s_mul_i32 s0, s23, s0
	v_mov_b32_e32 v4, s0
	ds_add_rtn_u64 v[8:9], v5, v[4:5] offset:5136
; %bb.562:                              ;   in Loop: Header=BB213_557 Depth=1
	s_or_b32 exec_lo, exec_lo, s24
	s_wait_dscnt 0x0
	v_readfirstlane_b32 s25, v9
	v_readfirstlane_b32 s24, v8
	s_delay_alu instid0(VALU_DEP_1)
	v_mad_nc_u64_u32 v[8:9], s23, v10, s[24:25]
.LBB213_563:                            ;   in Loop: Header=BB213_557 Depth=1
	s_or_b32 exec_lo, exec_lo, s22
	ds_bpermute_b32 v8, v5, v8
	ds_bpermute_b32 v9, v5, v9
	s_cmp_eq_u32 vcc_lo, 0
	s_mov_b32 s22, -1
	s_cselect_b32 s23, -1, 0
	s_wait_dscnt 0x0
	v_cmp_gt_u64_e64 s0, s[38:39], v[8:9]
	s_or_b32 s24, s23, s0
	s_mov_b32 s23, -1
	s_and_saveexec_b32 s0, s24
	s_cbranch_execz .LBB213_556
; %bb.564:                              ;   in Loop: Header=BB213_557 Depth=1
	v_and_b32_e32 v4, vcc_lo, v12
	v_sub_nc_u64_e32 v[10:11], s[38:39], v[8:9]
	s_mov_b32 s24, -1
	s_delay_alu instid0(VALU_DEP_2) | instskip(NEXT) | instid1(VALU_DEP_1)
	v_bcnt_u32_b32 v4, v4, 0
	v_bcnt_u32_b32 v4, 0, v4
	s_delay_alu instid0(VALU_DEP_1)
	v_cmp_gt_u64_e32 vcc_lo, v[10:11], v[4:5]
	s_and_b32 s25, s21, vcc_lo
	s_mov_b32 s21, -1
	s_and_saveexec_b32 s23, s25
	s_cbranch_execz .LBB213_568
; %bb.565:                              ;   in Loop: Header=BB213_557 Depth=1
	v_add_nc_u64_e32 v[10:11], v[8:9], v[4:5]
	s_mov_b32 s24, 0
	s_mov_b32 s21, exec_lo
	s_delay_alu instid0(VALU_DEP_1)
	v_cmpx_gt_u64_e64 s[38:39], v[10:11]
	s_cbranch_execz .LBB213_567
; %bb.566:                              ;   in Loop: Header=BB213_557 Depth=1
	s_wait_kmcnt 0x0
	v_mul_u64_e32 v[18:19], s[6:7], v[10:11]
	v_mul_u64_e32 v[10:11], s[8:9], v[10:11]
	s_mov_b32 s24, exec_lo
	s_delay_alu instid0(VALU_DEP_2) | instskip(NEXT) | instid1(VALU_DEP_2)
	v_lshl_add_u64 v[18:19], v[18:19], 1, s[12:13]
	v_lshl_add_u64 v[10:11], v[10:11], 3, s[14:15]
	global_store_b16 v[18:19], v16, off
	global_store_b64 v[10:11], v[0:1], off
.LBB213_567:                            ;   in Loop: Header=BB213_557 Depth=1
	s_wait_xcnt 0x0
	s_or_b32 exec_lo, exec_lo, s21
	s_delay_alu instid0(SALU_CYCLE_1)
	s_xor_b32 s21, exec_lo, -1
	s_or_not1_b32 s24, s24, exec_lo
.LBB213_568:                            ;   in Loop: Header=BB213_557 Depth=1
	s_or_b32 exec_lo, exec_lo, s23
	s_and_saveexec_b32 s23, s24
	s_cbranch_execz .LBB213_555
; %bb.569:                              ;   in Loop: Header=BB213_557 Depth=1
	v_cmp_le_u64_e32 vcc_lo, s[10:11], v[6:7]
	v_add_nc_u64_e32 v[2:3], s[44:45], v[2:3]
	s_or_b32 s21, s21, exec_lo
	s_or_not1_b32 s22, vcc_lo, exec_lo
	s_branch .LBB213_555
.LBB213_570:
	s_or_b32 s7, s7, exec_lo
	s_trap 2
	s_branch .LBB213_532
.LBB213_571:
	s_or_b32 exec_lo, exec_lo, s19
	s_mov_b32 s0, 0
	s_and_saveexec_b32 s2, s20
	s_delay_alu instid0(SALU_CYCLE_1)
	s_xor_b32 s2, exec_lo, s2
	s_cbranch_execnz .LBB213_577
.LBB213_572:
	s_or_b32 exec_lo, exec_lo, s2
	s_delay_alu instid0(SALU_CYCLE_1)
	s_and_b32 s0, s0, exec_lo
.LBB213_573:
	s_or_b32 exec_lo, exec_lo, s5
	s_delay_alu instid0(SALU_CYCLE_1) | instskip(SKIP_3) | instid1(SALU_CYCLE_1)
	s_and_b32 s5, s0, exec_lo
	s_and_not1_b32 s1, s1, exec_lo
	s_or_b32 exec_lo, exec_lo, s3
	s_and_saveexec_b32 s0, s1
	s_xor_b32 s0, exec_lo, s0
	s_cbranch_execz .LBB213_526
.LBB213_574:
	s_or_b32 s5, s5, exec_lo
	s_trap 2
	s_branch .LBB213_526
.LBB213_575:
	s_or_b32 s7, s7, exec_lo
	s_trap 2
	s_branch .LBB213_530
.LBB213_576:
	s_or_b32 s7, s7, exec_lo
	s_trap 2
	s_branch .LBB213_528
.LBB213_577:
	s_mov_b32 s0, exec_lo
	s_trap 2
	s_branch .LBB213_572
	.section	.rodata,"a",@progbits
	.p2align	6, 0x0
	.amdhsa_kernel _ZN2at6native6sbtopk10gatherTopKIN3c104HalfEmLin1ELb0EEEvNS_4cuda6detail10TensorInfoIKT_T0_EESA_SA_bSA_SA_NS7_IS8_SA_EESA_NS7_IlSA_EESA_PS8_
		.amdhsa_group_segment_fixed_size 5152
		.amdhsa_private_segment_fixed_size 0
		.amdhsa_kernarg_size 1568
		.amdhsa_user_sgpr_count 2
		.amdhsa_user_sgpr_dispatch_ptr 0
		.amdhsa_user_sgpr_queue_ptr 0
		.amdhsa_user_sgpr_kernarg_segment_ptr 1
		.amdhsa_user_sgpr_dispatch_id 0
		.amdhsa_user_sgpr_kernarg_preload_length 0
		.amdhsa_user_sgpr_kernarg_preload_offset 0
		.amdhsa_user_sgpr_private_segment_size 0
		.amdhsa_wavefront_size32 1
		.amdhsa_uses_dynamic_stack 0
		.amdhsa_enable_private_segment 0
		.amdhsa_system_sgpr_workgroup_id_x 1
		.amdhsa_system_sgpr_workgroup_id_y 1
		.amdhsa_system_sgpr_workgroup_id_z 1
		.amdhsa_system_sgpr_workgroup_info 0
		.amdhsa_system_vgpr_workitem_id 0
		.amdhsa_next_free_vgpr 64
		.amdhsa_next_free_sgpr 105
		.amdhsa_named_barrier_count 0
		.amdhsa_reserve_vcc 1
		.amdhsa_float_round_mode_32 0
		.amdhsa_float_round_mode_16_64 0
		.amdhsa_float_denorm_mode_32 3
		.amdhsa_float_denorm_mode_16_64 3
		.amdhsa_fp16_overflow 0
		.amdhsa_memory_ordered 1
		.amdhsa_forward_progress 1
		.amdhsa_inst_pref_size 223
		.amdhsa_round_robin_scheduling 0
		.amdhsa_exception_fp_ieee_invalid_op 0
		.amdhsa_exception_fp_denorm_src 0
		.amdhsa_exception_fp_ieee_div_zero 0
		.amdhsa_exception_fp_ieee_overflow 0
		.amdhsa_exception_fp_ieee_underflow 0
		.amdhsa_exception_fp_ieee_inexact 0
		.amdhsa_exception_int_div_zero 0
	.end_amdhsa_kernel
	.section	.text._ZN2at6native6sbtopk10gatherTopKIN3c104HalfEmLin1ELb0EEEvNS_4cuda6detail10TensorInfoIKT_T0_EESA_SA_bSA_SA_NS7_IS8_SA_EESA_NS7_IlSA_EESA_PS8_,"axG",@progbits,_ZN2at6native6sbtopk10gatherTopKIN3c104HalfEmLin1ELb0EEEvNS_4cuda6detail10TensorInfoIKT_T0_EESA_SA_bSA_SA_NS7_IS8_SA_EESA_NS7_IlSA_EESA_PS8_,comdat
.Lfunc_end213:
	.size	_ZN2at6native6sbtopk10gatherTopKIN3c104HalfEmLin1ELb0EEEvNS_4cuda6detail10TensorInfoIKT_T0_EESA_SA_bSA_SA_NS7_IS8_SA_EESA_NS7_IlSA_EESA_PS8_, .Lfunc_end213-_ZN2at6native6sbtopk10gatherTopKIN3c104HalfEmLin1ELb0EEEvNS_4cuda6detail10TensorInfoIKT_T0_EESA_SA_bSA_SA_NS7_IS8_SA_EESA_NS7_IlSA_EESA_PS8_
                                        ; -- End function
	.set _ZN2at6native6sbtopk10gatherTopKIN3c104HalfEmLin1ELb0EEEvNS_4cuda6detail10TensorInfoIKT_T0_EESA_SA_bSA_SA_NS7_IS8_SA_EESA_NS7_IlSA_EESA_PS8_.num_vgpr, 64
	.set _ZN2at6native6sbtopk10gatherTopKIN3c104HalfEmLin1ELb0EEEvNS_4cuda6detail10TensorInfoIKT_T0_EESA_SA_bSA_SA_NS7_IS8_SA_EESA_NS7_IlSA_EESA_PS8_.num_agpr, 0
	.set _ZN2at6native6sbtopk10gatherTopKIN3c104HalfEmLin1ELb0EEEvNS_4cuda6detail10TensorInfoIKT_T0_EESA_SA_bSA_SA_NS7_IS8_SA_EESA_NS7_IlSA_EESA_PS8_.numbered_sgpr, 105
	.set _ZN2at6native6sbtopk10gatherTopKIN3c104HalfEmLin1ELb0EEEvNS_4cuda6detail10TensorInfoIKT_T0_EESA_SA_bSA_SA_NS7_IS8_SA_EESA_NS7_IlSA_EESA_PS8_.num_named_barrier, 0
	.set _ZN2at6native6sbtopk10gatherTopKIN3c104HalfEmLin1ELb0EEEvNS_4cuda6detail10TensorInfoIKT_T0_EESA_SA_bSA_SA_NS7_IS8_SA_EESA_NS7_IlSA_EESA_PS8_.private_seg_size, 0
	.set _ZN2at6native6sbtopk10gatherTopKIN3c104HalfEmLin1ELb0EEEvNS_4cuda6detail10TensorInfoIKT_T0_EESA_SA_bSA_SA_NS7_IS8_SA_EESA_NS7_IlSA_EESA_PS8_.uses_vcc, 1
	.set _ZN2at6native6sbtopk10gatherTopKIN3c104HalfEmLin1ELb0EEEvNS_4cuda6detail10TensorInfoIKT_T0_EESA_SA_bSA_SA_NS7_IS8_SA_EESA_NS7_IlSA_EESA_PS8_.uses_flat_scratch, 0
	.set _ZN2at6native6sbtopk10gatherTopKIN3c104HalfEmLin1ELb0EEEvNS_4cuda6detail10TensorInfoIKT_T0_EESA_SA_bSA_SA_NS7_IS8_SA_EESA_NS7_IlSA_EESA_PS8_.has_dyn_sized_stack, 0
	.set _ZN2at6native6sbtopk10gatherTopKIN3c104HalfEmLin1ELb0EEEvNS_4cuda6detail10TensorInfoIKT_T0_EESA_SA_bSA_SA_NS7_IS8_SA_EESA_NS7_IlSA_EESA_PS8_.has_recursion, 0
	.set _ZN2at6native6sbtopk10gatherTopKIN3c104HalfEmLin1ELb0EEEvNS_4cuda6detail10TensorInfoIKT_T0_EESA_SA_bSA_SA_NS7_IS8_SA_EESA_NS7_IlSA_EESA_PS8_.has_indirect_call, 0
	.section	.AMDGPU.csdata,"",@progbits
; Kernel info:
; codeLenInByte = 28516
; TotalNumSgprs: 107
; NumVgprs: 64
; ScratchSize: 0
; MemoryBound: 0
; FloatMode: 240
; IeeeMode: 1
; LDSByteSize: 5152 bytes/workgroup (compile time only)
; SGPRBlocks: 0
; VGPRBlocks: 3
; NumSGPRsForWavesPerEU: 107
; NumVGPRsForWavesPerEU: 64
; NamedBarCnt: 0
; Occupancy: 16
; WaveLimiterHint : 1
; COMPUTE_PGM_RSRC2:SCRATCH_EN: 0
; COMPUTE_PGM_RSRC2:USER_SGPR: 2
; COMPUTE_PGM_RSRC2:TRAP_HANDLER: 0
; COMPUTE_PGM_RSRC2:TGID_X_EN: 1
; COMPUTE_PGM_RSRC2:TGID_Y_EN: 1
; COMPUTE_PGM_RSRC2:TGID_Z_EN: 1
; COMPUTE_PGM_RSRC2:TIDIG_COMP_CNT: 0
	.section	.text._ZN2at6native6mbtopk23computeBlockDigitCountsIN3c108BFloat16EmjLi1EEEvNS_4cuda6detail10TensorInfoIKT_T0_EEjPjjSA_iijT1_PSD_Ps,"axG",@progbits,_ZN2at6native6mbtopk23computeBlockDigitCountsIN3c108BFloat16EmjLi1EEEvNS_4cuda6detail10TensorInfoIKT_T0_EEjPjjSA_iijT1_PSD_Ps,comdat
	.protected	_ZN2at6native6mbtopk23computeBlockDigitCountsIN3c108BFloat16EmjLi1EEEvNS_4cuda6detail10TensorInfoIKT_T0_EEjPjjSA_iijT1_PSD_Ps ; -- Begin function _ZN2at6native6mbtopk23computeBlockDigitCountsIN3c108BFloat16EmjLi1EEEvNS_4cuda6detail10TensorInfoIKT_T0_EEjPjjSA_iijT1_PSD_Ps
	.globl	_ZN2at6native6mbtopk23computeBlockDigitCountsIN3c108BFloat16EmjLi1EEEvNS_4cuda6detail10TensorInfoIKT_T0_EEjPjjSA_iijT1_PSD_Ps
	.p2align	8
	.type	_ZN2at6native6mbtopk23computeBlockDigitCountsIN3c108BFloat16EmjLi1EEEvNS_4cuda6detail10TensorInfoIKT_T0_EEjPjjSA_iijT1_PSD_Ps,@function
_ZN2at6native6mbtopk23computeBlockDigitCountsIN3c108BFloat16EmjLi1EEEvNS_4cuda6detail10TensorInfoIKT_T0_EEjPjjSA_iijT1_PSD_Ps: ; @_ZN2at6native6mbtopk23computeBlockDigitCountsIN3c108BFloat16EmjLi1EEEvNS_4cuda6detail10TensorInfoIKT_T0_EEjPjjSA_iijT1_PSD_Ps
; %bb.0:
	s_load_b128 s[4:7], s[0:1], 0x1c0
	s_bfe_u32 s2, ttmp6, 0x40010
	s_and_b32 s8, ttmp7, 0xffff
	s_add_co_i32 s9, s2, 1
	s_bfe_u32 s10, ttmp6, 0x40004
	s_mul_i32 s9, s8, s9
	s_load_b64 s[2:3], s[0:1], 0x1e0
	s_add_co_i32 s10, s10, s9
	s_bfe_u32 s11, ttmp6, 0x4000c
	s_bfe_u32 s13, ttmp6, 0x40014
	s_add_co_i32 s11, s11, 1
	s_and_b32 s12, ttmp6, 15
	s_mul_i32 s11, ttmp9, s11
	s_add_co_i32 s13, s13, 1
	s_add_co_i32 s12, s12, s11
	s_getreg_b32 s14, hwreg(HW_REG_IB_STS2, 6, 4)
	s_wait_kmcnt 0x0
	s_cvt_f32_u32 s9, s6
	s_delay_alu instid0(SALU_CYCLE_3) | instskip(SKIP_1) | instid1(SALU_CYCLE_1)
	v_rcp_iflag_f32_e32 v1, s9
	s_lshr_b32 s9, ttmp7, 16
	s_mul_i32 s11, s9, s13
	s_bfe_u32 s13, ttmp6, 0x40008
	s_delay_alu instid0(SALU_CYCLE_1) | instskip(SKIP_1) | instid1(TRANS32_DEP_1)
	s_add_co_i32 s13, s13, s11
	v_nop
	v_readfirstlane_b32 s15, v1
	s_cmp_eq_u32 s14, 0
	s_cselect_b32 s9, s9, s13
	s_load_b32 s13, s[0:1], 0x1b0
	s_mul_f32 s11, s15, 0x4f7ffffe
	s_mul_i32 s3, s3, s9
	s_cselect_b32 s9, ttmp9, s12
	s_cselect_b32 s8, s8, s10
	s_cvt_u32_f32 s11, s11
	s_sub_co_i32 s10, 0, s6
	s_add_co_i32 s3, s3, s8
	s_delay_alu instid0(SALU_CYCLE_1) | instskip(SKIP_3) | instid1(SALU_CYCLE_1)
	s_mul_i32 s16, s3, s2
	s_mul_i32 s10, s10, s11
	s_add_co_i32 s16, s16, s9
	s_mul_hi_u32 s2, s11, s10
	s_add_co_i32 s11, s11, s2
	s_delay_alu instid0(SALU_CYCLE_1) | instskip(NEXT) | instid1(SALU_CYCLE_1)
	s_mul_hi_u32 s2, s16, s11
	s_mul_i32 s3, s2, s6
	s_add_co_i32 s8, s2, 1
	s_sub_co_i32 s3, s16, s3
	s_delay_alu instid0(SALU_CYCLE_1)
	s_sub_co_i32 s9, s3, s6
	s_cmp_ge_u32 s3, s6
	s_cselect_b32 s2, s8, s2
	s_cselect_b32 s3, s9, s3
	s_add_co_i32 s8, s2, 1
	s_cmp_ge_u32 s3, s6
	s_cselect_b32 s12, s8, s2
	s_wait_kmcnt 0x0
	s_cmp_ge_u32 s12, s13
	s_mov_b32 s13, 0
	s_cbranch_scc1 .LBB214_21
; %bb.1:
	v_cmp_gt_u32_e32 vcc_lo, 0x100, v0
	v_lshlrev_b32_e32 v1, 2, v0
	s_and_saveexec_b32 s2, vcc_lo
; %bb.2:
	v_mov_b32_e32 v2, 0
	ds_store_b32 v1, v2
; %bb.3:
	s_or_b32 exec_lo, exec_lo, s2
	s_clause 0x1
	s_load_b32 s17, s[0:1], 0x1a0
	s_load_b128 s[8:11], s[0:1], 0x1d0
	s_mul_i32 s2, s12, s6
	s_mov_b32 s15, 0
	s_sub_co_i32 s19, s16, s2
	s_wait_dscnt 0x0
	s_mul_i32 s2, s5, s19
	s_add_co_i32 s19, s19, 1
	s_lshl_b32 s18, s2, 8
	s_barrier_signal -1
	s_barrier_wait -1
	s_wait_kmcnt 0x0
	s_sub_co_i32 s14, s17, s18
	s_delay_alu instid0(SALU_CYCLE_1) | instskip(NEXT) | instid1(SALU_CYCLE_1)
	s_add_nc_u64 s[2:3], s[14:15], 0xff
	s_lshr_b64 s[2:3], s[2:3], 8
	s_cmp_lt_u32 s19, s6
	s_cselect_b32 s14, s5, s2
	s_delay_alu instid0(SALU_CYCLE_1)
	s_cmp_lt_i32 s14, 1
	s_cbranch_scc1 .LBB214_19
; %bb.4:
	s_clause 0x2
	s_load_b64 s[20:21], s[0:1], 0xd0
	s_load_b64 s[2:3], s[0:1], 0x1b8
	;; [unrolled: 1-line block ×3, first 2 shown]
	s_load_b32 s6, s[8:9], s12 offset:0x0 scale_offset
	v_add_nc_u32_e32 v6, s18, v0
	s_wait_kmcnt 0x0
	s_mul_u64 s[0:1], s[20:21], s[12:13]
	s_delay_alu instid0(SALU_CYCLE_1)
	s_lshl_b64 s[8:9], s[0:1], 1
	s_and_b32 s1, s4, 0xff
	s_cmp_eq_u32 s14, 1
	s_add_nc_u64 s[4:5], s[22:23], s[8:9]
	s_cbranch_scc1 .LBB214_14
; %bb.5:
	v_dual_mov_b32 v3, 0 :: v_dual_mov_b32 v7, 1
	v_mov_b32_e32 v8, 0x8000
	v_mov_b32_e32 v2, v6
	s_and_b32 s8, s14, 0x7ffffffe
	s_mov_b32 s9, 0
	s_branch .LBB214_7
.LBB214_6:                              ;   in Loop: Header=BB214_7 Depth=1
	s_or_b32 exec_lo, exec_lo, s12
	v_add_nc_u32_e32 v2, 0x200, v2
	s_add_co_i32 s9, s9, 2
	s_delay_alu instid0(SALU_CYCLE_1)
	s_cmp_eq_u32 s8, s9
	s_cbranch_scc1 .LBB214_13
.LBB214_7:                              ; =>This Inner Loop Header: Depth=1
	s_mov_b32 s12, exec_lo
	v_cmpx_gt_u32_e64 s17, v2
	s_cbranch_execz .LBB214_10
; %bb.8:                                ;   in Loop: Header=BB214_7 Depth=1
	v_mul_u64_e32 v[4:5], s[2:3], v[2:3]
	s_delay_alu instid0(VALU_DEP_1)
	v_lshl_add_u64 v[4:5], v[4:5], 1, s[4:5]
	global_load_u16 v4, v[4:5], off
	s_wait_loadcnt 0x0
	v_cmp_lt_i16_e64 s0, -1, v4
	s_wait_xcnt 0x0
	v_and_b32_e32 v5, 0xffff, v4
	s_delay_alu instid0(VALU_DEP_2) | instskip(NEXT) | instid1(VALU_DEP_1)
	v_cndmask_b32_e64 v9, 0xffff, v8, s0
	v_dual_lshlrev_b32 v4, 16, v4 :: v_dual_bitop2_b32 v5, v9, v5 bitop3:0x14
	s_delay_alu instid0(VALU_DEP_1) | instskip(NEXT) | instid1(VALU_DEP_1)
	v_cmp_o_f32_e64 s0, v4, v4
	v_cndmask_b32_e64 v4, 0xffff, v5, s0
	s_delay_alu instid0(VALU_DEP_1) | instskip(NEXT) | instid1(VALU_DEP_1)
	v_bitop3_b32 v5, v4, s7, s6 bitop3:0x48
	v_cmp_eq_u32_e64 s0, 0, v5
	s_and_b32 exec_lo, exec_lo, s0
; %bb.9:                                ;   in Loop: Header=BB214_7 Depth=1
	v_bfe_u32 v4, v4, s1, 8
	s_delay_alu instid0(VALU_DEP_1)
	v_lshlrev_b32_e32 v4, 2, v4
	ds_add_u32 v4, v7
.LBB214_10:                             ;   in Loop: Header=BB214_7 Depth=1
	s_or_b32 exec_lo, exec_lo, s12
	v_add_nc_u32_e32 v4, 0x100, v2
	s_mov_b32 s12, exec_lo
	s_delay_alu instid0(VALU_DEP_1)
	v_cmpx_gt_u32_e64 s17, v4
	s_cbranch_execz .LBB214_6
; %bb.11:                               ;   in Loop: Header=BB214_7 Depth=1
	v_mov_b32_e32 v5, v3
	s_delay_alu instid0(VALU_DEP_1) | instskip(NEXT) | instid1(VALU_DEP_1)
	v_mul_u64_e32 v[4:5], s[2:3], v[4:5]
	v_lshl_add_u64 v[4:5], v[4:5], 1, s[4:5]
	global_load_u16 v4, v[4:5], off
	s_wait_loadcnt 0x0
	v_cmp_lt_i16_e64 s0, -1, v4
	v_and_b32_e32 v5, 0xffff, v4
	v_lshlrev_b32_e32 v4, 16, v4
	s_delay_alu instid0(VALU_DEP_3) | instskip(NEXT) | instid1(VALU_DEP_2)
	v_cndmask_b32_e64 v9, 0xffff, v8, s0
	v_cmp_o_f32_e64 s0, v4, v4
	s_delay_alu instid0(VALU_DEP_2) | instskip(NEXT) | instid1(VALU_DEP_1)
	v_xor_b32_e32 v5, v9, v5
	v_cndmask_b32_e64 v4, 0xffff, v5, s0
	s_delay_alu instid0(VALU_DEP_1) | instskip(NEXT) | instid1(VALU_DEP_1)
	v_bitop3_b32 v5, v4, s7, s6 bitop3:0x48
	v_cmp_eq_u32_e64 s0, 0, v5
	s_and_b32 exec_lo, exec_lo, s0
	s_cbranch_execz .LBB214_6
; %bb.12:                               ;   in Loop: Header=BB214_7 Depth=1
	v_bfe_u32 v4, v4, s1, 8
	s_delay_alu instid0(VALU_DEP_1)
	v_lshlrev_b32_e32 v4, 2, v4
	ds_add_u32 v4, v7
	s_branch .LBB214_6
.LBB214_13:
	s_lshl_b32 s15, s8, 8
.LBB214_14:
	s_bitcmp0_b32 s14, 0
	s_cbranch_scc1 .LBB214_19
; %bb.15:
	v_add_nc_u32_e32 v2, s15, v6
	s_mov_b32 s8, exec_lo
	s_delay_alu instid0(VALU_DEP_1)
	v_cmpx_gt_u32_e64 s17, v2
	s_cbranch_execz .LBB214_18
; %bb.16:
	v_mov_b32_e32 v3, 0
	s_delay_alu instid0(VALU_DEP_1) | instskip(NEXT) | instid1(VALU_DEP_1)
	v_mul_u64_e32 v[2:3], s[2:3], v[2:3]
	v_lshl_add_u64 v[2:3], v[2:3], 1, s[4:5]
	global_load_u16 v2, v[2:3], off
	s_wait_xcnt 0x0
	v_mov_b32_e32 v3, 0x8000
	s_wait_loadcnt 0x0
	v_cmp_lt_i16_e64 s0, -1, v2
	v_and_b32_e32 v4, 0xffff, v2
	v_lshlrev_b32_e32 v2, 16, v2
	s_delay_alu instid0(VALU_DEP_3) | instskip(NEXT) | instid1(VALU_DEP_2)
	v_cndmask_b32_e64 v3, 0xffff, v3, s0
	v_cmp_o_f32_e64 s0, v2, v2
	s_delay_alu instid0(VALU_DEP_2) | instskip(NEXT) | instid1(VALU_DEP_1)
	v_xor_b32_e32 v3, v3, v4
	v_cndmask_b32_e64 v2, 0xffff, v3, s0
	s_delay_alu instid0(VALU_DEP_1) | instskip(NEXT) | instid1(VALU_DEP_1)
	v_bitop3_b32 v3, v2, s7, s6 bitop3:0x48
	v_cmp_eq_u32_e64 s0, 0, v3
	s_and_b32 exec_lo, exec_lo, s0
; %bb.17:
	v_bfe_u32 v2, v2, s1, 8
	s_delay_alu instid0(VALU_DEP_1)
	v_dual_mov_b32 v3, 1 :: v_dual_lshlrev_b32 v2, 2, v2
	ds_add_u32 v2, v3
.LBB214_18:
	s_or_b32 exec_lo, exec_lo, s8
.LBB214_19:
	s_wait_dscnt 0x0
	s_barrier_signal -1
	s_barrier_wait -1
	s_and_saveexec_b32 s0, vcc_lo
	s_cbranch_execz .LBB214_21
; %bb.20:
	ds_load_b32 v1, v1
	v_lshl_or_b32 v0, s16, 8, v0
	s_wait_dscnt 0x0
	global_store_b16 v0, v1, s[10:11] scale_offset
.LBB214_21:
	s_endpgm
	.section	.rodata,"a",@progbits
	.p2align	6, 0x0
	.amdhsa_kernel _ZN2at6native6mbtopk23computeBlockDigitCountsIN3c108BFloat16EmjLi1EEEvNS_4cuda6detail10TensorInfoIKT_T0_EEjPjjSA_iijT1_PSD_Ps
		.amdhsa_group_segment_fixed_size 1024
		.amdhsa_private_segment_fixed_size 0
		.amdhsa_kernarg_size 736
		.amdhsa_user_sgpr_count 2
		.amdhsa_user_sgpr_dispatch_ptr 0
		.amdhsa_user_sgpr_queue_ptr 0
		.amdhsa_user_sgpr_kernarg_segment_ptr 1
		.amdhsa_user_sgpr_dispatch_id 0
		.amdhsa_user_sgpr_kernarg_preload_length 0
		.amdhsa_user_sgpr_kernarg_preload_offset 0
		.amdhsa_user_sgpr_private_segment_size 0
		.amdhsa_wavefront_size32 1
		.amdhsa_uses_dynamic_stack 0
		.amdhsa_enable_private_segment 0
		.amdhsa_system_sgpr_workgroup_id_x 1
		.amdhsa_system_sgpr_workgroup_id_y 1
		.amdhsa_system_sgpr_workgroup_id_z 1
		.amdhsa_system_sgpr_workgroup_info 0
		.amdhsa_system_vgpr_workitem_id 0
		.amdhsa_next_free_vgpr 10
		.amdhsa_next_free_sgpr 24
		.amdhsa_named_barrier_count 0
		.amdhsa_reserve_vcc 1
		.amdhsa_float_round_mode_32 0
		.amdhsa_float_round_mode_16_64 0
		.amdhsa_float_denorm_mode_32 3
		.amdhsa_float_denorm_mode_16_64 3
		.amdhsa_fp16_overflow 0
		.amdhsa_memory_ordered 1
		.amdhsa_forward_progress 1
		.amdhsa_inst_pref_size 10
		.amdhsa_round_robin_scheduling 0
		.amdhsa_exception_fp_ieee_invalid_op 0
		.amdhsa_exception_fp_denorm_src 0
		.amdhsa_exception_fp_ieee_div_zero 0
		.amdhsa_exception_fp_ieee_overflow 0
		.amdhsa_exception_fp_ieee_underflow 0
		.amdhsa_exception_fp_ieee_inexact 0
		.amdhsa_exception_int_div_zero 0
	.end_amdhsa_kernel
	.section	.text._ZN2at6native6mbtopk23computeBlockDigitCountsIN3c108BFloat16EmjLi1EEEvNS_4cuda6detail10TensorInfoIKT_T0_EEjPjjSA_iijT1_PSD_Ps,"axG",@progbits,_ZN2at6native6mbtopk23computeBlockDigitCountsIN3c108BFloat16EmjLi1EEEvNS_4cuda6detail10TensorInfoIKT_T0_EEjPjjSA_iijT1_PSD_Ps,comdat
.Lfunc_end214:
	.size	_ZN2at6native6mbtopk23computeBlockDigitCountsIN3c108BFloat16EmjLi1EEEvNS_4cuda6detail10TensorInfoIKT_T0_EEjPjjSA_iijT1_PSD_Ps, .Lfunc_end214-_ZN2at6native6mbtopk23computeBlockDigitCountsIN3c108BFloat16EmjLi1EEEvNS_4cuda6detail10TensorInfoIKT_T0_EEjPjjSA_iijT1_PSD_Ps
                                        ; -- End function
	.set _ZN2at6native6mbtopk23computeBlockDigitCountsIN3c108BFloat16EmjLi1EEEvNS_4cuda6detail10TensorInfoIKT_T0_EEjPjjSA_iijT1_PSD_Ps.num_vgpr, 10
	.set _ZN2at6native6mbtopk23computeBlockDigitCountsIN3c108BFloat16EmjLi1EEEvNS_4cuda6detail10TensorInfoIKT_T0_EEjPjjSA_iijT1_PSD_Ps.num_agpr, 0
	.set _ZN2at6native6mbtopk23computeBlockDigitCountsIN3c108BFloat16EmjLi1EEEvNS_4cuda6detail10TensorInfoIKT_T0_EEjPjjSA_iijT1_PSD_Ps.numbered_sgpr, 24
	.set _ZN2at6native6mbtopk23computeBlockDigitCountsIN3c108BFloat16EmjLi1EEEvNS_4cuda6detail10TensorInfoIKT_T0_EEjPjjSA_iijT1_PSD_Ps.num_named_barrier, 0
	.set _ZN2at6native6mbtopk23computeBlockDigitCountsIN3c108BFloat16EmjLi1EEEvNS_4cuda6detail10TensorInfoIKT_T0_EEjPjjSA_iijT1_PSD_Ps.private_seg_size, 0
	.set _ZN2at6native6mbtopk23computeBlockDigitCountsIN3c108BFloat16EmjLi1EEEvNS_4cuda6detail10TensorInfoIKT_T0_EEjPjjSA_iijT1_PSD_Ps.uses_vcc, 1
	.set _ZN2at6native6mbtopk23computeBlockDigitCountsIN3c108BFloat16EmjLi1EEEvNS_4cuda6detail10TensorInfoIKT_T0_EEjPjjSA_iijT1_PSD_Ps.uses_flat_scratch, 0
	.set _ZN2at6native6mbtopk23computeBlockDigitCountsIN3c108BFloat16EmjLi1EEEvNS_4cuda6detail10TensorInfoIKT_T0_EEjPjjSA_iijT1_PSD_Ps.has_dyn_sized_stack, 0
	.set _ZN2at6native6mbtopk23computeBlockDigitCountsIN3c108BFloat16EmjLi1EEEvNS_4cuda6detail10TensorInfoIKT_T0_EEjPjjSA_iijT1_PSD_Ps.has_recursion, 0
	.set _ZN2at6native6mbtopk23computeBlockDigitCountsIN3c108BFloat16EmjLi1EEEvNS_4cuda6detail10TensorInfoIKT_T0_EEjPjjSA_iijT1_PSD_Ps.has_indirect_call, 0
	.section	.AMDGPU.csdata,"",@progbits
; Kernel info:
; codeLenInByte = 1172
; TotalNumSgprs: 26
; NumVgprs: 10
; ScratchSize: 0
; MemoryBound: 0
; FloatMode: 240
; IeeeMode: 1
; LDSByteSize: 1024 bytes/workgroup (compile time only)
; SGPRBlocks: 0
; VGPRBlocks: 0
; NumSGPRsForWavesPerEU: 26
; NumVGPRsForWavesPerEU: 10
; NamedBarCnt: 0
; Occupancy: 16
; WaveLimiterHint : 1
; COMPUTE_PGM_RSRC2:SCRATCH_EN: 0
; COMPUTE_PGM_RSRC2:USER_SGPR: 2
; COMPUTE_PGM_RSRC2:TRAP_HANDLER: 0
; COMPUTE_PGM_RSRC2:TGID_X_EN: 1
; COMPUTE_PGM_RSRC2:TGID_Y_EN: 1
; COMPUTE_PGM_RSRC2:TGID_Z_EN: 1
; COMPUTE_PGM_RSRC2:TIDIG_COMP_CNT: 0
	.section	.text._ZN2at6native6mbtopk10gatherTopKIN3c108BFloat16EmLi1EEEvNS_4cuda6detail10TensorInfoIKT_T0_EESA_SA_bjSA_NS7_IS8_SA_EESA_NS7_IlSA_EESA_jjPS8_PjSF_j,"axG",@progbits,_ZN2at6native6mbtopk10gatherTopKIN3c108BFloat16EmLi1EEEvNS_4cuda6detail10TensorInfoIKT_T0_EESA_SA_bjSA_NS7_IS8_SA_EESA_NS7_IlSA_EESA_jjPS8_PjSF_j,comdat
	.protected	_ZN2at6native6mbtopk10gatherTopKIN3c108BFloat16EmLi1EEEvNS_4cuda6detail10TensorInfoIKT_T0_EESA_SA_bjSA_NS7_IS8_SA_EESA_NS7_IlSA_EESA_jjPS8_PjSF_j ; -- Begin function _ZN2at6native6mbtopk10gatherTopKIN3c108BFloat16EmLi1EEEvNS_4cuda6detail10TensorInfoIKT_T0_EESA_SA_bjSA_NS7_IS8_SA_EESA_NS7_IlSA_EESA_jjPS8_PjSF_j
	.globl	_ZN2at6native6mbtopk10gatherTopKIN3c108BFloat16EmLi1EEEvNS_4cuda6detail10TensorInfoIKT_T0_EESA_SA_bjSA_NS7_IS8_SA_EESA_NS7_IlSA_EESA_jjPS8_PjSF_j
	.p2align	8
	.type	_ZN2at6native6mbtopk10gatherTopKIN3c108BFloat16EmLi1EEEvNS_4cuda6detail10TensorInfoIKT_T0_EESA_SA_bjSA_NS7_IS8_SA_EESA_NS7_IlSA_EESA_jjPS8_PjSF_j,@function
_ZN2at6native6mbtopk10gatherTopKIN3c108BFloat16EmLi1EEEvNS_4cuda6detail10TensorInfoIKT_T0_EESA_SA_bjSA_NS7_IS8_SA_EESA_NS7_IlSA_EESA_jjPS8_PjSF_j: ; @_ZN2at6native6mbtopk10gatherTopKIN3c108BFloat16EmLi1EEEvNS_4cuda6detail10TensorInfoIKT_T0_EESA_SA_bjSA_NS7_IS8_SA_EESA_NS7_IlSA_EESA_jjPS8_PjSF_j
; %bb.0:
	s_bfe_u32 s2, ttmp6, 0x40010
	s_and_b32 s4, ttmp7, 0xffff
	s_add_co_i32 s5, s2, 1
	s_clause 0x1
	s_load_b32 s6, s[0:1], 0x530
	s_load_b64 s[2:3], s[0:1], 0x538
	s_bfe_u32 s8, ttmp6, 0x4000c
	s_mul_i32 s5, s4, s5
	s_bfe_u32 s7, ttmp6, 0x40004
	s_add_co_i32 s8, s8, 1
	s_bfe_u32 s9, ttmp6, 0x40014
	s_add_co_i32 s7, s7, s5
	s_and_b32 s5, ttmp6, 15
	s_mul_i32 s8, ttmp9, s8
	s_lshr_b32 s10, ttmp7, 16
	s_add_co_i32 s9, s9, 1
	s_add_co_i32 s5, s5, s8
	s_mul_i32 s8, s10, s9
	s_bfe_u32 s9, ttmp6, 0x40008
	s_getreg_b32 s11, hwreg(HW_REG_IB_STS2, 6, 4)
	s_add_co_i32 s9, s9, s8
	s_cmp_eq_u32 s11, 0
	s_cselect_b32 s8, s10, s9
	s_cselect_b32 s4, s4, s7
	s_wait_kmcnt 0x0
	s_mul_i32 s3, s3, s8
	s_cselect_b32 s5, ttmp9, s5
	s_add_co_i32 s3, s3, s4
	s_delay_alu instid0(SALU_CYCLE_1) | instskip(NEXT) | instid1(SALU_CYCLE_1)
	s_mul_i32 s2, s3, s2
	s_add_co_i32 s2, s2, s5
	s_delay_alu instid0(SALU_CYCLE_1)
	s_cmp_ge_u32 s2, s6
	s_cbranch_scc1 .LBB215_42
; %bb.1:
	s_load_b64 s[16:17], s[0:1], 0x510
	s_wait_kmcnt 0x0
	s_cvt_f32_u32 s3, s17
	s_sub_co_i32 s4, 0, s17
	s_lshl_b32 s28, s16, 8
	s_delay_alu instid0(SALU_CYCLE_1) | instskip(SKIP_1) | instid1(TRANS32_DEP_1)
	v_rcp_iflag_f32_e32 v1, s3
	v_nop
	v_readfirstlane_b32 s3, v1
	s_mul_f32 s3, s3, 0x4f7ffffe
	s_delay_alu instid0(SALU_CYCLE_3) | instskip(NEXT) | instid1(SALU_CYCLE_3)
	s_cvt_u32_f32 s3, s3
	s_mul_i32 s4, s4, s3
	s_delay_alu instid0(SALU_CYCLE_1) | instskip(NEXT) | instid1(SALU_CYCLE_1)
	s_mul_hi_u32 s4, s3, s4
	s_add_co_i32 s3, s3, s4
	s_load_b128 s[4:7], s[0:1], 0x1a0
	s_mul_hi_u32 s3, s2, s3
	s_delay_alu instid0(SALU_CYCLE_1) | instskip(SKIP_2) | instid1(SALU_CYCLE_1)
	s_mul_i32 s8, s3, s17
	s_add_co_i32 s9, s3, 1
	s_sub_co_i32 s8, s2, s8
	s_sub_co_i32 s10, s8, s17
	s_cmp_ge_u32 s8, s17
	s_cselect_b32 s3, s9, s3
	s_cselect_b32 s8, s10, s8
	s_add_co_i32 s9, s3, 1
	s_cmp_ge_u32 s8, s17
	s_cselect_b32 s18, s9, s3
	s_delay_alu instid0(SALU_CYCLE_1) | instskip(NEXT) | instid1(SALU_CYCLE_1)
	s_mul_i32 s12, s18, s17
	s_sub_co_i32 s29, s2, s12
	s_delay_alu instid0(SALU_CYCLE_1) | instskip(NEXT) | instid1(SALU_CYCLE_1)
	s_add_co_i32 s2, s29, 1
	s_cmp_lt_u32 s2, s17
	s_cbranch_scc1 .LBB215_3
; %bb.2:
	s_mul_i32 s2, s29, s28
	s_mov_b32 s3, 0
	s_wait_kmcnt 0x0
	s_sub_nc_u64 s[8:9], s[4:5], s[2:3]
	s_delay_alu instid0(SALU_CYCLE_1) | instskip(NEXT) | instid1(SALU_CYCLE_1)
	s_add_nc_u64 s[8:9], s[8:9], 0xff
	s_ashr_i32 s2, s9, 31
	s_delay_alu instid0(SALU_CYCLE_1) | instskip(NEXT) | instid1(SALU_CYCLE_1)
	s_lshr_b32 s2, s2, 24
	s_add_nc_u64 s[2:3], s[8:9], s[2:3]
	s_delay_alu instid0(SALU_CYCLE_1) | instskip(NEXT) | instid1(SALU_CYCLE_1)
	s_lshr_b64 s[2:3], s[2:3], 8
	s_mov_b32 s16, s2
.LBB215_3:
	s_load_b128 s[8:11], s[0:1], 0x518
	v_mov_b32_e32 v1, s18
	v_cmp_ne_u32_e64 s2, 0, v0
	v_cmp_eq_u32_e64 s3, 0, v0
	s_mov_b32 s19, 0
	s_wait_kmcnt 0x0
	global_load_u16 v1, v1, s[8:9] scale_offset
	s_wait_loadcnt 0x0
	v_readfirstlane_b32 s30, v1
	s_and_saveexec_b32 s26, s3
	s_cbranch_execz .LBB215_19
; %bb.4:
	s_load_b64 s[20:21], s[0:1], 0x528
	s_mov_b32 s13, s19
	s_delay_alu instid0(SALU_CYCLE_1)
	s_lshl_b64 s[22:23], s[12:13], 2
	s_cmp_lt_u32 s17, 4
	s_cbranch_scc1 .LBB215_16
; %bb.5:
	s_mov_b32 s27, 0
	s_mov_b64 s[8:9], 0
	s_mov_b32 s31, 0
.LBB215_6:                              ; =>This Inner Loop Header: Depth=1
	s_add_nc_u64 s[24:25], s[10:11], s[22:23]
	s_cmp_ge_u32 s31, s29
	s_load_b128 s[12:15], s[24:25], 0x0
	s_wait_kmcnt 0x0
	s_add_nc_u64 s[24:25], s[20:21], s[22:23]
	s_cbranch_scc0 .LBB215_13
; %bb.7:                                ;   in Loop: Header=BB215_6 Depth=1
	s_add_co_i32 s33, s31, 1
	s_delay_alu instid0(SALU_CYCLE_1)
	s_cmp_ge_u32 s33, s29
	s_cbranch_scc0 .LBB215_14
.LBB215_8:                              ;   in Loop: Header=BB215_6 Depth=1
	s_add_co_i32 s33, s33, 1
	s_delay_alu instid0(SALU_CYCLE_1)
	s_cmp_ge_u32 s33, s29
	s_cbranch_scc0 .LBB215_15
.LBB215_9:                              ;   in Loop: Header=BB215_6 Depth=1
	s_add_co_i32 s33, s33, 1
	s_delay_alu instid0(SALU_CYCLE_1)
	s_cmp_ge_u32 s33, s29
	s_cbranch_scc1 .LBB215_11
.LBB215_10:                             ;   in Loop: Header=BB215_6 Depth=1
	s_load_b32 s24, s[24:25], 0xc
	s_add_co_i32 s9, s15, s9
	s_wait_kmcnt 0x0
	s_add_co_i32 s8, s24, s8
.LBB215_11:                             ;   in Loop: Header=BB215_6 Depth=1
	s_add_co_i32 s12, s12, s27
	s_add_nc_u64 s[10:11], s[10:11], 16
	s_add_co_i32 s12, s12, s13
	s_add_co_i32 s13, s33, 4
	;; [unrolled: 1-line block ×3, first 2 shown]
	s_add_nc_u64 s[20:21], s[20:21], 16
	s_add_co_i32 s27, s12, s15
	s_add_co_i32 s12, s33, 1
	s_cmp_ge_u32 s13, s17
	s_cbranch_scc1 .LBB215_17
; %bb.12:                               ;   in Loop: Header=BB215_6 Depth=1
	s_mov_b32 s31, s12
	s_branch .LBB215_6
.LBB215_13:                             ;   in Loop: Header=BB215_6 Depth=1
	s_load_b32 s33, s[24:25], 0x0
	s_add_co_i32 s9, s12, s9
	s_wait_kmcnt 0x0
	s_add_co_i32 s8, s33, s8
	s_add_co_i32 s33, s31, 1
	s_delay_alu instid0(SALU_CYCLE_1)
	s_cmp_ge_u32 s33, s29
	s_cbranch_scc1 .LBB215_8
.LBB215_14:                             ;   in Loop: Header=BB215_6 Depth=1
	s_load_b32 s34, s[24:25], 0x4
	s_add_co_i32 s9, s13, s9
	s_wait_kmcnt 0x0
	s_add_co_i32 s8, s34, s8
	s_add_co_i32 s33, s33, 1
	s_delay_alu instid0(SALU_CYCLE_1)
	s_cmp_ge_u32 s33, s29
	s_cbranch_scc1 .LBB215_9
.LBB215_15:                             ;   in Loop: Header=BB215_6 Depth=1
	s_load_b32 s34, s[24:25], 0x8
	s_add_co_i32 s9, s14, s9
	s_wait_kmcnt 0x0
	s_add_co_i32 s8, s34, s8
	s_add_co_i32 s33, s33, 1
	s_delay_alu instid0(SALU_CYCLE_1)
	s_cmp_ge_u32 s33, s29
	s_cbranch_scc0 .LBB215_10
	s_branch .LBB215_11
.LBB215_16:
	s_mov_b64 s[8:9], 0
	s_add_nc_u64 s[10:11], s[10:11], s[22:23]
	s_wait_kmcnt 0x0
	s_add_nc_u64 s[12:13], s[20:21], s[22:23]
	s_mov_b32 s27, s19
	s_mov_b32 s14, s19
	s_delay_alu instid0(SALU_CYCLE_1)
	s_cmp_ge_u32 s14, s17
	s_cbranch_scc0 .LBB215_40
	s_branch .LBB215_18
.LBB215_17:
	s_add_co_i32 s14, s31, 4
	s_add_nc_u64 s[12:13], s[20:21], s[22:23]
	s_add_nc_u64 s[10:11], s[10:11], s[22:23]
	s_cmp_ge_u32 s14, s17
	s_cbranch_scc0 .LBB215_40
.LBB215_18:
	v_dual_mov_b32 v2, s8 :: v_dual_mov_b32 v3, s27
	v_dual_mov_b32 v4, s9 :: v_dual_mov_b32 v1, 0
	ds_store_b96 v1, v[2:4] offset:1056
.LBB215_19:
	s_or_b32 exec_lo, exec_lo, s26
	s_clause 0x5
	s_load_b64 s[20:21], s[0:1], 0x0
	s_load_b64 s[22:23], s[0:1], 0xd0
	s_load_b128 s[8:11], s[0:1], 0x1b8
	s_load_b64 s[24:25], s[0:1], 0x290
	s_load_b128 s[12:15], s[0:1], 0x360
	s_load_b64 s[26:27], s[0:1], 0x438
	s_cmp_eq_u32 s16, 0
	s_wait_dscnt 0x0
	s_barrier_signal -1
	s_barrier_wait -1
	s_cbranch_scc1 .LBB215_42
; %bb.20:
	v_dual_mov_b32 v1, 0 :: v_dual_lshrrev_b32 v5, 3, v0
	s_wait_kmcnt 0x0
	s_mul_u64 s[22:23], s[22:23], s[18:19]
	s_mul_u64 s[24:25], s[24:25], s[18:19]
	;; [unrolled: 1-line block ×3, first 2 shown]
	ds_load_b96 v[2:4], v1 offset:1056
	s_clause 0x1
	s_load_b32 s34, s[0:1], 0x1b0
	s_load_b64 s[18:19], s[0:1], 0x508
	s_sext_i32_i16 s31, s30
	s_and_b32 s17, 0xffff, s30
	s_wait_xcnt 0x0
	s_lshl_b64 s[0:1], s[22:23], 1
	s_lshl_b64 s[22:23], s[24:25], 1
	;; [unrolled: 1-line block ×3, first 2 shown]
	s_mov_b32 s33, 0x8000
	v_dual_add_nc_u32 v6, -1, v0 :: v_dual_bitop2_b32 v5, 28, v5 bitop3:0x40
	s_cmp_gt_i32 s31, -1
	s_add_nc_u64 s[20:21], s[20:21], s[0:1]
	s_cselect_b32 s0, s33, 0xffff
	s_lshl_b32 s1, s30, 16
	s_xor_b32 s0, s0, s17
	s_cmp_o_f32 s1, s1
	v_lshrrev_b32_e32 v7, 3, v6
	v_lshl_add_u32 v5, v0, 2, v5
	v_lshlrev_b32_e32 v10, 5, v0
	s_cselect_b32 s17, s0, 0xffff
	s_wait_dscnt 0x0
	v_add_nc_u32_e32 v2, v2, v3
	v_and_b32_e32 v3, 0xfc, v0
	v_cmp_gt_u32_e64 s0, 32, v0
	v_mad_u32 v0, s29, s28, v0
	v_and_b32_e32 v7, 0x1ffffffc, v7
	v_mbcnt_lo_u32_b32 v8, -1, 0
	v_add_nc_u32_e32 v10, v3, v10
	v_mov_b32_e32 v14, 0x8000
	s_wait_kmcnt 0x0
	s_bitcmp1_b32 s34, 0
	v_lshl_add_u32 v9, v6, 2, v7
	v_and_b32_e32 v11, 15, v8
	v_bfe_i32 v12, v8, 4, 1
	v_add_nc_u32_e32 v13, -1, v8
	s_add_nc_u64 s[10:11], s[10:11], s[22:23]
	s_add_nc_u64 s[14:15], s[14:15], s[24:25]
	s_cselect_b32 s1, -1, 0
                                        ; implicit-def: $vgpr15
	s_branch .LBB215_23
.LBB215_21:                             ;   in Loop: Header=BB215_23 Depth=1
	s_wait_xcnt 0x0
	s_or_b32 exec_lo, exec_lo, s22
	v_add_nc_u32_e32 v2, v3, v2
.LBB215_22:                             ;   in Loop: Header=BB215_23 Depth=1
	v_add_nc_u32_e32 v4, v16, v4
	v_add_nc_u32_e32 v0, 0x100, v0
	s_add_co_i32 s16, s16, -1
	s_delay_alu instid0(SALU_CYCLE_1)
	s_cmp_lg_u32 s16, 0
	s_cbranch_scc0 .LBB215_42
.LBB215_23:                             ; =>This Inner Loop Header: Depth=1
	v_dual_mov_b32 v3, v1 :: v_dual_mov_b32 v6, v1
	s_mov_b32 s22, exec_lo
	v_cmpx_gt_u64_e64 s[4:5], v[0:1]
	s_cbranch_execz .LBB215_25
; %bb.24:                               ;   in Loop: Header=BB215_23 Depth=1
	v_mul_u64_e32 v[6:7], s[8:9], v[0:1]
	s_delay_alu instid0(VALU_DEP_1)
	v_lshl_add_u64 v[6:7], v[6:7], 1, s[20:21]
	global_load_u16 v15, v[6:7], off
	s_wait_loadcnt 0x0
	v_cmp_lt_i16_e32 vcc_lo, -1, v15
	v_and_b32_e32 v3, 0xffff, v15
	s_wait_xcnt 0x0
	v_dual_cndmask_b32 v6, 0xffff, v14 :: v_dual_lshlrev_b32 v7, 16, v15
	s_delay_alu instid0(VALU_DEP_1) | instskip(NEXT) | instid1(VALU_DEP_2)
	v_cmp_o_f32_e32 vcc_lo, v7, v7
	v_xor_b32_e32 v3, v6, v3
	s_delay_alu instid0(VALU_DEP_1) | instskip(NEXT) | instid1(VALU_DEP_1)
	v_cndmask_b32_e32 v6, 0xffff, v3, vcc_lo
	v_cmp_lt_u32_e32 vcc_lo, s17, v6
	v_cndmask_b32_e64 v3, 0, 1, vcc_lo
	v_cmp_gt_u32_e32 vcc_lo, s17, v6
	v_cndmask_b32_e64 v7, 0, 1, vcc_lo
	v_cmp_eq_u32_e32 vcc_lo, s17, v6
	s_delay_alu instid0(VALU_DEP_2) | instskip(SKIP_1) | instid1(VALU_DEP_2)
	v_cndmask_b32_e64 v3, v7, v3, s1
	v_cndmask_b32_e64 v6, 0, 1, vcc_lo
	v_and_b32_e32 v3, 1, v3
.LBB215_25:                             ;   in Loop: Header=BB215_23 Depth=1
	s_or_b32 exec_lo, exec_lo, s22
	ds_store_b32 v5, v3
	s_wait_dscnt 0x0
	s_barrier_signal -1
	s_barrier_wait -1
	s_and_saveexec_b32 s22, s0
	s_cbranch_execz .LBB215_27
; %bb.26:                               ;   in Loop: Header=BB215_23 Depth=1
	ds_load_2addr_b32 v[16:17], v10 offset1:1
	ds_load_2addr_b32 v[18:19], v10 offset0:2 offset1:3
	ds_load_2addr_b32 v[20:21], v10 offset0:4 offset1:5
	;; [unrolled: 1-line block ×3, first 2 shown]
	v_cmp_ne_u32_e32 vcc_lo, 0, v11
	; wave barrier
	s_wait_dscnt 0x3
	v_add_nc_u32_e32 v7, v17, v16
	s_wait_dscnt 0x2
	s_delay_alu instid0(VALU_DEP_1) | instskip(SKIP_1) | instid1(VALU_DEP_1)
	v_add3_u32 v7, v7, v18, v19
	s_wait_dscnt 0x1
	v_add3_u32 v7, v7, v20, v21
	s_wait_dscnt 0x0
	s_delay_alu instid0(VALU_DEP_1) | instskip(NEXT) | instid1(VALU_DEP_1)
	v_add3_u32 v7, v7, v22, v23
	v_mov_b32_dpp v17, v7 row_shr:1 row_mask:0xf bank_mask:0xf
	s_delay_alu instid0(VALU_DEP_1) | instskip(SKIP_1) | instid1(VALU_DEP_2)
	v_cndmask_b32_e32 v17, 0, v17, vcc_lo
	v_cmp_lt_u32_e32 vcc_lo, 1, v11
	v_add_nc_u32_e32 v7, v17, v7
	s_delay_alu instid0(VALU_DEP_1) | instskip(NEXT) | instid1(VALU_DEP_1)
	v_mov_b32_dpp v17, v7 row_shr:2 row_mask:0xf bank_mask:0xf
	v_cndmask_b32_e32 v17, 0, v17, vcc_lo
	v_cmp_lt_u32_e32 vcc_lo, 3, v11
	s_delay_alu instid0(VALU_DEP_2) | instskip(NEXT) | instid1(VALU_DEP_1)
	v_add_nc_u32_e32 v7, v7, v17
	v_mov_b32_dpp v17, v7 row_shr:4 row_mask:0xf bank_mask:0xf
	s_delay_alu instid0(VALU_DEP_1) | instskip(SKIP_1) | instid1(VALU_DEP_2)
	v_cndmask_b32_e32 v17, 0, v17, vcc_lo
	v_cmp_lt_u32_e32 vcc_lo, 7, v11
	v_add_nc_u32_e32 v7, v7, v17
	s_delay_alu instid0(VALU_DEP_1) | instskip(NEXT) | instid1(VALU_DEP_1)
	v_mov_b32_dpp v17, v7 row_shr:8 row_mask:0xf bank_mask:0xf
	v_cndmask_b32_e32 v17, 0, v17, vcc_lo
	v_cmp_gt_i32_e32 vcc_lo, 0, v13
	s_delay_alu instid0(VALU_DEP_2) | instskip(SKIP_3) | instid1(VALU_DEP_1)
	v_dual_cndmask_b32 v18, v13, v8 :: v_dual_add_nc_u32 v7, v7, v17
	ds_swizzle_b32 v17, v7 offset:swizzle(BROADCAST,32,15)
	s_wait_dscnt 0x0
	v_dual_lshlrev_b32 v18, 2, v18 :: v_dual_bitop2_b32 v17, v12, v17 bitop3:0x40
	v_add_nc_u32_e32 v7, v7, v17
	ds_bpermute_b32 v7, v18, v7
	s_wait_dscnt 0x0
	v_add_nc_u32_e32 v7, v7, v16
	s_delay_alu instid0(VALU_DEP_1)
	v_cndmask_b32_e64 v7, v7, v3, s3
	ds_store_b32 v10, v7
	; wave barrier
	ds_load_2addr_b32 v[16:17], v10 offset0:1 offset1:2
	ds_load_2addr_b32 v[18:19], v10 offset0:3 offset1:4
	;; [unrolled: 1-line block ×3, first 2 shown]
	ds_load_b32 v22, v10 offset:28
	s_wait_dscnt 0x3
	v_add_nc_u32_e32 v7, v16, v7
	s_delay_alu instid0(VALU_DEP_1) | instskip(SKIP_1) | instid1(VALU_DEP_1)
	v_add_nc_u32_e32 v16, v17, v7
	s_wait_dscnt 0x2
	v_add_nc_u32_e32 v17, v18, v16
	s_delay_alu instid0(VALU_DEP_1) | instskip(SKIP_1) | instid1(VALU_DEP_1)
	v_add_nc_u32_e32 v18, v19, v17
	s_wait_dscnt 0x1
	v_add_nc_u32_e32 v19, v20, v18
	s_delay_alu instid0(VALU_DEP_1) | instskip(SKIP_1) | instid1(VALU_DEP_1)
	v_add_nc_u32_e32 v20, v21, v19
	s_wait_dscnt 0x0
	v_add_nc_u32_e32 v21, v22, v20
	ds_store_2addr_b32 v10, v7, v16 offset0:1 offset1:2
	ds_store_2addr_b32 v10, v17, v18 offset0:3 offset1:4
	;; [unrolled: 1-line block ×3, first 2 shown]
	ds_store_b32 v10, v21 offset:28
.LBB215_27:                             ;   in Loop: Header=BB215_23 Depth=1
	s_or_b32 exec_lo, exec_lo, s22
	v_mov_b32_e32 v7, 0
	s_wait_dscnt 0x0
	s_barrier_signal -1
	s_barrier_wait -1
	s_and_saveexec_b32 s22, s2
; %bb.28:                               ;   in Loop: Header=BB215_23 Depth=1
	ds_load_b32 v7, v9
; %bb.29:                               ;   in Loop: Header=BB215_23 Depth=1
	s_or_b32 exec_lo, exec_lo, s22
	ds_load_b32 v16, v1 offset:1048
	s_mov_b32 s22, exec_lo
	s_wait_dscnt 0x0
	s_barrier_signal -1
	s_barrier_wait -1
	v_cmpx_ne_u32_e32 0, v3
	s_cbranch_execz .LBB215_31
; %bb.30:                               ;   in Loop: Header=BB215_23 Depth=1
	v_dual_mov_b32 v19, v1 :: v_dual_add_nc_u32 v18, v7, v4
	s_delay_alu instid0(VALU_DEP_1) | instskip(SKIP_1) | instid1(VALU_DEP_2)
	v_mul_u64_e32 v[20:21], s[12:13], v[18:19]
	v_mul_u64_e32 v[18:19], s[18:19], v[18:19]
	v_lshl_add_u64 v[20:21], v[20:21], 1, s[10:11]
	s_delay_alu instid0(VALU_DEP_2)
	v_lshl_add_u64 v[18:19], v[18:19], 3, s[14:15]
	global_store_b16 v[20:21], v15, off
	global_store_b64 v[18:19], v[0:1], off
.LBB215_31:                             ;   in Loop: Header=BB215_23 Depth=1
	s_wait_xcnt 0x0
	s_or_b32 exec_lo, exec_lo, s22
	v_mov_b32_e32 v3, v1
	s_delay_alu instid0(VALU_DEP_1)
	v_cmp_le_u64_e32 vcc_lo, s[6:7], v[2:3]
	s_cbranch_vccnz .LBB215_22
; %bb.32:                               ;   in Loop: Header=BB215_23 Depth=1
	ds_store_b32 v5, v6
	s_wait_storecnt_dscnt 0x0
	s_barrier_signal -1
	s_barrier_wait -1
	s_and_saveexec_b32 s22, s0
	s_cbranch_execz .LBB215_34
; %bb.33:                               ;   in Loop: Header=BB215_23 Depth=1
	ds_load_2addr_b32 v[18:19], v10 offset1:1
	ds_load_2addr_b32 v[20:21], v10 offset0:2 offset1:3
	ds_load_2addr_b32 v[22:23], v10 offset0:4 offset1:5
	;; [unrolled: 1-line block ×3, first 2 shown]
	v_cmp_ne_u32_e32 vcc_lo, 0, v11
	; wave barrier
	s_wait_dscnt 0x3
	v_add_nc_u32_e32 v3, v19, v18
	s_wait_dscnt 0x2
	s_delay_alu instid0(VALU_DEP_1) | instskip(SKIP_1) | instid1(VALU_DEP_1)
	v_add3_u32 v3, v3, v20, v21
	s_wait_dscnt 0x1
	v_add3_u32 v3, v3, v22, v23
	s_wait_dscnt 0x0
	s_delay_alu instid0(VALU_DEP_1) | instskip(NEXT) | instid1(VALU_DEP_1)
	v_add3_u32 v3, v3, v24, v25
	v_mov_b32_dpp v7, v3 row_shr:1 row_mask:0xf bank_mask:0xf
	s_delay_alu instid0(VALU_DEP_1) | instskip(SKIP_1) | instid1(VALU_DEP_2)
	v_cndmask_b32_e32 v7, 0, v7, vcc_lo
	v_cmp_lt_u32_e32 vcc_lo, 1, v11
	v_add_nc_u32_e32 v3, v7, v3
	s_delay_alu instid0(VALU_DEP_1) | instskip(NEXT) | instid1(VALU_DEP_1)
	v_mov_b32_dpp v7, v3 row_shr:2 row_mask:0xf bank_mask:0xf
	v_cndmask_b32_e32 v7, 0, v7, vcc_lo
	v_cmp_lt_u32_e32 vcc_lo, 3, v11
	s_delay_alu instid0(VALU_DEP_2) | instskip(NEXT) | instid1(VALU_DEP_1)
	v_add_nc_u32_e32 v3, v3, v7
	v_mov_b32_dpp v7, v3 row_shr:4 row_mask:0xf bank_mask:0xf
	s_delay_alu instid0(VALU_DEP_1) | instskip(SKIP_1) | instid1(VALU_DEP_2)
	v_cndmask_b32_e32 v7, 0, v7, vcc_lo
	v_cmp_lt_u32_e32 vcc_lo, 7, v11
	v_add_nc_u32_e32 v3, v3, v7
	s_delay_alu instid0(VALU_DEP_1) | instskip(NEXT) | instid1(VALU_DEP_1)
	v_mov_b32_dpp v7, v3 row_shr:8 row_mask:0xf bank_mask:0xf
	v_cndmask_b32_e32 v7, 0, v7, vcc_lo
	v_cmp_gt_i32_e32 vcc_lo, 0, v13
	s_delay_alu instid0(VALU_DEP_2) | instskip(SKIP_3) | instid1(VALU_DEP_1)
	v_dual_add_nc_u32 v3, v3, v7 :: v_dual_cndmask_b32 v17, v13, v8, vcc_lo
	ds_swizzle_b32 v7, v3 offset:swizzle(BROADCAST,32,15)
	s_wait_dscnt 0x0
	v_dual_lshlrev_b32 v17, 2, v17 :: v_dual_bitop2_b32 v7, v12, v7 bitop3:0x40
	v_add_nc_u32_e32 v3, v3, v7
	ds_bpermute_b32 v3, v17, v3
	s_wait_dscnt 0x0
	v_add_nc_u32_e32 v3, v3, v18
	s_delay_alu instid0(VALU_DEP_1)
	v_cndmask_b32_e64 v3, v3, v6, s3
	ds_store_b32 v10, v3
	; wave barrier
	ds_load_2addr_b32 v[18:19], v10 offset0:1 offset1:2
	ds_load_2addr_b32 v[20:21], v10 offset0:3 offset1:4
	;; [unrolled: 1-line block ×3, first 2 shown]
	ds_load_b32 v7, v10 offset:28
	s_wait_dscnt 0x3
	v_add_nc_u32_e32 v3, v18, v3
	s_delay_alu instid0(VALU_DEP_1) | instskip(SKIP_1) | instid1(VALU_DEP_1)
	v_add_nc_u32_e32 v17, v19, v3
	s_wait_dscnt 0x2
	v_add_nc_u32_e32 v18, v20, v17
	s_delay_alu instid0(VALU_DEP_1) | instskip(SKIP_1) | instid1(VALU_DEP_1)
	v_add_nc_u32_e32 v19, v21, v18
	;; [unrolled: 4-line block ×3, first 2 shown]
	s_wait_dscnt 0x0
	v_add_nc_u32_e32 v7, v7, v21
	ds_store_2addr_b32 v10, v3, v17 offset0:1 offset1:2
	ds_store_2addr_b32 v10, v18, v19 offset0:3 offset1:4
	;; [unrolled: 1-line block ×3, first 2 shown]
	ds_store_b32 v10, v7 offset:28
.LBB215_34:                             ;   in Loop: Header=BB215_23 Depth=1
	s_or_b32 exec_lo, exec_lo, s22
	v_mov_b32_e32 v7, 0
	s_wait_dscnt 0x0
	s_barrier_signal -1
	s_barrier_wait -1
	s_and_saveexec_b32 s22, s2
; %bb.35:                               ;   in Loop: Header=BB215_23 Depth=1
	ds_load_b32 v7, v9
; %bb.36:                               ;   in Loop: Header=BB215_23 Depth=1
	s_or_b32 exec_lo, exec_lo, s22
	ds_load_b32 v3, v1 offset:1048
	s_mov_b32 s22, exec_lo
	s_wait_dscnt 0x0
	s_barrier_signal -1
	s_barrier_wait -1
	v_cmpx_ne_u32_e32 0, v6
	s_cbranch_execz .LBB215_21
; %bb.37:                               ;   in Loop: Header=BB215_23 Depth=1
	v_dual_mov_b32 v7, v1 :: v_dual_add_nc_u32 v6, v7, v2
	s_delay_alu instid0(VALU_DEP_1)
	v_cmp_gt_u64_e32 vcc_lo, s[6:7], v[6:7]
	s_and_b32 exec_lo, exec_lo, vcc_lo
	s_cbranch_execz .LBB215_21
; %bb.38:                               ;   in Loop: Header=BB215_23 Depth=1
	v_mul_u64_e32 v[18:19], s[12:13], v[6:7]
	v_mul_u64_e32 v[6:7], s[18:19], v[6:7]
	s_delay_alu instid0(VALU_DEP_2) | instskip(NEXT) | instid1(VALU_DEP_2)
	v_lshl_add_u64 v[18:19], v[18:19], 1, s[10:11]
	v_lshl_add_u64 v[6:7], v[6:7], 3, s[14:15]
	global_store_b16 v[18:19], v15, off
	global_store_b64 v[6:7], v[0:1], off
	s_branch .LBB215_21
.LBB215_39:                             ;   in Loop: Header=BB215_40 Depth=1
	s_add_co_i32 s14, s14, 1
	s_wait_kmcnt 0x0
	s_add_co_i32 s27, s15, s27
	s_add_nc_u64 s[10:11], s[10:11], 4
	s_cmp_lt_u32 s14, s17
	s_add_nc_u64 s[12:13], s[12:13], 4
	s_cbranch_scc0 .LBB215_18
.LBB215_40:                             ; =>This Inner Loop Header: Depth=1
	s_load_b32 s15, s[10:11], 0x0
	s_cmp_ge_u32 s14, s29
	s_cbranch_scc1 .LBB215_39
; %bb.41:                               ;   in Loop: Header=BB215_40 Depth=1
	s_load_b32 s20, s[12:13], 0x0
	s_wait_kmcnt 0x0
	s_add_co_i32 s9, s15, s9
	s_add_co_i32 s8, s20, s8
	s_branch .LBB215_39
.LBB215_42:
	s_endpgm
	.section	.rodata,"a",@progbits
	.p2align	6, 0x0
	.amdhsa_kernel _ZN2at6native6mbtopk10gatherTopKIN3c108BFloat16EmLi1EEEvNS_4cuda6detail10TensorInfoIKT_T0_EESA_SA_bjSA_NS7_IS8_SA_EESA_NS7_IlSA_EESA_jjPS8_PjSF_j
		.amdhsa_group_segment_fixed_size 1068
		.amdhsa_private_segment_fixed_size 0
		.amdhsa_kernarg_size 1592
		.amdhsa_user_sgpr_count 2
		.amdhsa_user_sgpr_dispatch_ptr 0
		.amdhsa_user_sgpr_queue_ptr 0
		.amdhsa_user_sgpr_kernarg_segment_ptr 1
		.amdhsa_user_sgpr_dispatch_id 0
		.amdhsa_user_sgpr_kernarg_preload_length 0
		.amdhsa_user_sgpr_kernarg_preload_offset 0
		.amdhsa_user_sgpr_private_segment_size 0
		.amdhsa_wavefront_size32 1
		.amdhsa_uses_dynamic_stack 0
		.amdhsa_enable_private_segment 0
		.amdhsa_system_sgpr_workgroup_id_x 1
		.amdhsa_system_sgpr_workgroup_id_y 1
		.amdhsa_system_sgpr_workgroup_id_z 1
		.amdhsa_system_sgpr_workgroup_info 0
		.amdhsa_system_vgpr_workitem_id 0
		.amdhsa_next_free_vgpr 26
		.amdhsa_next_free_sgpr 35
		.amdhsa_named_barrier_count 0
		.amdhsa_reserve_vcc 1
		.amdhsa_float_round_mode_32 0
		.amdhsa_float_round_mode_16_64 0
		.amdhsa_float_denorm_mode_32 3
		.amdhsa_float_denorm_mode_16_64 3
		.amdhsa_fp16_overflow 0
		.amdhsa_memory_ordered 1
		.amdhsa_forward_progress 1
		.amdhsa_inst_pref_size 21
		.amdhsa_round_robin_scheduling 0
		.amdhsa_exception_fp_ieee_invalid_op 0
		.amdhsa_exception_fp_denorm_src 0
		.amdhsa_exception_fp_ieee_div_zero 0
		.amdhsa_exception_fp_ieee_overflow 0
		.amdhsa_exception_fp_ieee_underflow 0
		.amdhsa_exception_fp_ieee_inexact 0
		.amdhsa_exception_int_div_zero 0
	.end_amdhsa_kernel
	.section	.text._ZN2at6native6mbtopk10gatherTopKIN3c108BFloat16EmLi1EEEvNS_4cuda6detail10TensorInfoIKT_T0_EESA_SA_bjSA_NS7_IS8_SA_EESA_NS7_IlSA_EESA_jjPS8_PjSF_j,"axG",@progbits,_ZN2at6native6mbtopk10gatherTopKIN3c108BFloat16EmLi1EEEvNS_4cuda6detail10TensorInfoIKT_T0_EESA_SA_bjSA_NS7_IS8_SA_EESA_NS7_IlSA_EESA_jjPS8_PjSF_j,comdat
.Lfunc_end215:
	.size	_ZN2at6native6mbtopk10gatherTopKIN3c108BFloat16EmLi1EEEvNS_4cuda6detail10TensorInfoIKT_T0_EESA_SA_bjSA_NS7_IS8_SA_EESA_NS7_IlSA_EESA_jjPS8_PjSF_j, .Lfunc_end215-_ZN2at6native6mbtopk10gatherTopKIN3c108BFloat16EmLi1EEEvNS_4cuda6detail10TensorInfoIKT_T0_EESA_SA_bjSA_NS7_IS8_SA_EESA_NS7_IlSA_EESA_jjPS8_PjSF_j
                                        ; -- End function
	.set _ZN2at6native6mbtopk10gatherTopKIN3c108BFloat16EmLi1EEEvNS_4cuda6detail10TensorInfoIKT_T0_EESA_SA_bjSA_NS7_IS8_SA_EESA_NS7_IlSA_EESA_jjPS8_PjSF_j.num_vgpr, 26
	.set _ZN2at6native6mbtopk10gatherTopKIN3c108BFloat16EmLi1EEEvNS_4cuda6detail10TensorInfoIKT_T0_EESA_SA_bjSA_NS7_IS8_SA_EESA_NS7_IlSA_EESA_jjPS8_PjSF_j.num_agpr, 0
	.set _ZN2at6native6mbtopk10gatherTopKIN3c108BFloat16EmLi1EEEvNS_4cuda6detail10TensorInfoIKT_T0_EESA_SA_bjSA_NS7_IS8_SA_EESA_NS7_IlSA_EESA_jjPS8_PjSF_j.numbered_sgpr, 35
	.set _ZN2at6native6mbtopk10gatherTopKIN3c108BFloat16EmLi1EEEvNS_4cuda6detail10TensorInfoIKT_T0_EESA_SA_bjSA_NS7_IS8_SA_EESA_NS7_IlSA_EESA_jjPS8_PjSF_j.num_named_barrier, 0
	.set _ZN2at6native6mbtopk10gatherTopKIN3c108BFloat16EmLi1EEEvNS_4cuda6detail10TensorInfoIKT_T0_EESA_SA_bjSA_NS7_IS8_SA_EESA_NS7_IlSA_EESA_jjPS8_PjSF_j.private_seg_size, 0
	.set _ZN2at6native6mbtopk10gatherTopKIN3c108BFloat16EmLi1EEEvNS_4cuda6detail10TensorInfoIKT_T0_EESA_SA_bjSA_NS7_IS8_SA_EESA_NS7_IlSA_EESA_jjPS8_PjSF_j.uses_vcc, 1
	.set _ZN2at6native6mbtopk10gatherTopKIN3c108BFloat16EmLi1EEEvNS_4cuda6detail10TensorInfoIKT_T0_EESA_SA_bjSA_NS7_IS8_SA_EESA_NS7_IlSA_EESA_jjPS8_PjSF_j.uses_flat_scratch, 0
	.set _ZN2at6native6mbtopk10gatherTopKIN3c108BFloat16EmLi1EEEvNS_4cuda6detail10TensorInfoIKT_T0_EESA_SA_bjSA_NS7_IS8_SA_EESA_NS7_IlSA_EESA_jjPS8_PjSF_j.has_dyn_sized_stack, 0
	.set _ZN2at6native6mbtopk10gatherTopKIN3c108BFloat16EmLi1EEEvNS_4cuda6detail10TensorInfoIKT_T0_EESA_SA_bjSA_NS7_IS8_SA_EESA_NS7_IlSA_EESA_jjPS8_PjSF_j.has_recursion, 0
	.set _ZN2at6native6mbtopk10gatherTopKIN3c108BFloat16EmLi1EEEvNS_4cuda6detail10TensorInfoIKT_T0_EESA_SA_bjSA_NS7_IS8_SA_EESA_NS7_IlSA_EESA_jjPS8_PjSF_j.has_indirect_call, 0
	.section	.AMDGPU.csdata,"",@progbits
; Kernel info:
; codeLenInByte = 2564
; TotalNumSgprs: 37
; NumVgprs: 26
; ScratchSize: 0
; MemoryBound: 0
; FloatMode: 240
; IeeeMode: 1
; LDSByteSize: 1068 bytes/workgroup (compile time only)
; SGPRBlocks: 0
; VGPRBlocks: 1
; NumSGPRsForWavesPerEU: 37
; NumVGPRsForWavesPerEU: 26
; NamedBarCnt: 0
; Occupancy: 16
; WaveLimiterHint : 1
; COMPUTE_PGM_RSRC2:SCRATCH_EN: 0
; COMPUTE_PGM_RSRC2:USER_SGPR: 2
; COMPUTE_PGM_RSRC2:TRAP_HANDLER: 0
; COMPUTE_PGM_RSRC2:TGID_X_EN: 1
; COMPUTE_PGM_RSRC2:TGID_Y_EN: 1
; COMPUTE_PGM_RSRC2:TGID_Z_EN: 1
; COMPUTE_PGM_RSRC2:TIDIG_COMP_CNT: 0
	.section	.text._ZN2at6native6sbtopk10gatherTopKIN3c108BFloat16EmLi1ELb0EEEvNS_4cuda6detail10TensorInfoIKT_T0_EESA_SA_bSA_SA_NS7_IS8_SA_EESA_NS7_IlSA_EESA_PS8_,"axG",@progbits,_ZN2at6native6sbtopk10gatherTopKIN3c108BFloat16EmLi1ELb0EEEvNS_4cuda6detail10TensorInfoIKT_T0_EESA_SA_bSA_SA_NS7_IS8_SA_EESA_NS7_IlSA_EESA_PS8_,comdat
	.protected	_ZN2at6native6sbtopk10gatherTopKIN3c108BFloat16EmLi1ELb0EEEvNS_4cuda6detail10TensorInfoIKT_T0_EESA_SA_bSA_SA_NS7_IS8_SA_EESA_NS7_IlSA_EESA_PS8_ ; -- Begin function _ZN2at6native6sbtopk10gatherTopKIN3c108BFloat16EmLi1ELb0EEEvNS_4cuda6detail10TensorInfoIKT_T0_EESA_SA_bSA_SA_NS7_IS8_SA_EESA_NS7_IlSA_EESA_PS8_
	.globl	_ZN2at6native6sbtopk10gatherTopKIN3c108BFloat16EmLi1ELb0EEEvNS_4cuda6detail10TensorInfoIKT_T0_EESA_SA_bSA_SA_NS7_IS8_SA_EESA_NS7_IlSA_EESA_PS8_
	.p2align	8
	.type	_ZN2at6native6sbtopk10gatherTopKIN3c108BFloat16EmLi1ELb0EEEvNS_4cuda6detail10TensorInfoIKT_T0_EESA_SA_bSA_SA_NS7_IS8_SA_EESA_NS7_IlSA_EESA_PS8_,@function
_ZN2at6native6sbtopk10gatherTopKIN3c108BFloat16EmLi1ELb0EEEvNS_4cuda6detail10TensorInfoIKT_T0_EESA_SA_bSA_SA_NS7_IS8_SA_EESA_NS7_IlSA_EESA_PS8_: ; @_ZN2at6native6sbtopk10gatherTopKIN3c108BFloat16EmLi1ELb0EEEvNS_4cuda6detail10TensorInfoIKT_T0_EESA_SA_bSA_SA_NS7_IS8_SA_EESA_NS7_IlSA_EESA_PS8_
; %bb.0:
	s_clause 0x1
	s_load_b128 s[28:31], s[0:1], 0x1b8
	s_load_b64 s[8:9], s[0:1], 0x520
	s_bfe_u32 s2, ttmp6, 0x40010
	s_and_b32 s3, ttmp7, 0xffff
	s_add_co_i32 s2, s2, 1
	s_bfe_u32 s5, ttmp6, 0x4000c
	s_mul_i32 s2, s3, s2
	s_bfe_u32 s4, ttmp6, 0x40004
	s_add_co_i32 s5, s5, 1
	s_bfe_u32 s6, ttmp6, 0x40014
	s_add_co_i32 s4, s4, s2
	s_and_b32 s2, ttmp6, 15
	s_mul_i32 s5, ttmp9, s5
	s_lshr_b32 s7, ttmp7, 16
	s_add_co_i32 s6, s6, 1
	s_add_co_i32 s2, s2, s5
	s_mul_i32 s5, s7, s6
	s_bfe_u32 s6, ttmp6, 0x40008
	s_getreg_b32 s10, hwreg(HW_REG_IB_STS2, 6, 4)
	s_add_co_i32 s6, s6, s5
	s_cmp_eq_u32 s10, 0
	s_mov_b32 s15, 0
	s_cselect_b32 s5, s7, s6
	s_cselect_b32 s3, s3, s4
	s_wait_kmcnt 0x0
	s_mul_i32 s5, s9, s5
	s_cselect_b32 s9, ttmp9, s2
	s_add_co_i32 s2, s5, s3
	s_delay_alu instid0(SALU_CYCLE_1) | instskip(NEXT) | instid1(SALU_CYCLE_1)
	s_mul_i32 s2, s2, s8
	s_add_co_i32 s14, s2, s9
	s_delay_alu instid0(SALU_CYCLE_1)
	v_cmp_le_u64_e64 s2, s[28:29], s[14:15]
	s_and_b32 vcc_lo, exec_lo, s2
	s_cbranch_vccnz .LBB216_472
; %bb.1:
	s_clause 0x2
	s_load_b128 s[36:39], s[0:1], 0x1a0
	s_load_b64 s[6:7], s[0:1], 0xd0
	s_load_b64 s[2:3], s[0:1], 0x0
	v_cmp_eq_u32_e64 s5, 0, v0
	s_add_nc_u64 s[10:11], s[0:1], 0x520
	s_and_saveexec_b32 s4, s5
	s_cbranch_execz .LBB216_3
; %bb.2:
	s_wait_kmcnt 0x0
	v_dual_mov_b32 v2, 0 :: v_dual_mov_b32 v4, s36
	s_delay_alu instid0(VALU_DEP_1)
	v_dual_mov_b32 v5, s37 :: v_dual_mov_b32 v3, v2
	ds_store_b32 v2, v2 offset:5144
	ds_store_b128 v2, v[2:5] offset:5120
.LBB216_3:
	s_or_b32 exec_lo, exec_lo, s4
	s_load_b64 s[12:13], s[0:1], 0x440
                                        ; implicit-def: $vgpr56 : SGPR spill to VGPR lane
	v_dual_mov_b32 v3, 0 :: v_dual_add_nc_u32 v2, 2, v0
	v_dual_mov_b32 v9, -1 :: v_dual_lshlrev_b32 v38, 1, v0
	v_not_b32_e32 v8, v0
	s_delay_alu instid0(VALU_DEP_3)
	v_dual_mov_b32 v17, v3 :: v_dual_lshlrev_b32 v40, 3, v0
	s_wait_kmcnt 0x0
	v_max_u64 v[6:7], s[36:37], v[2:3]
	v_dual_mov_b32 v1, v3 :: v_dual_lshlrev_b32 v16, 2, v0
	s_wait_dscnt 0x0
	s_barrier_signal -1
	s_barrier_wait -1
	s_delay_alu instid0(VALU_DEP_1)
	v_mul_u64_e32 v[4:5], s[30:31], v[0:1]
	v_mbcnt_lo_u32_b32 v13, -1, 0
	v_cmp_gt_u32_e32 vcc_lo, 32, v0
	s_mov_b32 s29, 0
	v_cmp_lt_u64_e64 s33, 0x600, s[36:37]
	v_writelane_b32 v56, s12, 0
	v_lshlrev_b64_e64 v[10:11], v13, -1
	v_mov_b64_e32 v[30:31], s[38:39]
	s_mov_b32 s35, s29
	v_dual_mov_b32 v46, 0 :: v_dual_add_nc_u32 v39, 0xc00, v38
	v_writelane_b32 v56, s13, 1
	v_lshl_or_b32 v43, v13, 3, 0xc00
	v_not_b32_e32 v12, v10
	v_mov_b32_e32 v44, 0x8000
	s_mov_b32 s58, s30
	v_writelane_b32 v56, s14, 2
	s_mul_u64 s[12:13], s[6:7], s[14:15]
	s_load_b64 s[6:7], s[0:1], 0x370
	s_lshl_b64 s[12:13], s[12:13], 1
	s_mov_b32 s59, s31
	v_writelane_b32 v56, s15, 3
	s_load_b32 s14, s[10:11], 0xc
	s_add_nc_u64 s[42:43], s[2:3], s[12:13]
	v_cmp_gt_u64_e64 s3, s[36:37], v[0:1]
	v_add_nc_u64_e32 v[6:7], v[6:7], v[8:9]
	v_or_b32_e32 v2, 6, v40
	v_cmp_eq_u32_e64 s2, 0, v13
	s_mov_b32 s60, s30
	v_dual_mov_b32 v45, 0 :: v_dual_mov_b32 v42, 0
	s_mov_b32 s61, s31
	v_mov_b32_e32 v19, v7
	v_mul_u64_e32 v[20:21], s[30:31], v[2:3]
	v_or_b32_e32 v2, 4, v40
	v_and_b32_e32 v18, -4, v6
	v_lshlrev_b64_e32 v[28:29], 3, v[4:5]
	v_lshl_add_u64 v[14:15], v[4:5], 1, s[42:43]
	s_wait_kmcnt 0x0
	v_writelane_b32 v56, s6, 4
	v_mul_u64_e32 v[24:25], s[30:31], v[2:3]
	v_or_b32_e32 v2, 2, v40
	v_add_nc_u64_e32 v[22:23], v[18:19], v[0:1]
	v_cmp_ne_u64_e64 s67, v[6:7], v[18:19]
	v_writelane_b32 v56, s7, 5
	s_load_b64 s[6:7], s[0:1], 0x298
	v_mul_u64_e32 v[26:27], s[30:31], v[2:3]
	s_mov_b32 s62, s30
	s_mov_b32 s63, s31
	;; [unrolled: 1-line block ×4, first 2 shown]
	s_movk_i32 s95, 0x3f80
	s_mov_b32 s97, 0
	s_mov_b32 s99, 0
                                        ; implicit-def: $sgpr98
                                        ; implicit-def: $sgpr102
                                        ; implicit-def: $sgpr101
                                        ; implicit-def: $sgpr103
                                        ; implicit-def: $sgpr100
                                        ; implicit-def: $sgpr47
                                        ; implicit-def: $sgpr48
                                        ; implicit-def: $sgpr104
                                        ; implicit-def: $sgpr46
                                        ; implicit-def: $vcc_hi
	s_load_b32 s4, s[0:1], 0x1b0
	s_wait_kmcnt 0x0
	v_writelane_b32 v56, s6, 6
	v_writelane_b32 v56, s7, 7
	s_load_b64 s[6:7], s[0:1], 0x1c8
	s_bitcmp1_b32 s4, 0
	s_cselect_b32 s4, -1, 0
	s_and_b32 s34, s14, 0xffff
	s_bfe_u32 s12, s14, 0xb0005
	s_xor_b32 s87, s4, -1
	s_add_nc_u64 s[54:55], s[34:35], -1
	s_delay_alu instid0(SALU_CYCLE_1)
	s_add_nc_u64 s[56:57], s[54:55], s[36:37]
	s_wait_kmcnt 0x0
	v_writelane_b32 v56, s6, 8
	v_writelane_b32 v56, s7, 9
	v_cmp_gt_i32_e64 s7, 4, v13
	v_cmp_gt_u32_e64 s6, 2, v0
	s_and_b32 s86, vcc_lo, s7
	s_cmp_gt_u32 s34, 31
	s_movk_i32 s7, 0x3e0
	s_cselect_b32 s88, -1, 0
	s_cmp_lt_u32 s9, s8
	v_and_or_b32 v41, v0, s7, 0xc00
	s_cselect_b32 s28, 12, 18
	s_add_co_i32 s8, s12, -1
	s_bfe_u32 s89, s34, 0x30005
	s_and_b32 s8, s8, 0xffff
	v_cmp_lt_u64_e64 s7, 3, v[6:7]
	s_cmp_gt_u32 s8, 6
	s_add_nc_u64 s[70:71], s[10:11], s[28:29]
	s_cselect_b32 s90, -1, 0
	s_and_b32 s91, s12, 0x7f8
	s_cmp_lg_u32 s89, 0
	s_mul_u64 s[12:13], s[30:31], s[34:35]
	s_cselect_b32 s92, -1, 0
	s_lshl_b64 s[8:9], s[30:31], 3
	s_lshl_b64 s[64:65], s[30:31], 1
	v_writelane_b32 v56, s8, 10
	s_lshl_b32 s93, s34, 1
	s_lshl_b64 s[40:41], s[12:13], 1
	s_and_b64 s[68:69], s[36:37], 0xffffffff00000000
	v_writelane_b32 v56, s9, 11
	s_branch .LBB216_6
.LBB216_4:                              ;   in Loop: Header=BB216_6 Depth=1
	s_or_b32 exec_lo, exec_lo, s12
	v_mov_b64_e32 v[30:31], v[4:5]
	s_and_not1_b32 s8, vcc_hi, exec_lo
	s_and_b32 s11, s11, exec_lo
	s_and_not1_b32 s46, s46, exec_lo
	s_or_b32 vcc_hi, s8, s11
	s_and_not1_b32 s104, s104, exec_lo
	s_and_not1_b32 s48, s48, exec_lo
	;; [unrolled: 1-line block ×3, first 2 shown]
	s_or_not1_b32 s10, s10, exec_lo
.LBB216_5:                              ;   in Loop: Header=BB216_6 Depth=1
	s_or_b32 exec_lo, exec_lo, s9
	s_delay_alu instid0(SALU_CYCLE_1) | instskip(NEXT) | instid1(SALU_CYCLE_1)
	s_and_b32 s9, exec_lo, s10
	s_or_b32 s97, s9, s97
	s_and_not1_b32 s9, s100, exec_lo
	s_and_b32 s10, vcc_hi, exec_lo
	s_and_not1_b32 s11, s103, exec_lo
	s_or_b32 s100, s9, s10
	s_and_b32 s9, s46, exec_lo
	s_and_not1_b32 s10, s101, exec_lo
	s_and_b32 s12, s104, exec_lo
	s_or_b32 s103, s11, s9
	s_or_b32 s101, s10, s12
	s_and_not1_b32 s9, s102, exec_lo
	s_and_b32 s10, s48, exec_lo
	s_and_not1_b32 s11, s98, exec_lo
	s_and_b32 s12, s47, exec_lo
	s_or_b32 s102, s9, s10
	s_or_b32 s98, s11, s12
	s_and_not1_b32 exec_lo, exec_lo, s97
	s_cbranch_execz .LBB216_468
.LBB216_6:                              ; =>This Loop Header: Depth=1
                                        ;     Child Loop BB216_11 Depth 2
                                        ;     Child Loop BB216_25 Depth 2
	;; [unrolled: 1-line block ×25, first 2 shown]
	ds_load_b128 v[4:7], v3 offset:5120
	s_wait_dscnt 0x0
	v_readfirstlane_b32 s73, v5
	v_readfirstlane_b32 s72, v4
	s_cmp_lg_u64 s[72:73], 0
	s_cbranch_scc1 .LBB216_38
; %bb.7:                                ;   in Loop: Header=BB216_6 Depth=1
	s_and_b32 vcc_lo, exec_lo, s33
	s_cbranch_vccz .LBB216_19
; %bb.8:                                ;   in Loop: Header=BB216_6 Depth=1
	v_cmp_gt_u64_e32 vcc_lo, 0x601, v[6:7]
	s_mov_b32 s11, 0
	s_mov_b32 s9, 0
	s_cbranch_vccz .LBB216_20
; %bb.9:                                ;   in Loop: Header=BB216_6 Depth=1
	global_load_u16 v2, v3, s[70:71]
	global_load_u16 v10, v[14:15], off
	s_mov_b32 s12, 0
	s_wait_loadcnt 0x1
	v_and_b32_e32 v2, 0xffff, v2
	s_delay_alu instid0(VALU_DEP_1) | instskip(SKIP_1) | instid1(VALU_DEP_1)
	v_mul_u64_e32 v[4:5], s[64:65], v[2:3]
	v_add_nc_u32_e32 v8, v0, v2
	v_mad_nc_u64_u32 v[6:7], s64, v8, s[42:43]
	s_delay_alu instid0(VALU_DEP_1)
	v_mad_u32 v7, s65, v8, v7
	v_mov_b64_e32 v[8:9], v[0:1]
	s_branch .LBB216_11
.LBB216_10:                             ;   in Loop: Header=BB216_11 Depth=2
	s_or_b32 exec_lo, exec_lo, s10
	v_add_nc_u64_e32 v[6:7], v[6:7], v[4:5]
	v_mov_b32_e32 v10, v11
	s_and_not1_b32 exec_lo, exec_lo, s12
	s_cbranch_execz .LBB216_92
.LBB216_11:                             ;   Parent Loop BB216_6 Depth=1
                                        ; =>  This Inner Loop Header: Depth=2
	s_delay_alu instid0(VALU_DEP_1) | instskip(SKIP_3) | instid1(VALU_DEP_2)
	v_add_nc_u64_e32 v[8:9], v[8:9], v[2:3]
	s_wait_dscnt 0x0
	v_dual_mov_b32 v32, 0 :: v_dual_mov_b32 v11, 0
	s_mov_b32 s10, exec_lo
	v_cmp_le_u64_e32 vcc_lo, s[36:37], v[8:9]
	s_wait_xcnt 0x0
	v_cmpx_gt_u64_e64 s[36:37], v[8:9]
	s_cbranch_execz .LBB216_13
; %bb.12:                               ;   in Loop: Header=BB216_11 Depth=2
	global_load_u16 v11, v[6:7], off
.LBB216_13:                             ;   in Loop: Header=BB216_11 Depth=2
	s_wait_xcnt 0x0
	s_or_b32 exec_lo, exec_lo, s10
	s_wait_loadcnt 0x0
	v_cmp_lt_i16_e64 s9, -1, v10
	v_and_b32_e32 v33, 0xffff, v10
	s_delay_alu instid0(VALU_DEP_2) | instskip(NEXT) | instid1(VALU_DEP_1)
	v_cndmask_b32_e64 v34, 0xffff, v44, s9
	v_dual_lshlrev_b32 v35, 16, v10 :: v_dual_bitop2_b32 v33, v34, v33 bitop3:0x14
	s_delay_alu instid0(VALU_DEP_1) | instskip(NEXT) | instid1(VALU_DEP_1)
	v_cmp_o_f32_e64 s9, v35, v35
	v_cndmask_b32_e64 v33, 0xffff, v33, s9
	s_delay_alu instid0(VALU_DEP_1) | instskip(NEXT) | instid1(VALU_DEP_1)
	v_and_b32_e32 v33, v33, v45
	v_cmp_eq_u32_e64 s9, v33, v42
	s_cmp_lg_u32 s9, 0
	s_cselect_b32 s10, -1, 0
	s_delay_alu instid0(SALU_CYCLE_1) | instskip(NEXT) | instid1(SALU_CYCLE_1)
	s_and_b32 s10, s2, s10
	s_and_saveexec_b32 s13, s10
	s_cbranch_execz .LBB216_17
; %bb.14:                               ;   in Loop: Header=BB216_11 Depth=2
	s_mov_b32 s16, exec_lo
	s_bcnt1_i32_b32 s14, s9
	v_mbcnt_lo_u32_b32 v32, s16, 0
	s_mov_b32 s15, exec_lo
                                        ; implicit-def: $vgpr33
	s_delay_alu instid0(VALU_DEP_1)
	v_cmpx_eq_u32_e32 0, v32
; %bb.15:                               ;   in Loop: Header=BB216_11 Depth=2
	s_bcnt1_i32_b32 s10, s16
	s_delay_alu instid0(SALU_CYCLE_1) | instskip(NEXT) | instid1(SALU_CYCLE_1)
	s_mul_i32 s10, s14, s10
	v_mov_b32_e32 v33, s10
	ds_add_rtn_u32 v33, v3, v33 offset:5144
; %bb.16:                               ;   in Loop: Header=BB216_11 Depth=2
	s_or_b32 exec_lo, exec_lo, s15
	s_wait_dscnt 0x0
	v_readfirstlane_b32 s10, v33
	s_delay_alu instid0(VALU_DEP_1)
	v_mad_u32_u24 v32, s14, v32, s10
.LBB216_17:                             ;   in Loop: Header=BB216_11 Depth=2
	s_or_b32 exec_lo, exec_lo, s13
	ds_bpermute_b32 v32, v3, v32
	s_and_b32 s10, exec_lo, vcc_lo
	s_delay_alu instid0(SALU_CYCLE_1)
	s_or_b32 s12, s10, s12
	s_and_saveexec_b32 s10, s9
	s_cbranch_execz .LBB216_10
; %bb.18:                               ;   in Loop: Header=BB216_11 Depth=2
	v_and_b32_e32 v33, s9, v12
	s_delay_alu instid0(VALU_DEP_1) | instskip(NEXT) | instid1(VALU_DEP_1)
	v_bcnt_u32_b32 v33, v33, 0
	v_lshlrev_b32_e32 v33, 1, v33
	s_wait_dscnt 0x0
	s_delay_alu instid0(VALU_DEP_1)
	v_lshl_add_u32 v32, v32, 1, v33
	ds_store_b16 v32, v10
	s_branch .LBB216_10
.LBB216_19:                             ;   in Loop: Header=BB216_6 Depth=1
	s_mov_b32 s11, -1
	s_mov_b32 s9, 0
.LBB216_20:                             ;   in Loop: Header=BB216_6 Depth=1
	s_and_b32 vcc_lo, exec_lo, s11
	s_cbranch_vccz .LBB216_36
.LBB216_21:                             ;   in Loop: Header=BB216_6 Depth=1
	s_and_saveexec_b32 s9, s3
	s_cbranch_execz .LBB216_33
; %bb.22:                               ;   in Loop: Header=BB216_6 Depth=1
	global_load_u16 v4, v3, s[70:71]
	global_load_u16 v34, v[14:15], off
	s_mov_b32 s14, exec_lo
	v_mov_b32_e32 v8, v0
	s_wait_loadcnt 0x1
	v_and_b32_e32 v2, 0xffff, v4
	v_readfirstlane_b32 s10, v4
	s_delay_alu instid0(VALU_DEP_2) | instskip(SKIP_1) | instid1(VALU_DEP_1)
	v_add_nc_u32_e32 v2, v2, v0
	s_wait_xcnt 0x0
	v_cmpx_gt_u64_e64 s[36:37], v[2:3]
	s_cbranch_execz .LBB216_32
; %bb.23:                               ;   in Loop: Header=BB216_6 Depth=1
	s_and_b32 s28, s10, 0xffff
	v_mov_b64_e32 v[6:7], v[0:1]
	v_mov_b64_e32 v[4:5], v[2:3]
	s_cmp_eq_u32 s28, 1
	s_mov_b32 s11, -1
	s_cselect_b32 s10, -1, 0
                                        ; implicit-def: $vgpr8_vgpr9
	s_delay_alu instid0(SALU_CYCLE_1) | instskip(NEXT) | instid1(SALU_CYCLE_1)
	s_and_b32 s12, s7, s10
	s_and_saveexec_b32 s10, s12
	s_cbranch_execz .LBB216_27
; %bb.24:                               ;   in Loop: Header=BB216_6 Depth=1
	v_add_nc_u64_e32 v[8:9], 3, v[2:3]
	v_add_nc_u64_e32 v[6:7], 2, v[2:3]
	;; [unrolled: 1-line block ×3, first 2 shown]
	v_mov_b64_e32 v[32:33], v[18:19]
	s_wait_loadcnt 0x0
	v_dual_mov_b32 v35, v38 :: v_dual_lshlrev_b32 v36, 16, v34
	s_mov_b32 s11, 0
	v_mov_b64_e32 v[10:11], v[8:9]
	v_mov_b64_e32 v[8:9], v[6:7]
	;; [unrolled: 1-line block ×4, first 2 shown]
.LBB216_25:                             ;   Parent Loop BB216_6 Depth=1
                                        ; =>  This Inner Loop Header: Depth=2
	s_delay_alu instid0(VALU_DEP_2) | instskip(NEXT) | instid1(VALU_DEP_4)
	v_mul_u64_e32 v[48:49], s[30:31], v[6:7]
	v_mul_u64_e32 v[50:51], s[60:61], v[8:9]
	s_delay_alu instid0(VALU_DEP_3)
	v_mul_u64_e32 v[52:53], s[58:59], v[4:5]
	v_mul_u64_e32 v[54:55], s[62:63], v[10:11]
	v_add_nc_u64_e32 v[32:33], -4, v[32:33]
	v_add_nc_u64_e32 v[10:11], 4, v[10:11]
	v_add_nc_u64_e32 v[8:9], 4, v[8:9]
	;; [unrolled: 1-line block ×4, first 2 shown]
	v_cmp_eq_u64_e32 vcc_lo, 0, v[32:33]
	s_or_b32 s11, vcc_lo, s11
	v_lshl_add_u64 v[48:49], v[48:49], 1, s[42:43]
	v_lshl_add_u64 v[50:51], v[50:51], 1, s[42:43]
	;; [unrolled: 1-line block ×4, first 2 shown]
	s_clause 0x3
	global_load_u16 v37, v[48:49], off
	global_load_u16 v47, v[50:51], off
	;; [unrolled: 1-line block ×4, first 2 shown]
	s_wait_loadcnt 0x2
	v_perm_b32 v37, v47, v37, 0x5040100
	s_wait_loadcnt 0x1
	v_alignbit_b32 v36, v48, v36, 16
	s_wait_loadcnt 0x0
	v_perm_b32 v47, v34, v47, 0x5040100
	ds_store_b64 v35, v[36:37]
	v_dual_mov_b32 v36, v47 :: v_dual_add_nc_u32 v35, 8, v35
	s_wait_xcnt 0x0
	s_and_not1_b32 exec_lo, exec_lo, s11
	s_cbranch_execnz .LBB216_25
; %bb.26:                               ;   in Loop: Header=BB216_6 Depth=1
	s_or_b32 exec_lo, exec_lo, s11
	v_add_nc_u64_e32 v[4:5], v[2:3], v[18:19]
	v_mov_b64_e32 v[6:7], v[22:23]
	s_or_not1_b32 s11, s67, exec_lo
	s_delay_alu instid0(VALU_DEP_2)
	v_add_nc_u64_e32 v[8:9], -1, v[4:5]
.LBB216_27:                             ;   in Loop: Header=BB216_6 Depth=1
	s_or_b32 exec_lo, exec_lo, s10
	s_and_saveexec_b32 s15, s11
	s_cbranch_execz .LBB216_31
; %bb.28:                               ;   in Loop: Header=BB216_6 Depth=1
	v_mad_nc_u64_u32 v[8:9], s64, v4, s[42:43]
	s_sub_nc_u64 s[10:11], 0, s[28:29]
	s_mul_u64 s[12:13], s[64:65], s[28:29]
	s_mov_b32 s16, 0
	s_delay_alu instid0(VALU_DEP_1) | instskip(NEXT) | instid1(VALU_DEP_1)
	v_mad_u32 v2, s65, v4, v9
	v_mad_u32 v9, s64, v5, v2
.LBB216_29:                             ;   Parent Loop BB216_6 Depth=1
                                        ; =>  This Inner Loop Header: Depth=2
	s_wait_loadcnt 0x0
	s_delay_alu instid0(VALU_DEP_2)
	v_dual_mov_b32 v2, v34 :: v_dual_lshlrev_b32 v32, 1, v6
	global_load_u16 v34, v[8:9], off
	v_mov_b64_e32 v[10:11], v[4:5]
	s_wait_xcnt 0x0
	v_add_nc_u64_e32 v[8:9], s[12:13], v[8:9]
	ds_store_b16 v32, v2
	v_add_nc_u64_e32 v[4:5], s[28:29], v[10:11]
	v_mov_b64_e32 v[6:7], v[10:11]
	s_delay_alu instid0(VALU_DEP_2) | instskip(SKIP_1) | instid1(SALU_CYCLE_1)
	v_cmp_le_u64_e32 vcc_lo, s[36:37], v[4:5]
	s_or_b32 s16, vcc_lo, s16
	s_and_not1_b32 exec_lo, exec_lo, s16
	s_cbranch_execnz .LBB216_29
; %bb.30:                               ;   in Loop: Header=BB216_6 Depth=1
	s_or_b32 exec_lo, exec_lo, s16
	v_add_nc_u64_e32 v[8:9], s[10:11], v[4:5]
.LBB216_31:                             ;   in Loop: Header=BB216_6 Depth=1
	s_or_b32 exec_lo, exec_lo, s15
.LBB216_32:                             ;   in Loop: Header=BB216_6 Depth=1
	s_delay_alu instid0(SALU_CYCLE_1) | instskip(NEXT) | instid1(VALU_DEP_1)
	s_or_b32 exec_lo, exec_lo, s14
	v_lshlrev_b32_e32 v2, 1, v8
	s_wait_loadcnt 0x0
	ds_store_b16 v2, v34
.LBB216_33:                             ;   in Loop: Header=BB216_6 Depth=1
	s_or_b32 exec_lo, exec_lo, s9
	s_wait_dscnt 0x0
	s_barrier_signal -1
	s_barrier_wait -1
	s_and_saveexec_b32 s9, s5
; %bb.34:                               ;   in Loop: Header=BB216_6 Depth=1
	v_mov_b64_e32 v[4:5], s[36:37]
	ds_store_b64 v3, v[4:5] offset:5120
; %bb.35:                               ;   in Loop: Header=BB216_6 Depth=1
	s_or_b32 exec_lo, exec_lo, s9
	s_mov_b32 s9, -1
	s_wait_dscnt 0x0
	s_barrier_signal -1
	s_barrier_wait -1
.LBB216_36:                             ;   in Loop: Header=BB216_6 Depth=1
	s_and_b32 vcc_lo, exec_lo, s9
	s_mov_b64 s[72:73], 0
	s_cbranch_vccz .LBB216_38
; %bb.37:                               ;   in Loop: Header=BB216_6 Depth=1
	ds_load_b64 v[4:5], v3 offset:5120
	s_wait_dscnt 0x0
	v_readfirstlane_b32 s72, v4
	v_readfirstlane_b32 s73, v5
.LBB216_38:                             ;   in Loop: Header=BB216_6 Depth=1
	s_delay_alu instid0(VALU_DEP_2)
	s_cmp_lt_i32 s72, 1
	s_mov_b32 s9, -1
                                        ; implicit-def: $vgpr4_vgpr5
                                        ; implicit-def: $vgpr8_vgpr9
	s_cbranch_scc1 .LBB216_48
; %bb.39:                               ;   in Loop: Header=BB216_6 Depth=1
	s_and_b32 vcc_lo, exec_lo, s9
	s_cbranch_vccnz .LBB216_62
.LBB216_40:                             ;   in Loop: Header=BB216_6 Depth=1
	s_lshl_b32 s9, s99, 7
	s_and_saveexec_b32 s10, s2
	s_cbranch_execz .LBB216_42
.LBB216_41:                             ;   in Loop: Header=BB216_6 Depth=1
	v_lshl_add_u32 v2, s9, 3, v41
	ds_store_b128 v2, v[4:7]
	ds_store_b128 v2, v[8:11] offset:16
.LBB216_42:                             ;   in Loop: Header=BB216_6 Depth=1
	s_or_b32 exec_lo, exec_lo, s10
	s_wait_dscnt 0x0
	s_barrier_signal -1
	s_barrier_wait -1
	s_and_saveexec_b32 s10, s86
	s_cbranch_execz .LBB216_76
; %bb.43:                               ;   in Loop: Header=BB216_6 Depth=1
	v_mov_b64_e32 v[4:5], 0
	s_and_not1_b32 vcc_lo, exec_lo, s88
	s_cbranch_vccnz .LBB216_75
; %bb.44:                               ;   in Loop: Header=BB216_6 Depth=1
	v_mov_b64_e32 v[4:5], 0
	s_and_not1_b32 vcc_lo, exec_lo, s90
	s_cbranch_vccnz .LBB216_72
; %bb.45:                               ;   in Loop: Header=BB216_6 Depth=1
	v_lshl_add_u32 v2, s99, 10, v43
	s_mov_b32 s11, 0
.LBB216_46:                             ;   Parent Loop BB216_6 Depth=1
                                        ; =>  This Inner Loop Header: Depth=2
	ds_load_2addr_b64 v[6:9], v2 offset1:4
	ds_load_2addr_b64 v[32:35], v2 offset0:8 offset1:12
	s_add_co_i32 s11, s11, 8
	s_delay_alu instid0(SALU_CYCLE_1) | instskip(SKIP_2) | instid1(VALU_DEP_1)
	s_cmp_eq_u32 s91, s11
	s_wait_dscnt 0x1
	v_add_nc_u64_e32 v[4:5], v[6:7], v[4:5]
	v_add_nc_u64_e32 v[8:9], v[8:9], v[4:5]
	ds_load_2addr_b64 v[4:7], v2 offset0:16 offset1:20
	s_wait_dscnt 0x1
	v_add_nc_u64_e32 v[8:9], v[32:33], v[8:9]
	s_delay_alu instid0(VALU_DEP_1) | instskip(SKIP_4) | instid1(VALU_DEP_1)
	v_add_nc_u64_e32 v[32:33], v[34:35], v[8:9]
	ds_load_2addr_b64 v[8:11], v2 offset0:24 offset1:28
	v_add_nc_u32_e32 v2, 0x100, v2
	s_wait_dscnt 0x1
	v_add_nc_u64_e32 v[4:5], v[4:5], v[32:33]
	v_add_nc_u64_e32 v[4:5], v[6:7], v[4:5]
	s_wait_dscnt 0x0
	s_delay_alu instid0(VALU_DEP_1) | instskip(NEXT) | instid1(VALU_DEP_1)
	v_add_nc_u64_e32 v[4:5], v[8:9], v[4:5]
	v_add_nc_u64_e32 v[4:5], v[10:11], v[4:5]
	s_cbranch_scc0 .LBB216_46
; %bb.47:                               ;   in Loop: Header=BB216_6 Depth=1
	s_mov_b32 s11, s91
	s_and_not1_b32 vcc_lo, exec_lo, s92
	s_cbranch_vccz .LBB216_73
	s_branch .LBB216_75
.LBB216_48:                             ;   in Loop: Header=BB216_6 Depth=1
	global_load_u16 v2, v3, s[70:71]
	s_mov_b32 s75, s29
	s_wait_loadcnt 0x0
	v_readfirstlane_b32 s9, v2
	s_and_b32 s9, 0xffff, s9
	s_delay_alu instid0(SALU_CYCLE_1)
	s_lshl_b32 s74, s9, 2
	s_cmp_lg_u64 s[68:69], 0
	s_cbranch_scc0 .LBB216_71
; %bb.49:                               ;   in Loop: Header=BB216_6 Depth=1
	s_cvt_f32_u32 s9, s74
	s_sub_nc_u64 s[12:13], 0, s[74:75]
	s_delay_alu instid0(SALU_CYCLE_2) | instskip(NEXT) | instid1(SALU_CYCLE_3)
	s_fmamk_f32 s9, s94, 0x0, s9
	v_s_rcp_f32 s9, s9
	s_delay_alu instid0(TRANS32_DEP_1) | instskip(NEXT) | instid1(SALU_CYCLE_3)
	s_mul_f32 s9, s9, 0x5f7ffffc
	s_mul_f32 s10, s9, 0x2f800000
	s_delay_alu instid0(SALU_CYCLE_3) | instskip(NEXT) | instid1(SALU_CYCLE_3)
	s_trunc_f32 s10, s10
	s_fmamk_f32 s9, s10, 0xcf800000, s9
	s_cvt_u32_f32 s11, s10
	s_delay_alu instid0(SALU_CYCLE_2) | instskip(NEXT) | instid1(SALU_CYCLE_3)
	s_cvt_u32_f32 s10, s9
	s_mul_u64 s[14:15], s[12:13], s[10:11]
	s_delay_alu instid0(SALU_CYCLE_1)
	s_mul_hi_u32 s17, s10, s15
	s_mul_i32 s16, s10, s15
	s_mul_hi_u32 s28, s10, s14
	s_mul_i32 s18, s11, s14
	s_add_nc_u64 s[16:17], s[28:29], s[16:17]
	s_mul_hi_u32 s9, s11, s14
	s_mul_hi_u32 s19, s11, s15
	s_mul_i32 s14, s11, s15
	s_add_co_u32 s15, s16, s18
	s_add_co_ci_u32 s28, s17, s9
	s_add_co_ci_u32 s15, s19, 0
	s_delay_alu instid0(SALU_CYCLE_1) | instskip(NEXT) | instid1(SALU_CYCLE_1)
	s_add_nc_u64 s[14:15], s[28:29], s[14:15]
	s_add_co_u32 s10, s10, s14
	s_cselect_b32 s9, -1, 0
	s_delay_alu instid0(SALU_CYCLE_1) | instskip(SKIP_1) | instid1(SALU_CYCLE_1)
	s_cmp_lg_u32 s9, 0
	s_add_co_ci_u32 s11, s11, s15
	s_mul_u64 s[12:13], s[12:13], s[10:11]
	s_delay_alu instid0(SALU_CYCLE_1)
	s_mul_hi_u32 s15, s10, s13
	s_mul_i32 s14, s10, s13
	s_mul_hi_u32 s28, s10, s12
	s_mul_i32 s16, s11, s12
	s_add_nc_u64 s[14:15], s[28:29], s[14:15]
	s_mul_hi_u32 s9, s11, s12
	s_mul_hi_u32 s17, s11, s13
	s_mul_i32 s12, s11, s13
	s_add_co_u32 s13, s14, s16
	s_add_co_ci_u32 s28, s15, s9
	s_add_co_ci_u32 s13, s17, 0
	s_delay_alu instid0(SALU_CYCLE_1) | instskip(NEXT) | instid1(SALU_CYCLE_1)
	s_add_nc_u64 s[12:13], s[28:29], s[12:13]
	s_add_co_u32 s9, s10, s12
	s_cselect_b32 s10, -1, 0
	s_mul_hi_u32 s28, s36, s9
	s_cmp_lg_u32 s10, 0
	s_mul_hi_u32 s14, s37, s9
	s_add_co_ci_u32 s12, s11, s13
	s_mul_i32 s9, s37, s9
	s_mul_hi_u32 s11, s36, s12
	s_mul_i32 s10, s36, s12
	s_mul_hi_u32 s13, s37, s12
	s_add_nc_u64 s[10:11], s[28:29], s[10:11]
	s_mul_i32 s12, s37, s12
	s_add_co_u32 s9, s10, s9
	s_add_co_ci_u32 s28, s11, s14
	s_add_co_ci_u32 s13, s13, 0
	s_delay_alu instid0(SALU_CYCLE_1) | instskip(NEXT) | instid1(SALU_CYCLE_1)
	s_add_nc_u64 s[10:11], s[28:29], s[12:13]
	s_and_b64 s[12:13], s[10:11], 0xffffffff00000000
	s_delay_alu instid0(SALU_CYCLE_1) | instskip(NEXT) | instid1(SALU_CYCLE_1)
	s_or_b32 s12, s12, s10
	s_mul_u64 s[10:11], s[74:75], s[12:13]
	s_delay_alu instid0(SALU_CYCLE_1) | instskip(SKIP_1) | instid1(SALU_CYCLE_1)
	s_sub_co_u32 s9, s36, s10
	s_cselect_b32 s10, -1, 0
	s_cmp_lg_u32 s10, 0
	s_sub_co_ci_u32 s10, s37, s11
	s_sub_co_u32 s11, s9, s74
	s_cselect_b32 s12, -1, 0
	s_delay_alu instid0(SALU_CYCLE_1) | instskip(SKIP_3) | instid1(SALU_CYCLE_1)
	s_cmp_lg_u32 s12, 0
	s_sub_co_ci_u32 s12, s10, 0
	s_sub_co_u32 s13, s11, s74
	s_cselect_b32 s14, -1, 0
	s_cmp_lg_u32 s14, 0
	s_sub_co_ci_u32 s14, s12, 0
	s_cmp_ge_u32 s11, s74
	s_cselect_b32 s15, -1, 0
	s_cmp_eq_u32 s12, 0
	s_cselect_b32 s15, s15, -1
	s_delay_alu instid0(SALU_CYCLE_1)
	s_cmp_lg_u32 s15, 0
	s_cselect_b32 s12, s14, s12
	s_cselect_b32 s13, s13, s11
	s_cmp_ge_u32 s9, s74
	s_cselect_b32 s11, -1, 0
	s_cmp_eq_u32 s10, 0
	s_cselect_b32 s11, s11, -1
	s_delay_alu instid0(SALU_CYCLE_1)
	s_cmp_lg_u32 s11, 0
	s_cselect_b32 s11, s12, s10
	s_cselect_b32 s10, s13, s9
	s_cbranch_execnz .LBB216_51
.LBB216_50:                             ;   in Loop: Header=BB216_6 Depth=1
	v_cvt_f32_u32_e32 v4, s74
	s_sub_co_i32 s10, 0, s74
	s_delay_alu instid0(VALU_DEP_1) | instskip(SKIP_1) | instid1(TRANS32_DEP_1)
	v_rcp_iflag_f32_e32 v4, v4
	v_nop
	v_mul_f32_e32 v4, 0x4f7ffffe, v4
	s_delay_alu instid0(VALU_DEP_1) | instskip(NEXT) | instid1(VALU_DEP_1)
	v_cvt_u32_f32_e32 v4, v4
	v_readfirstlane_b32 s9, v4
	s_mul_i32 s10, s10, s9
	s_delay_alu instid0(SALU_CYCLE_1) | instskip(NEXT) | instid1(SALU_CYCLE_1)
	s_mul_hi_u32 s10, s9, s10
	s_add_co_i32 s9, s9, s10
	s_delay_alu instid0(SALU_CYCLE_1) | instskip(NEXT) | instid1(SALU_CYCLE_1)
	s_mul_hi_u32 s9, s36, s9
	s_mul_i32 s9, s9, s74
	s_delay_alu instid0(SALU_CYCLE_1) | instskip(NEXT) | instid1(SALU_CYCLE_1)
	s_sub_co_i32 s9, s36, s9
	s_sub_co_i32 s10, s9, s74
	s_cmp_ge_u32 s9, s74
	s_cselect_b32 s9, s10, s9
	s_delay_alu instid0(SALU_CYCLE_1) | instskip(SKIP_2) | instid1(SALU_CYCLE_1)
	s_sub_co_i32 s10, s9, s74
	s_cmp_ge_u32 s9, s74
	s_cselect_b32 s28, s10, s9
	s_mov_b64 s[10:11], s[28:29]
.LBB216_51:                             ;   in Loop: Header=BB216_6 Depth=1
	v_mov_b64_e32 v[4:5], 0
	v_mov_b64_e32 v[6:7], 0
	;; [unrolled: 1-line block ×4, first 2 shown]
	v_and_b32_e32 v2, 0xffff, v2
	s_sub_nc_u64 s[76:77], s[36:37], s[10:11]
	s_mov_b32 s49, exec_lo
	v_cmpx_gt_u64_e64 s[76:77], v[16:17]
	s_cbranch_execz .LBB216_55
; %bb.52:                               ;   in Loop: Header=BB216_6 Depth=1
	v_readlane_b32 s8, v56, 10
	v_readlane_b32 s9, v56, 11
	v_mov_b64_e32 v[34:35], s[42:43]
	v_mov_b64_e32 v[36:37], v[16:17]
	s_mov_b64 s[78:79], 0
	s_mov_b32 s50, 0
	v_mul_u64_e32 v[32:33], s[8:9], v[2:3]
	s_mov_b64 s[80:81], 0
	s_mov_b64 s[82:83], 0
	;; [unrolled: 1-line block ×3, first 2 shown]
.LBB216_53:                             ;   Parent Loop BB216_6 Depth=1
                                        ; =>  This Inner Loop Header: Depth=2
	v_add_nc_u64_e32 v[4:5], v[34:35], v[28:29]
	v_add_nc_u64_e32 v[6:7], v[34:35], v[26:27]
	v_add_nc_u64_e32 v[8:9], v[34:35], v[24:25]
	v_add_nc_u64_e32 v[10:11], v[34:35], v[20:21]
	v_add_nc_u64_e32 v[36:37], s[74:75], v[36:37]
	v_add_nc_u64_e32 v[34:35], v[34:35], v[32:33]
	s_clause 0x3
	global_load_u16 v4, v[4:5], off
	global_load_u16 v5, v[6:7], off
	;; [unrolled: 1-line block ×4, first 2 shown]
	v_cmp_le_u64_e32 vcc_lo, s[76:77], v[36:37]
	s_wait_loadcnt 0x3
	v_cmp_lt_i16_e64 s9, -1, v4
	s_wait_loadcnt 0x2
	v_cmp_lt_i16_e64 s10, -1, v5
	s_wait_loadcnt 0x1
	v_cmp_lt_i16_e64 s11, -1, v6
	s_wait_loadcnt 0x0
	v_cmp_lt_i16_e64 s12, -1, v7
	v_and_b32_e32 v8, 0xffff, v4
	v_lshlrev_b32_e32 v4, 16, v4
	v_and_b32_e32 v9, 0xffff, v5
	v_lshlrev_b32_e32 v5, 16, v5
	v_cndmask_b32_e64 v47, 0xffff, v44, s9
	v_cndmask_b32_e64 v48, 0xffff, v44, s10
	v_and_b32_e32 v10, 0xffff, v6
	v_lshlrev_b32_e32 v6, 16, v6
	v_cndmask_b32_e64 v49, 0xffff, v44, s11
	v_and_b32_e32 v11, 0xffff, v7
	v_lshlrev_b32_e32 v7, 16, v7
	v_cndmask_b32_e64 v50, 0xffff, v44, s12
	v_cmp_o_f32_e64 s9, v5, v5
	v_cmp_o_f32_e64 s12, v4, v4
	v_xor_b32_e32 v4, v47, v8
	v_xor_b32_e32 v5, v48, v9
	v_cmp_o_f32_e64 s10, v6, v6
	v_xor_b32_e32 v6, v49, v10
	v_cmp_o_f32_e64 s11, v7, v7
	v_xor_b32_e32 v7, v50, v11
	v_cndmask_b32_e64 v4, 0xffff, v4, s12
	v_cndmask_b32_e64 v5, 0xffff, v5, s9
	;; [unrolled: 1-line block ×3, first 2 shown]
	s_delay_alu instid0(VALU_DEP_4) | instskip(NEXT) | instid1(VALU_DEP_4)
	v_cndmask_b32_e64 v7, 0xffff, v7, s11
	v_and_b32_e32 v8, v4, v45
	s_delay_alu instid0(VALU_DEP_4)
	v_and_b32_e32 v9, v5, v45
	v_bfe_u32 v4, v4, s96, 2
	v_bfe_u32 v5, v5, s96, 2
	v_and_b32_e32 v10, v6, v45
	v_bfe_u32 v6, v6, s96, 2
	v_and_b32_e32 v11, v7, v45
	v_bfe_u32 v7, v7, s96, 2
	v_cmp_eq_u32_e64 s9, v8, v42
	v_cmp_eq_u32_e64 s10, v9, v42
	;; [unrolled: 1-line block ×15, first 2 shown]
	s_and_b32 s13, s9, s13
	s_and_b32 s14, s10, s14
	v_cmp_eq_u32_e64 s20, 1, v7
	v_cmp_eq_u32_e64 s23, 2, v6
	;; [unrolled: 1-line block ×3, first 2 shown]
	s_and_b32 s15, s11, s15
	s_and_b32 s17, s9, s17
	;; [unrolled: 1-line block ×3, first 2 shown]
	v_cndmask_b32_e64 v4, 0, 1, s13
	v_cndmask_b32_e64 v5, 0, 1, s14
	v_cmp_eq_u32_e64 s24, 2, v7
	v_cmp_eq_u32_e64 s28, 3, v7
	s_and_b32 s16, s12, s16
	s_and_b32 s19, s11, s19
	;; [unrolled: 1-line block ×4, first 2 shown]
	v_cndmask_b32_e64 v6, 0, 1, s15
	v_cndmask_b32_e64 v8, 0, 1, s17
	v_cndmask_b32_e64 v9, 0, 1, s18
	s_and_b32 s9, s9, s25
	s_and_b32 s10, s10, s26
	;; [unrolled: 1-line block ×4, first 2 shown]
	v_cndmask_b32_e64 v7, 0, 1, s16
	v_cndmask_b32_e64 v10, 0, 1, s19
	;; [unrolled: 1-line block ×4, first 2 shown]
	s_and_b32 s11, s11, s27
	v_cndmask_b32_e64 v51, 0, 1, s9
	v_cndmask_b32_e64 v52, 0, 1, s10
	v_cmp_ne_u32_e64 s9, 0, v4
	v_cmp_ne_u32_e64 s10, 0, v5
	s_and_b32 s24, s12, s24
	v_cndmask_b32_e64 v11, 0, 1, s20
	v_cndmask_b32_e64 v49, 0, 1, s23
	s_and_b32 s12, s12, s28
	v_cndmask_b32_e64 v53, 0, 1, s11
	v_cmp_ne_u32_e64 s11, 0, v6
	v_cmp_ne_u32_e64 s13, 0, v8
	;; [unrolled: 1-line block ×3, first 2 shown]
	v_cndmask_b32_e64 v50, 0, 1, s24
	v_cndmask_b32_e64 v54, 0, 1, s12
	v_cmp_ne_u32_e64 s12, 0, v7
	v_cmp_ne_u32_e64 s15, 0, v10
	;; [unrolled: 1-line block ×4, first 2 shown]
	s_bcnt1_i32_b32 s9, s9
	s_bcnt1_i32_b32 s10, s10
	v_cmp_ne_u32_e64 s16, 0, v11
	v_cmp_ne_u32_e64 s19, 0, v49
	;; [unrolled: 1-line block ×4, first 2 shown]
	s_bcnt1_i32_b32 s11, s11
	s_bcnt1_i32_b32 s13, s13
	;; [unrolled: 1-line block ×3, first 2 shown]
	s_add_co_i32 s9, s10, s9
	v_cmp_ne_u32_e64 s20, 0, v50
	v_cmp_ne_u32_e64 s23, 0, v53
	s_bcnt1_i32_b32 s12, s12
	s_bcnt1_i32_b32 s15, s15
	;; [unrolled: 1-line block ×4, first 2 shown]
	s_add_co_i32 s10, s14, s13
	s_add_co_i32 s9, s9, s11
	v_cmp_ne_u32_e64 s24, 0, v54
	s_bcnt1_i32_b32 s16, s16
	s_bcnt1_i32_b32 s19, s19
	;; [unrolled: 1-line block ×4, first 2 shown]
	s_add_co_i32 s13, s18, s17
	s_add_co_i32 s10, s10, s15
	;; [unrolled: 1-line block ×3, first 2 shown]
	s_bcnt1_i32_b32 s20, s20
	s_bcnt1_i32_b32 s23, s23
	s_add_co_i32 s14, s22, s21
	s_add_co_i32 s11, s13, s19
	s_add_nc_u64 s[84:85], s[84:85], s[28:29]
	s_add_co_i32 s28, s10, s16
	s_bcnt1_i32_b32 s24, s24
	s_add_co_i32 s13, s14, s23
	s_add_nc_u64 s[82:83], s[82:83], s[28:29]
	s_add_co_i32 s28, s11, s20
	v_mov_b64_e32 v[4:5], s[84:85]
	s_add_nc_u64 s[80:81], s[80:81], s[28:29]
	s_add_co_i32 s28, s13, s24
	v_mov_b64_e32 v[6:7], s[82:83]
	s_add_nc_u64 s[78:79], s[78:79], s[28:29]
	v_mov_b64_e32 v[8:9], s[80:81]
	v_mov_b64_e32 v[10:11], s[78:79]
	s_or_b32 s50, vcc_lo, s50
	s_delay_alu instid0(SALU_CYCLE_1)
	s_and_not1_b32 exec_lo, exec_lo, s50
	s_cbranch_execnz .LBB216_53
; %bb.54:                               ;   in Loop: Header=BB216_6 Depth=1
	s_or_b32 exec_lo, exec_lo, s50
.LBB216_55:                             ;   in Loop: Header=BB216_6 Depth=1
	s_delay_alu instid0(SALU_CYCLE_1) | instskip(SKIP_2) | instid1(VALU_DEP_1)
	s_or_b32 exec_lo, exec_lo, s49
	v_add_nc_u64_e32 v[32:33], s[76:77], v[0:1]
	s_mov_b32 s12, exec_lo
	v_cmpx_gt_u64_e64 s[36:37], v[32:33]
	s_cbranch_execz .LBB216_61
; %bb.56:                               ;   in Loop: Header=BB216_6 Depth=1
	v_mul_u64_e32 v[34:35], s[30:31], v[32:33]
	s_mov_b32 s13, 0
	s_delay_alu instid0(VALU_DEP_1)
	v_lshl_add_u64 v[34:35], v[34:35], 1, s[42:43]
	global_load_u16 v35, v[34:35], off
	s_branch .LBB216_58
.LBB216_57:                             ;   in Loop: Header=BB216_58 Depth=2
	s_wait_xcnt 0x0
	s_or_b32 exec_lo, exec_lo, s10
	s_wait_loadcnt 0x0
	v_cmp_lt_i16_e64 s9, -1, v35
	v_and_b32_e32 v36, 0xffff, v35
	s_and_b32 s11, exec_lo, vcc_lo
	s_delay_alu instid0(SALU_CYCLE_1) | instskip(SKIP_1) | instid1(VALU_DEP_1)
	s_or_b32 s13, s11, s13
	v_cndmask_b32_e64 v37, 0xffff, v44, s9
	v_dual_lshlrev_b32 v35, 16, v35 :: v_dual_bitop2_b32 v36, v37, v36 bitop3:0x14
	s_delay_alu instid0(VALU_DEP_1) | instskip(NEXT) | instid1(VALU_DEP_1)
	v_cmp_o_f32_e64 s9, v35, v35
	v_cndmask_b32_e64 v35, 0xffff, v36, s9
	s_delay_alu instid0(VALU_DEP_1) | instskip(SKIP_1) | instid1(VALU_DEP_2)
	v_and_b32_e32 v36, v35, v45
	v_bfe_u32 v35, v35, s96, 2
	v_cmp_eq_u32_e64 s9, v36, v42
	s_delay_alu instid0(VALU_DEP_2)
	v_cmp_eq_u32_e64 s10, 0, v35
	v_cmp_eq_u32_e32 vcc_lo, 1, v35
	s_and_b32 s10, s9, s10
	s_and_b32 s11, s9, vcc_lo
	v_cndmask_b32_e64 v36, 0, 1, s10
	v_cmp_eq_u32_e64 s10, 2, v35
	v_cmp_eq_u32_e32 vcc_lo, 3, v35
	v_cndmask_b32_e64 v37, 0, 1, s11
	s_delay_alu instid0(VALU_DEP_4)
	v_cmp_ne_u32_e64 s11, 0, v36
	s_and_b32 s10, s9, s10
	s_and_b32 s9, s9, vcc_lo
	v_cndmask_b32_e64 v35, 0, 1, s10
	v_cndmask_b32_e64 v36, 0, 1, s9
	v_cmp_ne_u32_e64 s10, 0, v37
	s_bcnt1_i32_b32 s28, s11
	v_cmp_ne_u32_e32 vcc_lo, 0, v35
	v_cmp_ne_u32_e64 s9, 0, v36
	v_add_nc_u64_e32 v[4:5], s[28:29], v[4:5]
	s_bcnt1_i32_b32 s28, s10
	v_mov_b32_e32 v35, v34
	v_add_nc_u64_e32 v[6:7], s[28:29], v[6:7]
	s_bcnt1_i32_b32 s28, vcc_lo
	s_delay_alu instid0(SALU_CYCLE_1) | instskip(SKIP_1) | instid1(SALU_CYCLE_1)
	v_add_nc_u64_e32 v[8:9], s[28:29], v[8:9]
	s_bcnt1_i32_b32 s28, s9
	v_add_nc_u64_e32 v[10:11], s[28:29], v[10:11]
	s_and_not1_b32 exec_lo, exec_lo, s13
	s_cbranch_execz .LBB216_60
.LBB216_58:                             ;   Parent Loop BB216_6 Depth=1
                                        ; =>  This Inner Loop Header: Depth=2
	v_add_nc_u64_e32 v[32:33], v[32:33], v[2:3]
	s_wait_xcnt 0x0
	v_mov_b32_e32 v34, 0
	s_mov_b32 s10, exec_lo
	s_delay_alu instid0(VALU_DEP_2)
	v_cmp_le_u64_e32 vcc_lo, s[36:37], v[32:33]
	v_cmpx_gt_u64_e64 s[36:37], v[32:33]
	s_cbranch_execz .LBB216_57
; %bb.59:                               ;   in Loop: Header=BB216_58 Depth=2
	v_mul_u64_e32 v[36:37], s[30:31], v[32:33]
	s_delay_alu instid0(VALU_DEP_1)
	v_lshl_add_u64 v[36:37], v[36:37], 1, s[42:43]
	global_load_u16 v34, v[36:37], off
	s_branch .LBB216_57
.LBB216_60:                             ;   in Loop: Header=BB216_6 Depth=1
	s_or_b32 exec_lo, exec_lo, s13
.LBB216_61:                             ;   in Loop: Header=BB216_6 Depth=1
	s_delay_alu instid0(SALU_CYCLE_1)
	s_or_b32 exec_lo, exec_lo, s12
	s_branch .LBB216_40
.LBB216_62:                             ;   in Loop: Header=BB216_6 Depth=1
	global_load_u16 v2, v3, s[70:71]
	s_mov_b32 s25, s29
	v_mov_b64_e32 v[6:7], 0
	v_mov_b64_e32 v[8:9], 0
	;; [unrolled: 1-line block ×3, first 2 shown]
	s_wait_loadcnt 0x0
	v_readfirstlane_b32 s9, v2
	v_and_b32_e32 v2, 0xffff, v2
	s_and_b32 s23, 0xffff, s9
	s_delay_alu instid0(SALU_CYCLE_1) | instskip(NEXT) | instid1(SALU_CYCLE_1)
	s_lshl_b32 s26, s23, 2
	s_cvt_f32_u32 s9, s26
	s_sub_co_i32 s10, 0, s26
	s_delay_alu instid0(SALU_CYCLE_2) | instskip(SKIP_1) | instid1(TRANS32_DEP_1)
	v_rcp_iflag_f32_e32 v4, s9
	v_nop
	v_readfirstlane_b32 s9, v4
	s_mul_f32 s9, s9, 0x4f7ffffe
	s_delay_alu instid0(SALU_CYCLE_3) | instskip(NEXT) | instid1(SALU_CYCLE_3)
	s_cvt_u32_f32 s9, s9
	s_mul_i32 s10, s10, s9
	s_delay_alu instid0(SALU_CYCLE_1) | instskip(NEXT) | instid1(SALU_CYCLE_1)
	s_mul_hi_u32 s10, s9, s10
	s_add_co_i32 s9, s9, s10
	s_delay_alu instid0(SALU_CYCLE_1) | instskip(NEXT) | instid1(SALU_CYCLE_1)
	s_mul_hi_u32 s9, s72, s9
	s_mul_i32 s10, s9, s26
	s_add_co_i32 s11, s9, 1
	s_sub_co_i32 s10, s72, s10
	s_delay_alu instid0(SALU_CYCLE_1)
	s_sub_co_i32 s12, s10, s26
	s_cmp_ge_u32 s10, s26
	s_cselect_b32 s9, s11, s9
	s_cselect_b32 s10, s12, s10
	s_add_co_i32 s11, s9, 1
	s_cmp_ge_u32 s10, s26
	s_cselect_b32 s24, s11, s9
	s_delay_alu instid0(SALU_CYCLE_1) | instskip(SKIP_1) | instid1(VALU_DEP_1)
	v_mul_u64_e32 v[4:5], s[24:25], v[2:3]
	s_mov_b32 s25, exec_lo
	v_lshlrev_b64_e32 v[32:33], 2, v[4:5]
	v_mov_b64_e32 v[4:5], 0
	s_delay_alu instid0(VALU_DEP_2)
	v_cmpx_gt_u64_e64 v[32:33], v[16:17]
	s_cbranch_execz .LBB216_66
; %bb.63:                               ;   in Loop: Header=BB216_6 Depth=1
	v_mov_b64_e32 v[34:35], v[16:17]
	v_mov_b32_e32 v36, v40
	s_mov_b32 s27, s29
	s_lshl_b32 s49, s23, 3
	s_mov_b64 s[74:75], 0
	s_mov_b32 s50, 0
	s_mov_b64 s[76:77], 0
	s_mov_b64 s[78:79], 0
	;; [unrolled: 1-line block ×3, first 2 shown]
.LBB216_64:                             ;   Parent Loop BB216_6 Depth=1
                                        ; =>  This Inner Loop Header: Depth=2
	ds_load_b64 v[4:5], v36
	v_add_nc_u32_e32 v36, s49, v36
	v_add_nc_u64_e32 v[34:35], s[26:27], v[34:35]
	s_delay_alu instid0(VALU_DEP_1)
	v_cmp_ge_u64_e32 vcc_lo, v[34:35], v[32:33]
	s_wait_dscnt 0x0
	v_dual_lshrrev_b32 v6, 16, v4 :: v_dual_lshlrev_b32 v8, 16, v4
	v_cmp_lt_i16_e64 s9, -1, v4
	v_cmp_lt_i16_e64 s10, -1, v5
	v_lshrrev_b32_e32 v7, 16, v5
	v_and_b32_e32 v9, 0xffff0000, v4
	v_cmp_o_f32_e64 s12, v8, v8
	v_cndmask_b32_e64 v37, 0xffff, v44, s9
	v_cmp_lt_i16_e64 s9, -1, v6
	v_cndmask_b32_e64 v47, 0xffff, v44, s10
	v_cmp_lt_i16_e64 s11, -1, v7
	v_and_b32_e32 v11, 0xffff0000, v5
	v_bitop3_b32 v4, v37, v4, 0xffff bitop3:0x78
	v_cndmask_b32_e64 v8, 0xffff, v44, s9
	v_lshlrev_b32_e32 v10, 16, v5
	v_bitop3_b32 v5, v47, v5, 0xffff bitop3:0x78
	v_cmp_o_f32_e64 s14, v9, v9
	v_cndmask_b32_e64 v9, 0xffff, v44, s11
	v_xor_b32_e32 v6, v8, v6
	v_cmp_o_f32_e64 s10, v10, v10
	v_cndmask_b32_e64 v4, 0xffff, v4, s12
	v_cmp_o_f32_e64 s13, v11, v11
	v_xor_b32_e32 v7, v9, v7
	v_cndmask_b32_e64 v6, 0xffff, v6, s14
	v_cndmask_b32_e64 v5, 0xffff, v5, s10
	v_and_b32_e32 v8, v4, v45
	v_bfe_u32 v4, v4, s96, 2
	v_cndmask_b32_e64 v7, 0xffff, v7, s13
	s_delay_alu instid0(VALU_DEP_4)
	v_and_b32_e32 v9, v5, v45
	v_bfe_u32 v5, v5, s96, 2
	v_cmp_eq_u32_e64 s9, v8, v42
	v_and_b32_e32 v8, v6, v45
	v_bfe_u32 v6, v6, s96, 2
	v_cmp_eq_u32_e64 s11, 0, v4
	v_cmp_eq_u32_e64 s13, 1, v4
	;; [unrolled: 1-line block ×7, first 2 shown]
	v_and_b32_e32 v9, v7, v45
	v_bfe_u32 v7, v7, s96, 2
	v_cmp_eq_u32_e64 s15, 2, v4
	v_cmp_eq_u32_e64 s17, 3, v4
	;; [unrolled: 1-line block ×4, first 2 shown]
	s_and_b32 s28, s9, s11
	v_cmp_eq_u32_e64 s11, 1, v6
	s_and_b32 s45, s9, s13
	v_cndmask_b32_e64 v4, 0, 1, s28
	s_and_b32 s44, s10, s12
	s_and_b32 s51, s10, s14
	;; [unrolled: 1-line block ×4, first 2 shown]
	v_cmp_eq_u32_e64 s20, v9, v42
	v_cmp_eq_u32_e64 s22, 0, v7
	;; [unrolled: 1-line block ×3, first 2 shown]
	s_and_b32 s52, s9, s15
	v_cmp_eq_u32_e64 s15, 3, v6
	s_and_b32 s9, s9, s17
	v_cndmask_b32_e64 v6, 0, 1, s45
	v_cndmask_b32_e64 v11, 0, 1, s10
	s_and_b32 s10, s19, s21
	v_cmp_eq_u32_e64 s12, 1, v7
	v_cndmask_b32_e64 v5, 0, 1, s44
	v_cndmask_b32_e64 v8, 0, 1, s52
	;; [unrolled: 1-line block ×3, first 2 shown]
	s_and_b32 s18, s19, s11
	v_cmp_ne_u32_e64 s9, 0, v4
	v_cndmask_b32_e64 v4, 0, 1, s10
	v_cmp_eq_u32_e64 s14, 2, v7
	v_cmp_eq_u32_e64 s16, 3, v7
	v_cndmask_b32_e64 v7, 0, 1, s51
	s_and_b32 s17, s20, s22
	s_and_b32 s22, s19, s13
	;; [unrolled: 1-line block ×3, first 2 shown]
	v_cmp_ne_u32_e64 s11, 0, v6
	v_cndmask_b32_e64 v6, 0, 1, s18
	v_cndmask_b32_e64 v9, 0, 1, s53
	s_and_b32 s21, s20, s12
	v_cmp_ne_u32_e64 s10, 0, v5
	v_cndmask_b32_e64 v5, 0, 1, s17
	v_cmp_ne_u32_e64 s13, 0, v8
	v_cndmask_b32_e64 v8, 0, 1, s22
	;; [unrolled: 2-line block ×3, first 2 shown]
	s_bcnt1_i32_b32 s17, s9
	v_cmp_ne_u32_e64 s9, 0, v4
	s_and_b32 s28, s20, s14
	v_cmp_ne_u32_e64 s12, 0, v7
	v_cndmask_b32_e64 v7, 0, 1, s21
	s_bcnt1_i32_b32 s19, s11
	v_cmp_ne_u32_e64 s11, 0, v6
	s_and_b32 s20, s20, s16
	v_cmp_ne_u32_e64 s14, 0, v9
	v_cndmask_b32_e64 v9, 0, 1, s28
	s_bcnt1_i32_b32 s18, s10
	v_cmp_ne_u32_e64 s10, 0, v5
	s_bcnt1_i32_b32 s21, s13
	v_cmp_ne_u32_e64 s13, 0, v8
	;; [unrolled: 2-line block ×3, first 2 shown]
	v_cmp_ne_u32_e64 s16, 0, v11
	v_cndmask_b32_e64 v11, 0, 1, s20
	s_bcnt1_i32_b32 s9, s9
	s_bcnt1_i32_b32 s20, s12
	v_cmp_ne_u32_e64 s12, 0, v7
	s_bcnt1_i32_b32 s11, s11
	s_add_co_i32 s9, s9, s17
	s_bcnt1_i32_b32 s22, s14
	v_cmp_ne_u32_e64 s14, 0, v9
	s_bcnt1_i32_b32 s10, s10
	s_bcnt1_i32_b32 s13, s13
	;; [unrolled: 1-line block ×3, first 2 shown]
	s_add_co_i32 s11, s11, s19
	s_add_co_i32 s9, s9, s18
	s_bcnt1_i32_b32 s44, s16
	v_cmp_ne_u32_e64 s16, 0, v11
	s_bcnt1_i32_b32 s12, s12
	s_add_co_i32 s13, s13, s21
	s_add_co_i32 s15, s15, s28
	;; [unrolled: 1-line block ×4, first 2 shown]
	s_bcnt1_i32_b32 s14, s14
	s_add_co_i32 s13, s13, s22
	s_add_nc_u64 s[80:81], s[80:81], s[28:29]
	s_add_co_i32 s28, s11, s12
	s_bcnt1_i32_b32 s16, s16
	s_add_co_i32 s15, s15, s44
	s_add_nc_u64 s[78:79], s[78:79], s[28:29]
	s_add_co_i32 s28, s13, s14
	v_mov_b64_e32 v[4:5], s[80:81]
	s_add_nc_u64 s[76:77], s[76:77], s[28:29]
	s_add_co_i32 s28, s15, s16
	v_mov_b64_e32 v[6:7], s[78:79]
	s_add_nc_u64 s[74:75], s[74:75], s[28:29]
	v_mov_b64_e32 v[8:9], s[76:77]
	v_mov_b64_e32 v[10:11], s[74:75]
	s_or_b32 s50, vcc_lo, s50
	s_delay_alu instid0(SALU_CYCLE_1)
	s_and_not1_b32 exec_lo, exec_lo, s50
	s_cbranch_execnz .LBB216_64
; %bb.65:                               ;   in Loop: Header=BB216_6 Depth=1
	s_or_b32 exec_lo, exec_lo, s50
.LBB216_66:                             ;   in Loop: Header=BB216_6 Depth=1
	s_delay_alu instid0(SALU_CYCLE_1) | instskip(SKIP_3) | instid1(VALU_DEP_1)
	s_or_b32 exec_lo, exec_lo, s25
	v_add_nc_u64_e32 v[32:33], v[32:33], v[0:1]
	s_and_b64 s[14:15], s[72:73], 0x7fffffff
	s_mov_b32 s16, exec_lo
	v_cmpx_gt_u64_e64 s[14:15], v[32:33]
	s_cbranch_execz .LBB216_70
; %bb.67:                               ;   in Loop: Header=BB216_6 Depth=1
	s_mul_i32 s9, s24, s23
	s_lshl_b32 s18, s23, 1
	v_lshl_add_u32 v34, s9, 3, v38
	s_mov_b32 s17, 0
.LBB216_68:                             ;   Parent Loop BB216_6 Depth=1
                                        ; =>  This Inner Loop Header: Depth=2
	ds_load_u16 v35, v34
	v_add_nc_u64_e32 v[32:33], v[32:33], v[2:3]
	v_add_nc_u32_e32 v34, s18, v34
	s_delay_alu instid0(VALU_DEP_2) | instskip(SKIP_3) | instid1(VALU_DEP_2)
	v_cmp_le_u64_e32 vcc_lo, s[14:15], v[32:33]
	s_wait_dscnt 0x0
	v_cmp_lt_i16_e64 s9, -1, v35
	v_and_b32_e32 v36, 0xffff, v35
	v_cndmask_b32_e64 v37, 0xffff, v44, s9
	s_delay_alu instid0(VALU_DEP_1) | instskip(NEXT) | instid1(VALU_DEP_1)
	v_dual_lshlrev_b32 v35, 16, v35 :: v_dual_bitop2_b32 v36, v37, v36 bitop3:0x14
	v_cmp_o_f32_e64 s9, v35, v35
	s_delay_alu instid0(VALU_DEP_1) | instskip(NEXT) | instid1(VALU_DEP_1)
	v_cndmask_b32_e64 v35, 0xffff, v36, s9
	v_and_b32_e32 v36, v35, v45
	v_bfe_u32 v35, v35, s96, 2
	s_delay_alu instid0(VALU_DEP_2) | instskip(NEXT) | instid1(VALU_DEP_2)
	v_cmp_eq_u32_e64 s9, v36, v42
	v_cmp_eq_u32_e64 s10, 0, v35
	;; [unrolled: 1-line block ×5, first 2 shown]
	s_and_b32 s10, s9, s10
	s_delay_alu instid0(SALU_CYCLE_1) | instskip(SKIP_1) | instid1(SALU_CYCLE_1)
	v_cndmask_b32_e64 v35, 0, 1, s10
	s_and_b32 s10, s9, s11
	v_cndmask_b32_e64 v36, 0, 1, s10
	s_and_b32 s10, s9, s12
	s_and_b32 s9, s9, s13
	v_cndmask_b32_e64 v37, 0, 1, s10
	v_cndmask_b32_e64 v47, 0, 1, s9
	v_cmp_ne_u32_e64 s9, 0, v35
	v_cmp_ne_u32_e64 s10, 0, v36
	s_delay_alu instid0(VALU_DEP_4) | instskip(NEXT) | instid1(VALU_DEP_4)
	v_cmp_ne_u32_e64 s11, 0, v37
	v_cmp_ne_u32_e64 s12, 0, v47
	s_bcnt1_i32_b32 s28, s9
	s_delay_alu instid0(SALU_CYCLE_1) | instskip(SKIP_1) | instid1(SALU_CYCLE_1)
	v_add_nc_u64_e32 v[4:5], s[28:29], v[4:5]
	s_bcnt1_i32_b32 s28, s10
	v_add_nc_u64_e32 v[6:7], s[28:29], v[6:7]
	s_bcnt1_i32_b32 s28, s11
	s_delay_alu instid0(SALU_CYCLE_1)
	v_add_nc_u64_e32 v[8:9], s[28:29], v[8:9]
	s_bcnt1_i32_b32 s28, s12
	s_or_b32 s17, vcc_lo, s17
	v_add_nc_u64_e32 v[10:11], s[28:29], v[10:11]
	s_and_not1_b32 exec_lo, exec_lo, s17
	s_cbranch_execnz .LBB216_68
; %bb.69:                               ;   in Loop: Header=BB216_6 Depth=1
	s_or_b32 exec_lo, exec_lo, s17
.LBB216_70:                             ;   in Loop: Header=BB216_6 Depth=1
	s_delay_alu instid0(SALU_CYCLE_1)
	s_or_b32 exec_lo, exec_lo, s16
	s_lshl_b32 s9, s99, 7
	s_and_saveexec_b32 s10, s2
	s_cbranch_execnz .LBB216_41
	s_branch .LBB216_42
.LBB216_71:                             ;   in Loop: Header=BB216_6 Depth=1
                                        ; implicit-def: $sgpr10_sgpr11
	s_branch .LBB216_50
.LBB216_72:                             ;   in Loop: Header=BB216_6 Depth=1
	s_mov_b32 s11, 0
	s_and_not1_b32 vcc_lo, exec_lo, s92
	s_cbranch_vccnz .LBB216_75
.LBB216_73:                             ;   in Loop: Header=BB216_6 Depth=1
	s_lshl_b32 s12, s99, 10
	s_lshl_b32 s11, s11, 5
	s_delay_alu instid0(SALU_CYCLE_1)
	v_add3_u32 v2, s12, s11, v43
	s_mov_b32 s11, s89
.LBB216_74:                             ;   Parent Loop BB216_6 Depth=1
                                        ; =>  This Inner Loop Header: Depth=2
	ds_load_b64 v[6:7], v2
	v_add_nc_u32_e32 v2, 32, v2
	s_add_co_i32 s11, s11, -1
	s_delay_alu instid0(SALU_CYCLE_1)
	s_cmp_lg_u32 s11, 0
	s_wait_dscnt 0x0
	v_add_nc_u64_e32 v[4:5], v[6:7], v[4:5]
	s_cbranch_scc1 .LBB216_74
.LBB216_75:                             ;   in Loop: Header=BB216_6 Depth=1
	v_add_lshl_u32 v2, s9, v13, 3
	ds_store_b64 v2, v[4:5] offset:3072
.LBB216_76:                             ;   in Loop: Header=BB216_6 Depth=1
	s_or_b32 exec_lo, exec_lo, s10
	s_lshl_b32 s9, s9, 3
	s_wait_dscnt 0x0
	v_mov_b32_e32 v2, s9
	s_barrier_signal -1
	s_barrier_wait -1
	v_cmp_eq_u64_e64 s9, 1, v[30:31]
	ds_load_b128 v[4:7], v2 offset:3072
	ds_load_b128 v[8:11], v2 offset:3088
	s_lshl_b32 s24, 3, s96
	s_mov_b32 s74, -1
	s_not_b32 s25, s24
	s_mov_b32 s26, 0
	s_and_not1_b32 vcc_lo, exec_lo, s87
	s_mov_b32 s49, 0
	s_mov_b32 s27, 0
                                        ; implicit-def: $sgpr72
                                        ; implicit-def: $sgpr73
                                        ; implicit-def: $vgpr2
	s_wait_dscnt 0x1
	v_readfirstlane_b32 s13, v5
	v_readfirstlane_b32 s12, v4
	;; [unrolled: 1-line block ×4, first 2 shown]
	s_wait_dscnt 0x0
	v_readfirstlane_b32 s17, v9
	v_readfirstlane_b32 s16, v8
	;; [unrolled: 1-line block ×4, first 2 shown]
                                        ; implicit-def: $vgpr4_vgpr5
                                        ; implicit-def: $vgpr10
                                        ; implicit-def: $vgpr11
                                        ; implicit-def: $vgpr8
	s_cbranch_vccnz .LBB216_271
; %bb.77:                               ;   in Loop: Header=BB216_6 Depth=1
	s_cmp_eq_u64 s[12:13], 1
	v_dual_mov_b32 v10, v42 :: v_dual_mov_b32 v11, v45
	v_mov_b32_e32 v8, v46
	s_cselect_b32 s10, -1, 0
                                        ; implicit-def: $sgpr73
                                        ; implicit-def: $sgpr72
	s_delay_alu instid0(SALU_CYCLE_1)
	s_and_b32 s76, s10, s9
	s_mov_b32 s10, -1
	s_and_saveexec_b32 s27, s76
	s_cbranch_execz .LBB216_112
; %bb.78:                               ;   in Loop: Header=BB216_6 Depth=1
	ds_load_b64 v[4:5], v3 offset:5120
	s_wait_dscnt 0x0
	s_barrier_signal -1
	s_barrier_wait -1
	v_readfirstlane_b32 s10, v4
	v_readfirstlane_b32 s11, v5
	s_and_saveexec_b32 s20, s6
; %bb.79:                               ;   in Loop: Header=BB216_6 Depth=1
	ds_store_b16 v39, v3
; %bb.80:                               ;   in Loop: Header=BB216_6 Depth=1
	s_or_b32 exec_lo, exec_lo, s20
	v_and_b32_e32 v10, s25, v42
	v_or_b32_e32 v11, s24, v45
	s_mov_b32 s72, -1
	s_mov_b32 s73, 0
	s_cmp_eq_u64 s[10:11], 0
	s_mov_b32 s22, 0
	s_mov_b32 s23, -1
	s_wait_dscnt 0x0
	s_barrier_signal -1
	s_barrier_wait -1
                                        ; implicit-def: $vgpr8
	s_cbranch_scc1 .LBB216_97
; %bb.81:                               ;   in Loop: Header=BB216_6 Depth=1
	s_add_nc_u64 s[20:21], s[10:11], s[54:55]
	s_delay_alu instid0(SALU_CYCLE_1) | instskip(NEXT) | instid1(SALU_CYCLE_1)
	s_and_b64 s[22:23], s[20:21], 0xffffffff00000000
	s_cmp_lg_u64 s[22:23], 0
	s_cbranch_scc0 .LBB216_138
; %bb.82:                               ;   in Loop: Header=BB216_6 Depth=1
	s_cvt_f32_u32 s8, s34
	s_sub_nc_u64 s[44:45], 0, s[34:35]
	s_delay_alu instid0(SALU_CYCLE_2) | instskip(NEXT) | instid1(SALU_CYCLE_3)
	s_fmamk_f32 s8, s94, 0x0, s8
	v_s_rcp_f32 s8, s8
	s_delay_alu instid0(TRANS32_DEP_1) | instskip(NEXT) | instid1(SALU_CYCLE_3)
	s_mul_f32 s8, s8, 0x5f7ffffc
	s_mul_f32 s22, s8, 0x2f800000
	s_delay_alu instid0(SALU_CYCLE_3) | instskip(NEXT) | instid1(SALU_CYCLE_3)
	s_trunc_f32 s22, s22
	s_fmamk_f32 s8, s22, 0xcf800000, s8
	s_cvt_u32_f32 s23, s22
	s_delay_alu instid0(SALU_CYCLE_2) | instskip(NEXT) | instid1(SALU_CYCLE_3)
	s_cvt_u32_f32 s22, s8
	s_mul_u64 s[50:51], s[44:45], s[22:23]
	s_delay_alu instid0(SALU_CYCLE_1)
	s_mul_hi_u32 s53, s22, s51
	s_mul_i32 s52, s22, s51
	s_mul_hi_u32 s28, s22, s50
	s_mul_i32 s49, s23, s50
	s_add_nc_u64 s[52:53], s[28:29], s[52:53]
	s_mul_hi_u32 s8, s23, s50
	s_mul_hi_u32 s66, s23, s51
	s_add_co_u32 s28, s52, s49
	s_add_co_ci_u32 s28, s53, s8
	s_mul_i32 s50, s23, s51
	s_add_co_ci_u32 s51, s66, 0
	s_delay_alu instid0(SALU_CYCLE_1) | instskip(NEXT) | instid1(SALU_CYCLE_1)
	s_add_nc_u64 s[50:51], s[28:29], s[50:51]
	s_add_co_u32 s22, s22, s50
	s_cselect_b32 s8, -1, 0
	s_delay_alu instid0(SALU_CYCLE_1) | instskip(SKIP_1) | instid1(SALU_CYCLE_1)
	s_cmp_lg_u32 s8, 0
	s_add_co_ci_u32 s23, s23, s51
	s_mul_u64 s[44:45], s[44:45], s[22:23]
	s_delay_alu instid0(SALU_CYCLE_1)
	s_mul_hi_u32 s51, s22, s45
	s_mul_i32 s50, s22, s45
	s_mul_hi_u32 s28, s22, s44
	s_mul_i32 s49, s23, s44
	s_add_nc_u64 s[50:51], s[28:29], s[50:51]
	s_mul_hi_u32 s8, s23, s44
	s_mul_hi_u32 s52, s23, s45
	s_add_co_u32 s28, s50, s49
	s_add_co_ci_u32 s28, s51, s8
	s_mul_i32 s44, s23, s45
	s_add_co_ci_u32 s45, s52, 0
	s_delay_alu instid0(SALU_CYCLE_1) | instskip(NEXT) | instid1(SALU_CYCLE_1)
	s_add_nc_u64 s[44:45], s[28:29], s[44:45]
	s_add_co_u32 s8, s22, s44
	s_cselect_b32 s22, -1, 0
	s_mul_hi_u32 s28, s20, s8
	s_cmp_lg_u32 s22, 0
	s_mul_hi_u32 s49, s21, s8
	s_add_co_ci_u32 s44, s23, s45
	s_mul_i32 s8, s21, s8
	s_mul_hi_u32 s23, s20, s44
	s_mul_i32 s22, s20, s44
	s_mul_hi_u32 s45, s21, s44
	s_add_nc_u64 s[22:23], s[28:29], s[22:23]
	s_mul_i32 s44, s21, s44
	s_add_co_u32 s8, s22, s8
	s_add_co_ci_u32 s28, s23, s49
	s_add_co_ci_u32 s45, s45, 0
	s_delay_alu instid0(SALU_CYCLE_1) | instskip(NEXT) | instid1(SALU_CYCLE_1)
	s_add_nc_u64 s[22:23], s[28:29], s[44:45]
	s_and_b64 s[44:45], s[22:23], 0xffffffff00000000
	s_delay_alu instid0(SALU_CYCLE_1) | instskip(NEXT) | instid1(SALU_CYCLE_1)
	s_or_b32 s44, s44, s22
	s_mul_u64 s[22:23], s[34:35], s[44:45]
	s_delay_alu instid0(SALU_CYCLE_1) | instskip(SKIP_1) | instid1(SALU_CYCLE_1)
	s_sub_co_u32 s8, s20, s22
	s_cselect_b32 s22, -1, 0
	s_cmp_lg_u32 s22, 0
	s_sub_co_ci_u32 s22, s21, s23
	s_sub_co_u32 s23, s8, s34
	s_cselect_b32 s28, -1, 0
	s_delay_alu instid0(SALU_CYCLE_1) | instskip(SKIP_3) | instid1(SALU_CYCLE_1)
	s_cmp_lg_u32 s28, 0
	s_sub_co_ci_u32 s28, s22, 0
	s_sub_co_u32 s44, s23, s34
	s_cselect_b32 s45, -1, 0
	s_cmp_lg_u32 s45, 0
	s_sub_co_ci_u32 s45, s28, 0
	s_cmp_ge_u32 s23, s34
	s_cselect_b32 s49, -1, 0
	s_cmp_eq_u32 s28, 0
	s_cselect_b32 s49, s49, -1
	s_delay_alu instid0(SALU_CYCLE_1)
	s_cmp_lg_u32 s49, 0
	s_cselect_b32 s28, s45, s28
	s_cselect_b32 s44, s44, s23
	s_cmp_ge_u32 s8, s34
	s_cselect_b32 s23, -1, 0
	s_cmp_eq_u32 s22, 0
	s_cselect_b32 s23, s23, -1
	s_delay_alu instid0(SALU_CYCLE_1)
	s_cmp_lg_u32 s23, 0
	s_cselect_b32 s23, s28, s22
	s_cselect_b32 s22, s44, s8
	s_cbranch_execnz .LBB216_84
.LBB216_83:                             ;   in Loop: Header=BB216_6 Depth=1
	v_cvt_f32_u32_e32 v2, s34
	s_sub_co_i32 s22, 0, s34
	s_delay_alu instid0(VALU_DEP_1) | instskip(SKIP_1) | instid1(TRANS32_DEP_1)
	v_rcp_iflag_f32_e32 v2, v2
	v_nop
	v_mul_f32_e32 v2, 0x4f7ffffe, v2
	s_delay_alu instid0(VALU_DEP_1) | instskip(NEXT) | instid1(VALU_DEP_1)
	v_cvt_u32_f32_e32 v2, v2
	v_readfirstlane_b32 s8, v2
	s_mul_i32 s22, s22, s8
	s_delay_alu instid0(SALU_CYCLE_1) | instskip(NEXT) | instid1(SALU_CYCLE_1)
	s_mul_hi_u32 s22, s8, s22
	s_add_co_i32 s8, s8, s22
	s_delay_alu instid0(SALU_CYCLE_1) | instskip(NEXT) | instid1(SALU_CYCLE_1)
	s_mul_hi_u32 s8, s20, s8
	s_mul_i32 s8, s8, s34
	s_delay_alu instid0(SALU_CYCLE_1) | instskip(NEXT) | instid1(SALU_CYCLE_1)
	s_sub_co_i32 s8, s20, s8
	s_sub_co_i32 s22, s8, s34
	s_cmp_ge_u32 s8, s34
	s_cselect_b32 s8, s22, s8
	s_delay_alu instid0(SALU_CYCLE_1) | instskip(SKIP_2) | instid1(SALU_CYCLE_1)
	s_sub_co_i32 s22, s8, s34
	s_cmp_ge_u32 s8, s34
	s_cselect_b32 s28, s22, s8
	s_mov_b64 s[22:23], s[28:29]
.LBB216_84:                             ;   in Loop: Header=BB216_6 Depth=1
	s_delay_alu instid0(SALU_CYCLE_1)
	s_sub_nc_u64 s[20:21], s[20:21], s[22:23]
	s_mov_b32 s23, 0
	s_mov_b32 s22, 0
	s_mov_b32 s28, exec_lo
                                        ; implicit-def: $vgpr8
	v_cmpx_gt_u64_e64 s[20:21], v[0:1]
	s_cbranch_execz .LBB216_96
; %bb.85:                               ;   in Loop: Header=BB216_6 Depth=1
	v_mov_b64_e32 v[4:5], v[0:1]
	v_mov_b32_e32 v2, v38
                                        ; implicit-def: $sgpr49
	s_branch .LBB216_88
.LBB216_86:                             ;   in Loop: Header=BB216_88 Depth=2
	s_or_b32 exec_lo, exec_lo, s50
	s_wait_dscnt 0x0
	s_barrier_signal -1
	s_barrier_wait -1
	ds_load_b32 v6, v3 offset:3072
	s_mov_b32 s50, -1
	s_mov_b32 s51, -1
	s_wait_dscnt 0x0
	s_barrier_signal -1
	s_barrier_wait -1
	v_and_b32_e32 v7, 0x7fff, v6
	s_delay_alu instid0(VALU_DEP_1)
	v_cmp_ne_u32_e32 vcc_lo, 0, v7
	s_cbranch_vccz .LBB216_91
.LBB216_87:                             ;   in Loop: Header=BB216_88 Depth=2
	s_and_b32 s8, exec_lo, s50
	s_delay_alu instid0(SALU_CYCLE_1) | instskip(SKIP_2) | instid1(SALU_CYCLE_1)
	s_or_b32 s22, s8, s22
	s_and_not1_b32 s8, s49, exec_lo
	s_and_b32 s44, s51, exec_lo
	s_or_b32 s49, s8, s44
	s_and_not1_b32 exec_lo, exec_lo, s22
	s_cbranch_execz .LBB216_95
.LBB216_88:                             ;   Parent Loop BB216_6 Depth=1
                                        ; =>  This Inner Loop Header: Depth=2
	s_mov_b32 s50, exec_lo
	s_delay_alu instid0(VALU_DEP_2)
	v_cmpx_gt_u64_e64 s[10:11], v[4:5]
	s_cbranch_execz .LBB216_86
; %bb.89:                               ;   in Loop: Header=BB216_88 Depth=2
	ds_load_u16 v6, v2
	s_wait_dscnt 0x0
	v_cmp_lt_i16_e32 vcc_lo, -1, v6
	v_and_b32_e32 v7, 0xffff, v6
	v_dual_cndmask_b32 v8, 0xffff, v44 :: v_dual_lshlrev_b32 v9, 16, v6
	s_delay_alu instid0(VALU_DEP_1) | instskip(NEXT) | instid1(VALU_DEP_2)
	v_cmp_o_f32_e32 vcc_lo, v9, v9
	v_xor_b32_e32 v7, v8, v7
	s_delay_alu instid0(VALU_DEP_1) | instskip(NEXT) | instid1(VALU_DEP_1)
	v_cndmask_b32_e32 v7, 0xffff, v7, vcc_lo
	v_and_b32_e32 v7, v7, v11
	s_delay_alu instid0(VALU_DEP_1)
	v_cmp_eq_u32_e32 vcc_lo, v7, v10
	s_and_b32 exec_lo, exec_lo, vcc_lo
	s_cbranch_execz .LBB216_86
; %bb.90:                               ;   in Loop: Header=BB216_88 Depth=2
	v_perm_b32 v6, v6, s95, 0x5040100
	ds_store_b32 v3, v6 offset:3072
	s_branch .LBB216_86
.LBB216_91:                             ;   in Loop: Header=BB216_88 Depth=2
	v_add_nc_u64_e32 v[4:5], s[34:35], v[4:5]
	v_add_nc_u32_e32 v2, s93, v2
	s_mov_b32 s51, 0
	s_delay_alu instid0(VALU_DEP_2)
	v_cmp_le_u64_e32 vcc_lo, s[20:21], v[4:5]
	s_or_not1_b32 s50, vcc_lo, exec_lo
	s_branch .LBB216_87
.LBB216_92:                             ;   in Loop: Header=BB216_6 Depth=1
	s_or_b32 exec_lo, exec_lo, s12
	s_wait_dscnt 0x0
	s_barrier_signal -1
	s_barrier_wait -1
	s_and_saveexec_b32 s9, s5
	s_cbranch_execz .LBB216_94
; %bb.93:                               ;   in Loop: Header=BB216_6 Depth=1
	ds_load_b32 v4, v3 offset:5144
	s_wait_dscnt 0x0
	v_ashrrev_i32_e32 v5, 31, v4
	ds_store_b64 v3, v[4:5] offset:5120
.LBB216_94:                             ;   in Loop: Header=BB216_6 Depth=1
	s_or_b32 exec_lo, exec_lo, s9
	s_wait_dscnt 0x0
	s_barrier_signal -1
	s_mov_b32 s9, -1
	s_barrier_wait -1
	s_and_b32 vcc_lo, exec_lo, s11
	s_cbranch_vccnz .LBB216_21
	s_branch .LBB216_36
.LBB216_95:                             ;   in Loop: Header=BB216_6 Depth=1
	s_or_b32 exec_lo, exec_lo, s22
	v_lshrrev_b32_e32 v8, 16, v6
	s_and_b32 s22, s49, exec_lo
.LBB216_96:                             ;   in Loop: Header=BB216_6 Depth=1
	s_or_b32 exec_lo, exec_lo, s28
.LBB216_97:                             ;   in Loop: Header=BB216_6 Depth=1
	s_delay_alu instid0(SALU_CYCLE_1)
	s_and_b32 vcc_lo, exec_lo, s23
	s_cbranch_vccz .LBB216_111
; %bb.98:                               ;   in Loop: Header=BB216_6 Depth=1
	s_and_b64 s[10:11], s[56:57], 0xffffffff00000000
	s_delay_alu instid0(SALU_CYCLE_1)
	s_cmp_lg_u64 s[10:11], 0
	s_cbranch_scc0 .LBB216_139
; %bb.99:                               ;   in Loop: Header=BB216_6 Depth=1
	s_cvt_f32_u32 s8, s34
	s_sub_nc_u64 s[20:21], 0, s[34:35]
	s_delay_alu instid0(SALU_CYCLE_2) | instskip(NEXT) | instid1(SALU_CYCLE_3)
	s_fmamk_f32 s8, s94, 0x0, s8
	v_s_rcp_f32 s8, s8
	s_delay_alu instid0(TRANS32_DEP_1) | instskip(NEXT) | instid1(SALU_CYCLE_3)
	s_mul_f32 s8, s8, 0x5f7ffffc
	s_mul_f32 s10, s8, 0x2f800000
	s_delay_alu instid0(SALU_CYCLE_3) | instskip(NEXT) | instid1(SALU_CYCLE_3)
	s_trunc_f32 s10, s10
	s_fmamk_f32 s8, s10, 0xcf800000, s8
	s_cvt_u32_f32 s11, s10
	s_delay_alu instid0(SALU_CYCLE_2) | instskip(NEXT) | instid1(SALU_CYCLE_3)
	s_cvt_u32_f32 s10, s8
	s_mul_u64 s[44:45], s[20:21], s[10:11]
	s_delay_alu instid0(SALU_CYCLE_1)
	s_mul_hi_u32 s51, s10, s45
	s_mul_i32 s50, s10, s45
	s_mul_hi_u32 s28, s10, s44
	s_mul_i32 s23, s11, s44
	s_add_nc_u64 s[50:51], s[28:29], s[50:51]
	s_mul_hi_u32 s8, s11, s44
	s_mul_hi_u32 s49, s11, s45
	s_add_co_u32 s23, s50, s23
	s_add_co_ci_u32 s28, s51, s8
	s_mul_i32 s44, s11, s45
	s_add_co_ci_u32 s45, s49, 0
	s_delay_alu instid0(SALU_CYCLE_1) | instskip(NEXT) | instid1(SALU_CYCLE_1)
	s_add_nc_u64 s[44:45], s[28:29], s[44:45]
	s_add_co_u32 s10, s10, s44
	s_cselect_b32 s8, -1, 0
	s_delay_alu instid0(SALU_CYCLE_1) | instskip(SKIP_1) | instid1(SALU_CYCLE_1)
	s_cmp_lg_u32 s8, 0
	s_add_co_ci_u32 s11, s11, s45
	s_mul_u64 s[20:21], s[20:21], s[10:11]
	s_delay_alu instid0(SALU_CYCLE_1)
	s_mul_hi_u32 s45, s10, s21
	s_mul_i32 s44, s10, s21
	s_mul_hi_u32 s28, s10, s20
	s_mul_i32 s23, s11, s20
	s_add_nc_u64 s[44:45], s[28:29], s[44:45]
	s_mul_hi_u32 s8, s11, s20
	s_mul_hi_u32 s49, s11, s21
	s_mul_i32 s20, s11, s21
	s_add_co_u32 s21, s44, s23
	s_add_co_ci_u32 s28, s45, s8
	s_add_co_ci_u32 s21, s49, 0
	s_delay_alu instid0(SALU_CYCLE_1) | instskip(NEXT) | instid1(SALU_CYCLE_1)
	s_add_nc_u64 s[20:21], s[28:29], s[20:21]
	s_add_co_u32 s8, s10, s20
	s_cselect_b32 s10, -1, 0
	s_mul_hi_u32 s28, s56, s8
	s_cmp_lg_u32 s10, 0
	s_mul_hi_u32 s23, s57, s8
	s_add_co_ci_u32 s20, s11, s21
	s_mul_i32 s8, s57, s8
	s_mul_hi_u32 s11, s56, s20
	s_mul_i32 s10, s56, s20
	s_mul_hi_u32 s21, s57, s20
	s_add_nc_u64 s[10:11], s[28:29], s[10:11]
	s_mul_i32 s20, s57, s20
	s_add_co_u32 s8, s10, s8
	s_add_co_ci_u32 s28, s11, s23
	s_add_co_ci_u32 s21, s21, 0
	s_delay_alu instid0(SALU_CYCLE_1) | instskip(NEXT) | instid1(SALU_CYCLE_1)
	s_add_nc_u64 s[10:11], s[28:29], s[20:21]
	s_and_b64 s[20:21], s[10:11], 0xffffffff00000000
	s_delay_alu instid0(SALU_CYCLE_1) | instskip(NEXT) | instid1(SALU_CYCLE_1)
	s_or_b32 s20, s20, s10
	s_mul_u64 s[10:11], s[34:35], s[20:21]
	s_delay_alu instid0(SALU_CYCLE_1) | instskip(SKIP_1) | instid1(SALU_CYCLE_1)
	s_sub_co_u32 s8, s56, s10
	s_cselect_b32 s10, -1, 0
	s_cmp_lg_u32 s10, 0
	s_sub_co_ci_u32 s10, s57, s11
	s_sub_co_u32 s11, s8, s34
	s_cselect_b32 s20, -1, 0
	s_delay_alu instid0(SALU_CYCLE_1) | instskip(SKIP_3) | instid1(SALU_CYCLE_1)
	s_cmp_lg_u32 s20, 0
	s_sub_co_ci_u32 s20, s10, 0
	s_sub_co_u32 s21, s11, s34
	s_cselect_b32 s23, -1, 0
	s_cmp_lg_u32 s23, 0
	s_sub_co_ci_u32 s23, s20, 0
	s_cmp_ge_u32 s11, s34
	s_cselect_b32 s28, -1, 0
	s_cmp_eq_u32 s20, 0
	s_cselect_b32 s28, s28, -1
	s_delay_alu instid0(SALU_CYCLE_1)
	s_cmp_lg_u32 s28, 0
	s_cselect_b32 s20, s23, s20
	s_cselect_b32 s21, s21, s11
	s_cmp_ge_u32 s8, s34
	s_cselect_b32 s11, -1, 0
	s_cmp_eq_u32 s10, 0
	s_cselect_b32 s11, s11, -1
	s_delay_alu instid0(SALU_CYCLE_1)
	s_cmp_lg_u32 s11, 0
	s_cselect_b32 s11, s20, s10
	s_cselect_b32 s10, s21, s8
	s_cbranch_execnz .LBB216_101
.LBB216_100:                            ;   in Loop: Header=BB216_6 Depth=1
	v_cvt_f32_u32_e32 v2, s34
	s_sub_co_i32 s10, 0, s34
	s_delay_alu instid0(VALU_DEP_1) | instskip(SKIP_1) | instid1(TRANS32_DEP_1)
	v_rcp_iflag_f32_e32 v2, v2
	v_nop
	v_mul_f32_e32 v2, 0x4f7ffffe, v2
	s_delay_alu instid0(VALU_DEP_1) | instskip(NEXT) | instid1(VALU_DEP_1)
	v_cvt_u32_f32_e32 v2, v2
	v_readfirstlane_b32 s8, v2
	s_mul_i32 s10, s10, s8
	s_delay_alu instid0(SALU_CYCLE_1) | instskip(NEXT) | instid1(SALU_CYCLE_1)
	s_mul_hi_u32 s10, s8, s10
	s_add_co_i32 s8, s8, s10
	s_delay_alu instid0(SALU_CYCLE_1) | instskip(NEXT) | instid1(SALU_CYCLE_1)
	s_mul_hi_u32 s8, s56, s8
	s_mul_i32 s8, s8, s34
	s_delay_alu instid0(SALU_CYCLE_1) | instskip(NEXT) | instid1(SALU_CYCLE_1)
	s_sub_co_i32 s8, s56, s8
	s_sub_co_i32 s10, s8, s34
	s_cmp_ge_u32 s8, s34
	s_cselect_b32 s8, s10, s8
	s_delay_alu instid0(SALU_CYCLE_1) | instskip(SKIP_2) | instid1(SALU_CYCLE_1)
	s_sub_co_i32 s10, s8, s34
	s_cmp_ge_u32 s8, s34
	s_cselect_b32 s28, s10, s8
	s_mov_b64 s[10:11], s[28:29]
.LBB216_101:                            ;   in Loop: Header=BB216_6 Depth=1
	s_delay_alu instid0(SALU_CYCLE_1)
	s_sub_nc_u64 s[10:11], s[56:57], s[10:11]
	s_mov_b32 s20, exec_lo
                                        ; implicit-def: $vgpr8
	v_cmpx_gt_u64_e64 s[10:11], v[0:1]
	s_cbranch_execz .LBB216_110
; %bb.102:                              ;   in Loop: Header=BB216_6 Depth=1
	v_mov_b64_e32 v[4:5], v[14:15]
	v_mov_b64_e32 v[6:7], v[0:1]
	s_mov_b32 s21, 0
                                        ; implicit-def: $sgpr23
	s_branch .LBB216_105
.LBB216_103:                            ;   in Loop: Header=BB216_105 Depth=2
	s_or_b32 exec_lo, exec_lo, s28
	s_wait_dscnt 0x0
	s_barrier_signal -1
	s_barrier_wait -1
	ds_load_b32 v2, v3 offset:3072
	s_mov_b32 s28, -1
	s_mov_b32 s49, -1
	s_wait_dscnt 0x0
	s_barrier_signal -1
	s_barrier_wait -1
	v_and_b32_e32 v8, 0x7fff, v2
	s_delay_alu instid0(VALU_DEP_1)
	v_cmp_ne_u32_e32 vcc_lo, 0, v8
	s_cbranch_vccz .LBB216_108
.LBB216_104:                            ;   in Loop: Header=BB216_105 Depth=2
	s_and_b32 s8, exec_lo, s28
	s_delay_alu instid0(SALU_CYCLE_1) | instskip(SKIP_2) | instid1(SALU_CYCLE_1)
	s_or_b32 s21, s8, s21
	s_and_not1_b32 s8, s23, exec_lo
	s_and_b32 s23, s49, exec_lo
	s_or_b32 s23, s8, s23
	s_and_not1_b32 exec_lo, exec_lo, s21
	s_cbranch_execz .LBB216_109
.LBB216_105:                            ;   Parent Loop BB216_6 Depth=1
                                        ; =>  This Inner Loop Header: Depth=2
	s_mov_b32 s28, exec_lo
	s_delay_alu instid0(VALU_DEP_1)
	v_cmpx_gt_u64_e64 s[36:37], v[6:7]
	s_cbranch_execz .LBB216_103
; %bb.106:                              ;   in Loop: Header=BB216_105 Depth=2
	global_load_u16 v2, v[4:5], off
	s_wait_loadcnt 0x0
	v_cmp_lt_i16_e32 vcc_lo, -1, v2
	v_and_b32_e32 v8, 0xffff, v2
	v_dual_cndmask_b32 v9, 0xffff, v44 :: v_dual_lshlrev_b32 v32, 16, v2
	s_delay_alu instid0(VALU_DEP_1) | instskip(NEXT) | instid1(VALU_DEP_2)
	v_cmp_o_f32_e32 vcc_lo, v32, v32
	v_xor_b32_e32 v8, v9, v8
	s_delay_alu instid0(VALU_DEP_1) | instskip(NEXT) | instid1(VALU_DEP_1)
	v_cndmask_b32_e32 v8, 0xffff, v8, vcc_lo
	v_and_b32_e32 v8, v8, v11
	s_delay_alu instid0(VALU_DEP_1)
	v_cmp_eq_u32_e32 vcc_lo, v8, v10
	s_and_b32 exec_lo, exec_lo, vcc_lo
	s_cbranch_execz .LBB216_103
; %bb.107:                              ;   in Loop: Header=BB216_105 Depth=2
	v_perm_b32 v2, v2, s95, 0x5040100
	ds_store_b32 v3, v2 offset:3072
	s_branch .LBB216_103
.LBB216_108:                            ;   in Loop: Header=BB216_105 Depth=2
	v_add_nc_u64_e32 v[6:7], s[34:35], v[6:7]
	v_add_nc_u64_e32 v[4:5], s[40:41], v[4:5]
	s_mov_b32 s49, 0
	s_delay_alu instid0(VALU_DEP_2)
	v_cmp_le_u64_e32 vcc_lo, s[10:11], v[6:7]
	s_or_not1_b32 s28, vcc_lo, exec_lo
	s_branch .LBB216_104
.LBB216_109:                            ;   in Loop: Header=BB216_6 Depth=1
	s_or_b32 exec_lo, exec_lo, s21
	v_lshrrev_b32_e32 v8, 16, v2
	s_and_not1_b32 s8, s22, exec_lo
	s_and_b32 s10, s23, exec_lo
	s_delay_alu instid0(SALU_CYCLE_1)
	s_or_b32 s22, s8, s10
.LBB216_110:                            ;   in Loop: Header=BB216_6 Depth=1
	s_or_b32 exec_lo, exec_lo, s20
	s_mov_b32 s72, 0
	s_mov_b32 s73, -1
.LBB216_111:                            ;   in Loop: Header=BB216_6 Depth=1
	s_or_not1_b32 s10, s22, exec_lo
.LBB216_112:                            ;   in Loop: Header=BB216_6 Depth=1
	s_or_b32 exec_lo, exec_lo, s27
	s_mov_b32 s74, 0
	s_mov_b32 s49, 0
	;; [unrolled: 1-line block ×3, first 2 shown]
                                        ; implicit-def: $vgpr4_vgpr5
                                        ; implicit-def: $vgpr2
	s_and_saveexec_b32 s75, s10
	s_cbranch_execz .LBB216_270
; %bb.113:                              ;   in Loop: Header=BB216_6 Depth=1
	v_mov_b64_e32 v[4:5], 1
	v_mov_b32_e32 v2, 1
	s_xor_b32 s8, s76, -1
	s_mov_b32 s11, 0
	s_and_saveexec_b32 s10, s8
	s_cbranch_execz .LBB216_122
; %bb.114:                              ;   in Loop: Header=BB216_6 Depth=1
	s_mov_b32 s8, exec_lo
	v_cmpx_ge_u64_e64 s[12:13], v[30:31]
	s_xor_b32 s11, exec_lo, s8
	s_cbranch_execz .LBB216_119
; %bb.115:                              ;   in Loop: Header=BB216_6 Depth=1
	ds_load_b64 v[4:5], v3 offset:5120
	v_and_b32_e32 v10, s25, v10
	v_or_b32_e32 v11, s24, v11
	s_wait_dscnt 0x0
	v_cmp_ne_u64_e32 vcc_lo, 0, v[4:5]
	s_cbranch_vccnz .LBB216_119
; %bb.116:                              ;   in Loop: Header=BB216_6 Depth=1
	s_and_saveexec_b32 s20, s5
; %bb.117:                              ;   in Loop: Header=BB216_6 Depth=1
	v_mov_b64_e32 v[4:5], s[12:13]
	ds_store_b64 v3, v[4:5] offset:5128
; %bb.118:                              ;   in Loop: Header=BB216_6 Depth=1
	s_or_b32 exec_lo, exec_lo, s20
	s_wait_dscnt 0x0
	s_barrier_signal -1
	s_barrier_wait -1
.LBB216_119:                            ;   in Loop: Header=BB216_6 Depth=1
	s_or_saveexec_b32 s11, s11
	v_mov_b64_e32 v[4:5], v[30:31]
	v_mov_b32_e32 v2, 8
	s_mov_b32 s20, 0
	s_xor_b32 exec_lo, exec_lo, s11
; %bb.120:                              ;   in Loop: Header=BB216_6 Depth=1
	v_sub_nc_u64_e64 v[4:5], v[30:31], s[12:13]
	v_mov_b32_e32 v2, 0
	s_mov_b32 s20, exec_lo
; %bb.121:                              ;   in Loop: Header=BB216_6 Depth=1
	s_or_b32 exec_lo, exec_lo, s11
	s_delay_alu instid0(SALU_CYCLE_1)
	s_and_b32 s11, s20, exec_lo
.LBB216_122:                            ;   in Loop: Header=BB216_6 Depth=1
	s_or_b32 exec_lo, exec_lo, s10
	s_mov_b32 s10, -1
                                        ; implicit-def: $sgpr49
                                        ; implicit-def: $sgpr76
	s_and_saveexec_b32 s8, s11
	s_delay_alu instid0(SALU_CYCLE_1)
	s_xor_b32 s27, exec_lo, s8
	s_cbranch_execz .LBB216_267
; %bb.123:                              ;   in Loop: Header=BB216_6 Depth=1
	v_cmp_eq_u64_e32 vcc_lo, 1, v[4:5]
	s_cmp_eq_u64 s[14:15], 1
                                        ; implicit-def: $sgpr76
                                        ; implicit-def: $sgpr49
	s_cselect_b32 s10, -1, 0
	s_delay_alu instid0(SALU_CYCLE_1)
	s_and_b32 s78, s10, vcc_lo
	s_mov_b32 s10, -1
	s_and_saveexec_b32 s77, s78
	s_cbranch_execz .LBB216_157
; %bb.124:                              ;   in Loop: Header=BB216_6 Depth=1
	ds_load_b64 v[6:7], v3 offset:5120
	s_wait_dscnt 0x0
	s_barrier_signal -1
	s_barrier_wait -1
	v_readfirstlane_b32 s10, v6
	v_readfirstlane_b32 s11, v7
	s_and_saveexec_b32 s20, s6
; %bb.125:                              ;   in Loop: Header=BB216_6 Depth=1
	ds_store_b16 v39, v3
; %bb.126:                              ;   in Loop: Header=BB216_6 Depth=1
	s_or_b32 exec_lo, exec_lo, s20
	s_lshl_b32 s20, 1, s96
	v_or_b32_e32 v11, s24, v11
	v_and_or_b32 v10, v10, s25, s20
	s_mov_b32 s49, -1
	s_mov_b32 s76, 0
	s_cmp_eq_u64 s[10:11], 0
	s_mov_b32 s22, 0
	s_mov_b32 s23, -1
	s_wait_dscnt 0x0
	s_barrier_signal -1
	s_barrier_wait -1
                                        ; implicit-def: $vgpr8
	s_cbranch_scc1 .LBB216_142
; %bb.127:                              ;   in Loop: Header=BB216_6 Depth=1
	s_add_nc_u64 s[20:21], s[10:11], s[54:55]
	s_delay_alu instid0(SALU_CYCLE_1) | instskip(NEXT) | instid1(SALU_CYCLE_1)
	s_and_b64 s[22:23], s[20:21], 0xffffffff00000000
	s_cmp_lg_u64 s[22:23], 0
	s_cbranch_scc0 .LBB216_183
; %bb.128:                              ;   in Loop: Header=BB216_6 Depth=1
	s_cvt_f32_u32 s22, s34
	s_sub_nc_u64 s[50:51], 0, s[34:35]
	s_delay_alu instid0(SALU_CYCLE_2) | instskip(NEXT) | instid1(SALU_CYCLE_3)
	s_fmamk_f32 s22, s94, 0x0, s22
	v_s_rcp_f32 s22, s22
	s_delay_alu instid0(TRANS32_DEP_1) | instskip(NEXT) | instid1(SALU_CYCLE_3)
	s_mul_f32 s22, s22, 0x5f7ffffc
	s_mul_f32 s23, s22, 0x2f800000
	s_delay_alu instid0(SALU_CYCLE_3) | instskip(NEXT) | instid1(SALU_CYCLE_3)
	s_trunc_f32 s23, s23
	s_fmamk_f32 s22, s23, 0xcf800000, s22
	s_cvt_u32_f32 s23, s23
	s_delay_alu instid0(SALU_CYCLE_2) | instskip(NEXT) | instid1(SALU_CYCLE_3)
	s_cvt_u32_f32 s22, s22
	s_mul_u64 s[52:53], s[50:51], s[22:23]
	s_delay_alu instid0(SALU_CYCLE_1)
	s_mul_hi_u32 s81, s22, s53
	s_mul_i32 s80, s22, s53
	s_mul_hi_u32 s28, s22, s52
	s_mul_i32 s45, s23, s52
	s_add_nc_u64 s[80:81], s[28:29], s[80:81]
	s_mul_hi_u32 s44, s23, s52
	s_mul_hi_u32 s66, s23, s53
	s_add_co_u32 s28, s80, s45
	s_add_co_ci_u32 s28, s81, s44
	s_mul_i32 s52, s23, s53
	s_add_co_ci_u32 s53, s66, 0
	s_delay_alu instid0(SALU_CYCLE_1) | instskip(NEXT) | instid1(SALU_CYCLE_1)
	s_add_nc_u64 s[52:53], s[28:29], s[52:53]
	s_add_co_u32 s22, s22, s52
	s_cselect_b32 s28, -1, 0
	s_delay_alu instid0(SALU_CYCLE_1) | instskip(SKIP_1) | instid1(SALU_CYCLE_1)
	s_cmp_lg_u32 s28, 0
	s_add_co_ci_u32 s23, s23, s53
	s_mul_u64 s[50:51], s[50:51], s[22:23]
	s_delay_alu instid0(SALU_CYCLE_1)
	s_mul_hi_u32 s53, s22, s51
	s_mul_i32 s52, s22, s51
	s_mul_hi_u32 s28, s22, s50
	s_mul_i32 s45, s23, s50
	s_add_nc_u64 s[52:53], s[28:29], s[52:53]
	s_mul_hi_u32 s44, s23, s50
	s_mul_hi_u32 s66, s23, s51
	s_add_co_u32 s28, s52, s45
	s_add_co_ci_u32 s28, s53, s44
	s_mul_i32 s50, s23, s51
	s_add_co_ci_u32 s51, s66, 0
	s_delay_alu instid0(SALU_CYCLE_1) | instskip(NEXT) | instid1(SALU_CYCLE_1)
	s_add_nc_u64 s[50:51], s[28:29], s[50:51]
	s_add_co_u32 s22, s22, s50
	s_cselect_b32 s44, -1, 0
	s_mul_hi_u32 s28, s20, s22
	s_cmp_lg_u32 s44, 0
	s_mul_hi_u32 s44, s21, s22
	s_add_co_ci_u32 s45, s23, s51
	s_mul_i32 s51, s21, s22
	s_mul_hi_u32 s23, s20, s45
	s_mul_i32 s22, s20, s45
	s_mul_hi_u32 s52, s21, s45
	s_add_nc_u64 s[22:23], s[28:29], s[22:23]
	s_mul_i32 s50, s21, s45
	s_add_co_u32 s22, s22, s51
	s_add_co_ci_u32 s28, s23, s44
	s_add_co_ci_u32 s51, s52, 0
	s_delay_alu instid0(SALU_CYCLE_1) | instskip(NEXT) | instid1(SALU_CYCLE_1)
	s_add_nc_u64 s[22:23], s[28:29], s[50:51]
	s_and_b64 s[50:51], s[22:23], 0xffffffff00000000
	s_delay_alu instid0(SALU_CYCLE_1) | instskip(NEXT) | instid1(SALU_CYCLE_1)
	s_or_b32 s50, s50, s22
	s_mul_u64 s[22:23], s[34:35], s[50:51]
	s_delay_alu instid0(SALU_CYCLE_1) | instskip(SKIP_1) | instid1(SALU_CYCLE_1)
	s_sub_co_u32 s22, s20, s22
	s_cselect_b32 s28, -1, 0
	s_cmp_lg_u32 s28, 0
	s_sub_co_ci_u32 s23, s21, s23
	s_sub_co_u32 s28, s22, s34
	s_cselect_b32 s44, -1, 0
	s_delay_alu instid0(SALU_CYCLE_1) | instskip(SKIP_3) | instid1(SALU_CYCLE_1)
	s_cmp_lg_u32 s44, 0
	s_sub_co_ci_u32 s44, s23, 0
	s_sub_co_u32 s45, s28, s34
	s_cselect_b32 s50, -1, 0
	s_cmp_lg_u32 s50, 0
	s_sub_co_ci_u32 s50, s44, 0
	s_cmp_ge_u32 s28, s34
	s_cselect_b32 s51, -1, 0
	s_cmp_eq_u32 s44, 0
	s_cselect_b32 s51, s51, -1
	s_delay_alu instid0(SALU_CYCLE_1)
	s_cmp_lg_u32 s51, 0
	s_cselect_b32 s44, s50, s44
	s_cselect_b32 s28, s45, s28
	s_cmp_ge_u32 s22, s34
	s_cselect_b32 s45, -1, 0
	s_cmp_eq_u32 s23, 0
	s_cselect_b32 s45, s45, -1
	s_delay_alu instid0(SALU_CYCLE_1)
	s_cmp_lg_u32 s45, 0
	s_cselect_b32 s23, s44, s23
	s_cselect_b32 s22, s28, s22
	s_cbranch_execnz .LBB216_130
.LBB216_129:                            ;   in Loop: Header=BB216_6 Depth=1
	v_cvt_f32_u32_e32 v6, s34
	s_sub_co_i32 s23, 0, s34
	s_delay_alu instid0(VALU_DEP_1) | instskip(SKIP_1) | instid1(TRANS32_DEP_1)
	v_rcp_iflag_f32_e32 v6, v6
	v_nop
	v_mul_f32_e32 v6, 0x4f7ffffe, v6
	s_delay_alu instid0(VALU_DEP_1) | instskip(NEXT) | instid1(VALU_DEP_1)
	v_cvt_u32_f32_e32 v6, v6
	v_readfirstlane_b32 s22, v6
	s_mul_i32 s23, s23, s22
	s_delay_alu instid0(SALU_CYCLE_1) | instskip(NEXT) | instid1(SALU_CYCLE_1)
	s_mul_hi_u32 s23, s22, s23
	s_add_co_i32 s22, s22, s23
	s_delay_alu instid0(SALU_CYCLE_1) | instskip(NEXT) | instid1(SALU_CYCLE_1)
	s_mul_hi_u32 s22, s20, s22
	s_mul_i32 s22, s22, s34
	s_delay_alu instid0(SALU_CYCLE_1) | instskip(NEXT) | instid1(SALU_CYCLE_1)
	s_sub_co_i32 s22, s20, s22
	s_sub_co_i32 s23, s22, s34
	s_cmp_ge_u32 s22, s34
	s_cselect_b32 s22, s23, s22
	s_delay_alu instid0(SALU_CYCLE_1) | instskip(SKIP_2) | instid1(SALU_CYCLE_1)
	s_sub_co_i32 s23, s22, s34
	s_cmp_ge_u32 s22, s34
	s_cselect_b32 s28, s23, s22
	s_mov_b64 s[22:23], s[28:29]
.LBB216_130:                            ;   in Loop: Header=BB216_6 Depth=1
	s_delay_alu instid0(SALU_CYCLE_1)
	s_sub_nc_u64 s[20:21], s[20:21], s[22:23]
	s_mov_b32 s23, 0
	s_mov_b32 s22, 0
	s_mov_b32 s28, exec_lo
                                        ; implicit-def: $vgpr8
	v_cmpx_gt_u64_e64 s[20:21], v[0:1]
	s_cbranch_execz .LBB216_141
; %bb.131:                              ;   in Loop: Header=BB216_6 Depth=1
	v_mov_b64_e32 v[6:7], v[0:1]
	v_mov_b32_e32 v8, v38
                                        ; implicit-def: $sgpr50
	s_branch .LBB216_134
.LBB216_132:                            ;   in Loop: Header=BB216_134 Depth=2
	s_or_b32 exec_lo, exec_lo, s51
	s_wait_dscnt 0x0
	s_barrier_signal -1
	s_barrier_wait -1
	ds_load_b32 v9, v3 offset:3072
	s_mov_b32 s51, -1
	s_mov_b32 s52, -1
	s_wait_dscnt 0x0
	s_barrier_signal -1
	s_barrier_wait -1
	v_and_b32_e32 v32, 0x7fff, v9
	s_delay_alu instid0(VALU_DEP_1)
	v_cmp_ne_u32_e32 vcc_lo, 0, v32
	s_cbranch_vccz .LBB216_137
.LBB216_133:                            ;   in Loop: Header=BB216_134 Depth=2
	s_and_b32 s8, exec_lo, s51
	s_delay_alu instid0(SALU_CYCLE_1) | instskip(SKIP_2) | instid1(SALU_CYCLE_1)
	s_or_b32 s22, s8, s22
	s_and_not1_b32 s8, s50, exec_lo
	s_and_b32 s44, s52, exec_lo
	s_or_b32 s50, s8, s44
	s_and_not1_b32 exec_lo, exec_lo, s22
	s_cbranch_execz .LBB216_140
.LBB216_134:                            ;   Parent Loop BB216_6 Depth=1
                                        ; =>  This Inner Loop Header: Depth=2
	s_mov_b32 s51, exec_lo
	s_delay_alu instid0(VALU_DEP_2)
	v_cmpx_gt_u64_e64 s[10:11], v[6:7]
	s_cbranch_execz .LBB216_132
; %bb.135:                              ;   in Loop: Header=BB216_134 Depth=2
	ds_load_u16 v9, v8
	s_wait_dscnt 0x0
	v_cmp_lt_i16_e32 vcc_lo, -1, v9
	v_and_b32_e32 v32, 0xffff, v9
	v_dual_cndmask_b32 v33, 0xffff, v44 :: v_dual_lshlrev_b32 v34, 16, v9
	s_delay_alu instid0(VALU_DEP_1) | instskip(NEXT) | instid1(VALU_DEP_2)
	v_cmp_o_f32_e32 vcc_lo, v34, v34
	v_xor_b32_e32 v32, v33, v32
	s_delay_alu instid0(VALU_DEP_1) | instskip(NEXT) | instid1(VALU_DEP_1)
	v_cndmask_b32_e32 v32, 0xffff, v32, vcc_lo
	v_and_b32_e32 v32, v32, v11
	s_delay_alu instid0(VALU_DEP_1)
	v_cmp_eq_u32_e32 vcc_lo, v32, v10
	s_and_b32 exec_lo, exec_lo, vcc_lo
	s_cbranch_execz .LBB216_132
; %bb.136:                              ;   in Loop: Header=BB216_134 Depth=2
	v_perm_b32 v9, v9, s95, 0x5040100
	ds_store_b32 v3, v9 offset:3072
	s_branch .LBB216_132
.LBB216_137:                            ;   in Loop: Header=BB216_134 Depth=2
	v_add_nc_u64_e32 v[6:7], s[34:35], v[6:7]
	v_add_nc_u32_e32 v8, s93, v8
	s_mov_b32 s52, 0
	s_delay_alu instid0(VALU_DEP_2)
	v_cmp_le_u64_e32 vcc_lo, s[20:21], v[6:7]
	s_or_not1_b32 s51, vcc_lo, exec_lo
	s_branch .LBB216_133
.LBB216_138:                            ;   in Loop: Header=BB216_6 Depth=1
                                        ; implicit-def: $sgpr22_sgpr23
	s_branch .LBB216_83
.LBB216_139:                            ;   in Loop: Header=BB216_6 Depth=1
                                        ; implicit-def: $sgpr10_sgpr11
	s_branch .LBB216_100
.LBB216_140:                            ;   in Loop: Header=BB216_6 Depth=1
	s_or_b32 exec_lo, exec_lo, s22
	v_lshrrev_b32_e32 v8, 16, v9
	s_and_b32 s22, s50, exec_lo
.LBB216_141:                            ;   in Loop: Header=BB216_6 Depth=1
	s_or_b32 exec_lo, exec_lo, s28
.LBB216_142:                            ;   in Loop: Header=BB216_6 Depth=1
	s_delay_alu instid0(SALU_CYCLE_1)
	s_and_b32 vcc_lo, exec_lo, s23
	s_cbranch_vccz .LBB216_156
; %bb.143:                              ;   in Loop: Header=BB216_6 Depth=1
	s_and_b64 s[10:11], s[56:57], 0xffffffff00000000
	s_delay_alu instid0(SALU_CYCLE_1)
	s_cmp_lg_u64 s[10:11], 0
	s_cbranch_scc0 .LBB216_184
; %bb.144:                              ;   in Loop: Header=BB216_6 Depth=1
	s_cvt_f32_u32 s10, s34
	s_sub_nc_u64 s[20:21], 0, s[34:35]
	s_delay_alu instid0(SALU_CYCLE_2) | instskip(NEXT) | instid1(SALU_CYCLE_3)
	s_fmamk_f32 s10, s94, 0x0, s10
	v_s_rcp_f32 s10, s10
	s_delay_alu instid0(TRANS32_DEP_1) | instskip(NEXT) | instid1(SALU_CYCLE_3)
	s_mul_f32 s10, s10, 0x5f7ffffc
	s_mul_f32 s11, s10, 0x2f800000
	s_delay_alu instid0(SALU_CYCLE_3) | instskip(NEXT) | instid1(SALU_CYCLE_3)
	s_trunc_f32 s11, s11
	s_fmamk_f32 s10, s11, 0xcf800000, s10
	s_cvt_u32_f32 s11, s11
	s_delay_alu instid0(SALU_CYCLE_2) | instskip(NEXT) | instid1(SALU_CYCLE_3)
	s_cvt_u32_f32 s10, s10
	s_mul_u64 s[50:51], s[20:21], s[10:11]
	s_delay_alu instid0(SALU_CYCLE_1)
	s_mul_hi_u32 s53, s10, s51
	s_mul_i32 s52, s10, s51
	s_mul_hi_u32 s28, s10, s50
	s_mul_i32 s44, s11, s50
	s_add_nc_u64 s[52:53], s[28:29], s[52:53]
	s_mul_hi_u32 s23, s11, s50
	s_mul_hi_u32 s45, s11, s51
	s_add_co_u32 s28, s52, s44
	s_add_co_ci_u32 s28, s53, s23
	s_mul_i32 s50, s11, s51
	s_add_co_ci_u32 s51, s45, 0
	s_delay_alu instid0(SALU_CYCLE_1) | instskip(NEXT) | instid1(SALU_CYCLE_1)
	s_add_nc_u64 s[50:51], s[28:29], s[50:51]
	s_add_co_u32 s10, s10, s50
	s_cselect_b32 s23, -1, 0
	s_delay_alu instid0(SALU_CYCLE_1) | instskip(SKIP_1) | instid1(SALU_CYCLE_1)
	s_cmp_lg_u32 s23, 0
	s_add_co_ci_u32 s11, s11, s51
	s_mul_u64 s[20:21], s[20:21], s[10:11]
	s_delay_alu instid0(SALU_CYCLE_1)
	s_mul_hi_u32 s51, s10, s21
	s_mul_i32 s50, s10, s21
	s_mul_hi_u32 s28, s10, s20
	s_mul_i32 s44, s11, s20
	s_add_nc_u64 s[50:51], s[28:29], s[50:51]
	s_mul_hi_u32 s23, s11, s20
	s_mul_hi_u32 s45, s11, s21
	s_mul_i32 s20, s11, s21
	s_add_co_u32 s21, s50, s44
	s_add_co_ci_u32 s28, s51, s23
	s_add_co_ci_u32 s21, s45, 0
	s_delay_alu instid0(SALU_CYCLE_1) | instskip(NEXT) | instid1(SALU_CYCLE_1)
	s_add_nc_u64 s[20:21], s[28:29], s[20:21]
	s_add_co_u32 s10, s10, s20
	s_cselect_b32 s20, -1, 0
	s_mul_hi_u32 s28, s56, s10
	s_cmp_lg_u32 s20, 0
	s_mul_hi_u32 s23, s57, s10
	s_add_co_ci_u32 s20, s11, s21
	s_mul_i32 s21, s57, s10
	s_mul_hi_u32 s11, s56, s20
	s_mul_i32 s10, s56, s20
	s_mul_hi_u32 s44, s57, s20
	s_add_nc_u64 s[10:11], s[28:29], s[10:11]
	s_mul_i32 s20, s57, s20
	s_add_co_u32 s10, s10, s21
	s_add_co_ci_u32 s28, s11, s23
	s_add_co_ci_u32 s21, s44, 0
	s_delay_alu instid0(SALU_CYCLE_1) | instskip(NEXT) | instid1(SALU_CYCLE_1)
	s_add_nc_u64 s[10:11], s[28:29], s[20:21]
	s_and_b64 s[20:21], s[10:11], 0xffffffff00000000
	s_delay_alu instid0(SALU_CYCLE_1) | instskip(NEXT) | instid1(SALU_CYCLE_1)
	s_or_b32 s20, s20, s10
	s_mul_u64 s[10:11], s[34:35], s[20:21]
	s_delay_alu instid0(SALU_CYCLE_1) | instskip(SKIP_1) | instid1(SALU_CYCLE_1)
	s_sub_co_u32 s10, s56, s10
	s_cselect_b32 s20, -1, 0
	s_cmp_lg_u32 s20, 0
	s_sub_co_ci_u32 s11, s57, s11
	s_sub_co_u32 s20, s10, s34
	s_cselect_b32 s21, -1, 0
	s_delay_alu instid0(SALU_CYCLE_1) | instskip(SKIP_3) | instid1(SALU_CYCLE_1)
	s_cmp_lg_u32 s21, 0
	s_sub_co_ci_u32 s21, s11, 0
	s_sub_co_u32 s23, s20, s34
	s_cselect_b32 s28, -1, 0
	s_cmp_lg_u32 s28, 0
	s_sub_co_ci_u32 s28, s21, 0
	s_cmp_ge_u32 s20, s34
	s_cselect_b32 s44, -1, 0
	s_cmp_eq_u32 s21, 0
	s_cselect_b32 s44, s44, -1
	s_delay_alu instid0(SALU_CYCLE_1)
	s_cmp_lg_u32 s44, 0
	s_cselect_b32 s21, s28, s21
	s_cselect_b32 s20, s23, s20
	s_cmp_ge_u32 s10, s34
	s_cselect_b32 s23, -1, 0
	s_cmp_eq_u32 s11, 0
	s_cselect_b32 s23, s23, -1
	s_delay_alu instid0(SALU_CYCLE_1)
	s_cmp_lg_u32 s23, 0
	s_cselect_b32 s11, s21, s11
	s_cselect_b32 s10, s20, s10
	s_cbranch_execnz .LBB216_146
.LBB216_145:                            ;   in Loop: Header=BB216_6 Depth=1
	v_cvt_f32_u32_e32 v6, s34
	s_sub_co_i32 s11, 0, s34
	s_delay_alu instid0(VALU_DEP_1) | instskip(SKIP_1) | instid1(TRANS32_DEP_1)
	v_rcp_iflag_f32_e32 v6, v6
	v_nop
	v_mul_f32_e32 v6, 0x4f7ffffe, v6
	s_delay_alu instid0(VALU_DEP_1) | instskip(NEXT) | instid1(VALU_DEP_1)
	v_cvt_u32_f32_e32 v6, v6
	v_readfirstlane_b32 s10, v6
	s_mul_i32 s11, s11, s10
	s_delay_alu instid0(SALU_CYCLE_1) | instskip(NEXT) | instid1(SALU_CYCLE_1)
	s_mul_hi_u32 s11, s10, s11
	s_add_co_i32 s10, s10, s11
	s_delay_alu instid0(SALU_CYCLE_1) | instskip(NEXT) | instid1(SALU_CYCLE_1)
	s_mul_hi_u32 s10, s56, s10
	s_mul_i32 s10, s10, s34
	s_delay_alu instid0(SALU_CYCLE_1) | instskip(NEXT) | instid1(SALU_CYCLE_1)
	s_sub_co_i32 s10, s56, s10
	s_sub_co_i32 s11, s10, s34
	s_cmp_ge_u32 s10, s34
	s_cselect_b32 s10, s11, s10
	s_delay_alu instid0(SALU_CYCLE_1) | instskip(SKIP_2) | instid1(SALU_CYCLE_1)
	s_sub_co_i32 s11, s10, s34
	s_cmp_ge_u32 s10, s34
	s_cselect_b32 s28, s11, s10
	s_mov_b64 s[10:11], s[28:29]
.LBB216_146:                            ;   in Loop: Header=BB216_6 Depth=1
	s_delay_alu instid0(SALU_CYCLE_1)
	s_sub_nc_u64 s[10:11], s[56:57], s[10:11]
	s_mov_b32 s20, exec_lo
                                        ; implicit-def: $vgpr8
	v_nop
	v_cmpx_gt_u64_e64 s[10:11], v[0:1]
	s_cbranch_execz .LBB216_155
; %bb.147:                              ;   in Loop: Header=BB216_6 Depth=1
	v_mov_b64_e32 v[6:7], v[14:15]
	v_mov_b64_e32 v[8:9], v[0:1]
	s_mov_b32 s21, 0
                                        ; implicit-def: $sgpr23
	s_branch .LBB216_150
.LBB216_148:                            ;   in Loop: Header=BB216_150 Depth=2
	s_or_b32 exec_lo, exec_lo, s28
	s_wait_dscnt 0x0
	s_barrier_signal -1
	s_barrier_wait -1
	ds_load_b32 v32, v3 offset:3072
	s_mov_b32 s28, -1
	s_mov_b32 s49, -1
	s_wait_dscnt 0x0
	s_barrier_signal -1
	s_barrier_wait -1
	v_and_b32_e32 v33, 0x7fff, v32
	s_delay_alu instid0(VALU_DEP_1)
	v_cmp_eq_u32_e32 vcc_lo, 0, v33
	s_cbranch_vccnz .LBB216_153
.LBB216_149:                            ;   in Loop: Header=BB216_150 Depth=2
	s_and_b32 s8, exec_lo, s28
	s_delay_alu instid0(SALU_CYCLE_1) | instskip(SKIP_2) | instid1(SALU_CYCLE_1)
	s_or_b32 s21, s8, s21
	s_and_not1_b32 s8, s23, exec_lo
	s_and_b32 s23, s49, exec_lo
	s_or_b32 s23, s8, s23
	s_and_not1_b32 exec_lo, exec_lo, s21
	s_cbranch_execz .LBB216_154
.LBB216_150:                            ;   Parent Loop BB216_6 Depth=1
                                        ; =>  This Inner Loop Header: Depth=2
	s_mov_b32 s28, exec_lo
	s_delay_alu instid0(VALU_DEP_1)
	v_cmpx_gt_u64_e64 s[36:37], v[8:9]
	s_cbranch_execz .LBB216_148
; %bb.151:                              ;   in Loop: Header=BB216_150 Depth=2
	global_load_u16 v32, v[6:7], off
	s_wait_loadcnt 0x0
	v_cmp_lt_i16_e32 vcc_lo, -1, v32
	v_and_b32_e32 v33, 0xffff, v32
	v_cndmask_b32_e32 v34, 0xffff, v44, vcc_lo
	s_delay_alu instid0(VALU_DEP_1) | instskip(NEXT) | instid1(VALU_DEP_1)
	v_dual_lshlrev_b32 v35, 16, v32 :: v_dual_bitop2_b32 v33, v34, v33 bitop3:0x14
	v_cmp_o_f32_e32 vcc_lo, v35, v35
	s_delay_alu instid0(VALU_DEP_2) | instskip(NEXT) | instid1(VALU_DEP_1)
	v_cndmask_b32_e32 v33, 0xffff, v33, vcc_lo
	v_and_b32_e32 v33, v33, v11
	s_delay_alu instid0(VALU_DEP_1)
	v_cmp_eq_u32_e32 vcc_lo, v33, v10
	s_and_b32 exec_lo, exec_lo, vcc_lo
	s_cbranch_execz .LBB216_148
; %bb.152:                              ;   in Loop: Header=BB216_150 Depth=2
	v_perm_b32 v32, v32, s95, 0x5040100
	ds_store_b32 v3, v32 offset:3072
	s_branch .LBB216_148
.LBB216_153:                            ;   in Loop: Header=BB216_150 Depth=2
	v_add_nc_u64_e32 v[8:9], s[34:35], v[8:9]
	v_add_nc_u64_e32 v[6:7], s[40:41], v[6:7]
	s_mov_b32 s49, 0
	s_delay_alu instid0(VALU_DEP_2)
	v_cmp_le_u64_e32 vcc_lo, s[10:11], v[8:9]
	s_or_not1_b32 s28, vcc_lo, exec_lo
	s_branch .LBB216_149
.LBB216_154:                            ;   in Loop: Header=BB216_6 Depth=1
	s_or_b32 exec_lo, exec_lo, s21
	v_lshrrev_b32_e32 v8, 16, v32
	s_and_not1_b32 s8, s22, exec_lo
	s_and_b32 s10, s23, exec_lo
	s_delay_alu instid0(SALU_CYCLE_1)
	s_or_b32 s22, s8, s10
.LBB216_155:                            ;   in Loop: Header=BB216_6 Depth=1
	s_or_b32 exec_lo, exec_lo, s20
	s_mov_b32 s49, 0
	s_mov_b32 s76, -1
.LBB216_156:                            ;   in Loop: Header=BB216_6 Depth=1
	s_or_not1_b32 s10, s22, exec_lo
.LBB216_157:                            ;   in Loop: Header=BB216_6 Depth=1
	s_or_b32 exec_lo, exec_lo, s77
	s_mov_b32 s11, 0
	s_and_saveexec_b32 s77, s10
	s_cbranch_execz .LBB216_266
; %bb.158:                              ;   in Loop: Header=BB216_6 Depth=1
	v_mov_b64_e32 v[6:7], 1
	v_mov_b32_e32 v2, 1
	s_xor_b32 s20, s78, -1
	s_delay_alu instid0(SALU_CYCLE_1)
	s_and_saveexec_b32 s10, s20
	s_cbranch_execz .LBB216_167
; %bb.159:                              ;   in Loop: Header=BB216_6 Depth=1
	s_mov_b32 s11, exec_lo
	v_cmpx_ge_u64_e64 s[14:15], v[4:5]
	s_xor_b32 s11, exec_lo, s11
	s_cbranch_execz .LBB216_164
; %bb.160:                              ;   in Loop: Header=BB216_6 Depth=1
	ds_load_b64 v[6:7], v3 offset:5120
	s_lshl_b32 s20, 1, s96
	v_or_b32_e32 v11, s24, v11
	v_and_or_b32 v10, v10, s25, s20
	s_wait_dscnt 0x0
	v_cmp_ne_u64_e32 vcc_lo, 0, v[6:7]
	s_cbranch_vccnz .LBB216_164
; %bb.161:                              ;   in Loop: Header=BB216_6 Depth=1
	s_and_saveexec_b32 s20, s5
; %bb.162:                              ;   in Loop: Header=BB216_6 Depth=1
	v_mov_b64_e32 v[6:7], s[14:15]
	ds_store_b64 v3, v[6:7] offset:5128
; %bb.163:                              ;   in Loop: Header=BB216_6 Depth=1
	s_or_b32 exec_lo, exec_lo, s20
	s_wait_dscnt 0x0
	s_barrier_signal -1
	s_barrier_wait -1
.LBB216_164:                            ;   in Loop: Header=BB216_6 Depth=1
	s_or_saveexec_b32 s11, s11
	v_mov_b32_e32 v2, 8
	s_mov_b32 s20, 0
	s_xor_b32 exec_lo, exec_lo, s11
; %bb.165:                              ;   in Loop: Header=BB216_6 Depth=1
	v_sub_nc_u64_e64 v[4:5], v[4:5], s[14:15]
	v_mov_b32_e32 v2, 0
	s_mov_b32 s20, exec_lo
; %bb.166:                              ;   in Loop: Header=BB216_6 Depth=1
	s_or_b32 exec_lo, exec_lo, s11
	s_delay_alu instid0(VALU_DEP_2)
	v_mov_b64_e32 v[6:7], v[4:5]
	s_and_b32 s11, s20, exec_lo
.LBB216_167:                            ;   in Loop: Header=BB216_6 Depth=1
	s_or_b32 exec_lo, exec_lo, s10
	s_mov_b32 s10, -1
                                        ; implicit-def: $sgpr79
                                        ; implicit-def: $sgpr80
	s_and_saveexec_b32 s78, s11
	s_cbranch_execz .LBB216_265
; %bb.168:                              ;   in Loop: Header=BB216_6 Depth=1
	s_delay_alu instid0(VALU_DEP_1) | instskip(SKIP_2) | instid1(SALU_CYCLE_1)
	v_cmp_eq_u64_e32 vcc_lo, 1, v[6:7]
	s_cmp_eq_u64 s[16:17], 1
                                        ; implicit-def: $sgpr80
                                        ; implicit-def: $sgpr79
	s_cselect_b32 s10, -1, 0
	s_and_b32 s82, s10, vcc_lo
	s_mov_b32 s10, -1
	s_and_saveexec_b32 s81, s82
	s_cbranch_execz .LBB216_202
; %bb.169:                              ;   in Loop: Header=BB216_6 Depth=1
	ds_load_b64 v[4:5], v3 offset:5120
	s_wait_dscnt 0x0
	s_barrier_signal -1
	s_barrier_wait -1
	v_readfirstlane_b32 s10, v4
	v_readfirstlane_b32 s11, v5
	s_and_saveexec_b32 s20, s6
; %bb.170:                              ;   in Loop: Header=BB216_6 Depth=1
	ds_store_b16 v39, v3
; %bb.171:                              ;   in Loop: Header=BB216_6 Depth=1
	s_or_b32 exec_lo, exec_lo, s20
	s_lshl_b32 s20, 2, s96
	v_or_b32_e32 v11, s24, v11
	v_and_or_b32 v10, v10, s25, s20
	s_mov_b32 s79, -1
	s_mov_b32 s80, 0
	s_cmp_eq_u64 s[10:11], 0
	s_mov_b32 s22, 0
	s_mov_b32 s23, -1
	s_wait_dscnt 0x0
	s_barrier_signal -1
	s_barrier_wait -1
                                        ; implicit-def: $vgpr8
	s_cbranch_scc1 .LBB216_187
; %bb.172:                              ;   in Loop: Header=BB216_6 Depth=1
	s_add_nc_u64 s[20:21], s[10:11], s[54:55]
	s_delay_alu instid0(SALU_CYCLE_1) | instskip(NEXT) | instid1(SALU_CYCLE_1)
	s_and_b64 s[22:23], s[20:21], 0xffffffff00000000
	s_cmp_lg_u64 s[22:23], 0
	s_cbranch_scc0 .LBB216_219
; %bb.173:                              ;   in Loop: Header=BB216_6 Depth=1
	s_cvt_f32_u32 s22, s34
	s_sub_nc_u64 s[50:51], 0, s[34:35]
	s_delay_alu instid0(SALU_CYCLE_2) | instskip(NEXT) | instid1(SALU_CYCLE_3)
	s_fmamk_f32 s22, s94, 0x0, s22
	v_s_rcp_f32 s22, s22
	s_delay_alu instid0(TRANS32_DEP_1) | instskip(NEXT) | instid1(SALU_CYCLE_3)
	s_mul_f32 s22, s22, 0x5f7ffffc
	s_mul_f32 s23, s22, 0x2f800000
	s_delay_alu instid0(SALU_CYCLE_3) | instskip(NEXT) | instid1(SALU_CYCLE_3)
	s_trunc_f32 s23, s23
	s_fmamk_f32 s22, s23, 0xcf800000, s22
	s_cvt_u32_f32 s23, s23
	s_delay_alu instid0(SALU_CYCLE_2) | instskip(NEXT) | instid1(SALU_CYCLE_3)
	s_cvt_u32_f32 s22, s22
	s_mul_u64 s[52:53], s[50:51], s[22:23]
	s_delay_alu instid0(SALU_CYCLE_1)
	s_mul_hi_u32 s85, s22, s53
	s_mul_i32 s84, s22, s53
	s_mul_hi_u32 s28, s22, s52
	s_mul_i32 s45, s23, s52
	s_add_nc_u64 s[84:85], s[28:29], s[84:85]
	s_mul_hi_u32 s44, s23, s52
	s_mul_hi_u32 s66, s23, s53
	s_add_co_u32 s28, s84, s45
	s_add_co_ci_u32 s28, s85, s44
	s_mul_i32 s52, s23, s53
	s_add_co_ci_u32 s53, s66, 0
	s_delay_alu instid0(SALU_CYCLE_1) | instskip(NEXT) | instid1(SALU_CYCLE_1)
	s_add_nc_u64 s[52:53], s[28:29], s[52:53]
	s_add_co_u32 s22, s22, s52
	s_cselect_b32 s28, -1, 0
	s_delay_alu instid0(SALU_CYCLE_1) | instskip(SKIP_1) | instid1(SALU_CYCLE_1)
	s_cmp_lg_u32 s28, 0
	s_add_co_ci_u32 s23, s23, s53
	s_mul_u64 s[50:51], s[50:51], s[22:23]
	s_delay_alu instid0(SALU_CYCLE_1)
	s_mul_hi_u32 s53, s22, s51
	s_mul_i32 s52, s22, s51
	s_mul_hi_u32 s28, s22, s50
	s_mul_i32 s45, s23, s50
	s_add_nc_u64 s[52:53], s[28:29], s[52:53]
	s_mul_hi_u32 s44, s23, s50
	s_mul_hi_u32 s66, s23, s51
	s_add_co_u32 s28, s52, s45
	s_add_co_ci_u32 s28, s53, s44
	s_mul_i32 s50, s23, s51
	s_add_co_ci_u32 s51, s66, 0
	s_delay_alu instid0(SALU_CYCLE_1) | instskip(NEXT) | instid1(SALU_CYCLE_1)
	s_add_nc_u64 s[50:51], s[28:29], s[50:51]
	s_add_co_u32 s22, s22, s50
	s_cselect_b32 s44, -1, 0
	s_mul_hi_u32 s28, s20, s22
	s_cmp_lg_u32 s44, 0
	s_mul_hi_u32 s44, s21, s22
	s_add_co_ci_u32 s45, s23, s51
	s_mul_i32 s51, s21, s22
	s_mul_hi_u32 s23, s20, s45
	s_mul_i32 s22, s20, s45
	s_mul_hi_u32 s52, s21, s45
	s_add_nc_u64 s[22:23], s[28:29], s[22:23]
	s_mul_i32 s50, s21, s45
	s_add_co_u32 s22, s22, s51
	s_add_co_ci_u32 s28, s23, s44
	s_add_co_ci_u32 s51, s52, 0
	s_delay_alu instid0(SALU_CYCLE_1) | instskip(NEXT) | instid1(SALU_CYCLE_1)
	s_add_nc_u64 s[22:23], s[28:29], s[50:51]
	s_and_b64 s[50:51], s[22:23], 0xffffffff00000000
	s_delay_alu instid0(SALU_CYCLE_1) | instskip(NEXT) | instid1(SALU_CYCLE_1)
	s_or_b32 s50, s50, s22
	s_mul_u64 s[22:23], s[34:35], s[50:51]
	s_delay_alu instid0(SALU_CYCLE_1) | instskip(SKIP_1) | instid1(SALU_CYCLE_1)
	s_sub_co_u32 s22, s20, s22
	s_cselect_b32 s28, -1, 0
	s_cmp_lg_u32 s28, 0
	s_sub_co_ci_u32 s23, s21, s23
	s_sub_co_u32 s28, s22, s34
	s_cselect_b32 s44, -1, 0
	s_delay_alu instid0(SALU_CYCLE_1) | instskip(SKIP_3) | instid1(SALU_CYCLE_1)
	s_cmp_lg_u32 s44, 0
	s_sub_co_ci_u32 s44, s23, 0
	s_sub_co_u32 s45, s28, s34
	s_cselect_b32 s50, -1, 0
	s_cmp_lg_u32 s50, 0
	s_sub_co_ci_u32 s50, s44, 0
	s_cmp_ge_u32 s28, s34
	s_cselect_b32 s51, -1, 0
	s_cmp_eq_u32 s44, 0
	s_cselect_b32 s51, s51, -1
	s_delay_alu instid0(SALU_CYCLE_1)
	s_cmp_lg_u32 s51, 0
	s_cselect_b32 s44, s50, s44
	s_cselect_b32 s28, s45, s28
	s_cmp_ge_u32 s22, s34
	s_cselect_b32 s45, -1, 0
	s_cmp_eq_u32 s23, 0
	s_cselect_b32 s45, s45, -1
	s_delay_alu instid0(SALU_CYCLE_1)
	s_cmp_lg_u32 s45, 0
	s_cselect_b32 s23, s44, s23
	s_cselect_b32 s22, s28, s22
	s_cbranch_execnz .LBB216_175
.LBB216_174:                            ;   in Loop: Header=BB216_6 Depth=1
	v_cvt_f32_u32_e32 v4, s34
	s_sub_co_i32 s23, 0, s34
	s_delay_alu instid0(VALU_DEP_1) | instskip(SKIP_1) | instid1(TRANS32_DEP_1)
	v_rcp_iflag_f32_e32 v4, v4
	v_nop
	v_mul_f32_e32 v4, 0x4f7ffffe, v4
	s_delay_alu instid0(VALU_DEP_1) | instskip(NEXT) | instid1(VALU_DEP_1)
	v_cvt_u32_f32_e32 v4, v4
	v_readfirstlane_b32 s22, v4
	s_mul_i32 s23, s23, s22
	s_delay_alu instid0(SALU_CYCLE_1) | instskip(NEXT) | instid1(SALU_CYCLE_1)
	s_mul_hi_u32 s23, s22, s23
	s_add_co_i32 s22, s22, s23
	s_delay_alu instid0(SALU_CYCLE_1) | instskip(NEXT) | instid1(SALU_CYCLE_1)
	s_mul_hi_u32 s22, s20, s22
	s_mul_i32 s22, s22, s34
	s_delay_alu instid0(SALU_CYCLE_1) | instskip(NEXT) | instid1(SALU_CYCLE_1)
	s_sub_co_i32 s22, s20, s22
	s_sub_co_i32 s23, s22, s34
	s_cmp_ge_u32 s22, s34
	s_cselect_b32 s22, s23, s22
	s_delay_alu instid0(SALU_CYCLE_1) | instskip(SKIP_2) | instid1(SALU_CYCLE_1)
	s_sub_co_i32 s23, s22, s34
	s_cmp_ge_u32 s22, s34
	s_cselect_b32 s28, s23, s22
	s_mov_b64 s[22:23], s[28:29]
.LBB216_175:                            ;   in Loop: Header=BB216_6 Depth=1
	s_delay_alu instid0(SALU_CYCLE_1)
	s_sub_nc_u64 s[20:21], s[20:21], s[22:23]
	s_mov_b32 s23, 0
	s_mov_b32 s22, 0
	s_mov_b32 s28, exec_lo
                                        ; implicit-def: $vgpr8
	v_cmpx_gt_u64_e64 s[20:21], v[0:1]
	s_cbranch_execz .LBB216_186
; %bb.176:                              ;   in Loop: Header=BB216_6 Depth=1
	v_mov_b64_e32 v[4:5], v[0:1]
	v_mov_b32_e32 v8, v38
                                        ; implicit-def: $sgpr50
	s_branch .LBB216_179
.LBB216_177:                            ;   in Loop: Header=BB216_179 Depth=2
	s_or_b32 exec_lo, exec_lo, s51
	s_wait_dscnt 0x0
	s_barrier_signal -1
	s_barrier_wait -1
	ds_load_b32 v9, v3 offset:3072
	s_mov_b32 s51, -1
	s_mov_b32 s52, -1
	s_wait_dscnt 0x0
	s_barrier_signal -1
	s_barrier_wait -1
	v_and_b32_e32 v32, 0x7fff, v9
	s_delay_alu instid0(VALU_DEP_1)
	v_cmp_ne_u32_e32 vcc_lo, 0, v32
	s_cbranch_vccz .LBB216_182
.LBB216_178:                            ;   in Loop: Header=BB216_179 Depth=2
	s_and_b32 s8, exec_lo, s51
	s_delay_alu instid0(SALU_CYCLE_1) | instskip(SKIP_2) | instid1(SALU_CYCLE_1)
	s_or_b32 s22, s8, s22
	s_and_not1_b32 s8, s50, exec_lo
	s_and_b32 s44, s52, exec_lo
	s_or_b32 s50, s8, s44
	s_and_not1_b32 exec_lo, exec_lo, s22
	s_cbranch_execz .LBB216_185
.LBB216_179:                            ;   Parent Loop BB216_6 Depth=1
                                        ; =>  This Inner Loop Header: Depth=2
	s_mov_b32 s51, exec_lo
	s_delay_alu instid0(VALU_DEP_2)
	v_cmpx_gt_u64_e64 s[10:11], v[4:5]
	s_cbranch_execz .LBB216_177
; %bb.180:                              ;   in Loop: Header=BB216_179 Depth=2
	ds_load_u16 v9, v8
	s_wait_dscnt 0x0
	v_cmp_lt_i16_e32 vcc_lo, -1, v9
	v_and_b32_e32 v32, 0xffff, v9
	v_dual_cndmask_b32 v33, 0xffff, v44 :: v_dual_lshlrev_b32 v34, 16, v9
	s_delay_alu instid0(VALU_DEP_1) | instskip(NEXT) | instid1(VALU_DEP_2)
	v_cmp_o_f32_e32 vcc_lo, v34, v34
	v_xor_b32_e32 v32, v33, v32
	s_delay_alu instid0(VALU_DEP_1) | instskip(NEXT) | instid1(VALU_DEP_1)
	v_cndmask_b32_e32 v32, 0xffff, v32, vcc_lo
	v_and_b32_e32 v32, v32, v11
	s_delay_alu instid0(VALU_DEP_1)
	v_cmp_eq_u32_e32 vcc_lo, v32, v10
	s_and_b32 exec_lo, exec_lo, vcc_lo
	s_cbranch_execz .LBB216_177
; %bb.181:                              ;   in Loop: Header=BB216_179 Depth=2
	v_perm_b32 v9, v9, s95, 0x5040100
	ds_store_b32 v3, v9 offset:3072
	s_branch .LBB216_177
.LBB216_182:                            ;   in Loop: Header=BB216_179 Depth=2
	v_add_nc_u64_e32 v[4:5], s[34:35], v[4:5]
	v_add_nc_u32_e32 v8, s93, v8
	s_mov_b32 s52, 0
	s_delay_alu instid0(VALU_DEP_2)
	v_cmp_le_u64_e32 vcc_lo, s[20:21], v[4:5]
	s_or_not1_b32 s51, vcc_lo, exec_lo
	s_branch .LBB216_178
.LBB216_183:                            ;   in Loop: Header=BB216_6 Depth=1
                                        ; implicit-def: $sgpr22_sgpr23
	s_branch .LBB216_129
.LBB216_184:                            ;   in Loop: Header=BB216_6 Depth=1
                                        ; implicit-def: $sgpr10_sgpr11
	s_branch .LBB216_145
.LBB216_185:                            ;   in Loop: Header=BB216_6 Depth=1
	s_or_b32 exec_lo, exec_lo, s22
	v_lshrrev_b32_e32 v8, 16, v9
	s_and_b32 s22, s50, exec_lo
.LBB216_186:                            ;   in Loop: Header=BB216_6 Depth=1
	s_or_b32 exec_lo, exec_lo, s28
.LBB216_187:                            ;   in Loop: Header=BB216_6 Depth=1
	s_delay_alu instid0(SALU_CYCLE_1)
	s_and_b32 vcc_lo, exec_lo, s23
	s_cbranch_vccz .LBB216_201
; %bb.188:                              ;   in Loop: Header=BB216_6 Depth=1
	s_and_b64 s[10:11], s[56:57], 0xffffffff00000000
	s_delay_alu instid0(SALU_CYCLE_1)
	s_cmp_lg_u64 s[10:11], 0
	s_cbranch_scc0 .LBB216_220
; %bb.189:                              ;   in Loop: Header=BB216_6 Depth=1
	s_cvt_f32_u32 s10, s34
	s_sub_nc_u64 s[20:21], 0, s[34:35]
	s_delay_alu instid0(SALU_CYCLE_2) | instskip(NEXT) | instid1(SALU_CYCLE_3)
	s_fmamk_f32 s10, s94, 0x0, s10
	v_s_rcp_f32 s10, s10
	s_delay_alu instid0(TRANS32_DEP_1) | instskip(NEXT) | instid1(SALU_CYCLE_3)
	s_mul_f32 s10, s10, 0x5f7ffffc
	s_mul_f32 s11, s10, 0x2f800000
	s_delay_alu instid0(SALU_CYCLE_3) | instskip(NEXT) | instid1(SALU_CYCLE_3)
	s_trunc_f32 s11, s11
	s_fmamk_f32 s10, s11, 0xcf800000, s10
	s_cvt_u32_f32 s11, s11
	s_delay_alu instid0(SALU_CYCLE_2) | instskip(NEXT) | instid1(SALU_CYCLE_3)
	s_cvt_u32_f32 s10, s10
	s_mul_u64 s[50:51], s[20:21], s[10:11]
	s_delay_alu instid0(SALU_CYCLE_1)
	s_mul_hi_u32 s53, s10, s51
	s_mul_i32 s52, s10, s51
	s_mul_hi_u32 s28, s10, s50
	s_mul_i32 s44, s11, s50
	s_add_nc_u64 s[52:53], s[28:29], s[52:53]
	s_mul_hi_u32 s23, s11, s50
	s_mul_hi_u32 s45, s11, s51
	s_add_co_u32 s28, s52, s44
	s_add_co_ci_u32 s28, s53, s23
	s_mul_i32 s50, s11, s51
	s_add_co_ci_u32 s51, s45, 0
	s_delay_alu instid0(SALU_CYCLE_1) | instskip(NEXT) | instid1(SALU_CYCLE_1)
	s_add_nc_u64 s[50:51], s[28:29], s[50:51]
	s_add_co_u32 s10, s10, s50
	s_cselect_b32 s23, -1, 0
	s_delay_alu instid0(SALU_CYCLE_1) | instskip(SKIP_1) | instid1(SALU_CYCLE_1)
	s_cmp_lg_u32 s23, 0
	s_add_co_ci_u32 s11, s11, s51
	s_mul_u64 s[20:21], s[20:21], s[10:11]
	s_delay_alu instid0(SALU_CYCLE_1)
	s_mul_hi_u32 s51, s10, s21
	s_mul_i32 s50, s10, s21
	s_mul_hi_u32 s28, s10, s20
	s_mul_i32 s44, s11, s20
	s_add_nc_u64 s[50:51], s[28:29], s[50:51]
	s_mul_hi_u32 s23, s11, s20
	s_mul_hi_u32 s45, s11, s21
	s_mul_i32 s20, s11, s21
	s_add_co_u32 s21, s50, s44
	s_add_co_ci_u32 s28, s51, s23
	s_add_co_ci_u32 s21, s45, 0
	s_delay_alu instid0(SALU_CYCLE_1) | instskip(NEXT) | instid1(SALU_CYCLE_1)
	s_add_nc_u64 s[20:21], s[28:29], s[20:21]
	s_add_co_u32 s10, s10, s20
	s_cselect_b32 s20, -1, 0
	s_mul_hi_u32 s28, s56, s10
	s_cmp_lg_u32 s20, 0
	s_mul_hi_u32 s23, s57, s10
	s_add_co_ci_u32 s20, s11, s21
	s_mul_i32 s21, s57, s10
	s_mul_hi_u32 s11, s56, s20
	s_mul_i32 s10, s56, s20
	s_mul_hi_u32 s44, s57, s20
	s_add_nc_u64 s[10:11], s[28:29], s[10:11]
	s_mul_i32 s20, s57, s20
	s_add_co_u32 s10, s10, s21
	s_add_co_ci_u32 s28, s11, s23
	s_add_co_ci_u32 s21, s44, 0
	s_delay_alu instid0(SALU_CYCLE_1) | instskip(NEXT) | instid1(SALU_CYCLE_1)
	s_add_nc_u64 s[10:11], s[28:29], s[20:21]
	s_and_b64 s[20:21], s[10:11], 0xffffffff00000000
	s_delay_alu instid0(SALU_CYCLE_1) | instskip(NEXT) | instid1(SALU_CYCLE_1)
	s_or_b32 s20, s20, s10
	s_mul_u64 s[10:11], s[34:35], s[20:21]
	s_delay_alu instid0(SALU_CYCLE_1) | instskip(SKIP_1) | instid1(SALU_CYCLE_1)
	s_sub_co_u32 s10, s56, s10
	s_cselect_b32 s20, -1, 0
	s_cmp_lg_u32 s20, 0
	s_sub_co_ci_u32 s11, s57, s11
	s_sub_co_u32 s20, s10, s34
	s_cselect_b32 s21, -1, 0
	s_delay_alu instid0(SALU_CYCLE_1) | instskip(SKIP_3) | instid1(SALU_CYCLE_1)
	s_cmp_lg_u32 s21, 0
	s_sub_co_ci_u32 s21, s11, 0
	s_sub_co_u32 s23, s20, s34
	s_cselect_b32 s28, -1, 0
	s_cmp_lg_u32 s28, 0
	s_sub_co_ci_u32 s28, s21, 0
	s_cmp_ge_u32 s20, s34
	s_cselect_b32 s44, -1, 0
	s_cmp_eq_u32 s21, 0
	s_cselect_b32 s44, s44, -1
	s_delay_alu instid0(SALU_CYCLE_1)
	s_cmp_lg_u32 s44, 0
	s_cselect_b32 s21, s28, s21
	s_cselect_b32 s20, s23, s20
	s_cmp_ge_u32 s10, s34
	s_cselect_b32 s23, -1, 0
	s_cmp_eq_u32 s11, 0
	s_cselect_b32 s23, s23, -1
	s_delay_alu instid0(SALU_CYCLE_1)
	s_cmp_lg_u32 s23, 0
	s_cselect_b32 s11, s21, s11
	s_cselect_b32 s10, s20, s10
	s_cbranch_execnz .LBB216_191
.LBB216_190:                            ;   in Loop: Header=BB216_6 Depth=1
	v_cvt_f32_u32_e32 v4, s34
	s_sub_co_i32 s11, 0, s34
	s_delay_alu instid0(VALU_DEP_1) | instskip(SKIP_1) | instid1(TRANS32_DEP_1)
	v_rcp_iflag_f32_e32 v4, v4
	v_nop
	v_mul_f32_e32 v4, 0x4f7ffffe, v4
	s_delay_alu instid0(VALU_DEP_1) | instskip(NEXT) | instid1(VALU_DEP_1)
	v_cvt_u32_f32_e32 v4, v4
	v_readfirstlane_b32 s10, v4
	s_mul_i32 s11, s11, s10
	s_delay_alu instid0(SALU_CYCLE_1) | instskip(NEXT) | instid1(SALU_CYCLE_1)
	s_mul_hi_u32 s11, s10, s11
	s_add_co_i32 s10, s10, s11
	s_delay_alu instid0(SALU_CYCLE_1) | instskip(NEXT) | instid1(SALU_CYCLE_1)
	s_mul_hi_u32 s10, s56, s10
	s_mul_i32 s10, s10, s34
	s_delay_alu instid0(SALU_CYCLE_1) | instskip(NEXT) | instid1(SALU_CYCLE_1)
	s_sub_co_i32 s10, s56, s10
	s_sub_co_i32 s11, s10, s34
	s_cmp_ge_u32 s10, s34
	s_cselect_b32 s10, s11, s10
	s_delay_alu instid0(SALU_CYCLE_1) | instskip(SKIP_2) | instid1(SALU_CYCLE_1)
	s_sub_co_i32 s11, s10, s34
	s_cmp_ge_u32 s10, s34
	s_cselect_b32 s28, s11, s10
	s_mov_b64 s[10:11], s[28:29]
.LBB216_191:                            ;   in Loop: Header=BB216_6 Depth=1
	s_delay_alu instid0(SALU_CYCLE_1)
	s_sub_nc_u64 s[10:11], s[56:57], s[10:11]
	s_mov_b32 s20, exec_lo
                                        ; implicit-def: $vgpr8
	v_nop
	v_cmpx_gt_u64_e64 s[10:11], v[0:1]
	s_cbranch_execz .LBB216_200
; %bb.192:                              ;   in Loop: Header=BB216_6 Depth=1
	v_mov_b64_e32 v[4:5], v[14:15]
	v_mov_b64_e32 v[8:9], v[0:1]
	s_mov_b32 s21, 0
                                        ; implicit-def: $sgpr23
	s_branch .LBB216_195
.LBB216_193:                            ;   in Loop: Header=BB216_195 Depth=2
	s_or_b32 exec_lo, exec_lo, s28
	s_wait_dscnt 0x0
	s_barrier_signal -1
	s_barrier_wait -1
	ds_load_b32 v32, v3 offset:3072
	s_mov_b32 s28, -1
	s_mov_b32 s50, -1
	s_wait_dscnt 0x0
	s_barrier_signal -1
	s_barrier_wait -1
	v_and_b32_e32 v33, 0x7fff, v32
	s_delay_alu instid0(VALU_DEP_1)
	v_cmp_eq_u32_e32 vcc_lo, 0, v33
	s_cbranch_vccnz .LBB216_198
.LBB216_194:                            ;   in Loop: Header=BB216_195 Depth=2
	s_and_b32 s8, exec_lo, s28
	s_delay_alu instid0(SALU_CYCLE_1) | instskip(SKIP_2) | instid1(SALU_CYCLE_1)
	s_or_b32 s21, s8, s21
	s_and_not1_b32 s8, s23, exec_lo
	s_and_b32 s23, s50, exec_lo
	s_or_b32 s23, s8, s23
	s_and_not1_b32 exec_lo, exec_lo, s21
	s_cbranch_execz .LBB216_199
.LBB216_195:                            ;   Parent Loop BB216_6 Depth=1
                                        ; =>  This Inner Loop Header: Depth=2
	s_mov_b32 s28, exec_lo
	s_delay_alu instid0(VALU_DEP_1)
	v_cmpx_gt_u64_e64 s[36:37], v[8:9]
	s_cbranch_execz .LBB216_193
; %bb.196:                              ;   in Loop: Header=BB216_195 Depth=2
	global_load_u16 v32, v[4:5], off
	s_wait_loadcnt 0x0
	v_cmp_lt_i16_e32 vcc_lo, -1, v32
	v_and_b32_e32 v33, 0xffff, v32
	v_cndmask_b32_e32 v34, 0xffff, v44, vcc_lo
	s_delay_alu instid0(VALU_DEP_1) | instskip(NEXT) | instid1(VALU_DEP_1)
	v_dual_lshlrev_b32 v35, 16, v32 :: v_dual_bitop2_b32 v33, v34, v33 bitop3:0x14
	v_cmp_o_f32_e32 vcc_lo, v35, v35
	s_delay_alu instid0(VALU_DEP_2) | instskip(NEXT) | instid1(VALU_DEP_1)
	v_cndmask_b32_e32 v33, 0xffff, v33, vcc_lo
	v_and_b32_e32 v33, v33, v11
	s_delay_alu instid0(VALU_DEP_1)
	v_cmp_eq_u32_e32 vcc_lo, v33, v10
	s_and_b32 exec_lo, exec_lo, vcc_lo
	s_cbranch_execz .LBB216_193
; %bb.197:                              ;   in Loop: Header=BB216_195 Depth=2
	v_perm_b32 v32, v32, s95, 0x5040100
	ds_store_b32 v3, v32 offset:3072
	s_branch .LBB216_193
.LBB216_198:                            ;   in Loop: Header=BB216_195 Depth=2
	v_add_nc_u64_e32 v[8:9], s[34:35], v[8:9]
	v_add_nc_u64_e32 v[4:5], s[40:41], v[4:5]
	s_mov_b32 s50, 0
	s_delay_alu instid0(VALU_DEP_2)
	v_cmp_le_u64_e32 vcc_lo, s[10:11], v[8:9]
	s_or_not1_b32 s28, vcc_lo, exec_lo
	s_branch .LBB216_194
.LBB216_199:                            ;   in Loop: Header=BB216_6 Depth=1
	s_or_b32 exec_lo, exec_lo, s21
	v_lshrrev_b32_e32 v8, 16, v32
	s_and_not1_b32 s8, s22, exec_lo
	s_and_b32 s10, s23, exec_lo
	s_delay_alu instid0(SALU_CYCLE_1)
	s_or_b32 s22, s8, s10
.LBB216_200:                            ;   in Loop: Header=BB216_6 Depth=1
	s_or_b32 exec_lo, exec_lo, s20
	s_mov_b32 s79, 0
	s_mov_b32 s80, -1
.LBB216_201:                            ;   in Loop: Header=BB216_6 Depth=1
	s_or_not1_b32 s10, s22, exec_lo
.LBB216_202:                            ;   in Loop: Header=BB216_6 Depth=1
	s_or_b32 exec_lo, exec_lo, s81
	s_mov_b32 s11, 0
	s_and_saveexec_b32 s81, s10
	s_cbranch_execz .LBB216_264
; %bb.203:                              ;   in Loop: Header=BB216_6 Depth=1
	v_mov_b64_e32 v[4:5], 1
	v_mov_b32_e32 v2, 1
	s_xor_b32 s20, s82, -1
	s_delay_alu instid0(SALU_CYCLE_1)
	s_and_saveexec_b32 s10, s20
	s_cbranch_execz .LBB216_212
; %bb.204:                              ;   in Loop: Header=BB216_6 Depth=1
	s_mov_b32 s11, exec_lo
	v_cmpx_ge_u64_e64 s[16:17], v[6:7]
	s_xor_b32 s11, exec_lo, s11
	s_cbranch_execz .LBB216_209
; %bb.205:                              ;   in Loop: Header=BB216_6 Depth=1
	ds_load_b64 v[4:5], v3 offset:5120
	s_lshl_b32 s20, 2, s96
	v_or_b32_e32 v11, s24, v11
	v_and_or_b32 v10, v10, s25, s20
	s_wait_dscnt 0x0
	v_cmp_ne_u64_e32 vcc_lo, 0, v[4:5]
	s_cbranch_vccnz .LBB216_209
; %bb.206:                              ;   in Loop: Header=BB216_6 Depth=1
	s_and_saveexec_b32 s20, s5
; %bb.207:                              ;   in Loop: Header=BB216_6 Depth=1
	v_mov_b64_e32 v[4:5], s[16:17]
	ds_store_b64 v3, v[4:5] offset:5128
; %bb.208:                              ;   in Loop: Header=BB216_6 Depth=1
	s_or_b32 exec_lo, exec_lo, s20
	s_wait_dscnt 0x0
	s_barrier_signal -1
	s_barrier_wait -1
.LBB216_209:                            ;   in Loop: Header=BB216_6 Depth=1
	s_or_saveexec_b32 s11, s11
	v_mov_b32_e32 v2, 8
	s_mov_b32 s20, 0
	s_xor_b32 exec_lo, exec_lo, s11
; %bb.210:                              ;   in Loop: Header=BB216_6 Depth=1
	v_sub_nc_u64_e64 v[6:7], v[6:7], s[16:17]
	v_mov_b32_e32 v2, 0
	s_mov_b32 s20, exec_lo
; %bb.211:                              ;   in Loop: Header=BB216_6 Depth=1
	s_or_b32 exec_lo, exec_lo, s11
	s_delay_alu instid0(VALU_DEP_2)
	v_mov_b64_e32 v[4:5], v[6:7]
	s_and_b32 s11, s20, exec_lo
.LBB216_212:                            ;   in Loop: Header=BB216_6 Depth=1
	s_or_b32 exec_lo, exec_lo, s10
	s_mov_b32 s10, -1
                                        ; implicit-def: $sgpr50
                                        ; implicit-def: $sgpr85
	s_and_saveexec_b32 s82, s11
	s_cbranch_execz .LBB216_263
; %bb.213:                              ;   in Loop: Header=BB216_6 Depth=1
	s_delay_alu instid0(VALU_DEP_1) | instskip(SKIP_3) | instid1(SALU_CYCLE_1)
	v_cmp_eq_u64_e32 vcc_lo, 1, v[4:5]
	s_cmp_eq_u64 s[18:19], 1
	s_mov_b32 s11, -1
	s_cselect_b32 s10, -1, 0
                                        ; implicit-def: $sgpr50
                                        ; implicit-def: $sgpr85
	s_and_b32 s83, s10, vcc_lo
	s_delay_alu instid0(SALU_CYCLE_1)
	s_and_saveexec_b32 s84, s83
	s_cbranch_execz .LBB216_251
; %bb.214:                              ;   in Loop: Header=BB216_6 Depth=1
	ds_load_b64 v[6:7], v3 offset:5120
	s_wait_dscnt 0x0
	s_barrier_signal -1
	s_barrier_wait -1
	v_readfirstlane_b32 s10, v6
	v_readfirstlane_b32 s11, v7
	s_and_saveexec_b32 s20, s6
; %bb.215:                              ;   in Loop: Header=BB216_6 Depth=1
	ds_store_b16 v39, v3
; %bb.216:                              ;   in Loop: Header=BB216_6 Depth=1
	s_or_b32 exec_lo, exec_lo, s20
	v_or_b32_e32 v10, s24, v10
	v_or_b32_e32 v11, s24, v11
	s_mov_b32 s85, -1
	s_mov_b32 s50, 0
	s_cmp_eq_u64 s[10:11], 0
	s_mov_b32 s22, 0
	s_mov_b32 s23, -1
	s_wait_dscnt 0x0
	s_barrier_signal -1
	s_barrier_wait -1
                                        ; implicit-def: $vgpr8
	s_cbranch_scc1 .LBB216_234
; %bb.217:                              ;   in Loop: Header=BB216_6 Depth=1
	s_add_nc_u64 s[20:21], s[10:11], s[54:55]
	v_writelane_b32 v56, s3, 12
	s_and_b64 s[22:23], s[20:21], 0xffffffff00000000
	s_mov_b32 s3, s7
	s_mov_b32 s7, s4
	;; [unrolled: 1-line block ×3, first 2 shown]
	s_cmp_lg_u64 s[22:23], 0
	s_cbranch_scc0 .LBB216_221
; %bb.218:                              ;   in Loop: Header=BB216_6 Depth=1
	s_cvt_f32_u32 s22, s34
	s_sub_nc_u64 s[52:53], 0, s[34:35]
	s_delay_alu instid0(SALU_CYCLE_2) | instskip(NEXT) | instid1(SALU_CYCLE_3)
	s_fmamk_f32 s22, s94, 0x0, s22
	v_s_rcp_f32 s22, s22
	s_delay_alu instid0(TRANS32_DEP_1) | instskip(NEXT) | instid1(SALU_CYCLE_3)
	s_mul_f32 s22, s22, 0x5f7ffffc
	s_mul_f32 s23, s22, 0x2f800000
	s_delay_alu instid0(SALU_CYCLE_3) | instskip(NEXT) | instid1(SALU_CYCLE_3)
	s_trunc_f32 s23, s23
	s_fmamk_f32 s22, s23, 0xcf800000, s22
	s_cvt_u32_f32 s23, s23
	s_delay_alu instid0(SALU_CYCLE_2) | instskip(NEXT) | instid1(SALU_CYCLE_3)
	s_cvt_u32_f32 s22, s22
	s_mul_u64 s[44:45], s[52:53], s[22:23]
	s_delay_alu instid0(SALU_CYCLE_1)
	s_mul_hi_u32 s67, s22, s45
	s_mul_i32 s66, s22, s45
	s_mul_hi_u32 s28, s22, s44
	s_mul_i32 vcc_lo, s23, s44
	s_add_nc_u64 s[66:67], s[28:29], s[66:67]
	s_mul_hi_u32 s51, s23, s44
	s_mul_hi_u32 s8, s23, s45
	s_add_co_u32 s28, s66, vcc_lo
	s_add_co_ci_u32 s28, s67, s51
	s_mul_i32 s44, s23, s45
	s_add_co_ci_u32 s45, s8, 0
	s_delay_alu instid0(SALU_CYCLE_1) | instskip(NEXT) | instid1(SALU_CYCLE_1)
	s_add_nc_u64 s[44:45], s[28:29], s[44:45]
	s_add_co_u32 s22, s22, s44
	s_cselect_b32 s8, -1, 0
	s_delay_alu instid0(SALU_CYCLE_1) | instskip(SKIP_1) | instid1(SALU_CYCLE_1)
	s_cmp_lg_u32 s8, 0
	s_add_co_ci_u32 s23, s23, s45
	s_mul_u64 s[44:45], s[52:53], s[22:23]
	s_delay_alu instid0(SALU_CYCLE_1)
	s_mul_hi_u32 s53, s22, s45
	s_mul_i32 s52, s22, s45
	s_mul_hi_u32 s28, s22, s44
	s_mul_i32 s51, s23, s44
	s_add_nc_u64 s[52:53], s[28:29], s[52:53]
	s_mul_hi_u32 s8, s23, s44
	s_mul_hi_u32 s66, s23, s45
	s_add_co_u32 s28, s52, s51
	s_add_co_ci_u32 s28, s53, s8
	s_mul_i32 s44, s23, s45
	s_add_co_ci_u32 s45, s66, 0
	s_delay_alu instid0(SALU_CYCLE_1) | instskip(NEXT) | instid1(SALU_CYCLE_1)
	s_add_nc_u64 s[44:45], s[28:29], s[44:45]
	s_add_co_u32 s8, s22, s44
	s_cselect_b32 s22, -1, 0
	s_mul_hi_u32 s28, s20, s8
	s_cmp_lg_u32 s22, 0
	s_mul_hi_u32 s51, s21, s8
	s_add_co_ci_u32 s44, s23, s45
	s_mul_i32 s8, s21, s8
	s_mul_hi_u32 s23, s20, s44
	s_mul_i32 s22, s20, s44
	s_mul_hi_u32 s45, s21, s44
	s_add_nc_u64 s[22:23], s[28:29], s[22:23]
	s_mul_i32 s44, s21, s44
	s_add_co_u32 s8, s22, s8
	s_add_co_ci_u32 s28, s23, s51
	s_add_co_ci_u32 s45, s45, 0
	s_delay_alu instid0(SALU_CYCLE_1) | instskip(NEXT) | instid1(SALU_CYCLE_1)
	s_add_nc_u64 s[22:23], s[28:29], s[44:45]
	s_and_b64 s[44:45], s[22:23], 0xffffffff00000000
	s_delay_alu instid0(SALU_CYCLE_1) | instskip(NEXT) | instid1(SALU_CYCLE_1)
	s_or_b32 s44, s44, s22
	s_mul_u64 s[22:23], s[34:35], s[44:45]
	s_delay_alu instid0(SALU_CYCLE_1) | instskip(SKIP_1) | instid1(SALU_CYCLE_1)
	s_sub_co_u32 s8, s20, s22
	s_cselect_b32 s22, -1, 0
	s_cmp_lg_u32 s22, 0
	s_sub_co_ci_u32 s22, s21, s23
	s_sub_co_u32 s23, s8, s34
	s_cselect_b32 s28, -1, 0
	s_delay_alu instid0(SALU_CYCLE_1) | instskip(SKIP_3) | instid1(SALU_CYCLE_1)
	s_cmp_lg_u32 s28, 0
	s_sub_co_ci_u32 s28, s22, 0
	s_sub_co_u32 s44, s23, s34
	s_cselect_b32 s45, -1, 0
	s_cmp_lg_u32 s45, 0
	s_sub_co_ci_u32 s45, s28, 0
	s_cmp_ge_u32 s23, s34
	s_cselect_b32 s51, -1, 0
	s_cmp_eq_u32 s28, 0
	s_cselect_b32 s51, s51, -1
	s_delay_alu instid0(SALU_CYCLE_1)
	s_cmp_lg_u32 s51, 0
	s_cselect_b32 s28, s45, s28
	s_cselect_b32 s44, s44, s23
	s_cmp_ge_u32 s8, s34
	s_cselect_b32 s23, -1, 0
	s_cmp_eq_u32 s22, 0
	s_cselect_b32 s23, s23, -1
	s_delay_alu instid0(SALU_CYCLE_1)
	s_cmp_lg_u32 s23, 0
	s_cselect_b32 s23, s28, s22
	s_cselect_b32 s22, s44, s8
	s_mov_b32 s28, 0
	s_branch .LBB216_222
.LBB216_219:                            ;   in Loop: Header=BB216_6 Depth=1
                                        ; implicit-def: $sgpr22_sgpr23
	s_branch .LBB216_174
.LBB216_220:                            ;   in Loop: Header=BB216_6 Depth=1
                                        ; implicit-def: $sgpr10_sgpr11
	s_branch .LBB216_190
.LBB216_221:                            ;   in Loop: Header=BB216_6 Depth=1
	s_mov_b32 s28, -1
                                        ; implicit-def: $sgpr22_sgpr23
.LBB216_222:                            ;   in Loop: Header=BB216_6 Depth=1
	s_delay_alu instid0(SALU_CYCLE_1)
	s_and_not1_b32 vcc_lo, exec_lo, s28
	s_cbranch_vccnz .LBB216_224
; %bb.223:                              ;   in Loop: Header=BB216_6 Depth=1
	v_cvt_f32_u32_e32 v6, s34
	s_sub_co_i32 s23, 0, s34
	s_delay_alu instid0(VALU_DEP_1) | instskip(SKIP_1) | instid1(TRANS32_DEP_1)
	v_rcp_iflag_f32_e32 v6, v6
	v_nop
	v_mul_f32_e32 v6, 0x4f7ffffe, v6
	s_delay_alu instid0(VALU_DEP_1) | instskip(NEXT) | instid1(VALU_DEP_1)
	v_cvt_u32_f32_e32 v6, v6
	v_readfirstlane_b32 s22, v6
	s_mul_i32 s23, s23, s22
	s_delay_alu instid0(SALU_CYCLE_1) | instskip(NEXT) | instid1(SALU_CYCLE_1)
	s_mul_hi_u32 s23, s22, s23
	s_add_co_i32 s22, s22, s23
	s_delay_alu instid0(SALU_CYCLE_1) | instskip(NEXT) | instid1(SALU_CYCLE_1)
	s_mul_hi_u32 s22, s20, s22
	s_mul_i32 s22, s22, s34
	s_delay_alu instid0(SALU_CYCLE_1) | instskip(NEXT) | instid1(SALU_CYCLE_1)
	s_sub_co_i32 s22, s20, s22
	s_sub_co_i32 s23, s22, s34
	s_cmp_ge_u32 s22, s34
	s_cselect_b32 s22, s23, s22
	s_delay_alu instid0(SALU_CYCLE_1) | instskip(SKIP_2) | instid1(SALU_CYCLE_1)
	s_sub_co_i32 s23, s22, s34
	s_cmp_ge_u32 s22, s34
	s_cselect_b32 s28, s23, s22
	s_mov_b64 s[22:23], s[28:29]
.LBB216_224:                            ;   in Loop: Header=BB216_6 Depth=1
	s_delay_alu instid0(SALU_CYCLE_1)
	s_sub_nc_u64 s[20:21], s[20:21], s[22:23]
	s_mov_b32 s23, 0
	s_mov_b32 s22, 0
	s_mov_b32 s28, exec_lo
                                        ; implicit-def: $vgpr8
	v_cmpx_gt_u64_e64 s[20:21], v[0:1]
	s_mov_b32 s67, s4
	s_mov_b32 s4, s7
	;; [unrolled: 1-line block ×3, first 2 shown]
	v_readlane_b32 s3, v56, 12
	s_cbranch_execz .LBB216_233
; %bb.225:                              ;   in Loop: Header=BB216_6 Depth=1
	v_mov_b64_e32 v[6:7], v[0:1]
	v_mov_b32_e32 v8, v38
                                        ; implicit-def: $sgpr51
	s_branch .LBB216_228
.LBB216_226:                            ;   in Loop: Header=BB216_228 Depth=2
	s_or_b32 exec_lo, exec_lo, s52
	s_wait_dscnt 0x0
	s_barrier_signal -1
	s_barrier_wait -1
	ds_load_b32 v9, v3 offset:3072
	s_mov_b32 s52, -1
	s_mov_b32 s53, -1
	s_wait_dscnt 0x0
	s_barrier_signal -1
	s_barrier_wait -1
	v_and_b32_e32 v32, 0x7fff, v9
	s_delay_alu instid0(VALU_DEP_1)
	v_cmp_ne_u32_e32 vcc_lo, 0, v32
	s_cbranch_vccz .LBB216_231
.LBB216_227:                            ;   in Loop: Header=BB216_228 Depth=2
	s_and_b32 s8, exec_lo, s52
	s_delay_alu instid0(SALU_CYCLE_1) | instskip(SKIP_2) | instid1(SALU_CYCLE_1)
	s_or_b32 s22, s8, s22
	s_and_not1_b32 s8, s51, exec_lo
	s_and_b32 s44, s53, exec_lo
	s_or_b32 s51, s8, s44
	s_and_not1_b32 exec_lo, exec_lo, s22
	s_cbranch_execz .LBB216_232
.LBB216_228:                            ;   Parent Loop BB216_6 Depth=1
                                        ; =>  This Inner Loop Header: Depth=2
	s_mov_b32 s52, exec_lo
	s_delay_alu instid0(VALU_DEP_2)
	v_cmpx_gt_u64_e64 s[10:11], v[6:7]
	s_cbranch_execz .LBB216_226
; %bb.229:                              ;   in Loop: Header=BB216_228 Depth=2
	ds_load_u16 v9, v8
	s_wait_dscnt 0x0
	v_cmp_lt_i16_e32 vcc_lo, -1, v9
	v_and_b32_e32 v32, 0xffff, v9
	v_dual_cndmask_b32 v33, 0xffff, v44 :: v_dual_lshlrev_b32 v34, 16, v9
	s_delay_alu instid0(VALU_DEP_1) | instskip(NEXT) | instid1(VALU_DEP_2)
	v_cmp_o_f32_e32 vcc_lo, v34, v34
	v_xor_b32_e32 v32, v33, v32
	s_delay_alu instid0(VALU_DEP_1) | instskip(NEXT) | instid1(VALU_DEP_1)
	v_cndmask_b32_e32 v32, 0xffff, v32, vcc_lo
	v_and_b32_e32 v32, v32, v11
	s_delay_alu instid0(VALU_DEP_1)
	v_cmp_eq_u32_e32 vcc_lo, v32, v10
	s_and_b32 exec_lo, exec_lo, vcc_lo
	s_cbranch_execz .LBB216_226
; %bb.230:                              ;   in Loop: Header=BB216_228 Depth=2
	v_perm_b32 v9, v9, s95, 0x5040100
	ds_store_b32 v3, v9 offset:3072
	s_branch .LBB216_226
.LBB216_231:                            ;   in Loop: Header=BB216_228 Depth=2
	v_add_nc_u64_e32 v[6:7], s[34:35], v[6:7]
	v_add_nc_u32_e32 v8, s93, v8
	s_mov_b32 s53, 0
	s_delay_alu instid0(VALU_DEP_2)
	v_cmp_le_u64_e32 vcc_lo, s[20:21], v[6:7]
	s_or_not1_b32 s52, vcc_lo, exec_lo
	s_branch .LBB216_227
.LBB216_232:                            ;   in Loop: Header=BB216_6 Depth=1
	s_or_b32 exec_lo, exec_lo, s22
	v_lshrrev_b32_e32 v8, 16, v9
	s_and_b32 s22, s51, exec_lo
.LBB216_233:                            ;   in Loop: Header=BB216_6 Depth=1
	s_or_b32 exec_lo, exec_lo, s28
.LBB216_234:                            ;   in Loop: Header=BB216_6 Depth=1
	s_delay_alu instid0(SALU_CYCLE_1)
	s_and_b32 vcc_lo, exec_lo, s23
	s_cbranch_vccz .LBB216_250
; %bb.235:                              ;   in Loop: Header=BB216_6 Depth=1
	s_and_b64 s[10:11], s[56:57], 0xffffffff00000000
	s_delay_alu instid0(SALU_CYCLE_1)
	s_cmp_lg_u64 s[10:11], 0
	s_cbranch_scc0 .LBB216_237
; %bb.236:                              ;   in Loop: Header=BB216_6 Depth=1
	s_cvt_f32_u32 s8, s34
	s_sub_nc_u64 s[20:21], 0, s[34:35]
	s_delay_alu instid0(SALU_CYCLE_2) | instskip(NEXT) | instid1(SALU_CYCLE_3)
	s_fmamk_f32 s8, s94, 0x0, s8
	v_s_rcp_f32 s8, s8
	s_delay_alu instid0(TRANS32_DEP_1) | instskip(NEXT) | instid1(SALU_CYCLE_3)
	s_mul_f32 s8, s8, 0x5f7ffffc
	s_mul_f32 s10, s8, 0x2f800000
	s_delay_alu instid0(SALU_CYCLE_3) | instskip(NEXT) | instid1(SALU_CYCLE_3)
	s_trunc_f32 s10, s10
	s_fmamk_f32 s8, s10, 0xcf800000, s8
	s_cvt_u32_f32 s11, s10
	s_delay_alu instid0(SALU_CYCLE_2) | instskip(NEXT) | instid1(SALU_CYCLE_3)
	s_cvt_u32_f32 s10, s8
	s_mul_u64 s[44:45], s[20:21], s[10:11]
	s_delay_alu instid0(SALU_CYCLE_1)
	s_mul_hi_u32 s51, s10, s45
	s_mul_i32 s50, s10, s45
	s_mul_hi_u32 s28, s10, s44
	s_mul_i32 s23, s11, s44
	s_add_nc_u64 s[50:51], s[28:29], s[50:51]
	s_mul_hi_u32 s8, s11, s44
	s_mul_hi_u32 s52, s11, s45
	s_add_co_u32 s23, s50, s23
	s_add_co_ci_u32 s28, s51, s8
	s_mul_i32 s44, s11, s45
	s_add_co_ci_u32 s45, s52, 0
	s_delay_alu instid0(SALU_CYCLE_1) | instskip(NEXT) | instid1(SALU_CYCLE_1)
	s_add_nc_u64 s[44:45], s[28:29], s[44:45]
	s_add_co_u32 s10, s10, s44
	s_cselect_b32 s8, -1, 0
	s_delay_alu instid0(SALU_CYCLE_1) | instskip(SKIP_1) | instid1(SALU_CYCLE_1)
	s_cmp_lg_u32 s8, 0
	s_add_co_ci_u32 s11, s11, s45
	s_mul_u64 s[20:21], s[20:21], s[10:11]
	s_delay_alu instid0(SALU_CYCLE_1)
	s_mul_hi_u32 s45, s10, s21
	s_mul_i32 s44, s10, s21
	s_mul_hi_u32 s28, s10, s20
	s_mul_i32 s23, s11, s20
	s_add_nc_u64 s[44:45], s[28:29], s[44:45]
	s_mul_hi_u32 s8, s11, s20
	s_mul_hi_u32 s50, s11, s21
	s_mul_i32 s20, s11, s21
	s_add_co_u32 s21, s44, s23
	s_add_co_ci_u32 s28, s45, s8
	s_add_co_ci_u32 s21, s50, 0
	s_delay_alu instid0(SALU_CYCLE_1) | instskip(NEXT) | instid1(SALU_CYCLE_1)
	s_add_nc_u64 s[20:21], s[28:29], s[20:21]
	s_add_co_u32 s8, s10, s20
	s_cselect_b32 s10, -1, 0
	s_mul_hi_u32 s28, s56, s8
	s_cmp_lg_u32 s10, 0
	s_mul_hi_u32 s23, s57, s8
	s_add_co_ci_u32 s20, s11, s21
	s_mul_i32 s8, s57, s8
	s_mul_hi_u32 s11, s56, s20
	s_mul_i32 s10, s56, s20
	s_mul_hi_u32 s21, s57, s20
	s_add_nc_u64 s[10:11], s[28:29], s[10:11]
	s_mul_i32 s20, s57, s20
	s_add_co_u32 s8, s10, s8
	s_add_co_ci_u32 s28, s11, s23
	s_add_co_ci_u32 s21, s21, 0
	s_delay_alu instid0(SALU_CYCLE_1) | instskip(NEXT) | instid1(SALU_CYCLE_1)
	s_add_nc_u64 s[10:11], s[28:29], s[20:21]
	s_and_b64 s[20:21], s[10:11], 0xffffffff00000000
	s_delay_alu instid0(SALU_CYCLE_1) | instskip(NEXT) | instid1(SALU_CYCLE_1)
	s_or_b32 s20, s20, s10
	s_mul_u64 s[10:11], s[34:35], s[20:21]
	s_delay_alu instid0(SALU_CYCLE_1) | instskip(SKIP_1) | instid1(SALU_CYCLE_1)
	s_sub_co_u32 s8, s56, s10
	s_cselect_b32 s10, -1, 0
	s_cmp_lg_u32 s10, 0
	s_sub_co_ci_u32 s10, s57, s11
	s_sub_co_u32 s11, s8, s34
	s_cselect_b32 s20, -1, 0
	s_delay_alu instid0(SALU_CYCLE_1) | instskip(SKIP_3) | instid1(SALU_CYCLE_1)
	s_cmp_lg_u32 s20, 0
	s_sub_co_ci_u32 s20, s10, 0
	s_sub_co_u32 s21, s11, s34
	s_cselect_b32 s23, -1, 0
	s_cmp_lg_u32 s23, 0
	s_sub_co_ci_u32 s23, s20, 0
	s_cmp_ge_u32 s11, s34
	s_cselect_b32 s28, -1, 0
	s_cmp_eq_u32 s20, 0
	s_cselect_b32 s28, s28, -1
	s_delay_alu instid0(SALU_CYCLE_1)
	s_cmp_lg_u32 s28, 0
	s_cselect_b32 s20, s23, s20
	s_cselect_b32 s21, s21, s11
	s_cmp_ge_u32 s8, s34
	s_cselect_b32 s11, -1, 0
	s_cmp_eq_u32 s10, 0
	s_cselect_b32 s11, s11, -1
	s_delay_alu instid0(SALU_CYCLE_1)
	s_cmp_lg_u32 s11, 0
	s_cselect_b32 s11, s20, s10
	s_cselect_b32 s10, s21, s8
	s_mov_b32 s20, 0
	s_branch .LBB216_238
.LBB216_237:                            ;   in Loop: Header=BB216_6 Depth=1
	s_mov_b32 s20, -1
                                        ; implicit-def: $sgpr10_sgpr11
.LBB216_238:                            ;   in Loop: Header=BB216_6 Depth=1
	s_delay_alu instid0(SALU_CYCLE_1)
	s_and_not1_b32 vcc_lo, exec_lo, s20
	s_cbranch_vccnz .LBB216_240
; %bb.239:                              ;   in Loop: Header=BB216_6 Depth=1
	v_cvt_f32_u32_e32 v6, s34
	s_sub_co_i32 s10, 0, s34
	s_delay_alu instid0(VALU_DEP_1) | instskip(SKIP_1) | instid1(TRANS32_DEP_1)
	v_rcp_iflag_f32_e32 v6, v6
	v_nop
	v_mul_f32_e32 v6, 0x4f7ffffe, v6
	s_delay_alu instid0(VALU_DEP_1) | instskip(NEXT) | instid1(VALU_DEP_1)
	v_cvt_u32_f32_e32 v6, v6
	v_readfirstlane_b32 s8, v6
	s_mul_i32 s10, s10, s8
	s_delay_alu instid0(SALU_CYCLE_1) | instskip(NEXT) | instid1(SALU_CYCLE_1)
	s_mul_hi_u32 s10, s8, s10
	s_add_co_i32 s8, s8, s10
	s_delay_alu instid0(SALU_CYCLE_1) | instskip(NEXT) | instid1(SALU_CYCLE_1)
	s_mul_hi_u32 s8, s56, s8
	s_mul_i32 s8, s8, s34
	s_delay_alu instid0(SALU_CYCLE_1) | instskip(NEXT) | instid1(SALU_CYCLE_1)
	s_sub_co_i32 s8, s56, s8
	s_sub_co_i32 s10, s8, s34
	s_cmp_ge_u32 s8, s34
	s_cselect_b32 s8, s10, s8
	s_delay_alu instid0(SALU_CYCLE_1) | instskip(SKIP_2) | instid1(SALU_CYCLE_1)
	s_sub_co_i32 s10, s8, s34
	s_cmp_ge_u32 s8, s34
	s_cselect_b32 s28, s10, s8
	s_mov_b64 s[10:11], s[28:29]
.LBB216_240:                            ;   in Loop: Header=BB216_6 Depth=1
	s_delay_alu instid0(SALU_CYCLE_1)
	s_sub_nc_u64 s[10:11], s[56:57], s[10:11]
	s_mov_b32 s20, exec_lo
                                        ; implicit-def: $vgpr8
	v_cmpx_gt_u64_e64 s[10:11], v[0:1]
	s_cbranch_execz .LBB216_249
; %bb.241:                              ;   in Loop: Header=BB216_6 Depth=1
	v_mov_b64_e32 v[6:7], v[14:15]
	v_mov_b64_e32 v[8:9], v[0:1]
	s_mov_b32 s21, 0
                                        ; implicit-def: $sgpr23
	s_branch .LBB216_244
.LBB216_242:                            ;   in Loop: Header=BB216_244 Depth=2
	s_or_b32 exec_lo, exec_lo, s28
	s_wait_dscnt 0x0
	s_barrier_signal -1
	s_barrier_wait -1
	ds_load_b32 v32, v3 offset:3072
	s_mov_b32 s28, -1
	s_mov_b32 s50, -1
	s_wait_dscnt 0x0
	s_barrier_signal -1
	s_barrier_wait -1
	v_and_b32_e32 v33, 0x7fff, v32
	s_delay_alu instid0(VALU_DEP_1)
	v_cmp_eq_u32_e32 vcc_lo, 0, v33
	s_cbranch_vccnz .LBB216_247
.LBB216_243:                            ;   in Loop: Header=BB216_244 Depth=2
	s_and_b32 s8, exec_lo, s28
	s_delay_alu instid0(SALU_CYCLE_1) | instskip(SKIP_2) | instid1(SALU_CYCLE_1)
	s_or_b32 s21, s8, s21
	s_and_not1_b32 s8, s23, exec_lo
	s_and_b32 s23, s50, exec_lo
	s_or_b32 s23, s8, s23
	s_and_not1_b32 exec_lo, exec_lo, s21
	s_cbranch_execz .LBB216_248
.LBB216_244:                            ;   Parent Loop BB216_6 Depth=1
                                        ; =>  This Inner Loop Header: Depth=2
	s_mov_b32 s28, exec_lo
	s_delay_alu instid0(VALU_DEP_1)
	v_cmpx_gt_u64_e64 s[36:37], v[8:9]
	s_cbranch_execz .LBB216_242
; %bb.245:                              ;   in Loop: Header=BB216_244 Depth=2
	global_load_u16 v32, v[6:7], off
	s_wait_loadcnt 0x0
	v_cmp_lt_i16_e32 vcc_lo, -1, v32
	v_and_b32_e32 v33, 0xffff, v32
	v_cndmask_b32_e32 v34, 0xffff, v44, vcc_lo
	s_delay_alu instid0(VALU_DEP_1) | instskip(NEXT) | instid1(VALU_DEP_1)
	v_dual_lshlrev_b32 v35, 16, v32 :: v_dual_bitop2_b32 v33, v34, v33 bitop3:0x14
	v_cmp_o_f32_e32 vcc_lo, v35, v35
	s_delay_alu instid0(VALU_DEP_2) | instskip(NEXT) | instid1(VALU_DEP_1)
	v_cndmask_b32_e32 v33, 0xffff, v33, vcc_lo
	v_and_b32_e32 v33, v33, v11
	s_delay_alu instid0(VALU_DEP_1)
	v_cmp_eq_u32_e32 vcc_lo, v33, v10
	s_and_b32 exec_lo, exec_lo, vcc_lo
	s_cbranch_execz .LBB216_242
; %bb.246:                              ;   in Loop: Header=BB216_244 Depth=2
	v_perm_b32 v32, v32, s95, 0x5040100
	ds_store_b32 v3, v32 offset:3072
	s_branch .LBB216_242
.LBB216_247:                            ;   in Loop: Header=BB216_244 Depth=2
	v_add_nc_u64_e32 v[8:9], s[34:35], v[8:9]
	v_add_nc_u64_e32 v[6:7], s[40:41], v[6:7]
	s_mov_b32 s50, 0
	s_delay_alu instid0(VALU_DEP_2)
	v_cmp_le_u64_e32 vcc_lo, s[10:11], v[8:9]
	s_or_not1_b32 s28, vcc_lo, exec_lo
	s_branch .LBB216_243
.LBB216_248:                            ;   in Loop: Header=BB216_6 Depth=1
	s_or_b32 exec_lo, exec_lo, s21
	v_lshrrev_b32_e32 v8, 16, v32
	s_and_not1_b32 s8, s22, exec_lo
	s_and_b32 s10, s23, exec_lo
	s_delay_alu instid0(SALU_CYCLE_1)
	s_or_b32 s22, s8, s10
.LBB216_249:                            ;   in Loop: Header=BB216_6 Depth=1
	s_or_b32 exec_lo, exec_lo, s20
	s_mov_b32 s85, 0
	s_mov_b32 s50, -1
.LBB216_250:                            ;   in Loop: Header=BB216_6 Depth=1
	s_or_not1_b32 s11, s22, exec_lo
.LBB216_251:                            ;   in Loop: Header=BB216_6 Depth=1
	s_or_b32 exec_lo, exec_lo, s84
	s_mov_b32 s20, 0
	s_and_saveexec_b32 s10, s11
	s_cbranch_execz .LBB216_262
; %bb.252:                              ;   in Loop: Header=BB216_6 Depth=1
	v_mov_b64_e32 v[6:7], 1
	v_mov_b32_e32 v2, 1
	s_xor_b32 s8, s83, -1
	s_delay_alu instid0(SALU_CYCLE_1)
	s_and_saveexec_b32 s11, s8
	s_cbranch_execz .LBB216_261
; %bb.253:                              ;   in Loop: Header=BB216_6 Depth=1
	s_mov_b32 s8, exec_lo
	v_cmpx_ge_u64_e64 s[18:19], v[4:5]
	s_xor_b32 s20, exec_lo, s8
	s_cbranch_execz .LBB216_258
; %bb.254:                              ;   in Loop: Header=BB216_6 Depth=1
	ds_load_b64 v[6:7], v3 offset:5120
	v_or_b32_e32 v10, s24, v10
	v_or_b32_e32 v11, s24, v11
	s_wait_dscnt 0x0
	v_cmp_ne_u64_e32 vcc_lo, 0, v[6:7]
	s_cbranch_vccnz .LBB216_258
; %bb.255:                              ;   in Loop: Header=BB216_6 Depth=1
	s_and_saveexec_b32 s21, s5
; %bb.256:                              ;   in Loop: Header=BB216_6 Depth=1
	v_mov_b64_e32 v[6:7], s[18:19]
	ds_store_b64 v3, v[6:7] offset:5128
; %bb.257:                              ;   in Loop: Header=BB216_6 Depth=1
	s_or_b32 exec_lo, exec_lo, s21
	s_wait_dscnt 0x0
	s_barrier_signal -1
	s_barrier_wait -1
.LBB216_258:                            ;   in Loop: Header=BB216_6 Depth=1
	s_and_not1_saveexec_b32 s20, s20
; %bb.259:                              ;   in Loop: Header=BB216_6 Depth=1
	v_sub_nc_u64_e64 v[4:5], v[4:5], s[18:19]
; %bb.260:                              ;   in Loop: Header=BB216_6 Depth=1
	s_or_b32 exec_lo, exec_lo, s20
	s_delay_alu instid0(VALU_DEP_1)
	v_mov_b64_e32 v[6:7], v[4:5]
	v_mov_b32_e32 v2, 8
.LBB216_261:                            ;   in Loop: Header=BB216_6 Depth=1
	s_or_b32 exec_lo, exec_lo, s11
	s_delay_alu instid0(VALU_DEP_2)
	v_mov_b64_e32 v[4:5], v[6:7]
	s_mov_b32 s20, exec_lo
.LBB216_262:                            ;   in Loop: Header=BB216_6 Depth=1
	s_or_b32 exec_lo, exec_lo, s10
	s_delay_alu instid0(SALU_CYCLE_1)
	s_or_not1_b32 s10, s20, exec_lo
.LBB216_263:                            ;   in Loop: Header=BB216_6 Depth=1
	s_or_b32 exec_lo, exec_lo, s82
	s_delay_alu instid0(VALU_DEP_1)
	v_mov_b64_e32 v[6:7], v[4:5]
	s_and_not1_b32 s11, s80, exec_lo
	s_and_b32 s20, s50, exec_lo
	s_and_not1_b32 s21, s79, exec_lo
	s_and_b32 s22, s85, exec_lo
	s_or_b32 s80, s11, s20
	s_or_b32 s79, s21, s22
	s_and_b32 s11, s10, exec_lo
.LBB216_264:                            ;   in Loop: Header=BB216_6 Depth=1
	s_or_b32 exec_lo, exec_lo, s81
	s_delay_alu instid0(SALU_CYCLE_1)
	s_or_not1_b32 s10, s11, exec_lo
.LBB216_265:                            ;   in Loop: Header=BB216_6 Depth=1
	s_or_b32 exec_lo, exec_lo, s78
	v_mov_b64_e32 v[4:5], v[6:7]
	s_and_not1_b32 s11, s76, exec_lo
	s_and_b32 s20, s80, exec_lo
	s_and_not1_b32 s21, s49, exec_lo
	s_and_b32 s22, s79, exec_lo
	s_or_b32 s76, s11, s20
	s_or_b32 s49, s21, s22
	s_and_b32 s11, s10, exec_lo
.LBB216_266:                            ;   in Loop: Header=BB216_6 Depth=1
	s_or_b32 exec_lo, exec_lo, s77
	s_delay_alu instid0(SALU_CYCLE_1)
	s_or_not1_b32 s10, s11, exec_lo
.LBB216_267:                            ;   in Loop: Header=BB216_6 Depth=1
	s_or_b32 exec_lo, exec_lo, s27
	s_mov_b32 s11, 0
	s_mov_b32 s20, 0
	s_and_saveexec_b32 s21, s10
	s_delay_alu instid0(SALU_CYCLE_1)
	s_xor_b32 s21, exec_lo, s21
; %bb.268:                              ;   in Loop: Header=BB216_6 Depth=1
	v_cmp_ne_u32_e32 vcc_lo, 8, v2
	v_cmp_eq_u32_e64 s10, 8, v2
	s_and_b32 s20, vcc_lo, exec_lo
	s_and_b32 s11, s10, exec_lo
; %bb.269:                              ;   in Loop: Header=BB216_6 Depth=1
	s_or_b32 exec_lo, exec_lo, s21
	s_delay_alu instid0(SALU_CYCLE_1)
	s_and_not1_b32 s10, s73, exec_lo
	s_and_b32 s21, s76, exec_lo
	s_and_not1_b32 s22, s72, exec_lo
	s_and_b32 s23, s49, exec_lo
	s_or_b32 s73, s10, s21
	s_or_b32 s72, s22, s23
	s_and_b32 s27, s20, exec_lo
	s_and_b32 s49, s11, exec_lo
.LBB216_270:                            ;   in Loop: Header=BB216_6 Depth=1
	s_or_b32 exec_lo, exec_lo, s75
.LBB216_271:                            ;   in Loop: Header=BB216_6 Depth=1
	s_delay_alu instid0(SALU_CYCLE_1)
	s_and_b32 vcc_lo, exec_lo, s74
	s_cbranch_vccz .LBB216_287
; %bb.272:                              ;   in Loop: Header=BB216_6 Depth=1
	s_cmp_eq_u64 s[18:19], 1
                                        ; implicit-def: $sgpr74
                                        ; implicit-def: $sgpr26
	s_cselect_b32 s10, -1, 0
	s_delay_alu instid0(SALU_CYCLE_1)
	s_and_b32 s9, s10, s9
	s_mov_b32 s10, -1
	s_and_saveexec_b32 s72, s9
	s_cbranch_execz .LBB216_305
; %bb.273:                              ;   in Loop: Header=BB216_6 Depth=1
	ds_load_b64 v[4:5], v3 offset:5120
	s_wait_dscnt 0x0
	s_barrier_signal -1
	s_barrier_wait -1
	v_readfirstlane_b32 s10, v4
	v_readfirstlane_b32 s11, v5
	s_and_saveexec_b32 s20, s6
; %bb.274:                              ;   in Loop: Header=BB216_6 Depth=1
	ds_store_b16 v39, v3
; %bb.275:                              ;   in Loop: Header=BB216_6 Depth=1
	s_or_b32 exec_lo, exec_lo, s20
	v_or_b32_e32 v42, s24, v42
	v_or_b32_e32 v45, s24, v45
	s_mov_b32 s26, -1
	s_mov_b32 s74, 0
	s_cmp_eq_u64 s[10:11], 0
	s_mov_b32 s22, 0
	s_mov_b32 s23, -1
	s_wait_dscnt 0x0
	s_barrier_signal -1
	s_barrier_wait -1
                                        ; implicit-def: $vgpr46
	s_cbranch_scc1 .LBB216_290
; %bb.276:                              ;   in Loop: Header=BB216_6 Depth=1
	s_add_nc_u64 s[20:21], s[10:11], s[54:55]
	s_delay_alu instid0(SALU_CYCLE_1) | instskip(NEXT) | instid1(SALU_CYCLE_1)
	s_and_b64 s[22:23], s[20:21], 0xffffffff00000000
	s_cmp_lg_u64 s[22:23], 0
	s_cbranch_scc0 .LBB216_331
; %bb.277:                              ;   in Loop: Header=BB216_6 Depth=1
	s_cvt_f32_u32 s22, s34
	s_sub_nc_u64 s[50:51], 0, s[34:35]
	s_delay_alu instid0(SALU_CYCLE_2) | instskip(NEXT) | instid1(SALU_CYCLE_3)
	s_fmamk_f32 s22, s94, 0x0, s22
	v_s_rcp_f32 s22, s22
	s_delay_alu instid0(TRANS32_DEP_1) | instskip(NEXT) | instid1(SALU_CYCLE_3)
	s_mul_f32 s22, s22, 0x5f7ffffc
	s_mul_f32 s23, s22, 0x2f800000
	s_delay_alu instid0(SALU_CYCLE_3) | instskip(NEXT) | instid1(SALU_CYCLE_3)
	s_trunc_f32 s23, s23
	s_fmamk_f32 s22, s23, 0xcf800000, s22
	s_cvt_u32_f32 s23, s23
	s_delay_alu instid0(SALU_CYCLE_2) | instskip(NEXT) | instid1(SALU_CYCLE_3)
	s_cvt_u32_f32 s22, s22
	s_mul_u64 s[52:53], s[50:51], s[22:23]
	s_delay_alu instid0(SALU_CYCLE_1)
	s_mul_hi_u32 s77, s22, s53
	s_mul_i32 s76, s22, s53
	s_mul_hi_u32 s28, s22, s52
	s_mul_i32 s45, s23, s52
	s_add_nc_u64 s[76:77], s[28:29], s[76:77]
	s_mul_hi_u32 s44, s23, s52
	s_mul_hi_u32 s66, s23, s53
	s_add_co_u32 s28, s76, s45
	s_add_co_ci_u32 s28, s77, s44
	s_mul_i32 s52, s23, s53
	s_add_co_ci_u32 s53, s66, 0
	s_delay_alu instid0(SALU_CYCLE_1) | instskip(NEXT) | instid1(SALU_CYCLE_1)
	s_add_nc_u64 s[52:53], s[28:29], s[52:53]
	s_add_co_u32 s22, s22, s52
	s_cselect_b32 s28, -1, 0
	s_delay_alu instid0(SALU_CYCLE_1) | instskip(SKIP_1) | instid1(SALU_CYCLE_1)
	s_cmp_lg_u32 s28, 0
	s_add_co_ci_u32 s23, s23, s53
	s_mul_u64 s[50:51], s[50:51], s[22:23]
	s_delay_alu instid0(SALU_CYCLE_1)
	s_mul_hi_u32 s53, s22, s51
	s_mul_i32 s52, s22, s51
	s_mul_hi_u32 s28, s22, s50
	s_mul_i32 s45, s23, s50
	s_add_nc_u64 s[52:53], s[28:29], s[52:53]
	s_mul_hi_u32 s44, s23, s50
	s_mul_hi_u32 s66, s23, s51
	s_add_co_u32 s28, s52, s45
	s_add_co_ci_u32 s28, s53, s44
	s_mul_i32 s50, s23, s51
	s_add_co_ci_u32 s51, s66, 0
	s_delay_alu instid0(SALU_CYCLE_1) | instskip(NEXT) | instid1(SALU_CYCLE_1)
	s_add_nc_u64 s[50:51], s[28:29], s[50:51]
	s_add_co_u32 s22, s22, s50
	s_cselect_b32 s44, -1, 0
	s_mul_hi_u32 s28, s20, s22
	s_cmp_lg_u32 s44, 0
	s_mul_hi_u32 s44, s21, s22
	s_add_co_ci_u32 s45, s23, s51
	s_mul_i32 s51, s21, s22
	s_mul_hi_u32 s23, s20, s45
	s_mul_i32 s22, s20, s45
	s_mul_hi_u32 s52, s21, s45
	s_add_nc_u64 s[22:23], s[28:29], s[22:23]
	s_mul_i32 s50, s21, s45
	s_add_co_u32 s22, s22, s51
	s_add_co_ci_u32 s28, s23, s44
	s_add_co_ci_u32 s51, s52, 0
	s_delay_alu instid0(SALU_CYCLE_1) | instskip(NEXT) | instid1(SALU_CYCLE_1)
	s_add_nc_u64 s[22:23], s[28:29], s[50:51]
	s_and_b64 s[50:51], s[22:23], 0xffffffff00000000
	s_delay_alu instid0(SALU_CYCLE_1) | instskip(NEXT) | instid1(SALU_CYCLE_1)
	s_or_b32 s50, s50, s22
	s_mul_u64 s[22:23], s[34:35], s[50:51]
	s_delay_alu instid0(SALU_CYCLE_1) | instskip(SKIP_1) | instid1(SALU_CYCLE_1)
	s_sub_co_u32 s22, s20, s22
	s_cselect_b32 s28, -1, 0
	s_cmp_lg_u32 s28, 0
	s_sub_co_ci_u32 s23, s21, s23
	s_sub_co_u32 s28, s22, s34
	s_cselect_b32 s44, -1, 0
	s_delay_alu instid0(SALU_CYCLE_1) | instskip(SKIP_3) | instid1(SALU_CYCLE_1)
	s_cmp_lg_u32 s44, 0
	s_sub_co_ci_u32 s44, s23, 0
	s_sub_co_u32 s45, s28, s34
	s_cselect_b32 s50, -1, 0
	s_cmp_lg_u32 s50, 0
	s_sub_co_ci_u32 s50, s44, 0
	s_cmp_ge_u32 s28, s34
	s_cselect_b32 s51, -1, 0
	s_cmp_eq_u32 s44, 0
	s_cselect_b32 s51, s51, -1
	s_delay_alu instid0(SALU_CYCLE_1)
	s_cmp_lg_u32 s51, 0
	s_cselect_b32 s44, s50, s44
	s_cselect_b32 s28, s45, s28
	s_cmp_ge_u32 s22, s34
	s_cselect_b32 s45, -1, 0
	s_cmp_eq_u32 s23, 0
	s_cselect_b32 s45, s45, -1
	s_delay_alu instid0(SALU_CYCLE_1)
	s_cmp_lg_u32 s45, 0
	s_cselect_b32 s23, s44, s23
	s_cselect_b32 s22, s28, s22
	s_cbranch_execnz .LBB216_279
.LBB216_278:                            ;   in Loop: Header=BB216_6 Depth=1
	v_cvt_f32_u32_e32 v2, s34
	s_sub_co_i32 s23, 0, s34
	s_delay_alu instid0(VALU_DEP_1) | instskip(SKIP_1) | instid1(TRANS32_DEP_1)
	v_rcp_iflag_f32_e32 v2, v2
	v_nop
	v_mul_f32_e32 v2, 0x4f7ffffe, v2
	s_delay_alu instid0(VALU_DEP_1) | instskip(NEXT) | instid1(VALU_DEP_1)
	v_cvt_u32_f32_e32 v2, v2
	v_readfirstlane_b32 s22, v2
	s_mul_i32 s23, s23, s22
	s_delay_alu instid0(SALU_CYCLE_1) | instskip(NEXT) | instid1(SALU_CYCLE_1)
	s_mul_hi_u32 s23, s22, s23
	s_add_co_i32 s22, s22, s23
	s_delay_alu instid0(SALU_CYCLE_1) | instskip(NEXT) | instid1(SALU_CYCLE_1)
	s_mul_hi_u32 s22, s20, s22
	s_mul_i32 s22, s22, s34
	s_delay_alu instid0(SALU_CYCLE_1) | instskip(NEXT) | instid1(SALU_CYCLE_1)
	s_sub_co_i32 s22, s20, s22
	s_sub_co_i32 s23, s22, s34
	s_cmp_ge_u32 s22, s34
	s_cselect_b32 s22, s23, s22
	s_delay_alu instid0(SALU_CYCLE_1) | instskip(SKIP_2) | instid1(SALU_CYCLE_1)
	s_sub_co_i32 s23, s22, s34
	s_cmp_ge_u32 s22, s34
	s_cselect_b32 s28, s23, s22
	s_mov_b64 s[22:23], s[28:29]
.LBB216_279:                            ;   in Loop: Header=BB216_6 Depth=1
	s_delay_alu instid0(SALU_CYCLE_1)
	s_sub_nc_u64 s[20:21], s[20:21], s[22:23]
	s_mov_b32 s23, 0
	s_mov_b32 s22, 0
	s_mov_b32 s28, exec_lo
                                        ; implicit-def: $vgpr46
	v_cmpx_gt_u64_e64 s[20:21], v[0:1]
	s_cbranch_execz .LBB216_289
; %bb.280:                              ;   in Loop: Header=BB216_6 Depth=1
	v_mov_b64_e32 v[4:5], v[0:1]
	v_mov_b32_e32 v2, v38
                                        ; implicit-def: $sgpr50
	s_branch .LBB216_283
.LBB216_281:                            ;   in Loop: Header=BB216_283 Depth=2
	s_or_b32 exec_lo, exec_lo, s51
	s_wait_dscnt 0x0
	s_barrier_signal -1
	s_barrier_wait -1
	ds_load_b32 v6, v3 offset:3072
	s_mov_b32 s51, -1
	s_mov_b32 s52, -1
	s_wait_dscnt 0x0
	s_barrier_signal -1
	s_barrier_wait -1
	v_and_b32_e32 v7, 0x7fff, v6
	s_delay_alu instid0(VALU_DEP_1)
	v_cmp_ne_u32_e32 vcc_lo, 0, v7
	s_cbranch_vccz .LBB216_286
.LBB216_282:                            ;   in Loop: Header=BB216_283 Depth=2
	s_and_b32 s8, exec_lo, s51
	s_delay_alu instid0(SALU_CYCLE_1) | instskip(SKIP_2) | instid1(SALU_CYCLE_1)
	s_or_b32 s22, s8, s22
	s_and_not1_b32 s8, s50, exec_lo
	s_and_b32 s44, s52, exec_lo
	s_or_b32 s50, s8, s44
	s_and_not1_b32 exec_lo, exec_lo, s22
	s_cbranch_execz .LBB216_288
.LBB216_283:                            ;   Parent Loop BB216_6 Depth=1
                                        ; =>  This Inner Loop Header: Depth=2
	s_mov_b32 s51, exec_lo
	s_delay_alu instid0(VALU_DEP_2)
	v_cmpx_gt_u64_e64 s[10:11], v[4:5]
	s_cbranch_execz .LBB216_281
; %bb.284:                              ;   in Loop: Header=BB216_283 Depth=2
	ds_load_u16 v6, v2
	s_wait_dscnt 0x0
	v_cmp_lt_i16_e32 vcc_lo, -1, v6
	v_and_b32_e32 v7, 0xffff, v6
	v_dual_cndmask_b32 v8, 0xffff, v44 :: v_dual_lshlrev_b32 v9, 16, v6
	s_delay_alu instid0(VALU_DEP_1) | instskip(NEXT) | instid1(VALU_DEP_2)
	v_cmp_o_f32_e32 vcc_lo, v9, v9
	v_xor_b32_e32 v7, v8, v7
	s_delay_alu instid0(VALU_DEP_1) | instskip(NEXT) | instid1(VALU_DEP_1)
	v_cndmask_b32_e32 v7, 0xffff, v7, vcc_lo
	v_and_b32_e32 v7, v7, v45
	s_delay_alu instid0(VALU_DEP_1)
	v_cmp_eq_u32_e32 vcc_lo, v7, v42
	s_and_b32 exec_lo, exec_lo, vcc_lo
	s_cbranch_execz .LBB216_281
; %bb.285:                              ;   in Loop: Header=BB216_283 Depth=2
	v_perm_b32 v6, v6, s95, 0x5040100
	ds_store_b32 v3, v6 offset:3072
	s_branch .LBB216_281
.LBB216_286:                            ;   in Loop: Header=BB216_283 Depth=2
	v_add_nc_u64_e32 v[4:5], s[34:35], v[4:5]
	v_add_nc_u32_e32 v2, s93, v2
	s_mov_b32 s52, 0
	s_delay_alu instid0(VALU_DEP_2)
	v_cmp_le_u64_e32 vcc_lo, s[20:21], v[4:5]
	s_or_not1_b32 s51, vcc_lo, exec_lo
	s_branch .LBB216_282
.LBB216_287:                            ;   in Loop: Header=BB216_6 Depth=1
	v_dual_mov_b32 v42, v10 :: v_dual_mov_b32 v45, v11
	v_mov_b32_e32 v46, v8
	s_mov_b32 s74, 0
	s_and_saveexec_b32 s9, s49
	s_cbranch_execnz .LBB216_464
	s_branch .LBB216_465
.LBB216_288:                            ;   in Loop: Header=BB216_6 Depth=1
	s_or_b32 exec_lo, exec_lo, s22
	v_lshrrev_b32_e32 v46, 16, v6
	s_and_b32 s22, s50, exec_lo
.LBB216_289:                            ;   in Loop: Header=BB216_6 Depth=1
	s_or_b32 exec_lo, exec_lo, s28
.LBB216_290:                            ;   in Loop: Header=BB216_6 Depth=1
	s_delay_alu instid0(SALU_CYCLE_1)
	s_and_b32 vcc_lo, exec_lo, s23
	s_cbranch_vccz .LBB216_304
; %bb.291:                              ;   in Loop: Header=BB216_6 Depth=1
	s_and_b64 s[10:11], s[56:57], 0xffffffff00000000
	s_delay_alu instid0(SALU_CYCLE_1)
	s_cmp_lg_u64 s[10:11], 0
	s_cbranch_scc0 .LBB216_332
; %bb.292:                              ;   in Loop: Header=BB216_6 Depth=1
	s_cvt_f32_u32 s10, s34
	s_sub_nc_u64 s[20:21], 0, s[34:35]
	s_delay_alu instid0(SALU_CYCLE_2) | instskip(NEXT) | instid1(SALU_CYCLE_3)
	s_fmamk_f32 s10, s94, 0x0, s10
	v_s_rcp_f32 s10, s10
	s_delay_alu instid0(TRANS32_DEP_1) | instskip(NEXT) | instid1(SALU_CYCLE_3)
	s_mul_f32 s10, s10, 0x5f7ffffc
	s_mul_f32 s11, s10, 0x2f800000
	s_delay_alu instid0(SALU_CYCLE_3) | instskip(NEXT) | instid1(SALU_CYCLE_3)
	s_trunc_f32 s11, s11
	s_fmamk_f32 s10, s11, 0xcf800000, s10
	s_cvt_u32_f32 s11, s11
	s_delay_alu instid0(SALU_CYCLE_2) | instskip(NEXT) | instid1(SALU_CYCLE_3)
	s_cvt_u32_f32 s10, s10
	s_mul_u64 s[50:51], s[20:21], s[10:11]
	s_delay_alu instid0(SALU_CYCLE_1)
	s_mul_hi_u32 s53, s10, s51
	s_mul_i32 s52, s10, s51
	s_mul_hi_u32 s28, s10, s50
	s_mul_i32 s26, s11, s50
	s_add_nc_u64 s[52:53], s[28:29], s[52:53]
	s_mul_hi_u32 s23, s11, s50
	s_mul_hi_u32 s44, s11, s51
	s_add_co_u32 s26, s52, s26
	s_add_co_ci_u32 s28, s53, s23
	s_mul_i32 s50, s11, s51
	s_add_co_ci_u32 s51, s44, 0
	s_delay_alu instid0(SALU_CYCLE_1) | instskip(NEXT) | instid1(SALU_CYCLE_1)
	s_add_nc_u64 s[50:51], s[28:29], s[50:51]
	s_add_co_u32 s10, s10, s50
	s_cselect_b32 s23, -1, 0
	s_delay_alu instid0(SALU_CYCLE_1) | instskip(SKIP_1) | instid1(SALU_CYCLE_1)
	s_cmp_lg_u32 s23, 0
	s_add_co_ci_u32 s11, s11, s51
	s_mul_u64 s[20:21], s[20:21], s[10:11]
	s_delay_alu instid0(SALU_CYCLE_1)
	s_mul_hi_u32 s51, s10, s21
	s_mul_i32 s50, s10, s21
	s_mul_hi_u32 s28, s10, s20
	s_mul_i32 s26, s11, s20
	s_add_nc_u64 s[50:51], s[28:29], s[50:51]
	s_mul_hi_u32 s23, s11, s20
	s_mul_hi_u32 s44, s11, s21
	s_mul_i32 s20, s11, s21
	s_add_co_u32 s21, s50, s26
	s_add_co_ci_u32 s28, s51, s23
	s_add_co_ci_u32 s21, s44, 0
	s_delay_alu instid0(SALU_CYCLE_1) | instskip(NEXT) | instid1(SALU_CYCLE_1)
	s_add_nc_u64 s[20:21], s[28:29], s[20:21]
	s_add_co_u32 s10, s10, s20
	s_cselect_b32 s20, -1, 0
	s_mul_hi_u32 s28, s56, s10
	s_cmp_lg_u32 s20, 0
	s_mul_hi_u32 s23, s57, s10
	s_add_co_ci_u32 s20, s11, s21
	s_mul_i32 s21, s57, s10
	s_mul_hi_u32 s11, s56, s20
	s_mul_i32 s10, s56, s20
	s_mul_hi_u32 s26, s57, s20
	s_add_nc_u64 s[10:11], s[28:29], s[10:11]
	s_mul_i32 s20, s57, s20
	s_add_co_u32 s10, s10, s21
	s_add_co_ci_u32 s28, s11, s23
	s_add_co_ci_u32 s21, s26, 0
	s_delay_alu instid0(SALU_CYCLE_1) | instskip(NEXT) | instid1(SALU_CYCLE_1)
	s_add_nc_u64 s[10:11], s[28:29], s[20:21]
	s_and_b64 s[20:21], s[10:11], 0xffffffff00000000
	s_delay_alu instid0(SALU_CYCLE_1) | instskip(NEXT) | instid1(SALU_CYCLE_1)
	s_or_b32 s20, s20, s10
	s_mul_u64 s[10:11], s[34:35], s[20:21]
	s_delay_alu instid0(SALU_CYCLE_1) | instskip(SKIP_1) | instid1(SALU_CYCLE_1)
	s_sub_co_u32 s10, s56, s10
	s_cselect_b32 s20, -1, 0
	s_cmp_lg_u32 s20, 0
	s_sub_co_ci_u32 s11, s57, s11
	s_sub_co_u32 s20, s10, s34
	s_cselect_b32 s21, -1, 0
	s_delay_alu instid0(SALU_CYCLE_1) | instskip(SKIP_3) | instid1(SALU_CYCLE_1)
	s_cmp_lg_u32 s21, 0
	s_sub_co_ci_u32 s21, s11, 0
	s_sub_co_u32 s23, s20, s34
	s_cselect_b32 s26, -1, 0
	s_cmp_lg_u32 s26, 0
	s_sub_co_ci_u32 s26, s21, 0
	s_cmp_ge_u32 s20, s34
	s_cselect_b32 s28, -1, 0
	s_cmp_eq_u32 s21, 0
	s_cselect_b32 s28, s28, -1
	s_delay_alu instid0(SALU_CYCLE_1)
	s_cmp_lg_u32 s28, 0
	s_cselect_b32 s21, s26, s21
	s_cselect_b32 s20, s23, s20
	s_cmp_ge_u32 s10, s34
	s_cselect_b32 s23, -1, 0
	s_cmp_eq_u32 s11, 0
	s_cselect_b32 s23, s23, -1
	s_delay_alu instid0(SALU_CYCLE_1)
	s_cmp_lg_u32 s23, 0
	s_cselect_b32 s11, s21, s11
	s_cselect_b32 s10, s20, s10
	s_cbranch_execnz .LBB216_294
.LBB216_293:                            ;   in Loop: Header=BB216_6 Depth=1
	v_cvt_f32_u32_e32 v2, s34
	s_sub_co_i32 s11, 0, s34
	s_delay_alu instid0(VALU_DEP_1) | instskip(SKIP_1) | instid1(TRANS32_DEP_1)
	v_rcp_iflag_f32_e32 v2, v2
	v_nop
	v_mul_f32_e32 v2, 0x4f7ffffe, v2
	s_delay_alu instid0(VALU_DEP_1) | instskip(NEXT) | instid1(VALU_DEP_1)
	v_cvt_u32_f32_e32 v2, v2
	v_readfirstlane_b32 s10, v2
	s_mul_i32 s11, s11, s10
	s_delay_alu instid0(SALU_CYCLE_1) | instskip(NEXT) | instid1(SALU_CYCLE_1)
	s_mul_hi_u32 s11, s10, s11
	s_add_co_i32 s10, s10, s11
	s_delay_alu instid0(SALU_CYCLE_1) | instskip(NEXT) | instid1(SALU_CYCLE_1)
	s_mul_hi_u32 s10, s56, s10
	s_mul_i32 s10, s10, s34
	s_delay_alu instid0(SALU_CYCLE_1) | instskip(NEXT) | instid1(SALU_CYCLE_1)
	s_sub_co_i32 s10, s56, s10
	s_sub_co_i32 s11, s10, s34
	s_cmp_ge_u32 s10, s34
	s_cselect_b32 s10, s11, s10
	s_delay_alu instid0(SALU_CYCLE_1) | instskip(SKIP_2) | instid1(SALU_CYCLE_1)
	s_sub_co_i32 s11, s10, s34
	s_cmp_ge_u32 s10, s34
	s_cselect_b32 s28, s11, s10
	s_mov_b64 s[10:11], s[28:29]
.LBB216_294:                            ;   in Loop: Header=BB216_6 Depth=1
	s_delay_alu instid0(SALU_CYCLE_1)
	s_sub_nc_u64 s[10:11], s[56:57], s[10:11]
	s_mov_b32 s20, exec_lo
                                        ; implicit-def: $vgpr46
	v_nop
	v_cmpx_gt_u64_e64 s[10:11], v[0:1]
	s_cbranch_execz .LBB216_303
; %bb.295:                              ;   in Loop: Header=BB216_6 Depth=1
	v_mov_b64_e32 v[4:5], v[14:15]
	v_mov_b64_e32 v[6:7], v[0:1]
	s_mov_b32 s21, 0
                                        ; implicit-def: $sgpr23
	s_branch .LBB216_298
.LBB216_296:                            ;   in Loop: Header=BB216_298 Depth=2
	s_or_b32 exec_lo, exec_lo, s26
	s_wait_dscnt 0x0
	s_barrier_signal -1
	s_barrier_wait -1
	ds_load_b32 v2, v3 offset:3072
	s_mov_b32 s26, -1
	s_mov_b32 s28, -1
	s_wait_dscnt 0x0
	s_barrier_signal -1
	s_barrier_wait -1
	v_and_b32_e32 v8, 0x7fff, v2
	s_delay_alu instid0(VALU_DEP_1)
	v_cmp_ne_u32_e32 vcc_lo, 0, v8
	s_cbranch_vccz .LBB216_301
.LBB216_297:                            ;   in Loop: Header=BB216_298 Depth=2
	s_and_b32 s8, exec_lo, s26
	s_delay_alu instid0(SALU_CYCLE_1) | instskip(SKIP_2) | instid1(SALU_CYCLE_1)
	s_or_b32 s21, s8, s21
	s_and_not1_b32 s8, s23, exec_lo
	s_and_b32 s23, s28, exec_lo
	s_or_b32 s23, s8, s23
	s_and_not1_b32 exec_lo, exec_lo, s21
	s_cbranch_execz .LBB216_302
.LBB216_298:                            ;   Parent Loop BB216_6 Depth=1
                                        ; =>  This Inner Loop Header: Depth=2
	s_mov_b32 s26, exec_lo
	s_delay_alu instid0(VALU_DEP_1)
	v_cmpx_gt_u64_e64 s[36:37], v[6:7]
	s_cbranch_execz .LBB216_296
; %bb.299:                              ;   in Loop: Header=BB216_298 Depth=2
	global_load_u16 v2, v[4:5], off
	s_wait_loadcnt 0x0
	v_cmp_lt_i16_e32 vcc_lo, -1, v2
	v_and_b32_e32 v8, 0xffff, v2
	v_dual_cndmask_b32 v9, 0xffff, v44 :: v_dual_lshlrev_b32 v10, 16, v2
	s_delay_alu instid0(VALU_DEP_1) | instskip(NEXT) | instid1(VALU_DEP_2)
	v_cmp_o_f32_e32 vcc_lo, v10, v10
	v_xor_b32_e32 v8, v9, v8
	s_delay_alu instid0(VALU_DEP_1) | instskip(NEXT) | instid1(VALU_DEP_1)
	v_cndmask_b32_e32 v8, 0xffff, v8, vcc_lo
	v_and_b32_e32 v8, v8, v45
	s_delay_alu instid0(VALU_DEP_1)
	v_cmp_eq_u32_e32 vcc_lo, v8, v42
	s_and_b32 exec_lo, exec_lo, vcc_lo
	s_cbranch_execz .LBB216_296
; %bb.300:                              ;   in Loop: Header=BB216_298 Depth=2
	v_perm_b32 v2, v2, s95, 0x5040100
	ds_store_b32 v3, v2 offset:3072
	s_branch .LBB216_296
.LBB216_301:                            ;   in Loop: Header=BB216_298 Depth=2
	v_add_nc_u64_e32 v[6:7], s[34:35], v[6:7]
	v_add_nc_u64_e32 v[4:5], s[40:41], v[4:5]
	s_mov_b32 s28, 0
	s_delay_alu instid0(VALU_DEP_2)
	v_cmp_le_u64_e32 vcc_lo, s[10:11], v[6:7]
	s_or_not1_b32 s26, vcc_lo, exec_lo
	s_branch .LBB216_297
.LBB216_302:                            ;   in Loop: Header=BB216_6 Depth=1
	s_or_b32 exec_lo, exec_lo, s21
	v_lshrrev_b32_e32 v46, 16, v2
	s_and_not1_b32 s8, s22, exec_lo
	s_and_b32 s10, s23, exec_lo
	s_delay_alu instid0(SALU_CYCLE_1)
	s_or_b32 s22, s8, s10
.LBB216_303:                            ;   in Loop: Header=BB216_6 Depth=1
	s_or_b32 exec_lo, exec_lo, s20
	s_mov_b32 s26, 0
	s_mov_b32 s74, -1
.LBB216_304:                            ;   in Loop: Header=BB216_6 Depth=1
	s_or_not1_b32 s10, s22, exec_lo
.LBB216_305:                            ;   in Loop: Header=BB216_6 Depth=1
	s_or_b32 exec_lo, exec_lo, s72
                                        ; implicit-def: $vgpr4_vgpr5
                                        ; implicit-def: $vgpr2
	s_and_saveexec_b32 s22, s10
	s_cbranch_execz .LBB216_463
; %bb.306:                              ;   in Loop: Header=BB216_6 Depth=1
	v_mov_b64_e32 v[4:5], 1
	v_mov_b32_e32 v2, 1
	s_xor_b32 s10, s9, -1
	s_mov_b32 s11, 0
	s_and_saveexec_b32 s9, s10
	s_cbranch_execz .LBB216_315
; %bb.307:                              ;   in Loop: Header=BB216_6 Depth=1
	s_mov_b32 s10, exec_lo
	v_cmpx_ge_u64_e64 s[18:19], v[30:31]
	s_xor_b32 s10, exec_lo, s10
	s_cbranch_execz .LBB216_312
; %bb.308:                              ;   in Loop: Header=BB216_6 Depth=1
	ds_load_b64 v[4:5], v3 offset:5120
	v_or_b32_e32 v42, s24, v42
	v_or_b32_e32 v45, s24, v45
	s_wait_dscnt 0x0
	v_cmp_ne_u64_e32 vcc_lo, 0, v[4:5]
	s_cbranch_vccnz .LBB216_312
; %bb.309:                              ;   in Loop: Header=BB216_6 Depth=1
	s_and_saveexec_b32 s11, s5
; %bb.310:                              ;   in Loop: Header=BB216_6 Depth=1
	v_mov_b64_e32 v[4:5], s[18:19]
	ds_store_b64 v3, v[4:5] offset:5128
; %bb.311:                              ;   in Loop: Header=BB216_6 Depth=1
	s_or_b32 exec_lo, exec_lo, s11
	s_wait_dscnt 0x0
	s_barrier_signal -1
	s_barrier_wait -1
.LBB216_312:                            ;   in Loop: Header=BB216_6 Depth=1
	s_or_saveexec_b32 s10, s10
	v_mov_b32_e32 v2, 5
	s_mov_b32 s11, 0
	s_xor_b32 exec_lo, exec_lo, s10
; %bb.313:                              ;   in Loop: Header=BB216_6 Depth=1
	v_sub_nc_u64_e64 v[30:31], v[30:31], s[18:19]
	v_mov_b32_e32 v2, 0
	s_mov_b32 s11, exec_lo
; %bb.314:                              ;   in Loop: Header=BB216_6 Depth=1
	s_or_b32 exec_lo, exec_lo, s10
	s_delay_alu instid0(VALU_DEP_2)
	v_mov_b64_e32 v[4:5], v[30:31]
	s_and_b32 s11, s11, exec_lo
.LBB216_315:                            ;   in Loop: Header=BB216_6 Depth=1
	s_or_b32 exec_lo, exec_lo, s9
	s_mov_b32 s10, -1
                                        ; implicit-def: $sgpr23
                                        ; implicit-def: $sgpr72
	s_and_saveexec_b32 s9, s11
	s_delay_alu instid0(SALU_CYCLE_1)
	s_xor_b32 s9, exec_lo, s9
	s_cbranch_execz .LBB216_460
; %bb.316:                              ;   in Loop: Header=BB216_6 Depth=1
	v_cmp_eq_u64_e32 vcc_lo, 1, v[4:5]
	s_cmp_eq_u64 s[16:17], 1
                                        ; implicit-def: $sgpr72
                                        ; implicit-def: $sgpr23
	s_cselect_b32 s10, -1, 0
	s_delay_alu instid0(SALU_CYCLE_1)
	s_and_b32 s73, s10, vcc_lo
	s_mov_b32 s10, -1
	s_and_saveexec_b32 s75, s73
	s_cbranch_execz .LBB216_350
; %bb.317:                              ;   in Loop: Header=BB216_6 Depth=1
	ds_load_b64 v[6:7], v3 offset:5120
	s_wait_dscnt 0x0
	s_barrier_signal -1
	s_barrier_wait -1
	v_readfirstlane_b32 s10, v6
	v_readfirstlane_b32 s11, v7
	s_and_saveexec_b32 s18, s6
; %bb.318:                              ;   in Loop: Header=BB216_6 Depth=1
	ds_store_b16 v39, v3
; %bb.319:                              ;   in Loop: Header=BB216_6 Depth=1
	s_or_b32 exec_lo, exec_lo, s18
	s_lshl_b32 s18, 2, s96
	v_or_b32_e32 v45, s24, v45
	v_and_or_b32 v42, v42, s25, s18
	s_mov_b32 s23, -1
	s_mov_b32 s72, 0
	s_cmp_eq_u64 s[10:11], 0
	s_mov_b32 s20, 0
	s_mov_b32 s21, -1
	s_wait_dscnt 0x0
	s_barrier_signal -1
	s_barrier_wait -1
                                        ; implicit-def: $vgpr46
	s_cbranch_scc1 .LBB216_335
; %bb.320:                              ;   in Loop: Header=BB216_6 Depth=1
	s_add_nc_u64 s[18:19], s[10:11], s[54:55]
	s_delay_alu instid0(SALU_CYCLE_1) | instskip(NEXT) | instid1(SALU_CYCLE_1)
	s_and_b64 s[20:21], s[18:19], 0xffffffff00000000
	s_cmp_lg_u64 s[20:21], 0
	s_cbranch_scc0 .LBB216_376
; %bb.321:                              ;   in Loop: Header=BB216_6 Depth=1
	s_cvt_f32_u32 s20, s34
	s_sub_nc_u64 s[50:51], 0, s[34:35]
	s_delay_alu instid0(SALU_CYCLE_2) | instskip(NEXT) | instid1(SALU_CYCLE_3)
	s_fmamk_f32 s20, s94, 0x0, s20
	v_s_rcp_f32 s20, s20
	s_delay_alu instid0(TRANS32_DEP_1) | instskip(NEXT) | instid1(SALU_CYCLE_3)
	s_mul_f32 s20, s20, 0x5f7ffffc
	s_mul_f32 s21, s20, 0x2f800000
	s_delay_alu instid0(SALU_CYCLE_3) | instskip(NEXT) | instid1(SALU_CYCLE_3)
	s_trunc_f32 s21, s21
	s_fmamk_f32 s20, s21, 0xcf800000, s20
	s_cvt_u32_f32 s21, s21
	s_delay_alu instid0(SALU_CYCLE_2) | instskip(NEXT) | instid1(SALU_CYCLE_3)
	s_cvt_u32_f32 s20, s20
	s_mul_u64 s[52:53], s[50:51], s[20:21]
	s_delay_alu instid0(SALU_CYCLE_1)
	s_mul_hi_u32 s77, s20, s53
	s_mul_i32 s76, s20, s53
	s_mul_hi_u32 s28, s20, s52
	s_mul_i32 s45, s21, s52
	s_add_nc_u64 s[76:77], s[28:29], s[76:77]
	s_mul_hi_u32 s44, s21, s52
	s_mul_hi_u32 s66, s21, s53
	s_add_co_u32 s28, s76, s45
	s_add_co_ci_u32 s28, s77, s44
	s_mul_i32 s52, s21, s53
	s_add_co_ci_u32 s53, s66, 0
	s_delay_alu instid0(SALU_CYCLE_1) | instskip(NEXT) | instid1(SALU_CYCLE_1)
	s_add_nc_u64 s[52:53], s[28:29], s[52:53]
	s_add_co_u32 s20, s20, s52
	s_cselect_b32 s28, -1, 0
	s_delay_alu instid0(SALU_CYCLE_1) | instskip(SKIP_1) | instid1(SALU_CYCLE_1)
	s_cmp_lg_u32 s28, 0
	s_add_co_ci_u32 s21, s21, s53
	s_mul_u64 s[50:51], s[50:51], s[20:21]
	s_delay_alu instid0(SALU_CYCLE_1)
	s_mul_hi_u32 s53, s20, s51
	s_mul_i32 s52, s20, s51
	s_mul_hi_u32 s28, s20, s50
	s_mul_i32 s45, s21, s50
	s_add_nc_u64 s[52:53], s[28:29], s[52:53]
	s_mul_hi_u32 s44, s21, s50
	s_mul_hi_u32 s66, s21, s51
	s_add_co_u32 s28, s52, s45
	s_add_co_ci_u32 s28, s53, s44
	s_mul_i32 s50, s21, s51
	s_add_co_ci_u32 s51, s66, 0
	s_delay_alu instid0(SALU_CYCLE_1) | instskip(NEXT) | instid1(SALU_CYCLE_1)
	s_add_nc_u64 s[50:51], s[28:29], s[50:51]
	s_add_co_u32 s20, s20, s50
	s_cselect_b32 s44, -1, 0
	s_mul_hi_u32 s28, s18, s20
	s_cmp_lg_u32 s44, 0
	s_mul_hi_u32 s44, s19, s20
	s_add_co_ci_u32 s45, s21, s51
	s_mul_i32 s51, s19, s20
	s_mul_hi_u32 s21, s18, s45
	s_mul_i32 s20, s18, s45
	s_mul_hi_u32 s52, s19, s45
	s_add_nc_u64 s[20:21], s[28:29], s[20:21]
	s_mul_i32 s50, s19, s45
	s_add_co_u32 s20, s20, s51
	s_add_co_ci_u32 s28, s21, s44
	s_add_co_ci_u32 s51, s52, 0
	s_delay_alu instid0(SALU_CYCLE_1) | instskip(NEXT) | instid1(SALU_CYCLE_1)
	s_add_nc_u64 s[20:21], s[28:29], s[50:51]
	s_and_b64 s[50:51], s[20:21], 0xffffffff00000000
	s_delay_alu instid0(SALU_CYCLE_1) | instskip(NEXT) | instid1(SALU_CYCLE_1)
	s_or_b32 s50, s50, s20
	s_mul_u64 s[20:21], s[34:35], s[50:51]
	s_delay_alu instid0(SALU_CYCLE_1) | instskip(SKIP_1) | instid1(SALU_CYCLE_1)
	s_sub_co_u32 s20, s18, s20
	s_cselect_b32 s28, -1, 0
	s_cmp_lg_u32 s28, 0
	s_sub_co_ci_u32 s21, s19, s21
	s_sub_co_u32 s28, s20, s34
	s_cselect_b32 s44, -1, 0
	s_delay_alu instid0(SALU_CYCLE_1) | instskip(SKIP_3) | instid1(SALU_CYCLE_1)
	s_cmp_lg_u32 s44, 0
	s_sub_co_ci_u32 s44, s21, 0
	s_sub_co_u32 s45, s28, s34
	s_cselect_b32 s50, -1, 0
	s_cmp_lg_u32 s50, 0
	s_sub_co_ci_u32 s50, s44, 0
	s_cmp_ge_u32 s28, s34
	s_cselect_b32 s51, -1, 0
	s_cmp_eq_u32 s44, 0
	s_cselect_b32 s51, s51, -1
	s_delay_alu instid0(SALU_CYCLE_1)
	s_cmp_lg_u32 s51, 0
	s_cselect_b32 s44, s50, s44
	s_cselect_b32 s28, s45, s28
	s_cmp_ge_u32 s20, s34
	s_cselect_b32 s45, -1, 0
	s_cmp_eq_u32 s21, 0
	s_cselect_b32 s45, s45, -1
	s_delay_alu instid0(SALU_CYCLE_1)
	s_cmp_lg_u32 s45, 0
	s_cselect_b32 s21, s44, s21
	s_cselect_b32 s20, s28, s20
	s_cbranch_execnz .LBB216_323
.LBB216_322:                            ;   in Loop: Header=BB216_6 Depth=1
	v_cvt_f32_u32_e32 v6, s34
	s_sub_co_i32 s21, 0, s34
	s_delay_alu instid0(VALU_DEP_1) | instskip(SKIP_1) | instid1(TRANS32_DEP_1)
	v_rcp_iflag_f32_e32 v6, v6
	v_nop
	v_mul_f32_e32 v6, 0x4f7ffffe, v6
	s_delay_alu instid0(VALU_DEP_1) | instskip(NEXT) | instid1(VALU_DEP_1)
	v_cvt_u32_f32_e32 v6, v6
	v_readfirstlane_b32 s20, v6
	s_mul_i32 s21, s21, s20
	s_delay_alu instid0(SALU_CYCLE_1) | instskip(NEXT) | instid1(SALU_CYCLE_1)
	s_mul_hi_u32 s21, s20, s21
	s_add_co_i32 s20, s20, s21
	s_delay_alu instid0(SALU_CYCLE_1) | instskip(NEXT) | instid1(SALU_CYCLE_1)
	s_mul_hi_u32 s20, s18, s20
	s_mul_i32 s20, s20, s34
	s_delay_alu instid0(SALU_CYCLE_1) | instskip(NEXT) | instid1(SALU_CYCLE_1)
	s_sub_co_i32 s20, s18, s20
	s_sub_co_i32 s21, s20, s34
	s_cmp_ge_u32 s20, s34
	s_cselect_b32 s20, s21, s20
	s_delay_alu instid0(SALU_CYCLE_1) | instskip(SKIP_2) | instid1(SALU_CYCLE_1)
	s_sub_co_i32 s21, s20, s34
	s_cmp_ge_u32 s20, s34
	s_cselect_b32 s28, s21, s20
	s_mov_b64 s[20:21], s[28:29]
.LBB216_323:                            ;   in Loop: Header=BB216_6 Depth=1
	s_delay_alu instid0(SALU_CYCLE_1)
	s_sub_nc_u64 s[18:19], s[18:19], s[20:21]
	s_mov_b32 s21, 0
	s_mov_b32 s20, 0
	s_mov_b32 s28, exec_lo
                                        ; implicit-def: $vgpr46
	v_cmpx_gt_u64_e64 s[18:19], v[0:1]
	s_cbranch_execz .LBB216_334
; %bb.324:                              ;   in Loop: Header=BB216_6 Depth=1
	v_mov_b64_e32 v[6:7], v[0:1]
	v_mov_b32_e32 v8, v38
                                        ; implicit-def: $sgpr50
	s_branch .LBB216_327
.LBB216_325:                            ;   in Loop: Header=BB216_327 Depth=2
	s_or_b32 exec_lo, exec_lo, s51
	s_wait_dscnt 0x0
	s_barrier_signal -1
	s_barrier_wait -1
	ds_load_b32 v9, v3 offset:3072
	s_mov_b32 s51, -1
	s_mov_b32 s52, -1
	s_wait_dscnt 0x0
	s_barrier_signal -1
	s_barrier_wait -1
	v_and_b32_e32 v10, 0x7fff, v9
	s_delay_alu instid0(VALU_DEP_1)
	v_cmp_ne_u32_e32 vcc_lo, 0, v10
	s_cbranch_vccz .LBB216_330
.LBB216_326:                            ;   in Loop: Header=BB216_327 Depth=2
	s_and_b32 s8, exec_lo, s51
	s_delay_alu instid0(SALU_CYCLE_1) | instskip(SKIP_2) | instid1(SALU_CYCLE_1)
	s_or_b32 s20, s8, s20
	s_and_not1_b32 s8, s50, exec_lo
	s_and_b32 s44, s52, exec_lo
	s_or_b32 s50, s8, s44
	s_and_not1_b32 exec_lo, exec_lo, s20
	s_cbranch_execz .LBB216_333
.LBB216_327:                            ;   Parent Loop BB216_6 Depth=1
                                        ; =>  This Inner Loop Header: Depth=2
	s_mov_b32 s51, exec_lo
	s_delay_alu instid0(VALU_DEP_2)
	v_cmpx_gt_u64_e64 s[10:11], v[6:7]
	s_cbranch_execz .LBB216_325
; %bb.328:                              ;   in Loop: Header=BB216_327 Depth=2
	ds_load_u16 v9, v8
	s_wait_dscnt 0x0
	v_cmp_lt_i16_e32 vcc_lo, -1, v9
	v_and_b32_e32 v10, 0xffff, v9
	v_dual_cndmask_b32 v11, 0xffff, v44 :: v_dual_lshlrev_b32 v30, 16, v9
	s_delay_alu instid0(VALU_DEP_1) | instskip(NEXT) | instid1(VALU_DEP_2)
	v_cmp_o_f32_e32 vcc_lo, v30, v30
	v_xor_b32_e32 v10, v11, v10
	s_delay_alu instid0(VALU_DEP_1) | instskip(NEXT) | instid1(VALU_DEP_1)
	v_cndmask_b32_e32 v10, 0xffff, v10, vcc_lo
	v_and_b32_e32 v10, v10, v45
	s_delay_alu instid0(VALU_DEP_1)
	v_cmp_eq_u32_e32 vcc_lo, v10, v42
	s_and_b32 exec_lo, exec_lo, vcc_lo
	s_cbranch_execz .LBB216_325
; %bb.329:                              ;   in Loop: Header=BB216_327 Depth=2
	v_perm_b32 v9, v9, s95, 0x5040100
	ds_store_b32 v3, v9 offset:3072
	s_branch .LBB216_325
.LBB216_330:                            ;   in Loop: Header=BB216_327 Depth=2
	v_add_nc_u64_e32 v[6:7], s[34:35], v[6:7]
	v_add_nc_u32_e32 v8, s93, v8
	s_mov_b32 s52, 0
	s_delay_alu instid0(VALU_DEP_2)
	v_cmp_le_u64_e32 vcc_lo, s[18:19], v[6:7]
	s_or_not1_b32 s51, vcc_lo, exec_lo
	s_branch .LBB216_326
.LBB216_331:                            ;   in Loop: Header=BB216_6 Depth=1
                                        ; implicit-def: $sgpr22_sgpr23
	s_branch .LBB216_278
.LBB216_332:                            ;   in Loop: Header=BB216_6 Depth=1
                                        ; implicit-def: $sgpr10_sgpr11
	s_branch .LBB216_293
.LBB216_333:                            ;   in Loop: Header=BB216_6 Depth=1
	s_or_b32 exec_lo, exec_lo, s20
	v_lshrrev_b32_e32 v46, 16, v9
	s_and_b32 s20, s50, exec_lo
.LBB216_334:                            ;   in Loop: Header=BB216_6 Depth=1
	s_or_b32 exec_lo, exec_lo, s28
.LBB216_335:                            ;   in Loop: Header=BB216_6 Depth=1
	s_delay_alu instid0(SALU_CYCLE_1)
	s_and_b32 vcc_lo, exec_lo, s21
	s_cbranch_vccz .LBB216_349
; %bb.336:                              ;   in Loop: Header=BB216_6 Depth=1
	s_and_b64 s[10:11], s[56:57], 0xffffffff00000000
	s_delay_alu instid0(SALU_CYCLE_1)
	s_cmp_lg_u64 s[10:11], 0
	s_cbranch_scc0 .LBB216_377
; %bb.337:                              ;   in Loop: Header=BB216_6 Depth=1
	s_cvt_f32_u32 s10, s34
	s_sub_nc_u64 s[18:19], 0, s[34:35]
	s_delay_alu instid0(SALU_CYCLE_2) | instskip(NEXT) | instid1(SALU_CYCLE_3)
	s_fmamk_f32 s10, s94, 0x0, s10
	v_s_rcp_f32 s10, s10
	s_delay_alu instid0(TRANS32_DEP_1) | instskip(NEXT) | instid1(SALU_CYCLE_3)
	s_mul_f32 s10, s10, 0x5f7ffffc
	s_mul_f32 s11, s10, 0x2f800000
	s_delay_alu instid0(SALU_CYCLE_3) | instskip(NEXT) | instid1(SALU_CYCLE_3)
	s_trunc_f32 s11, s11
	s_fmamk_f32 s10, s11, 0xcf800000, s10
	s_cvt_u32_f32 s11, s11
	s_delay_alu instid0(SALU_CYCLE_2) | instskip(NEXT) | instid1(SALU_CYCLE_3)
	s_cvt_u32_f32 s10, s10
	s_mul_u64 s[50:51], s[18:19], s[10:11]
	s_delay_alu instid0(SALU_CYCLE_1)
	s_mul_hi_u32 s53, s10, s51
	s_mul_i32 s52, s10, s51
	s_mul_hi_u32 s28, s10, s50
	s_mul_i32 s23, s11, s50
	s_add_nc_u64 s[52:53], s[28:29], s[52:53]
	s_mul_hi_u32 s21, s11, s50
	s_mul_hi_u32 s44, s11, s51
	s_add_co_u32 s23, s52, s23
	s_add_co_ci_u32 s28, s53, s21
	s_mul_i32 s50, s11, s51
	s_add_co_ci_u32 s51, s44, 0
	s_delay_alu instid0(SALU_CYCLE_1) | instskip(NEXT) | instid1(SALU_CYCLE_1)
	s_add_nc_u64 s[50:51], s[28:29], s[50:51]
	s_add_co_u32 s10, s10, s50
	s_cselect_b32 s21, -1, 0
	s_delay_alu instid0(SALU_CYCLE_1) | instskip(SKIP_1) | instid1(SALU_CYCLE_1)
	s_cmp_lg_u32 s21, 0
	s_add_co_ci_u32 s11, s11, s51
	s_mul_u64 s[18:19], s[18:19], s[10:11]
	s_delay_alu instid0(SALU_CYCLE_1)
	s_mul_hi_u32 s51, s10, s19
	s_mul_i32 s50, s10, s19
	s_mul_hi_u32 s28, s10, s18
	s_mul_i32 s23, s11, s18
	s_add_nc_u64 s[50:51], s[28:29], s[50:51]
	s_mul_hi_u32 s21, s11, s18
	s_mul_hi_u32 s44, s11, s19
	s_mul_i32 s18, s11, s19
	s_add_co_u32 s19, s50, s23
	s_add_co_ci_u32 s28, s51, s21
	s_add_co_ci_u32 s19, s44, 0
	s_delay_alu instid0(SALU_CYCLE_1) | instskip(NEXT) | instid1(SALU_CYCLE_1)
	s_add_nc_u64 s[18:19], s[28:29], s[18:19]
	s_add_co_u32 s10, s10, s18
	s_cselect_b32 s18, -1, 0
	s_mul_hi_u32 s28, s56, s10
	s_cmp_lg_u32 s18, 0
	s_mul_hi_u32 s21, s57, s10
	s_add_co_ci_u32 s18, s11, s19
	s_mul_i32 s19, s57, s10
	s_mul_hi_u32 s11, s56, s18
	s_mul_i32 s10, s56, s18
	s_mul_hi_u32 s23, s57, s18
	s_add_nc_u64 s[10:11], s[28:29], s[10:11]
	s_mul_i32 s18, s57, s18
	s_add_co_u32 s10, s10, s19
	s_add_co_ci_u32 s28, s11, s21
	s_add_co_ci_u32 s19, s23, 0
	s_delay_alu instid0(SALU_CYCLE_1) | instskip(NEXT) | instid1(SALU_CYCLE_1)
	s_add_nc_u64 s[10:11], s[28:29], s[18:19]
	s_and_b64 s[18:19], s[10:11], 0xffffffff00000000
	s_delay_alu instid0(SALU_CYCLE_1) | instskip(NEXT) | instid1(SALU_CYCLE_1)
	s_or_b32 s18, s18, s10
	s_mul_u64 s[10:11], s[34:35], s[18:19]
	s_delay_alu instid0(SALU_CYCLE_1) | instskip(SKIP_1) | instid1(SALU_CYCLE_1)
	s_sub_co_u32 s10, s56, s10
	s_cselect_b32 s18, -1, 0
	s_cmp_lg_u32 s18, 0
	s_sub_co_ci_u32 s11, s57, s11
	s_sub_co_u32 s18, s10, s34
	s_cselect_b32 s19, -1, 0
	s_delay_alu instid0(SALU_CYCLE_1) | instskip(SKIP_3) | instid1(SALU_CYCLE_1)
	s_cmp_lg_u32 s19, 0
	s_sub_co_ci_u32 s19, s11, 0
	s_sub_co_u32 s21, s18, s34
	s_cselect_b32 s23, -1, 0
	s_cmp_lg_u32 s23, 0
	s_sub_co_ci_u32 s23, s19, 0
	s_cmp_ge_u32 s18, s34
	s_cselect_b32 s28, -1, 0
	s_cmp_eq_u32 s19, 0
	s_cselect_b32 s28, s28, -1
	s_delay_alu instid0(SALU_CYCLE_1)
	s_cmp_lg_u32 s28, 0
	s_cselect_b32 s19, s23, s19
	s_cselect_b32 s18, s21, s18
	s_cmp_ge_u32 s10, s34
	s_cselect_b32 s21, -1, 0
	s_cmp_eq_u32 s11, 0
	s_cselect_b32 s21, s21, -1
	s_delay_alu instid0(SALU_CYCLE_1)
	s_cmp_lg_u32 s21, 0
	s_cselect_b32 s11, s19, s11
	s_cselect_b32 s10, s18, s10
	s_cbranch_execnz .LBB216_339
.LBB216_338:                            ;   in Loop: Header=BB216_6 Depth=1
	v_cvt_f32_u32_e32 v6, s34
	s_sub_co_i32 s11, 0, s34
	s_delay_alu instid0(VALU_DEP_1) | instskip(SKIP_1) | instid1(TRANS32_DEP_1)
	v_rcp_iflag_f32_e32 v6, v6
	v_nop
	v_mul_f32_e32 v6, 0x4f7ffffe, v6
	s_delay_alu instid0(VALU_DEP_1) | instskip(NEXT) | instid1(VALU_DEP_1)
	v_cvt_u32_f32_e32 v6, v6
	v_readfirstlane_b32 s10, v6
	s_mul_i32 s11, s11, s10
	s_delay_alu instid0(SALU_CYCLE_1) | instskip(NEXT) | instid1(SALU_CYCLE_1)
	s_mul_hi_u32 s11, s10, s11
	s_add_co_i32 s10, s10, s11
	s_delay_alu instid0(SALU_CYCLE_1) | instskip(NEXT) | instid1(SALU_CYCLE_1)
	s_mul_hi_u32 s10, s56, s10
	s_mul_i32 s10, s10, s34
	s_delay_alu instid0(SALU_CYCLE_1) | instskip(NEXT) | instid1(SALU_CYCLE_1)
	s_sub_co_i32 s10, s56, s10
	s_sub_co_i32 s11, s10, s34
	s_cmp_ge_u32 s10, s34
	s_cselect_b32 s10, s11, s10
	s_delay_alu instid0(SALU_CYCLE_1) | instskip(SKIP_2) | instid1(SALU_CYCLE_1)
	s_sub_co_i32 s11, s10, s34
	s_cmp_ge_u32 s10, s34
	s_cselect_b32 s28, s11, s10
	s_mov_b64 s[10:11], s[28:29]
.LBB216_339:                            ;   in Loop: Header=BB216_6 Depth=1
	s_delay_alu instid0(SALU_CYCLE_1)
	s_sub_nc_u64 s[10:11], s[56:57], s[10:11]
	s_mov_b32 s18, exec_lo
                                        ; implicit-def: $vgpr46
	v_nop
	v_cmpx_gt_u64_e64 s[10:11], v[0:1]
	s_cbranch_execz .LBB216_348
; %bb.340:                              ;   in Loop: Header=BB216_6 Depth=1
	v_mov_b64_e32 v[6:7], v[14:15]
	v_mov_b64_e32 v[8:9], v[0:1]
	s_mov_b32 s19, 0
                                        ; implicit-def: $sgpr21
	s_branch .LBB216_343
.LBB216_341:                            ;   in Loop: Header=BB216_343 Depth=2
	s_or_b32 exec_lo, exec_lo, s23
	s_wait_dscnt 0x0
	s_barrier_signal -1
	s_barrier_wait -1
	ds_load_b32 v10, v3 offset:3072
	s_mov_b32 s23, -1
	s_mov_b32 s28, -1
	s_wait_dscnt 0x0
	s_barrier_signal -1
	s_barrier_wait -1
	v_and_b32_e32 v11, 0x7fff, v10
	s_delay_alu instid0(VALU_DEP_1)
	v_cmp_eq_u32_e32 vcc_lo, 0, v11
	s_cbranch_vccnz .LBB216_346
.LBB216_342:                            ;   in Loop: Header=BB216_343 Depth=2
	s_and_b32 s8, exec_lo, s23
	s_delay_alu instid0(SALU_CYCLE_1) | instskip(SKIP_2) | instid1(SALU_CYCLE_1)
	s_or_b32 s19, s8, s19
	s_and_not1_b32 s8, s21, exec_lo
	s_and_b32 s21, s28, exec_lo
	s_or_b32 s21, s8, s21
	s_and_not1_b32 exec_lo, exec_lo, s19
	s_cbranch_execz .LBB216_347
.LBB216_343:                            ;   Parent Loop BB216_6 Depth=1
                                        ; =>  This Inner Loop Header: Depth=2
	s_mov_b32 s23, exec_lo
	s_delay_alu instid0(VALU_DEP_1)
	v_cmpx_gt_u64_e64 s[36:37], v[8:9]
	s_cbranch_execz .LBB216_341
; %bb.344:                              ;   in Loop: Header=BB216_343 Depth=2
	global_load_u16 v10, v[6:7], off
	s_wait_loadcnt 0x0
	v_cmp_lt_i16_e32 vcc_lo, -1, v10
	v_and_b32_e32 v11, 0xffff, v10
	v_dual_cndmask_b32 v30, 0xffff, v44 :: v_dual_lshlrev_b32 v31, 16, v10
	s_delay_alu instid0(VALU_DEP_1) | instskip(NEXT) | instid1(VALU_DEP_2)
	v_cmp_o_f32_e32 vcc_lo, v31, v31
	v_xor_b32_e32 v11, v30, v11
	s_delay_alu instid0(VALU_DEP_1) | instskip(NEXT) | instid1(VALU_DEP_1)
	v_cndmask_b32_e32 v11, 0xffff, v11, vcc_lo
	v_and_b32_e32 v11, v11, v45
	s_delay_alu instid0(VALU_DEP_1)
	v_cmp_eq_u32_e32 vcc_lo, v11, v42
	s_and_b32 exec_lo, exec_lo, vcc_lo
	s_cbranch_execz .LBB216_341
; %bb.345:                              ;   in Loop: Header=BB216_343 Depth=2
	v_perm_b32 v10, v10, s95, 0x5040100
	ds_store_b32 v3, v10 offset:3072
	s_branch .LBB216_341
.LBB216_346:                            ;   in Loop: Header=BB216_343 Depth=2
	v_add_nc_u64_e32 v[8:9], s[34:35], v[8:9]
	v_add_nc_u64_e32 v[6:7], s[40:41], v[6:7]
	s_mov_b32 s28, 0
	s_delay_alu instid0(VALU_DEP_2)
	v_cmp_le_u64_e32 vcc_lo, s[10:11], v[8:9]
	s_or_not1_b32 s23, vcc_lo, exec_lo
	s_branch .LBB216_342
.LBB216_347:                            ;   in Loop: Header=BB216_6 Depth=1
	s_or_b32 exec_lo, exec_lo, s19
	v_lshrrev_b32_e32 v46, 16, v10
	s_and_not1_b32 s8, s20, exec_lo
	s_and_b32 s10, s21, exec_lo
	s_delay_alu instid0(SALU_CYCLE_1)
	s_or_b32 s20, s8, s10
.LBB216_348:                            ;   in Loop: Header=BB216_6 Depth=1
	s_or_b32 exec_lo, exec_lo, s18
	s_mov_b32 s23, 0
	s_mov_b32 s72, -1
.LBB216_349:                            ;   in Loop: Header=BB216_6 Depth=1
	s_or_not1_b32 s10, s20, exec_lo
.LBB216_350:                            ;   in Loop: Header=BB216_6 Depth=1
	s_or_b32 exec_lo, exec_lo, s75
	s_mov_b32 s11, 0
	s_and_saveexec_b32 s20, s10
	s_cbranch_execz .LBB216_459
; %bb.351:                              ;   in Loop: Header=BB216_6 Depth=1
	v_mov_b64_e32 v[6:7], 1
	v_mov_b32_e32 v2, 1
	s_xor_b32 s18, s73, -1
	s_delay_alu instid0(SALU_CYCLE_1)
	s_and_saveexec_b32 s10, s18
	s_cbranch_execz .LBB216_360
; %bb.352:                              ;   in Loop: Header=BB216_6 Depth=1
	s_mov_b32 s11, exec_lo
	v_cmpx_ge_u64_e64 s[16:17], v[4:5]
	s_xor_b32 s11, exec_lo, s11
	s_cbranch_execz .LBB216_357
; %bb.353:                              ;   in Loop: Header=BB216_6 Depth=1
	ds_load_b64 v[6:7], v3 offset:5120
	s_lshl_b32 s18, 2, s96
	v_or_b32_e32 v45, s24, v45
	v_and_or_b32 v42, v42, s25, s18
	s_wait_dscnt 0x0
	v_cmp_ne_u64_e32 vcc_lo, 0, v[6:7]
	s_cbranch_vccnz .LBB216_357
; %bb.354:                              ;   in Loop: Header=BB216_6 Depth=1
	s_and_saveexec_b32 s18, s5
; %bb.355:                              ;   in Loop: Header=BB216_6 Depth=1
	v_mov_b64_e32 v[6:7], s[16:17]
	ds_store_b64 v3, v[6:7] offset:5128
; %bb.356:                              ;   in Loop: Header=BB216_6 Depth=1
	s_or_b32 exec_lo, exec_lo, s18
	s_wait_dscnt 0x0
	s_barrier_signal -1
	s_barrier_wait -1
.LBB216_357:                            ;   in Loop: Header=BB216_6 Depth=1
	s_or_saveexec_b32 s11, s11
	v_mov_b32_e32 v2, 5
	s_mov_b32 s18, 0
	s_xor_b32 exec_lo, exec_lo, s11
; %bb.358:                              ;   in Loop: Header=BB216_6 Depth=1
	v_sub_nc_u64_e64 v[4:5], v[4:5], s[16:17]
	v_mov_b32_e32 v2, 0
	s_mov_b32 s18, exec_lo
; %bb.359:                              ;   in Loop: Header=BB216_6 Depth=1
	s_or_b32 exec_lo, exec_lo, s11
	s_delay_alu instid0(VALU_DEP_2)
	v_mov_b64_e32 v[6:7], v[4:5]
	s_and_b32 s11, s18, exec_lo
.LBB216_360:                            ;   in Loop: Header=BB216_6 Depth=1
	s_or_b32 exec_lo, exec_lo, s10
	s_mov_b32 s10, -1
                                        ; implicit-def: $sgpr73
                                        ; implicit-def: $sgpr75
	s_and_saveexec_b32 s21, s11
	s_cbranch_execz .LBB216_458
; %bb.361:                              ;   in Loop: Header=BB216_6 Depth=1
	s_delay_alu instid0(VALU_DEP_1) | instskip(SKIP_2) | instid1(SALU_CYCLE_1)
	v_cmp_eq_u64_e32 vcc_lo, 1, v[6:7]
	s_cmp_eq_u64 s[14:15], 1
                                        ; implicit-def: $sgpr75
                                        ; implicit-def: $sgpr73
	s_cselect_b32 s10, -1, 0
	s_and_b32 s76, s10, vcc_lo
	s_mov_b32 s10, -1
	s_and_saveexec_b32 s77, s76
	s_cbranch_execz .LBB216_395
; %bb.362:                              ;   in Loop: Header=BB216_6 Depth=1
	ds_load_b64 v[4:5], v3 offset:5120
	s_wait_dscnt 0x0
	s_barrier_signal -1
	s_barrier_wait -1
	v_readfirstlane_b32 s10, v4
	v_readfirstlane_b32 s11, v5
	s_and_saveexec_b32 s16, s6
; %bb.363:                              ;   in Loop: Header=BB216_6 Depth=1
	ds_store_b16 v39, v3
; %bb.364:                              ;   in Loop: Header=BB216_6 Depth=1
	s_or_b32 exec_lo, exec_lo, s16
	s_lshl_b32 s16, 1, s96
	v_or_b32_e32 v45, s24, v45
	v_and_or_b32 v42, v42, s25, s16
	s_mov_b32 s73, -1
	s_mov_b32 s75, 0
	s_cmp_eq_u64 s[10:11], 0
	s_mov_b32 s18, 0
	s_mov_b32 s19, -1
	s_wait_dscnt 0x0
	s_barrier_signal -1
	s_barrier_wait -1
                                        ; implicit-def: $vgpr46
	s_cbranch_scc1 .LBB216_380
; %bb.365:                              ;   in Loop: Header=BB216_6 Depth=1
	s_add_nc_u64 s[16:17], s[10:11], s[54:55]
	s_delay_alu instid0(SALU_CYCLE_1) | instskip(NEXT) | instid1(SALU_CYCLE_1)
	s_and_b64 s[18:19], s[16:17], 0xffffffff00000000
	s_cmp_lg_u64 s[18:19], 0
	s_cbranch_scc0 .LBB216_412
; %bb.366:                              ;   in Loop: Header=BB216_6 Depth=1
	s_cvt_f32_u32 s18, s34
	s_sub_nc_u64 s[50:51], 0, s[34:35]
	s_delay_alu instid0(SALU_CYCLE_2) | instskip(NEXT) | instid1(SALU_CYCLE_3)
	s_fmamk_f32 s18, s94, 0x0, s18
	v_s_rcp_f32 s18, s18
	s_delay_alu instid0(TRANS32_DEP_1) | instskip(NEXT) | instid1(SALU_CYCLE_3)
	s_mul_f32 s18, s18, 0x5f7ffffc
	s_mul_f32 s19, s18, 0x2f800000
	s_delay_alu instid0(SALU_CYCLE_3) | instskip(NEXT) | instid1(SALU_CYCLE_3)
	s_trunc_f32 s19, s19
	s_fmamk_f32 s18, s19, 0xcf800000, s18
	s_cvt_u32_f32 s19, s19
	s_delay_alu instid0(SALU_CYCLE_2) | instskip(NEXT) | instid1(SALU_CYCLE_3)
	s_cvt_u32_f32 s18, s18
	s_mul_u64 s[52:53], s[50:51], s[18:19]
	s_delay_alu instid0(SALU_CYCLE_1)
	s_mul_hi_u32 s79, s18, s53
	s_mul_i32 s78, s18, s53
	s_mul_hi_u32 s28, s18, s52
	s_mul_i32 s45, s19, s52
	s_add_nc_u64 s[78:79], s[28:29], s[78:79]
	s_mul_hi_u32 s44, s19, s52
	s_mul_hi_u32 s66, s19, s53
	s_add_co_u32 s28, s78, s45
	s_add_co_ci_u32 s28, s79, s44
	s_mul_i32 s52, s19, s53
	s_add_co_ci_u32 s53, s66, 0
	s_delay_alu instid0(SALU_CYCLE_1) | instskip(NEXT) | instid1(SALU_CYCLE_1)
	s_add_nc_u64 s[52:53], s[28:29], s[52:53]
	s_add_co_u32 s18, s18, s52
	s_cselect_b32 s28, -1, 0
	s_delay_alu instid0(SALU_CYCLE_1) | instskip(SKIP_1) | instid1(SALU_CYCLE_1)
	s_cmp_lg_u32 s28, 0
	s_add_co_ci_u32 s19, s19, s53
	s_mul_u64 s[50:51], s[50:51], s[18:19]
	s_delay_alu instid0(SALU_CYCLE_1)
	s_mul_hi_u32 s53, s18, s51
	s_mul_i32 s52, s18, s51
	s_mul_hi_u32 s28, s18, s50
	s_mul_i32 s45, s19, s50
	s_add_nc_u64 s[52:53], s[28:29], s[52:53]
	s_mul_hi_u32 s44, s19, s50
	s_mul_hi_u32 s66, s19, s51
	s_add_co_u32 s28, s52, s45
	s_add_co_ci_u32 s28, s53, s44
	s_mul_i32 s50, s19, s51
	s_add_co_ci_u32 s51, s66, 0
	s_delay_alu instid0(SALU_CYCLE_1) | instskip(NEXT) | instid1(SALU_CYCLE_1)
	s_add_nc_u64 s[50:51], s[28:29], s[50:51]
	s_add_co_u32 s18, s18, s50
	s_cselect_b32 s44, -1, 0
	s_mul_hi_u32 s28, s16, s18
	s_cmp_lg_u32 s44, 0
	s_mul_hi_u32 s44, s17, s18
	s_add_co_ci_u32 s45, s19, s51
	s_mul_i32 s51, s17, s18
	s_mul_hi_u32 s19, s16, s45
	s_mul_i32 s18, s16, s45
	s_mul_hi_u32 s52, s17, s45
	s_add_nc_u64 s[18:19], s[28:29], s[18:19]
	s_mul_i32 s50, s17, s45
	s_add_co_u32 s18, s18, s51
	s_add_co_ci_u32 s28, s19, s44
	s_add_co_ci_u32 s51, s52, 0
	s_delay_alu instid0(SALU_CYCLE_1) | instskip(NEXT) | instid1(SALU_CYCLE_1)
	s_add_nc_u64 s[18:19], s[28:29], s[50:51]
	s_and_b64 s[50:51], s[18:19], 0xffffffff00000000
	s_delay_alu instid0(SALU_CYCLE_1) | instskip(NEXT) | instid1(SALU_CYCLE_1)
	s_or_b32 s50, s50, s18
	s_mul_u64 s[18:19], s[34:35], s[50:51]
	s_delay_alu instid0(SALU_CYCLE_1) | instskip(SKIP_1) | instid1(SALU_CYCLE_1)
	s_sub_co_u32 s18, s16, s18
	s_cselect_b32 s28, -1, 0
	s_cmp_lg_u32 s28, 0
	s_sub_co_ci_u32 s19, s17, s19
	s_sub_co_u32 s28, s18, s34
	s_cselect_b32 s44, -1, 0
	s_delay_alu instid0(SALU_CYCLE_1) | instskip(SKIP_3) | instid1(SALU_CYCLE_1)
	s_cmp_lg_u32 s44, 0
	s_sub_co_ci_u32 s44, s19, 0
	s_sub_co_u32 s45, s28, s34
	s_cselect_b32 s50, -1, 0
	s_cmp_lg_u32 s50, 0
	s_sub_co_ci_u32 s50, s44, 0
	s_cmp_ge_u32 s28, s34
	s_cselect_b32 s51, -1, 0
	s_cmp_eq_u32 s44, 0
	s_cselect_b32 s51, s51, -1
	s_delay_alu instid0(SALU_CYCLE_1)
	s_cmp_lg_u32 s51, 0
	s_cselect_b32 s44, s50, s44
	s_cselect_b32 s28, s45, s28
	s_cmp_ge_u32 s18, s34
	s_cselect_b32 s45, -1, 0
	s_cmp_eq_u32 s19, 0
	s_cselect_b32 s45, s45, -1
	s_delay_alu instid0(SALU_CYCLE_1)
	s_cmp_lg_u32 s45, 0
	s_cselect_b32 s19, s44, s19
	s_cselect_b32 s18, s28, s18
	s_cbranch_execnz .LBB216_368
.LBB216_367:                            ;   in Loop: Header=BB216_6 Depth=1
	v_cvt_f32_u32_e32 v4, s34
	s_sub_co_i32 s19, 0, s34
	s_delay_alu instid0(VALU_DEP_1) | instskip(SKIP_1) | instid1(TRANS32_DEP_1)
	v_rcp_iflag_f32_e32 v4, v4
	v_nop
	v_mul_f32_e32 v4, 0x4f7ffffe, v4
	s_delay_alu instid0(VALU_DEP_1) | instskip(NEXT) | instid1(VALU_DEP_1)
	v_cvt_u32_f32_e32 v4, v4
	v_readfirstlane_b32 s18, v4
	s_mul_i32 s19, s19, s18
	s_delay_alu instid0(SALU_CYCLE_1) | instskip(NEXT) | instid1(SALU_CYCLE_1)
	s_mul_hi_u32 s19, s18, s19
	s_add_co_i32 s18, s18, s19
	s_delay_alu instid0(SALU_CYCLE_1) | instskip(NEXT) | instid1(SALU_CYCLE_1)
	s_mul_hi_u32 s18, s16, s18
	s_mul_i32 s18, s18, s34
	s_delay_alu instid0(SALU_CYCLE_1) | instskip(NEXT) | instid1(SALU_CYCLE_1)
	s_sub_co_i32 s18, s16, s18
	s_sub_co_i32 s19, s18, s34
	s_cmp_ge_u32 s18, s34
	s_cselect_b32 s18, s19, s18
	s_delay_alu instid0(SALU_CYCLE_1) | instskip(SKIP_2) | instid1(SALU_CYCLE_1)
	s_sub_co_i32 s19, s18, s34
	s_cmp_ge_u32 s18, s34
	s_cselect_b32 s28, s19, s18
	s_mov_b64 s[18:19], s[28:29]
.LBB216_368:                            ;   in Loop: Header=BB216_6 Depth=1
	s_delay_alu instid0(SALU_CYCLE_1)
	s_sub_nc_u64 s[16:17], s[16:17], s[18:19]
	s_mov_b32 s19, 0
	s_mov_b32 s18, 0
	s_mov_b32 s28, exec_lo
                                        ; implicit-def: $vgpr46
	v_cmpx_gt_u64_e64 s[16:17], v[0:1]
	s_cbranch_execz .LBB216_379
; %bb.369:                              ;   in Loop: Header=BB216_6 Depth=1
	v_mov_b64_e32 v[4:5], v[0:1]
	v_mov_b32_e32 v8, v38
                                        ; implicit-def: $sgpr50
	s_branch .LBB216_372
.LBB216_370:                            ;   in Loop: Header=BB216_372 Depth=2
	s_or_b32 exec_lo, exec_lo, s51
	s_wait_dscnt 0x0
	s_barrier_signal -1
	s_barrier_wait -1
	ds_load_b32 v9, v3 offset:3072
	s_mov_b32 s51, -1
	s_mov_b32 s52, -1
	s_wait_dscnt 0x0
	s_barrier_signal -1
	s_barrier_wait -1
	v_and_b32_e32 v10, 0x7fff, v9
	s_delay_alu instid0(VALU_DEP_1)
	v_cmp_ne_u32_e32 vcc_lo, 0, v10
	s_cbranch_vccz .LBB216_375
.LBB216_371:                            ;   in Loop: Header=BB216_372 Depth=2
	s_and_b32 s8, exec_lo, s51
	s_delay_alu instid0(SALU_CYCLE_1) | instskip(SKIP_2) | instid1(SALU_CYCLE_1)
	s_or_b32 s18, s8, s18
	s_and_not1_b32 s8, s50, exec_lo
	s_and_b32 s44, s52, exec_lo
	s_or_b32 s50, s8, s44
	s_and_not1_b32 exec_lo, exec_lo, s18
	s_cbranch_execz .LBB216_378
.LBB216_372:                            ;   Parent Loop BB216_6 Depth=1
                                        ; =>  This Inner Loop Header: Depth=2
	s_mov_b32 s51, exec_lo
	s_delay_alu instid0(VALU_DEP_2)
	v_cmpx_gt_u64_e64 s[10:11], v[4:5]
	s_cbranch_execz .LBB216_370
; %bb.373:                              ;   in Loop: Header=BB216_372 Depth=2
	ds_load_u16 v9, v8
	s_wait_dscnt 0x0
	v_cmp_lt_i16_e32 vcc_lo, -1, v9
	v_and_b32_e32 v10, 0xffff, v9
	v_dual_cndmask_b32 v11, 0xffff, v44 :: v_dual_lshlrev_b32 v30, 16, v9
	s_delay_alu instid0(VALU_DEP_1) | instskip(NEXT) | instid1(VALU_DEP_2)
	v_cmp_o_f32_e32 vcc_lo, v30, v30
	v_xor_b32_e32 v10, v11, v10
	s_delay_alu instid0(VALU_DEP_1) | instskip(NEXT) | instid1(VALU_DEP_1)
	v_cndmask_b32_e32 v10, 0xffff, v10, vcc_lo
	v_and_b32_e32 v10, v10, v45
	s_delay_alu instid0(VALU_DEP_1)
	v_cmp_eq_u32_e32 vcc_lo, v10, v42
	s_and_b32 exec_lo, exec_lo, vcc_lo
	s_cbranch_execz .LBB216_370
; %bb.374:                              ;   in Loop: Header=BB216_372 Depth=2
	v_perm_b32 v9, v9, s95, 0x5040100
	ds_store_b32 v3, v9 offset:3072
	s_branch .LBB216_370
.LBB216_375:                            ;   in Loop: Header=BB216_372 Depth=2
	v_add_nc_u64_e32 v[4:5], s[34:35], v[4:5]
	v_add_nc_u32_e32 v8, s93, v8
	s_mov_b32 s52, 0
	s_delay_alu instid0(VALU_DEP_2)
	v_cmp_le_u64_e32 vcc_lo, s[16:17], v[4:5]
	s_or_not1_b32 s51, vcc_lo, exec_lo
	s_branch .LBB216_371
.LBB216_376:                            ;   in Loop: Header=BB216_6 Depth=1
                                        ; implicit-def: $sgpr20_sgpr21
	s_branch .LBB216_322
.LBB216_377:                            ;   in Loop: Header=BB216_6 Depth=1
                                        ; implicit-def: $sgpr10_sgpr11
	s_branch .LBB216_338
.LBB216_378:                            ;   in Loop: Header=BB216_6 Depth=1
	s_or_b32 exec_lo, exec_lo, s18
	v_lshrrev_b32_e32 v46, 16, v9
	s_and_b32 s18, s50, exec_lo
.LBB216_379:                            ;   in Loop: Header=BB216_6 Depth=1
	s_or_b32 exec_lo, exec_lo, s28
.LBB216_380:                            ;   in Loop: Header=BB216_6 Depth=1
	s_delay_alu instid0(SALU_CYCLE_1)
	s_and_b32 vcc_lo, exec_lo, s19
	s_cbranch_vccz .LBB216_394
; %bb.381:                              ;   in Loop: Header=BB216_6 Depth=1
	s_and_b64 s[10:11], s[56:57], 0xffffffff00000000
	s_delay_alu instid0(SALU_CYCLE_1)
	s_cmp_lg_u64 s[10:11], 0
	s_cbranch_scc0 .LBB216_413
; %bb.382:                              ;   in Loop: Header=BB216_6 Depth=1
	s_cvt_f32_u32 s10, s34
	s_sub_nc_u64 s[16:17], 0, s[34:35]
	s_delay_alu instid0(SALU_CYCLE_2) | instskip(NEXT) | instid1(SALU_CYCLE_3)
	s_fmamk_f32 s10, s94, 0x0, s10
	v_s_rcp_f32 s10, s10
	s_delay_alu instid0(TRANS32_DEP_1) | instskip(NEXT) | instid1(SALU_CYCLE_3)
	s_mul_f32 s10, s10, 0x5f7ffffc
	s_mul_f32 s11, s10, 0x2f800000
	s_delay_alu instid0(SALU_CYCLE_3) | instskip(NEXT) | instid1(SALU_CYCLE_3)
	s_trunc_f32 s11, s11
	s_fmamk_f32 s10, s11, 0xcf800000, s10
	s_cvt_u32_f32 s11, s11
	s_delay_alu instid0(SALU_CYCLE_2) | instskip(NEXT) | instid1(SALU_CYCLE_3)
	s_cvt_u32_f32 s10, s10
	s_mul_u64 s[50:51], s[16:17], s[10:11]
	s_delay_alu instid0(SALU_CYCLE_1)
	s_mul_hi_u32 s53, s10, s51
	s_mul_i32 s52, s10, s51
	s_mul_hi_u32 s28, s10, s50
	s_mul_i32 s44, s11, s50
	s_add_nc_u64 s[52:53], s[28:29], s[52:53]
	s_mul_hi_u32 s19, s11, s50
	s_mul_hi_u32 s45, s11, s51
	s_add_co_u32 s28, s52, s44
	s_add_co_ci_u32 s28, s53, s19
	s_mul_i32 s50, s11, s51
	s_add_co_ci_u32 s51, s45, 0
	s_delay_alu instid0(SALU_CYCLE_1) | instskip(NEXT) | instid1(SALU_CYCLE_1)
	s_add_nc_u64 s[50:51], s[28:29], s[50:51]
	s_add_co_u32 s10, s10, s50
	s_cselect_b32 s19, -1, 0
	s_delay_alu instid0(SALU_CYCLE_1) | instskip(SKIP_1) | instid1(SALU_CYCLE_1)
	s_cmp_lg_u32 s19, 0
	s_add_co_ci_u32 s11, s11, s51
	s_mul_u64 s[16:17], s[16:17], s[10:11]
	s_delay_alu instid0(SALU_CYCLE_1)
	s_mul_hi_u32 s51, s10, s17
	s_mul_i32 s50, s10, s17
	s_mul_hi_u32 s28, s10, s16
	s_mul_i32 s44, s11, s16
	s_add_nc_u64 s[50:51], s[28:29], s[50:51]
	s_mul_hi_u32 s19, s11, s16
	s_mul_hi_u32 s45, s11, s17
	s_mul_i32 s16, s11, s17
	s_add_co_u32 s17, s50, s44
	s_add_co_ci_u32 s28, s51, s19
	s_add_co_ci_u32 s17, s45, 0
	s_delay_alu instid0(SALU_CYCLE_1) | instskip(NEXT) | instid1(SALU_CYCLE_1)
	s_add_nc_u64 s[16:17], s[28:29], s[16:17]
	s_add_co_u32 s10, s10, s16
	s_cselect_b32 s16, -1, 0
	s_mul_hi_u32 s28, s56, s10
	s_cmp_lg_u32 s16, 0
	s_mul_hi_u32 s19, s57, s10
	s_add_co_ci_u32 s16, s11, s17
	s_mul_i32 s17, s57, s10
	s_mul_hi_u32 s11, s56, s16
	s_mul_i32 s10, s56, s16
	s_mul_hi_u32 s44, s57, s16
	s_add_nc_u64 s[10:11], s[28:29], s[10:11]
	s_mul_i32 s16, s57, s16
	s_add_co_u32 s10, s10, s17
	s_add_co_ci_u32 s28, s11, s19
	s_add_co_ci_u32 s17, s44, 0
	s_delay_alu instid0(SALU_CYCLE_1) | instskip(NEXT) | instid1(SALU_CYCLE_1)
	s_add_nc_u64 s[10:11], s[28:29], s[16:17]
	s_and_b64 s[16:17], s[10:11], 0xffffffff00000000
	s_delay_alu instid0(SALU_CYCLE_1) | instskip(NEXT) | instid1(SALU_CYCLE_1)
	s_or_b32 s16, s16, s10
	s_mul_u64 s[10:11], s[34:35], s[16:17]
	s_delay_alu instid0(SALU_CYCLE_1) | instskip(SKIP_1) | instid1(SALU_CYCLE_1)
	s_sub_co_u32 s10, s56, s10
	s_cselect_b32 s16, -1, 0
	s_cmp_lg_u32 s16, 0
	s_sub_co_ci_u32 s11, s57, s11
	s_sub_co_u32 s16, s10, s34
	s_cselect_b32 s17, -1, 0
	s_delay_alu instid0(SALU_CYCLE_1) | instskip(SKIP_3) | instid1(SALU_CYCLE_1)
	s_cmp_lg_u32 s17, 0
	s_sub_co_ci_u32 s17, s11, 0
	s_sub_co_u32 s19, s16, s34
	s_cselect_b32 s28, -1, 0
	s_cmp_lg_u32 s28, 0
	s_sub_co_ci_u32 s28, s17, 0
	s_cmp_ge_u32 s16, s34
	s_cselect_b32 s44, -1, 0
	s_cmp_eq_u32 s17, 0
	s_cselect_b32 s44, s44, -1
	s_delay_alu instid0(SALU_CYCLE_1)
	s_cmp_lg_u32 s44, 0
	s_cselect_b32 s17, s28, s17
	s_cselect_b32 s16, s19, s16
	s_cmp_ge_u32 s10, s34
	s_cselect_b32 s19, -1, 0
	s_cmp_eq_u32 s11, 0
	s_cselect_b32 s19, s19, -1
	s_delay_alu instid0(SALU_CYCLE_1)
	s_cmp_lg_u32 s19, 0
	s_cselect_b32 s11, s17, s11
	s_cselect_b32 s10, s16, s10
	s_cbranch_execnz .LBB216_384
.LBB216_383:                            ;   in Loop: Header=BB216_6 Depth=1
	v_cvt_f32_u32_e32 v4, s34
	s_sub_co_i32 s11, 0, s34
	s_delay_alu instid0(VALU_DEP_1) | instskip(SKIP_1) | instid1(TRANS32_DEP_1)
	v_rcp_iflag_f32_e32 v4, v4
	v_nop
	v_mul_f32_e32 v4, 0x4f7ffffe, v4
	s_delay_alu instid0(VALU_DEP_1) | instskip(NEXT) | instid1(VALU_DEP_1)
	v_cvt_u32_f32_e32 v4, v4
	v_readfirstlane_b32 s10, v4
	s_mul_i32 s11, s11, s10
	s_delay_alu instid0(SALU_CYCLE_1) | instskip(NEXT) | instid1(SALU_CYCLE_1)
	s_mul_hi_u32 s11, s10, s11
	s_add_co_i32 s10, s10, s11
	s_delay_alu instid0(SALU_CYCLE_1) | instskip(NEXT) | instid1(SALU_CYCLE_1)
	s_mul_hi_u32 s10, s56, s10
	s_mul_i32 s10, s10, s34
	s_delay_alu instid0(SALU_CYCLE_1) | instskip(NEXT) | instid1(SALU_CYCLE_1)
	s_sub_co_i32 s10, s56, s10
	s_sub_co_i32 s11, s10, s34
	s_cmp_ge_u32 s10, s34
	s_cselect_b32 s10, s11, s10
	s_delay_alu instid0(SALU_CYCLE_1) | instskip(SKIP_2) | instid1(SALU_CYCLE_1)
	s_sub_co_i32 s11, s10, s34
	s_cmp_ge_u32 s10, s34
	s_cselect_b32 s28, s11, s10
	s_mov_b64 s[10:11], s[28:29]
.LBB216_384:                            ;   in Loop: Header=BB216_6 Depth=1
	s_delay_alu instid0(SALU_CYCLE_1)
	s_sub_nc_u64 s[10:11], s[56:57], s[10:11]
	s_mov_b32 s16, exec_lo
                                        ; implicit-def: $vgpr46
	v_nop
	v_cmpx_gt_u64_e64 s[10:11], v[0:1]
	s_cbranch_execz .LBB216_393
; %bb.385:                              ;   in Loop: Header=BB216_6 Depth=1
	v_mov_b64_e32 v[4:5], v[14:15]
	v_mov_b64_e32 v[8:9], v[0:1]
	s_mov_b32 s17, 0
                                        ; implicit-def: $sgpr19
	s_branch .LBB216_388
.LBB216_386:                            ;   in Loop: Header=BB216_388 Depth=2
	s_or_b32 exec_lo, exec_lo, s28
	s_wait_dscnt 0x0
	s_barrier_signal -1
	s_barrier_wait -1
	ds_load_b32 v10, v3 offset:3072
	s_mov_b32 s28, -1
	s_mov_b32 s50, -1
	s_wait_dscnt 0x0
	s_barrier_signal -1
	s_barrier_wait -1
	v_and_b32_e32 v11, 0x7fff, v10
	s_delay_alu instid0(VALU_DEP_1)
	v_cmp_eq_u32_e32 vcc_lo, 0, v11
	s_cbranch_vccnz .LBB216_391
.LBB216_387:                            ;   in Loop: Header=BB216_388 Depth=2
	s_and_b32 s8, exec_lo, s28
	s_delay_alu instid0(SALU_CYCLE_1) | instskip(SKIP_2) | instid1(SALU_CYCLE_1)
	s_or_b32 s17, s8, s17
	s_and_not1_b32 s8, s19, exec_lo
	s_and_b32 s19, s50, exec_lo
	s_or_b32 s19, s8, s19
	s_and_not1_b32 exec_lo, exec_lo, s17
	s_cbranch_execz .LBB216_392
.LBB216_388:                            ;   Parent Loop BB216_6 Depth=1
                                        ; =>  This Inner Loop Header: Depth=2
	s_mov_b32 s28, exec_lo
	s_delay_alu instid0(VALU_DEP_1)
	v_cmpx_gt_u64_e64 s[36:37], v[8:9]
	s_cbranch_execz .LBB216_386
; %bb.389:                              ;   in Loop: Header=BB216_388 Depth=2
	global_load_u16 v10, v[4:5], off
	s_wait_loadcnt 0x0
	v_cmp_lt_i16_e32 vcc_lo, -1, v10
	v_and_b32_e32 v11, 0xffff, v10
	v_dual_cndmask_b32 v30, 0xffff, v44 :: v_dual_lshlrev_b32 v31, 16, v10
	s_delay_alu instid0(VALU_DEP_1) | instskip(NEXT) | instid1(VALU_DEP_2)
	v_cmp_o_f32_e32 vcc_lo, v31, v31
	v_xor_b32_e32 v11, v30, v11
	s_delay_alu instid0(VALU_DEP_1) | instskip(NEXT) | instid1(VALU_DEP_1)
	v_cndmask_b32_e32 v11, 0xffff, v11, vcc_lo
	v_and_b32_e32 v11, v11, v45
	s_delay_alu instid0(VALU_DEP_1)
	v_cmp_eq_u32_e32 vcc_lo, v11, v42
	s_and_b32 exec_lo, exec_lo, vcc_lo
	s_cbranch_execz .LBB216_386
; %bb.390:                              ;   in Loop: Header=BB216_388 Depth=2
	v_perm_b32 v10, v10, s95, 0x5040100
	ds_store_b32 v3, v10 offset:3072
	s_branch .LBB216_386
.LBB216_391:                            ;   in Loop: Header=BB216_388 Depth=2
	v_add_nc_u64_e32 v[8:9], s[34:35], v[8:9]
	v_add_nc_u64_e32 v[4:5], s[40:41], v[4:5]
	s_mov_b32 s50, 0
	s_delay_alu instid0(VALU_DEP_2)
	v_cmp_le_u64_e32 vcc_lo, s[10:11], v[8:9]
	s_or_not1_b32 s28, vcc_lo, exec_lo
	s_branch .LBB216_387
.LBB216_392:                            ;   in Loop: Header=BB216_6 Depth=1
	s_or_b32 exec_lo, exec_lo, s17
	v_lshrrev_b32_e32 v46, 16, v10
	s_and_not1_b32 s8, s18, exec_lo
	s_and_b32 s10, s19, exec_lo
	s_delay_alu instid0(SALU_CYCLE_1)
	s_or_b32 s18, s8, s10
.LBB216_393:                            ;   in Loop: Header=BB216_6 Depth=1
	s_or_b32 exec_lo, exec_lo, s16
	s_mov_b32 s73, 0
	s_mov_b32 s75, -1
.LBB216_394:                            ;   in Loop: Header=BB216_6 Depth=1
	s_or_not1_b32 s10, s18, exec_lo
.LBB216_395:                            ;   in Loop: Header=BB216_6 Depth=1
	s_or_b32 exec_lo, exec_lo, s77
	s_mov_b32 s11, 0
	s_and_saveexec_b32 s18, s10
	s_cbranch_execz .LBB216_457
; %bb.396:                              ;   in Loop: Header=BB216_6 Depth=1
	v_mov_b64_e32 v[4:5], 1
	v_mov_b32_e32 v2, 1
	s_xor_b32 s16, s76, -1
	s_delay_alu instid0(SALU_CYCLE_1)
	s_and_saveexec_b32 s10, s16
	s_cbranch_execz .LBB216_405
; %bb.397:                              ;   in Loop: Header=BB216_6 Depth=1
	s_mov_b32 s11, exec_lo
	v_cmpx_ge_u64_e64 s[14:15], v[6:7]
	s_xor_b32 s11, exec_lo, s11
	s_cbranch_execz .LBB216_402
; %bb.398:                              ;   in Loop: Header=BB216_6 Depth=1
	ds_load_b64 v[4:5], v3 offset:5120
	s_lshl_b32 s16, 1, s96
	v_or_b32_e32 v45, s24, v45
	v_and_or_b32 v42, v42, s25, s16
	s_wait_dscnt 0x0
	v_cmp_ne_u64_e32 vcc_lo, 0, v[4:5]
	s_cbranch_vccnz .LBB216_402
; %bb.399:                              ;   in Loop: Header=BB216_6 Depth=1
	s_and_saveexec_b32 s16, s5
; %bb.400:                              ;   in Loop: Header=BB216_6 Depth=1
	v_mov_b64_e32 v[4:5], s[14:15]
	ds_store_b64 v3, v[4:5] offset:5128
; %bb.401:                              ;   in Loop: Header=BB216_6 Depth=1
	s_or_b32 exec_lo, exec_lo, s16
	s_wait_dscnt 0x0
	s_barrier_signal -1
	s_barrier_wait -1
.LBB216_402:                            ;   in Loop: Header=BB216_6 Depth=1
	s_or_saveexec_b32 s11, s11
	v_mov_b32_e32 v2, 5
	s_mov_b32 s16, 0
	s_xor_b32 exec_lo, exec_lo, s11
; %bb.403:                              ;   in Loop: Header=BB216_6 Depth=1
	v_sub_nc_u64_e64 v[6:7], v[6:7], s[14:15]
	v_mov_b32_e32 v2, 0
	s_mov_b32 s16, exec_lo
; %bb.404:                              ;   in Loop: Header=BB216_6 Depth=1
	s_or_b32 exec_lo, exec_lo, s11
	s_delay_alu instid0(VALU_DEP_2)
	v_mov_b64_e32 v[4:5], v[6:7]
	s_and_b32 s11, s16, exec_lo
.LBB216_405:                            ;   in Loop: Header=BB216_6 Depth=1
	s_or_b32 exec_lo, exec_lo, s10
	s_mov_b32 s10, -1
                                        ; implicit-def: $sgpr50
                                        ; implicit-def: $sgpr78
	s_and_saveexec_b32 s19, s11
	s_cbranch_execz .LBB216_456
; %bb.406:                              ;   in Loop: Header=BB216_6 Depth=1
	s_delay_alu instid0(VALU_DEP_1) | instskip(SKIP_3) | instid1(SALU_CYCLE_1)
	v_cmp_eq_u64_e32 vcc_lo, 1, v[4:5]
	s_cmp_eq_u64 s[12:13], 1
	s_mov_b32 s11, -1
	s_cselect_b32 s10, -1, 0
                                        ; implicit-def: $sgpr50
                                        ; implicit-def: $sgpr78
	s_and_b32 s76, s10, vcc_lo
	s_delay_alu instid0(SALU_CYCLE_1)
	s_and_saveexec_b32 s77, s76
	s_cbranch_execz .LBB216_444
; %bb.407:                              ;   in Loop: Header=BB216_6 Depth=1
	ds_load_b64 v[6:7], v3 offset:5120
	s_wait_dscnt 0x0
	s_barrier_signal -1
	s_barrier_wait -1
	v_readfirstlane_b32 s10, v6
	v_readfirstlane_b32 s11, v7
	s_and_saveexec_b32 s14, s6
; %bb.408:                              ;   in Loop: Header=BB216_6 Depth=1
	ds_store_b16 v39, v3
; %bb.409:                              ;   in Loop: Header=BB216_6 Depth=1
	s_or_b32 exec_lo, exec_lo, s14
	v_and_b32_e32 v42, s25, v42
	v_or_b32_e32 v45, s24, v45
	s_mov_b32 s78, -1
	s_mov_b32 s50, 0
	s_cmp_eq_u64 s[10:11], 0
	s_mov_b32 s16, 0
	s_mov_b32 s17, -1
	s_wait_dscnt 0x0
	s_barrier_signal -1
	s_barrier_wait -1
                                        ; implicit-def: $vgpr46
	s_cbranch_scc1 .LBB216_427
; %bb.410:                              ;   in Loop: Header=BB216_6 Depth=1
	s_add_nc_u64 s[14:15], s[10:11], s[54:55]
	s_delay_alu instid0(SALU_CYCLE_1) | instskip(NEXT) | instid1(SALU_CYCLE_1)
	s_and_b64 s[16:17], s[14:15], 0xffffffff00000000
	s_cmp_lg_u64 s[16:17], 0
	s_cbranch_scc0 .LBB216_414
; %bb.411:                              ;   in Loop: Header=BB216_6 Depth=1
	s_cvt_f32_u32 s16, s34
	s_sub_nc_u64 s[52:53], 0, s[34:35]
	s_delay_alu instid0(SALU_CYCLE_2) | instskip(NEXT) | instid1(SALU_CYCLE_3)
	s_fmamk_f32 s16, s94, 0x0, s16
	v_s_rcp_f32 s16, s16
	s_delay_alu instid0(TRANS32_DEP_1) | instskip(NEXT) | instid1(SALU_CYCLE_3)
	s_mul_f32 s16, s16, 0x5f7ffffc
	s_mul_f32 s17, s16, 0x2f800000
	s_delay_alu instid0(SALU_CYCLE_3) | instskip(NEXT) | instid1(SALU_CYCLE_3)
	s_trunc_f32 s17, s17
	s_fmamk_f32 s16, s17, 0xcf800000, s16
	s_cvt_u32_f32 s17, s17
	s_delay_alu instid0(SALU_CYCLE_2) | instskip(NEXT) | instid1(SALU_CYCLE_3)
	s_cvt_u32_f32 s16, s16
	s_mul_u64 s[80:81], s[52:53], s[16:17]
	s_delay_alu instid0(SALU_CYCLE_1)
	s_mul_hi_u32 s83, s16, s81
	s_mul_i32 s82, s16, s81
	s_mul_hi_u32 s28, s16, s80
	s_mul_i32 s45, s17, s80
	s_add_nc_u64 s[82:83], s[28:29], s[82:83]
	s_mul_hi_u32 s44, s17, s80
	s_mul_hi_u32 s51, s17, s81
	s_add_co_u32 s28, s82, s45
	s_add_co_ci_u32 s28, s83, s44
	s_mul_i32 s80, s17, s81
	s_add_co_ci_u32 s81, s51, 0
	s_delay_alu instid0(SALU_CYCLE_1) | instskip(NEXT) | instid1(SALU_CYCLE_1)
	s_add_nc_u64 s[80:81], s[28:29], s[80:81]
	s_add_co_u32 s16, s16, s80
	s_cselect_b32 s28, -1, 0
	s_delay_alu instid0(SALU_CYCLE_1) | instskip(SKIP_1) | instid1(SALU_CYCLE_1)
	s_cmp_lg_u32 s28, 0
	s_add_co_ci_u32 s17, s17, s81
	s_mul_u64 s[52:53], s[52:53], s[16:17]
	s_delay_alu instid0(SALU_CYCLE_1)
	s_mul_hi_u32 s81, s16, s53
	s_mul_i32 s80, s16, s53
	s_mul_hi_u32 s28, s16, s52
	s_mul_i32 s45, s17, s52
	s_add_nc_u64 s[80:81], s[28:29], s[80:81]
	s_mul_hi_u32 s44, s17, s52
	s_mul_hi_u32 s51, s17, s53
	s_add_co_u32 s28, s80, s45
	s_add_co_ci_u32 s28, s81, s44
	s_mul_i32 s52, s17, s53
	s_add_co_ci_u32 s53, s51, 0
	s_delay_alu instid0(SALU_CYCLE_1) | instskip(NEXT) | instid1(SALU_CYCLE_1)
	s_add_nc_u64 s[52:53], s[28:29], s[52:53]
	s_add_co_u32 s16, s16, s52
	s_cselect_b32 s44, -1, 0
	s_mul_hi_u32 s28, s14, s16
	s_cmp_lg_u32 s44, 0
	s_mul_hi_u32 s44, s15, s16
	s_add_co_ci_u32 s45, s17, s53
	s_mul_i32 s51, s15, s16
	s_mul_hi_u32 s17, s14, s45
	s_mul_i32 s16, s14, s45
	s_mul_hi_u32 s53, s15, s45
	s_add_nc_u64 s[16:17], s[28:29], s[16:17]
	s_mul_i32 s52, s15, s45
	s_add_co_u32 s16, s16, s51
	s_add_co_ci_u32 s28, s17, s44
	s_add_co_ci_u32 s53, s53, 0
	s_delay_alu instid0(SALU_CYCLE_1) | instskip(NEXT) | instid1(SALU_CYCLE_1)
	s_add_nc_u64 s[16:17], s[28:29], s[52:53]
	s_and_b64 s[52:53], s[16:17], 0xffffffff00000000
	s_delay_alu instid0(SALU_CYCLE_1) | instskip(NEXT) | instid1(SALU_CYCLE_1)
	s_or_b32 s52, s52, s16
	s_mul_u64 s[16:17], s[34:35], s[52:53]
	s_delay_alu instid0(SALU_CYCLE_1) | instskip(SKIP_1) | instid1(SALU_CYCLE_1)
	s_sub_co_u32 s16, s14, s16
	s_cselect_b32 s28, -1, 0
	s_cmp_lg_u32 s28, 0
	s_sub_co_ci_u32 s17, s15, s17
	s_sub_co_u32 s28, s16, s34
	s_cselect_b32 s44, -1, 0
	s_delay_alu instid0(SALU_CYCLE_1) | instskip(SKIP_3) | instid1(SALU_CYCLE_1)
	s_cmp_lg_u32 s44, 0
	s_sub_co_ci_u32 s44, s17, 0
	s_sub_co_u32 s45, s28, s34
	s_cselect_b32 s51, -1, 0
	s_cmp_lg_u32 s51, 0
	s_sub_co_ci_u32 s51, s44, 0
	s_cmp_ge_u32 s28, s34
	s_cselect_b32 s52, -1, 0
	s_cmp_eq_u32 s44, 0
	s_cselect_b32 s52, s52, -1
	s_delay_alu instid0(SALU_CYCLE_1)
	s_cmp_lg_u32 s52, 0
	s_cselect_b32 s44, s51, s44
	s_cselect_b32 s28, s45, s28
	s_cmp_ge_u32 s16, s34
	s_cselect_b32 s45, -1, 0
	s_cmp_eq_u32 s17, 0
	s_cselect_b32 s45, s45, -1
	s_delay_alu instid0(SALU_CYCLE_1)
	s_cmp_lg_u32 s45, 0
	s_cselect_b32 s17, s44, s17
	s_cselect_b32 s16, s28, s16
	s_mov_b32 s28, 0
	s_branch .LBB216_415
.LBB216_412:                            ;   in Loop: Header=BB216_6 Depth=1
                                        ; implicit-def: $sgpr18_sgpr19
	s_branch .LBB216_367
.LBB216_413:                            ;   in Loop: Header=BB216_6 Depth=1
                                        ; implicit-def: $sgpr10_sgpr11
	s_branch .LBB216_383
.LBB216_414:                            ;   in Loop: Header=BB216_6 Depth=1
	s_mov_b32 s28, -1
                                        ; implicit-def: $sgpr16_sgpr17
.LBB216_415:                            ;   in Loop: Header=BB216_6 Depth=1
	s_delay_alu instid0(SALU_CYCLE_1)
	s_and_not1_b32 vcc_lo, exec_lo, s28
	s_cbranch_vccnz .LBB216_417
; %bb.416:                              ;   in Loop: Header=BB216_6 Depth=1
	v_cvt_f32_u32_e32 v6, s34
	s_sub_co_i32 s17, 0, s34
	s_delay_alu instid0(VALU_DEP_1) | instskip(SKIP_1) | instid1(TRANS32_DEP_1)
	v_rcp_iflag_f32_e32 v6, v6
	v_nop
	v_mul_f32_e32 v6, 0x4f7ffffe, v6
	s_delay_alu instid0(VALU_DEP_1) | instskip(NEXT) | instid1(VALU_DEP_1)
	v_cvt_u32_f32_e32 v6, v6
	v_readfirstlane_b32 s16, v6
	s_mul_i32 s17, s17, s16
	s_delay_alu instid0(SALU_CYCLE_1) | instskip(NEXT) | instid1(SALU_CYCLE_1)
	s_mul_hi_u32 s17, s16, s17
	s_add_co_i32 s16, s16, s17
	s_delay_alu instid0(SALU_CYCLE_1) | instskip(NEXT) | instid1(SALU_CYCLE_1)
	s_mul_hi_u32 s16, s14, s16
	s_mul_i32 s16, s16, s34
	s_delay_alu instid0(SALU_CYCLE_1) | instskip(NEXT) | instid1(SALU_CYCLE_1)
	s_sub_co_i32 s16, s14, s16
	s_sub_co_i32 s17, s16, s34
	s_cmp_ge_u32 s16, s34
	s_cselect_b32 s16, s17, s16
	s_delay_alu instid0(SALU_CYCLE_1) | instskip(SKIP_2) | instid1(SALU_CYCLE_1)
	s_sub_co_i32 s17, s16, s34
	s_cmp_ge_u32 s16, s34
	s_cselect_b32 s28, s17, s16
	s_mov_b64 s[16:17], s[28:29]
.LBB216_417:                            ;   in Loop: Header=BB216_6 Depth=1
	s_delay_alu instid0(SALU_CYCLE_1)
	s_sub_nc_u64 s[14:15], s[14:15], s[16:17]
	s_mov_b32 s17, 0
	s_mov_b32 s16, 0
	s_mov_b32 s28, exec_lo
                                        ; implicit-def: $vgpr46
	v_cmpx_gt_u64_e64 s[14:15], v[0:1]
	s_cbranch_execz .LBB216_426
; %bb.418:                              ;   in Loop: Header=BB216_6 Depth=1
	v_mov_b64_e32 v[6:7], v[0:1]
	v_mov_b32_e32 v8, v38
                                        ; implicit-def: $sgpr51
	s_branch .LBB216_421
.LBB216_419:                            ;   in Loop: Header=BB216_421 Depth=2
	s_or_b32 exec_lo, exec_lo, s52
	s_wait_dscnt 0x0
	s_barrier_signal -1
	s_barrier_wait -1
	ds_load_b32 v9, v3 offset:3072
	s_mov_b32 s52, -1
	s_mov_b32 s53, -1
	s_wait_dscnt 0x0
	s_barrier_signal -1
	s_barrier_wait -1
	v_and_b32_e32 v10, 0x7fff, v9
	s_delay_alu instid0(VALU_DEP_1)
	v_cmp_ne_u32_e32 vcc_lo, 0, v10
	s_cbranch_vccz .LBB216_424
.LBB216_420:                            ;   in Loop: Header=BB216_421 Depth=2
	s_and_b32 s8, exec_lo, s52
	s_delay_alu instid0(SALU_CYCLE_1) | instskip(SKIP_2) | instid1(SALU_CYCLE_1)
	s_or_b32 s16, s8, s16
	s_and_not1_b32 s8, s51, exec_lo
	s_and_b32 s44, s53, exec_lo
	s_or_b32 s51, s8, s44
	s_and_not1_b32 exec_lo, exec_lo, s16
	s_cbranch_execz .LBB216_425
.LBB216_421:                            ;   Parent Loop BB216_6 Depth=1
                                        ; =>  This Inner Loop Header: Depth=2
	s_mov_b32 s52, exec_lo
	s_delay_alu instid0(VALU_DEP_2)
	v_cmpx_gt_u64_e64 s[10:11], v[6:7]
	s_cbranch_execz .LBB216_419
; %bb.422:                              ;   in Loop: Header=BB216_421 Depth=2
	ds_load_u16 v9, v8
	s_wait_dscnt 0x0
	v_cmp_lt_i16_e32 vcc_lo, -1, v9
	v_and_b32_e32 v10, 0xffff, v9
	v_dual_cndmask_b32 v11, 0xffff, v44 :: v_dual_lshlrev_b32 v30, 16, v9
	s_delay_alu instid0(VALU_DEP_1) | instskip(NEXT) | instid1(VALU_DEP_2)
	v_cmp_o_f32_e32 vcc_lo, v30, v30
	v_xor_b32_e32 v10, v11, v10
	s_delay_alu instid0(VALU_DEP_1) | instskip(NEXT) | instid1(VALU_DEP_1)
	v_cndmask_b32_e32 v10, 0xffff, v10, vcc_lo
	v_and_b32_e32 v10, v10, v45
	s_delay_alu instid0(VALU_DEP_1)
	v_cmp_eq_u32_e32 vcc_lo, v10, v42
	s_and_b32 exec_lo, exec_lo, vcc_lo
	s_cbranch_execz .LBB216_419
; %bb.423:                              ;   in Loop: Header=BB216_421 Depth=2
	v_perm_b32 v9, v9, s95, 0x5040100
	ds_store_b32 v3, v9 offset:3072
	s_branch .LBB216_419
.LBB216_424:                            ;   in Loop: Header=BB216_421 Depth=2
	v_add_nc_u64_e32 v[6:7], s[34:35], v[6:7]
	v_add_nc_u32_e32 v8, s93, v8
	s_mov_b32 s53, 0
	s_delay_alu instid0(VALU_DEP_2)
	v_cmp_le_u64_e32 vcc_lo, s[14:15], v[6:7]
	s_or_not1_b32 s52, vcc_lo, exec_lo
	s_branch .LBB216_420
.LBB216_425:                            ;   in Loop: Header=BB216_6 Depth=1
	s_or_b32 exec_lo, exec_lo, s16
	v_lshrrev_b32_e32 v46, 16, v9
	s_and_b32 s16, s51, exec_lo
.LBB216_426:                            ;   in Loop: Header=BB216_6 Depth=1
	s_or_b32 exec_lo, exec_lo, s28
.LBB216_427:                            ;   in Loop: Header=BB216_6 Depth=1
	s_delay_alu instid0(SALU_CYCLE_1)
	s_and_b32 vcc_lo, exec_lo, s17
	s_cbranch_vccz .LBB216_443
; %bb.428:                              ;   in Loop: Header=BB216_6 Depth=1
	s_and_b64 s[10:11], s[56:57], 0xffffffff00000000
	s_delay_alu instid0(SALU_CYCLE_1)
	s_cmp_lg_u64 s[10:11], 0
	s_cbranch_scc0 .LBB216_430
; %bb.429:                              ;   in Loop: Header=BB216_6 Depth=1
	s_cvt_f32_u32 s10, s34
	s_sub_nc_u64 s[14:15], 0, s[34:35]
	s_delay_alu instid0(SALU_CYCLE_2) | instskip(NEXT) | instid1(SALU_CYCLE_3)
	s_fmamk_f32 s10, s94, 0x0, s10
	v_s_rcp_f32 s10, s10
	s_delay_alu instid0(TRANS32_DEP_1) | instskip(NEXT) | instid1(SALU_CYCLE_3)
	s_mul_f32 s10, s10, 0x5f7ffffc
	s_mul_f32 s11, s10, 0x2f800000
	s_delay_alu instid0(SALU_CYCLE_3) | instskip(NEXT) | instid1(SALU_CYCLE_3)
	s_trunc_f32 s11, s11
	s_fmamk_f32 s10, s11, 0xcf800000, s10
	s_cvt_u32_f32 s11, s11
	s_delay_alu instid0(SALU_CYCLE_2) | instskip(NEXT) | instid1(SALU_CYCLE_3)
	s_cvt_u32_f32 s10, s10
	s_mul_u64 s[50:51], s[14:15], s[10:11]
	s_delay_alu instid0(SALU_CYCLE_1)
	s_mul_hi_u32 s53, s10, s51
	s_mul_i32 s52, s10, s51
	s_mul_hi_u32 s28, s10, s50
	s_mul_i32 s44, s11, s50
	s_add_nc_u64 s[52:53], s[28:29], s[52:53]
	s_mul_hi_u32 s17, s11, s50
	s_mul_hi_u32 s45, s11, s51
	s_add_co_u32 s28, s52, s44
	s_add_co_ci_u32 s28, s53, s17
	s_mul_i32 s50, s11, s51
	s_add_co_ci_u32 s51, s45, 0
	s_delay_alu instid0(SALU_CYCLE_1) | instskip(NEXT) | instid1(SALU_CYCLE_1)
	s_add_nc_u64 s[50:51], s[28:29], s[50:51]
	s_add_co_u32 s10, s10, s50
	s_cselect_b32 s17, -1, 0
	s_delay_alu instid0(SALU_CYCLE_1) | instskip(SKIP_1) | instid1(SALU_CYCLE_1)
	s_cmp_lg_u32 s17, 0
	s_add_co_ci_u32 s11, s11, s51
	s_mul_u64 s[14:15], s[14:15], s[10:11]
	s_delay_alu instid0(SALU_CYCLE_1)
	s_mul_hi_u32 s51, s10, s15
	s_mul_i32 s50, s10, s15
	s_mul_hi_u32 s28, s10, s14
	s_mul_i32 s44, s11, s14
	s_add_nc_u64 s[50:51], s[28:29], s[50:51]
	s_mul_hi_u32 s17, s11, s14
	s_mul_hi_u32 s45, s11, s15
	s_mul_i32 s14, s11, s15
	s_add_co_u32 s15, s50, s44
	s_add_co_ci_u32 s28, s51, s17
	s_add_co_ci_u32 s15, s45, 0
	s_delay_alu instid0(SALU_CYCLE_1) | instskip(NEXT) | instid1(SALU_CYCLE_1)
	s_add_nc_u64 s[14:15], s[28:29], s[14:15]
	s_add_co_u32 s10, s10, s14
	s_cselect_b32 s14, -1, 0
	s_mul_hi_u32 s28, s56, s10
	s_cmp_lg_u32 s14, 0
	s_mul_hi_u32 s17, s57, s10
	s_add_co_ci_u32 s14, s11, s15
	s_mul_i32 s15, s57, s10
	s_mul_hi_u32 s11, s56, s14
	s_mul_i32 s10, s56, s14
	s_mul_hi_u32 s44, s57, s14
	s_add_nc_u64 s[10:11], s[28:29], s[10:11]
	s_mul_i32 s14, s57, s14
	s_add_co_u32 s10, s10, s15
	s_add_co_ci_u32 s28, s11, s17
	s_add_co_ci_u32 s15, s44, 0
	s_delay_alu instid0(SALU_CYCLE_1) | instskip(NEXT) | instid1(SALU_CYCLE_1)
	s_add_nc_u64 s[10:11], s[28:29], s[14:15]
	s_and_b64 s[14:15], s[10:11], 0xffffffff00000000
	s_delay_alu instid0(SALU_CYCLE_1) | instskip(NEXT) | instid1(SALU_CYCLE_1)
	s_or_b32 s14, s14, s10
	s_mul_u64 s[10:11], s[34:35], s[14:15]
	s_delay_alu instid0(SALU_CYCLE_1) | instskip(SKIP_1) | instid1(SALU_CYCLE_1)
	s_sub_co_u32 s10, s56, s10
	s_cselect_b32 s14, -1, 0
	s_cmp_lg_u32 s14, 0
	s_sub_co_ci_u32 s11, s57, s11
	s_sub_co_u32 s14, s10, s34
	s_cselect_b32 s15, -1, 0
	s_delay_alu instid0(SALU_CYCLE_1) | instskip(SKIP_3) | instid1(SALU_CYCLE_1)
	s_cmp_lg_u32 s15, 0
	s_sub_co_ci_u32 s15, s11, 0
	s_sub_co_u32 s17, s14, s34
	s_cselect_b32 s28, -1, 0
	s_cmp_lg_u32 s28, 0
	s_sub_co_ci_u32 s28, s15, 0
	s_cmp_ge_u32 s14, s34
	s_cselect_b32 s44, -1, 0
	s_cmp_eq_u32 s15, 0
	s_cselect_b32 s44, s44, -1
	s_delay_alu instid0(SALU_CYCLE_1)
	s_cmp_lg_u32 s44, 0
	s_cselect_b32 s15, s28, s15
	s_cselect_b32 s14, s17, s14
	s_cmp_ge_u32 s10, s34
	s_cselect_b32 s17, -1, 0
	s_cmp_eq_u32 s11, 0
	s_cselect_b32 s17, s17, -1
	s_delay_alu instid0(SALU_CYCLE_1)
	s_cmp_lg_u32 s17, 0
	s_cselect_b32 s11, s15, s11
	s_cselect_b32 s10, s14, s10
	s_mov_b32 s14, 0
	s_branch .LBB216_431
.LBB216_430:                            ;   in Loop: Header=BB216_6 Depth=1
	s_mov_b32 s14, -1
                                        ; implicit-def: $sgpr10_sgpr11
.LBB216_431:                            ;   in Loop: Header=BB216_6 Depth=1
	s_delay_alu instid0(SALU_CYCLE_1)
	s_and_not1_b32 vcc_lo, exec_lo, s14
	s_cbranch_vccnz .LBB216_433
; %bb.432:                              ;   in Loop: Header=BB216_6 Depth=1
	v_cvt_f32_u32_e32 v6, s34
	s_sub_co_i32 s11, 0, s34
	s_delay_alu instid0(VALU_DEP_1) | instskip(SKIP_1) | instid1(TRANS32_DEP_1)
	v_rcp_iflag_f32_e32 v6, v6
	v_nop
	v_mul_f32_e32 v6, 0x4f7ffffe, v6
	s_delay_alu instid0(VALU_DEP_1) | instskip(NEXT) | instid1(VALU_DEP_1)
	v_cvt_u32_f32_e32 v6, v6
	v_readfirstlane_b32 s10, v6
	s_mul_i32 s11, s11, s10
	s_delay_alu instid0(SALU_CYCLE_1) | instskip(NEXT) | instid1(SALU_CYCLE_1)
	s_mul_hi_u32 s11, s10, s11
	s_add_co_i32 s10, s10, s11
	s_delay_alu instid0(SALU_CYCLE_1) | instskip(NEXT) | instid1(SALU_CYCLE_1)
	s_mul_hi_u32 s10, s56, s10
	s_mul_i32 s10, s10, s34
	s_delay_alu instid0(SALU_CYCLE_1) | instskip(NEXT) | instid1(SALU_CYCLE_1)
	s_sub_co_i32 s10, s56, s10
	s_sub_co_i32 s11, s10, s34
	s_cmp_ge_u32 s10, s34
	s_cselect_b32 s10, s11, s10
	s_delay_alu instid0(SALU_CYCLE_1) | instskip(SKIP_2) | instid1(SALU_CYCLE_1)
	s_sub_co_i32 s11, s10, s34
	s_cmp_ge_u32 s10, s34
	s_cselect_b32 s28, s11, s10
	s_mov_b64 s[10:11], s[28:29]
.LBB216_433:                            ;   in Loop: Header=BB216_6 Depth=1
	s_delay_alu instid0(SALU_CYCLE_1)
	s_sub_nc_u64 s[10:11], s[56:57], s[10:11]
	s_mov_b32 s14, exec_lo
                                        ; implicit-def: $vgpr46
	v_nop
	v_cmpx_gt_u64_e64 s[10:11], v[0:1]
	s_cbranch_execz .LBB216_442
; %bb.434:                              ;   in Loop: Header=BB216_6 Depth=1
	v_mov_b64_e32 v[6:7], v[14:15]
	v_mov_b64_e32 v[8:9], v[0:1]
	s_mov_b32 s15, 0
                                        ; implicit-def: $sgpr17
	s_branch .LBB216_437
.LBB216_435:                            ;   in Loop: Header=BB216_437 Depth=2
	s_or_b32 exec_lo, exec_lo, s28
	s_wait_dscnt 0x0
	s_barrier_signal -1
	s_barrier_wait -1
	ds_load_b32 v10, v3 offset:3072
	s_mov_b32 s28, -1
	s_mov_b32 s50, -1
	s_wait_dscnt 0x0
	s_barrier_signal -1
	s_barrier_wait -1
	v_and_b32_e32 v11, 0x7fff, v10
	s_delay_alu instid0(VALU_DEP_1)
	v_cmp_eq_u32_e32 vcc_lo, 0, v11
	s_cbranch_vccnz .LBB216_440
.LBB216_436:                            ;   in Loop: Header=BB216_437 Depth=2
	s_and_b32 s8, exec_lo, s28
	s_delay_alu instid0(SALU_CYCLE_1) | instskip(SKIP_2) | instid1(SALU_CYCLE_1)
	s_or_b32 s15, s8, s15
	s_and_not1_b32 s8, s17, exec_lo
	s_and_b32 s17, s50, exec_lo
	s_or_b32 s17, s8, s17
	s_and_not1_b32 exec_lo, exec_lo, s15
	s_cbranch_execz .LBB216_441
.LBB216_437:                            ;   Parent Loop BB216_6 Depth=1
                                        ; =>  This Inner Loop Header: Depth=2
	s_mov_b32 s28, exec_lo
	s_delay_alu instid0(VALU_DEP_1)
	v_cmpx_gt_u64_e64 s[36:37], v[8:9]
	s_cbranch_execz .LBB216_435
; %bb.438:                              ;   in Loop: Header=BB216_437 Depth=2
	global_load_u16 v10, v[6:7], off
	s_wait_loadcnt 0x0
	v_cmp_lt_i16_e32 vcc_lo, -1, v10
	v_and_b32_e32 v11, 0xffff, v10
	v_dual_cndmask_b32 v30, 0xffff, v44 :: v_dual_lshlrev_b32 v31, 16, v10
	s_delay_alu instid0(VALU_DEP_1) | instskip(NEXT) | instid1(VALU_DEP_2)
	v_cmp_o_f32_e32 vcc_lo, v31, v31
	v_xor_b32_e32 v11, v30, v11
	s_delay_alu instid0(VALU_DEP_1) | instskip(NEXT) | instid1(VALU_DEP_1)
	v_cndmask_b32_e32 v11, 0xffff, v11, vcc_lo
	v_and_b32_e32 v11, v11, v45
	s_delay_alu instid0(VALU_DEP_1)
	v_cmp_eq_u32_e32 vcc_lo, v11, v42
	s_and_b32 exec_lo, exec_lo, vcc_lo
	s_cbranch_execz .LBB216_435
; %bb.439:                              ;   in Loop: Header=BB216_437 Depth=2
	v_perm_b32 v10, v10, s95, 0x5040100
	ds_store_b32 v3, v10 offset:3072
	s_branch .LBB216_435
.LBB216_440:                            ;   in Loop: Header=BB216_437 Depth=2
	v_add_nc_u64_e32 v[8:9], s[34:35], v[8:9]
	v_add_nc_u64_e32 v[6:7], s[40:41], v[6:7]
	s_mov_b32 s50, 0
	s_delay_alu instid0(VALU_DEP_2)
	v_cmp_le_u64_e32 vcc_lo, s[10:11], v[8:9]
	s_or_not1_b32 s28, vcc_lo, exec_lo
	s_branch .LBB216_436
.LBB216_441:                            ;   in Loop: Header=BB216_6 Depth=1
	s_or_b32 exec_lo, exec_lo, s15
	v_lshrrev_b32_e32 v46, 16, v10
	s_and_not1_b32 s8, s16, exec_lo
	s_and_b32 s10, s17, exec_lo
	s_delay_alu instid0(SALU_CYCLE_1)
	s_or_b32 s16, s8, s10
.LBB216_442:                            ;   in Loop: Header=BB216_6 Depth=1
	s_or_b32 exec_lo, exec_lo, s14
	s_mov_b32 s78, 0
	s_mov_b32 s50, -1
.LBB216_443:                            ;   in Loop: Header=BB216_6 Depth=1
	s_or_not1_b32 s11, s16, exec_lo
.LBB216_444:                            ;   in Loop: Header=BB216_6 Depth=1
	s_or_b32 exec_lo, exec_lo, s77
	s_mov_b32 s14, 0
	s_and_saveexec_b32 s10, s11
	s_cbranch_execz .LBB216_455
; %bb.445:                              ;   in Loop: Header=BB216_6 Depth=1
	v_mov_b64_e32 v[6:7], 1
	v_mov_b32_e32 v2, 1
	s_xor_b32 s14, s76, -1
	s_delay_alu instid0(SALU_CYCLE_1)
	s_and_saveexec_b32 s11, s14
	s_cbranch_execz .LBB216_454
; %bb.446:                              ;   in Loop: Header=BB216_6 Depth=1
	s_mov_b32 s14, exec_lo
	v_cmpx_ge_u64_e64 s[12:13], v[4:5]
	s_xor_b32 s14, exec_lo, s14
	s_cbranch_execz .LBB216_451
; %bb.447:                              ;   in Loop: Header=BB216_6 Depth=1
	ds_load_b64 v[6:7], v3 offset:5120
	v_and_b32_e32 v42, s25, v42
	v_or_b32_e32 v45, s24, v45
	s_wait_dscnt 0x0
	v_cmp_ne_u64_e32 vcc_lo, 0, v[6:7]
	s_cbranch_vccnz .LBB216_451
; %bb.448:                              ;   in Loop: Header=BB216_6 Depth=1
	s_and_saveexec_b32 s15, s5
; %bb.449:                              ;   in Loop: Header=BB216_6 Depth=1
	v_mov_b64_e32 v[6:7], s[12:13]
	ds_store_b64 v3, v[6:7] offset:5128
; %bb.450:                              ;   in Loop: Header=BB216_6 Depth=1
	s_or_b32 exec_lo, exec_lo, s15
	s_wait_dscnt 0x0
	s_barrier_signal -1
	s_barrier_wait -1
.LBB216_451:                            ;   in Loop: Header=BB216_6 Depth=1
	s_and_not1_saveexec_b32 s14, s14
; %bb.452:                              ;   in Loop: Header=BB216_6 Depth=1
	v_sub_nc_u64_e64 v[4:5], v[4:5], s[12:13]
; %bb.453:                              ;   in Loop: Header=BB216_6 Depth=1
	s_or_b32 exec_lo, exec_lo, s14
	s_delay_alu instid0(VALU_DEP_1)
	v_mov_b64_e32 v[6:7], v[4:5]
	v_mov_b32_e32 v2, 5
.LBB216_454:                            ;   in Loop: Header=BB216_6 Depth=1
	s_or_b32 exec_lo, exec_lo, s11
	s_delay_alu instid0(VALU_DEP_2)
	v_mov_b64_e32 v[4:5], v[6:7]
	s_mov_b32 s14, exec_lo
.LBB216_455:                            ;   in Loop: Header=BB216_6 Depth=1
	s_or_b32 exec_lo, exec_lo, s10
	s_delay_alu instid0(SALU_CYCLE_1)
	s_or_not1_b32 s10, s14, exec_lo
.LBB216_456:                            ;   in Loop: Header=BB216_6 Depth=1
	s_or_b32 exec_lo, exec_lo, s19
	s_delay_alu instid0(VALU_DEP_1)
	v_mov_b64_e32 v[6:7], v[4:5]
	s_and_not1_b32 s11, s75, exec_lo
	s_and_b32 s12, s50, exec_lo
	s_and_not1_b32 s13, s73, exec_lo
	s_and_b32 s14, s78, exec_lo
	s_or_b32 s75, s11, s12
	s_or_b32 s73, s13, s14
	s_and_b32 s11, s10, exec_lo
.LBB216_457:                            ;   in Loop: Header=BB216_6 Depth=1
	s_or_b32 exec_lo, exec_lo, s18
	s_delay_alu instid0(SALU_CYCLE_1)
	s_or_not1_b32 s10, s11, exec_lo
.LBB216_458:                            ;   in Loop: Header=BB216_6 Depth=1
	s_or_b32 exec_lo, exec_lo, s21
	v_mov_b64_e32 v[4:5], v[6:7]
	s_and_not1_b32 s11, s72, exec_lo
	s_and_b32 s12, s75, exec_lo
	s_and_not1_b32 s13, s23, exec_lo
	s_and_b32 s14, s73, exec_lo
	s_or_b32 s72, s11, s12
	s_or_b32 s23, s13, s14
	s_and_b32 s11, s10, exec_lo
.LBB216_459:                            ;   in Loop: Header=BB216_6 Depth=1
	s_or_b32 exec_lo, exec_lo, s20
	s_delay_alu instid0(SALU_CYCLE_1)
	s_or_not1_b32 s10, s11, exec_lo
.LBB216_460:                            ;   in Loop: Header=BB216_6 Depth=1
	s_or_b32 exec_lo, exec_lo, s9
	s_mov_b32 s9, s49
	s_mov_b32 s11, s27
	s_and_saveexec_b32 s12, s10
; %bb.461:                              ;   in Loop: Header=BB216_6 Depth=1
	v_cmp_ne_u32_e32 vcc_lo, 5, v2
	v_cmp_eq_u32_e64 s9, 5, v2
	s_and_not1_b32 s10, s27, exec_lo
	s_and_not1_b32 s13, s49, exec_lo
	s_and_b32 s11, vcc_lo, exec_lo
	s_and_b32 s9, s9, exec_lo
	s_or_b32 s11, s10, s11
	s_or_b32 s9, s13, s9
; %bb.462:                              ;   in Loop: Header=BB216_6 Depth=1
	s_or_b32 exec_lo, exec_lo, s12
	s_delay_alu instid0(SALU_CYCLE_1)
	s_and_not1_b32 s8, s74, exec_lo
	s_and_b32 s10, s72, exec_lo
	s_and_not1_b32 s12, s26, exec_lo
	s_and_b32 s13, s23, exec_lo
	s_or_b32 s74, s8, s10
	s_and_not1_b32 s8, s27, exec_lo
	s_and_b32 s10, s11, exec_lo
	s_and_not1_b32 s11, s49, exec_lo
	s_and_b32 s9, s9, exec_lo
	s_or_b32 s26, s12, s13
	s_or_b32 s27, s8, s10
	;; [unrolled: 1-line block ×3, first 2 shown]
.LBB216_463:                            ;   in Loop: Header=BB216_6 Depth=1
	s_or_b32 exec_lo, exec_lo, s22
	s_mov_b32 s72, 0
	s_mov_b32 s73, 0
	s_and_saveexec_b32 s9, s49
.LBB216_464:                            ;   in Loop: Header=BB216_6 Depth=1
	v_mov_b32_e32 v2, 0
	s_or_b32 s27, s27, exec_lo
.LBB216_465:                            ;   in Loop: Header=BB216_6 Depth=1
	s_or_b32 exec_lo, exec_lo, s9
	v_mov_b64_e32 v[30:31], v[4:5]
	s_and_not1_b32 s8, s46, exec_lo
	s_and_b32 s9, s74, exec_lo
	s_and_not1_b32 s11, s104, exec_lo
	s_and_b32 s12, s26, exec_lo
	s_or_b32 s46, s8, s9
	s_or_b32 s104, s11, s12
	s_and_not1_b32 s8, s48, exec_lo
	s_and_b32 s9, s73, exec_lo
	s_and_not1_b32 s11, s47, exec_lo
	s_and_b32 s12, s72, exec_lo
	s_mov_b32 s10, -1
	s_and_not1_b32 vcc_hi, vcc_hi, exec_lo
	s_or_b32 s48, s8, s9
	s_or_b32 s47, s11, s12
	s_and_saveexec_b32 s8, s27
	s_delay_alu instid0(SALU_CYCLE_1)
	s_xor_b32 s9, exec_lo, s8
	s_cbranch_execz .LBB216_5
; %bb.466:                              ;   in Loop: Header=BB216_6 Depth=1
	s_mov_b32 s11, -1
	s_mov_b32 s12, exec_lo
	v_cmpx_eq_u32_e32 0, v2
	s_cbranch_execz .LBB216_4
; %bb.467:                              ;   in Loop: Header=BB216_6 Depth=1
	s_xor_b32 s99, s99, 1
	s_add_co_i32 s13, s96, -2
	s_cmp_eq_u32 s96, 0
	s_mov_b32 s96, s13
	s_cselect_b32 s10, -1, 0
	s_xor_b32 s11, exec_lo, -1
	s_or_not1_b32 s10, s10, exec_lo
	s_branch .LBB216_4
.LBB216_468:
	s_or_b32 exec_lo, exec_lo, s97
	s_xor_b32 s7, s103, -1
	s_xor_b32 s9, s101, -1
	;; [unrolled: 1-line block ×5, first 2 shown]
	s_mov_b32 s8, 0
	s_and_saveexec_b32 s12, s11
	s_delay_alu instid0(SALU_CYCLE_1)
	s_xor_b32 s16, exec_lo, s12
	s_cbranch_execnz .LBB216_473
; %bb.469:
	s_and_not1_saveexec_b32 s0, s16
	s_cbranch_execnz .LBB216_492
.LBB216_470:
	s_or_b32 exec_lo, exec_lo, s0
	s_and_saveexec_b32 s0, s8
.LBB216_471:
	; divergent unreachable
.LBB216_472:
	s_endpgm
.LBB216_473:
	s_and_saveexec_b32 s11, s10
	s_delay_alu instid0(SALU_CYCLE_1)
	s_xor_b32 s17, exec_lo, s11
	s_cbranch_execz .LBB216_490
; %bb.474:
	s_and_saveexec_b32 s10, s9
	s_delay_alu instid0(SALU_CYCLE_1)
	s_xor_b32 s18, exec_lo, s10
	s_cbranch_execz .LBB216_488
; %bb.475:
	;; [unrolled: 5-line block ×3, first 2 shown]
	s_and_saveexec_b32 s7, s6
	s_delay_alu instid0(SALU_CYCLE_1)
	s_xor_b32 s6, exec_lo, s7
; %bb.477:
	v_and_b32_e32 v2, 0x8000, v42
	v_mov_b32_e32 v3, 0xffff
	s_delay_alu instid0(VALU_DEP_2) | instskip(NEXT) | instid1(VALU_DEP_2)
	v_cmp_eq_u32_e32 vcc_lo, 0, v2
	v_cndmask_b32_e32 v2, 0x8000, v3, vcc_lo
	s_delay_alu instid0(VALU_DEP_1)
	v_xor_b32_e32 v46, v2, v42
; %bb.478:
	s_or_b32 exec_lo, exec_lo, s6
	s_and_saveexec_b32 s6, s5
; %bb.479:
	v_mov_b64_e32 v[2:3], 0
	v_mov_b32_e32 v4, 0
	ds_store_b64 v4, v[2:3] offset:5136
; %bb.480:
	s_or_b32 exec_lo, exec_lo, s6
	v_mov_b32_e32 v19, 0
	s_wait_dscnt 0x0
	s_barrier_signal -1
	s_barrier_wait -1
	s_and_saveexec_b32 s5, s3
	s_cbranch_execz .LBB216_482
; %bb.481:
	global_load_u16 v19, v[14:15], off
.LBB216_482:
	s_wait_xcnt 0x0
	s_or_b32 exec_lo, exec_lo, s5
	s_add_nc_u64 s[10:11], s[36:37], 31
	s_mov_b64 s[12:13], 0xffffffffffffffe0
	v_mov_b32_e32 v18, 0x8000
	v_cmp_lt_i16_e32 vcc_lo, -1, v46
	v_readlane_b32 s20, v56, 2
	s_and_b64 s[10:11], s[10:11], s[12:13]
	v_readlane_b32 s12, v56, 0
	v_readlane_b32 s21, v56, 3
	;; [unrolled: 1-line block ×3, first 2 shown]
	s_clause 0x1
	s_load_b64 s[6:7], s[0:1], 0x368
	s_load_b64 s[8:9], s[0:1], 0x510
	v_readlane_b32 s14, v56, 6
	v_readlane_b32 s15, v56, 7
	v_and_b32_e32 v2, 0xffff, v46
	v_cndmask_b32_e32 v3, 0xffff, v18, vcc_lo
	v_lshlrev_b32_e32 v4, 16, v46
	s_mul_u64 s[12:13], s[12:13], s[20:21]
	s_mul_u64 s[14:15], s[14:15], s[20:21]
	s_lshl_b64 s[20:21], s[12:13], 3
	v_readlane_b32 s12, v56, 8
	v_readlane_b32 s13, v56, 9
	v_xor_b32_e32 v2, v3, v2
	v_cmp_o_f32_e32 vcc_lo, v4, v4
	s_lshl_b64 s[14:15], s[14:15], 1
	s_wait_xcnt 0x0
	s_mov_b32 s0, -1
	s_add_nc_u64 s[12:13], s[12:13], s[14:15]
	v_readlane_b32 s14, v56, 4
	v_cndmask_b32_e32 v13, 0xffff, v2, vcc_lo
	v_cmp_gt_u64_e32 vcc_lo, s[10:11], v[0:1]
	v_readlane_b32 s15, v56, 5
	s_mov_b32 s5, 0
	s_mov_b32 s1, 0
	s_add_nc_u64 s[14:15], s[14:15], s[20:21]
	s_and_saveexec_b32 s20, vcc_lo
	s_cbranch_execnz .LBB216_493
; %bb.483:
	s_or_b32 exec_lo, exec_lo, s20
	s_and_saveexec_b32 s4, s0
	s_cbranch_execnz .LBB216_510
.LBB216_484:
	s_or_b32 exec_lo, exec_lo, s4
	s_and_saveexec_b32 s0, s1
	s_delay_alu instid0(SALU_CYCLE_1)
	s_xor_b32 s0, exec_lo, s0
	s_cbranch_execnz .LBB216_535
.LBB216_485:
	s_or_b32 exec_lo, exec_lo, s0
	s_wait_kmcnt 0x0
	s_and_b32 s8, s5, exec_lo
.LBB216_486:
	s_and_not1_saveexec_b32 s0, s19
	s_cbranch_execnz .LBB216_537
.LBB216_487:
	s_or_b32 exec_lo, exec_lo, s0
	s_delay_alu instid0(SALU_CYCLE_1)
	s_and_b32 s8, s8, exec_lo
.LBB216_488:
	s_and_not1_saveexec_b32 s0, s18
	s_cbranch_execnz .LBB216_536
.LBB216_489:
	s_or_b32 exec_lo, exec_lo, s0
	s_delay_alu instid0(SALU_CYCLE_1)
	s_and_b32 s8, s8, exec_lo
.LBB216_490:
	s_and_not1_saveexec_b32 s0, s17
	s_cbranch_execnz .LBB216_531
.LBB216_491:
	s_or_b32 exec_lo, exec_lo, s0
	s_delay_alu instid0(SALU_CYCLE_1)
	s_and_b32 s8, s8, exec_lo
	s_and_not1_saveexec_b32 s0, s16
	s_cbranch_execz .LBB216_470
.LBB216_492:
	s_or_b32 s8, s8, exec_lo
	s_trap 2
	s_or_b32 exec_lo, exec_lo, s0
	s_and_saveexec_b32 s0, s8
	s_cbranch_execnz .LBB216_471
	s_branch .LBB216_472
.LBB216_493:
	v_add_nc_u64_e32 v[2:3], s[34:35], v[0:1]
	v_mov_b64_e32 v[10:11], v[0:1]
	s_mov_b32 s21, 0
                                        ; implicit-def: $sgpr22
                                        ; implicit-def: $vgpr8_vgpr9
	s_delay_alu instid0(VALU_DEP_2) | instskip(SKIP_1) | instid1(VALU_DEP_2)
	v_mul_u64_e32 v[4:5], s[30:31], v[2:3]
	v_mov_b32_e32 v3, 0
	v_lshl_add_u64 v[4:5], v[4:5], 1, s[42:43]
	s_branch .LBB216_495
.LBB216_494:                            ;   in Loop: Header=BB216_495 Depth=1
	s_or_b32 exec_lo, exec_lo, s24
	s_xor_b32 s0, s23, -1
	s_and_b32 s1, exec_lo, s1
	v_mov_b64_e32 v[10:11], v[6:7]
	s_or_b32 s21, s1, s21
	s_wait_loadcnt 0x0
	v_mov_b32_e32 v19, v20
	s_and_not1_b32 s1, s22, exec_lo
	s_and_b32 s0, s0, exec_lo
	s_delay_alu instid0(SALU_CYCLE_1)
	s_or_b32 s22, s1, s0
	s_and_not1_b32 exec_lo, exec_lo, s21
	s_cbranch_execz .LBB216_509
.LBB216_495:                            ; =>This Inner Loop Header: Depth=1
	s_delay_alu instid0(VALU_DEP_4) | instskip(SKIP_2) | instid1(VALU_DEP_2)
	v_add_nc_u64_e32 v[6:7], s[34:35], v[10:11]
	v_mov_b32_e32 v20, 0
	s_mov_b32 s1, exec_lo
	v_cmpx_gt_u64_e64 s[36:37], v[6:7]
	s_cbranch_execz .LBB216_497
; %bb.496:                              ;   in Loop: Header=BB216_495 Depth=1
	global_load_u16 v20, v[4:5], off
.LBB216_497:                            ;   in Loop: Header=BB216_495 Depth=1
	s_wait_xcnt 0x0
	s_or_b32 exec_lo, exec_lo, s1
	s_mov_b32 s23, 0
	s_mov_b32 s1, exec_lo
	v_cmpx_gt_u64_e64 s[36:37], v[10:11]
	s_cbranch_execz .LBB216_499
; %bb.498:                              ;   in Loop: Header=BB216_495 Depth=1
	s_wait_loadcnt 0x0
	v_cmp_lt_i16_e64 s0, -1, v19
	v_and_b32_e32 v2, 0xffff, v19
	s_delay_alu instid0(VALU_DEP_2) | instskip(NEXT) | instid1(VALU_DEP_1)
	v_cndmask_b32_e64 v16, 0xffff, v18, s0
	v_dual_lshlrev_b32 v17, 16, v19 :: v_dual_bitop2_b32 v2, v16, v2 bitop3:0x14
	s_delay_alu instid0(VALU_DEP_1) | instskip(NEXT) | instid1(VALU_DEP_1)
	v_cmp_o_f32_e64 s0, v17, v17
	v_cndmask_b32_e64 v2, 0xffff, v2, s0
	s_delay_alu instid0(VALU_DEP_1) | instskip(NEXT) | instid1(VALU_DEP_1)
	v_cmp_gt_u32_e64 s0, v2, v13
	v_cndmask_b32_e64 v16, 0, 1, s0
	v_cmp_lt_u32_e64 s0, v2, v13
	s_delay_alu instid0(VALU_DEP_1) | instskip(NEXT) | instid1(VALU_DEP_1)
	v_cndmask_b32_e64 v2, 0, 1, s0
	v_cndmask_b32_e64 v2, v2, v16, s4
	s_delay_alu instid0(VALU_DEP_1) | instskip(NEXT) | instid1(VALU_DEP_1)
	v_and_b32_e32 v2, 1, v2
	v_cmp_eq_u32_e64 s0, 1, v2
	s_and_b32 s23, s0, exec_lo
.LBB216_499:                            ;   in Loop: Header=BB216_495 Depth=1
	s_or_b32 exec_lo, exec_lo, s1
	v_cndmask_b32_e64 v2, 0, 1, s23
	s_delay_alu instid0(VALU_DEP_1) | instskip(SKIP_2) | instid1(SALU_CYCLE_1)
	v_cmp_ne_u32_e64 s0, 0, v2
	s_cmp_lg_u32 s0, 0
	s_cselect_b32 s1, -1, 0
	s_and_b32 s1, s2, s1
	s_delay_alu instid0(SALU_CYCLE_1)
	s_and_saveexec_b32 s24, s1
	s_cbranch_execz .LBB216_503
; %bb.500:                              ;   in Loop: Header=BB216_495 Depth=1
	s_mov_b32 s27, exec_lo
	s_bcnt1_i32_b32 s25, s0
	v_mbcnt_lo_u32_b32 v16, s27, 0
	s_mov_b32 s26, exec_lo
                                        ; implicit-def: $vgpr8_vgpr9
	s_delay_alu instid0(VALU_DEP_1)
	v_cmpx_eq_u32_e32 0, v16
	s_cbranch_execz .LBB216_502
; %bb.501:                              ;   in Loop: Header=BB216_495 Depth=1
	s_bcnt1_i32_b32 s1, s27
	s_delay_alu instid0(SALU_CYCLE_1) | instskip(NEXT) | instid1(SALU_CYCLE_1)
	s_mul_i32 s1, s25, s1
	v_mov_b32_e32 v2, s1
	s_wait_dscnt 0x0
	ds_add_rtn_u64 v[8:9], v3, v[2:3] offset:5136
.LBB216_502:                            ;   in Loop: Header=BB216_495 Depth=1
	s_or_b32 exec_lo, exec_lo, s26
	s_wait_dscnt 0x0
	v_readfirstlane_b32 s27, v9
	v_readfirstlane_b32 s26, v8
	s_delay_alu instid0(VALU_DEP_1)
	v_mad_nc_u64_u32 v[8:9], s25, v16, s[26:27]
.LBB216_503:                            ;   in Loop: Header=BB216_495 Depth=1
	s_or_b32 exec_lo, exec_lo, s24
	s_wait_dscnt 0x1
	ds_bpermute_b32 v8, v3, v8
	s_wait_dscnt 0x1
	ds_bpermute_b32 v9, v3, v9
	s_mov_b32 s1, -1
	s_mov_b32 s25, -1
	s_and_saveexec_b32 s24, s23
	s_cbranch_execz .LBB216_507
; %bb.504:                              ;   in Loop: Header=BB216_495 Depth=1
	v_and_b32_e32 v2, s0, v12
	s_mov_b32 s23, 0
	s_mov_b32 s25, exec_lo
	s_delay_alu instid0(VALU_DEP_1) | instskip(SKIP_1) | instid1(VALU_DEP_1)
	v_bcnt_u32_b32 v2, v2, 0
	s_wait_dscnt 0x0
	v_add_nc_u64_e32 v[16:17], v[8:9], v[2:3]
	s_delay_alu instid0(VALU_DEP_1)
	v_cmpx_gt_u64_e64 s[38:39], v[16:17]
	s_cbranch_execz .LBB216_506
; %bb.505:                              ;   in Loop: Header=BB216_495 Depth=1
	s_wait_kmcnt 0x0
	v_mul_u64_e32 v[22:23], s[6:7], v[16:17]
	v_mul_u64_e32 v[16:17], s[8:9], v[16:17]
	s_mov_b32 s23, exec_lo
	s_delay_alu instid0(VALU_DEP_2) | instskip(NEXT) | instid1(VALU_DEP_2)
	v_lshl_add_u64 v[22:23], v[22:23], 1, s[12:13]
	v_lshl_add_u64 v[16:17], v[16:17], 3, s[14:15]
	s_wait_loadcnt 0x0
	global_store_b16 v[22:23], v19, off
	global_store_b64 v[16:17], v[10:11], off
.LBB216_506:                            ;   in Loop: Header=BB216_495 Depth=1
	s_wait_xcnt 0x0
	s_or_b32 exec_lo, exec_lo, s25
	s_delay_alu instid0(SALU_CYCLE_1)
	s_or_not1_b32 s25, s23, exec_lo
.LBB216_507:                            ;   in Loop: Header=BB216_495 Depth=1
	s_or_b32 exec_lo, exec_lo, s24
	s_mov_b32 s23, -1
	s_and_saveexec_b32 s24, s25
	s_cbranch_execz .LBB216_494
; %bb.508:                              ;   in Loop: Header=BB216_495 Depth=1
	v_cmp_le_u64_e64 s0, s[10:11], v[6:7]
	v_add_nc_u64_e32 v[4:5], s[40:41], v[4:5]
	s_xor_b32 s23, exec_lo, -1
	s_or_not1_b32 s1, s0, exec_lo
	s_branch .LBB216_494
.LBB216_509:
	s_or_b32 exec_lo, exec_lo, s21
	s_delay_alu instid0(SALU_CYCLE_1)
	s_mov_b32 s1, exec_lo
	s_or_not1_b32 s0, s22, exec_lo
	s_or_b32 exec_lo, exec_lo, s20
	s_and_saveexec_b32 s4, s0
	s_cbranch_execz .LBB216_484
.LBB216_510:
	v_mov_b32_e32 v16, 0
	s_wait_storecnt 0x0
	s_wait_loadcnt_dscnt 0x0
	s_barrier_signal -1
	s_barrier_wait -1
	s_and_saveexec_b32 s0, s3
	s_cbranch_execz .LBB216_512
; %bb.511:
	global_load_u16 v16, v[14:15], off
.LBB216_512:
	s_wait_xcnt 0x0
	s_or_b32 exec_lo, exec_lo, s0
	s_mov_b32 s0, 0
	s_and_saveexec_b32 s3, vcc_lo
	s_cbranch_execz .LBB216_534
; %bb.513:
	v_add_nc_u64_e32 v[2:3], s[34:35], v[0:1]
	s_mov_b32 s5, 0
                                        ; implicit-def: $sgpr20
                                        ; implicit-def: $vgpr8_vgpr9
	v_mov_b32_e32 v14, 0x8000
	s_delay_alu instid0(VALU_DEP_2) | instskip(SKIP_1) | instid1(VALU_DEP_2)
	v_mul_u64_e32 v[4:5], s[30:31], v[2:3]
	v_mov_b32_e32 v3, 0
	v_lshl_add_u64 v[4:5], v[4:5], 1, s[42:43]
	s_branch .LBB216_516
.LBB216_514:                            ;   in Loop: Header=BB216_516 Depth=1
	s_or_b32 exec_lo, exec_lo, s23
	s_delay_alu instid0(SALU_CYCLE_1)
	s_or_not1_b32 s23, s21, exec_lo
	s_or_not1_b32 s22, s22, exec_lo
.LBB216_515:                            ;   in Loop: Header=BB216_516 Depth=1
	s_or_b32 exec_lo, exec_lo, s0
	s_xor_b32 s0, s23, -1
	s_and_b32 s21, exec_lo, s22
	v_mov_b64_e32 v[0:1], v[6:7]
	s_or_b32 s5, s21, s5
	s_wait_loadcnt 0x0
	v_mov_b32_e32 v16, v15
	s_and_not1_b32 s20, s20, exec_lo
	s_and_b32 s0, s0, exec_lo
	s_delay_alu instid0(SALU_CYCLE_1)
	s_or_b32 s20, s20, s0
	s_and_not1_b32 exec_lo, exec_lo, s5
	s_cbranch_execz .LBB216_532
.LBB216_516:                            ; =>This Inner Loop Header: Depth=1
	v_add_nc_u64_e32 v[6:7], s[34:35], v[0:1]
	v_mov_b32_e32 v15, 0
	s_mov_b32 s0, exec_lo
	s_delay_alu instid0(VALU_DEP_2)
	v_cmpx_gt_u64_e64 s[36:37], v[6:7]
	s_cbranch_execz .LBB216_518
; %bb.517:                              ;   in Loop: Header=BB216_516 Depth=1
	global_load_u16 v15, v[4:5], off
.LBB216_518:                            ;   in Loop: Header=BB216_516 Depth=1
	s_wait_xcnt 0x0
	s_or_b32 exec_lo, exec_lo, s0
	s_mov_b32 s21, 0
	s_mov_b32 s0, exec_lo
	v_cmpx_gt_u64_e64 s[36:37], v[0:1]
	s_cbranch_execz .LBB216_520
; %bb.519:                              ;   in Loop: Header=BB216_516 Depth=1
	s_wait_loadcnt 0x0
	v_cmp_lt_i16_e32 vcc_lo, -1, v16
	v_and_b32_e32 v2, 0xffff, v16
	v_dual_cndmask_b32 v10, 0xffff, v14 :: v_dual_lshlrev_b32 v11, 16, v16
	s_delay_alu instid0(VALU_DEP_1) | instskip(NEXT) | instid1(VALU_DEP_2)
	v_cmp_o_f32_e32 vcc_lo, v11, v11
	v_xor_b32_e32 v2, v10, v2
	s_delay_alu instid0(VALU_DEP_1) | instskip(NEXT) | instid1(VALU_DEP_1)
	v_cndmask_b32_e32 v2, 0xffff, v2, vcc_lo
	v_cmp_eq_u32_e32 vcc_lo, v2, v13
	s_and_b32 s21, vcc_lo, exec_lo
.LBB216_520:                            ;   in Loop: Header=BB216_516 Depth=1
	s_or_b32 exec_lo, exec_lo, s0
	v_cndmask_b32_e64 v2, 0, 1, s21
	s_delay_alu instid0(VALU_DEP_1) | instskip(SKIP_2) | instid1(SALU_CYCLE_1)
	v_cmp_ne_u32_e32 vcc_lo, 0, v2
	s_cmp_lg_u32 vcc_lo, 0
	s_cselect_b32 s0, -1, 0
	s_and_b32 s0, s2, s0
	s_delay_alu instid0(SALU_CYCLE_1)
	s_and_saveexec_b32 s22, s0
	s_cbranch_execz .LBB216_524
; %bb.521:                              ;   in Loop: Header=BB216_516 Depth=1
	s_mov_b32 s25, exec_lo
	s_bcnt1_i32_b32 s23, vcc_lo
	v_mbcnt_lo_u32_b32 v10, s25, 0
	s_mov_b32 s24, exec_lo
                                        ; implicit-def: $vgpr8_vgpr9
	s_delay_alu instid0(VALU_DEP_1)
	v_cmpx_eq_u32_e32 0, v10
; %bb.522:                              ;   in Loop: Header=BB216_516 Depth=1
	s_bcnt1_i32_b32 s0, s25
	s_delay_alu instid0(SALU_CYCLE_1) | instskip(NEXT) | instid1(SALU_CYCLE_1)
	s_mul_i32 s0, s23, s0
	v_mov_b32_e32 v2, s0
	ds_add_rtn_u64 v[8:9], v3, v[2:3] offset:5136
; %bb.523:                              ;   in Loop: Header=BB216_516 Depth=1
	s_or_b32 exec_lo, exec_lo, s24
	s_wait_dscnt 0x0
	v_readfirstlane_b32 s25, v9
	v_readfirstlane_b32 s24, v8
	s_delay_alu instid0(VALU_DEP_1)
	v_mad_nc_u64_u32 v[8:9], s23, v10, s[24:25]
.LBB216_524:                            ;   in Loop: Header=BB216_516 Depth=1
	s_or_b32 exec_lo, exec_lo, s22
	ds_bpermute_b32 v8, v3, v8
	ds_bpermute_b32 v9, v3, v9
	s_cmp_eq_u32 vcc_lo, 0
	s_mov_b32 s22, -1
	s_cselect_b32 s23, -1, 0
	s_wait_dscnt 0x0
	v_cmp_gt_u64_e64 s0, s[38:39], v[8:9]
	s_or_b32 s24, s23, s0
	s_mov_b32 s23, -1
	s_and_saveexec_b32 s0, s24
	s_cbranch_execz .LBB216_515
; %bb.525:                              ;   in Loop: Header=BB216_516 Depth=1
	v_and_b32_e32 v2, vcc_lo, v12
	v_sub_nc_u64_e32 v[10:11], s[38:39], v[8:9]
	s_mov_b32 s24, -1
	s_delay_alu instid0(VALU_DEP_2) | instskip(NEXT) | instid1(VALU_DEP_1)
	v_bcnt_u32_b32 v2, v2, 0
	v_bcnt_u32_b32 v2, 0, v2
	s_delay_alu instid0(VALU_DEP_1)
	v_cmp_gt_u64_e32 vcc_lo, v[10:11], v[2:3]
	s_and_b32 s25, s21, vcc_lo
	s_mov_b32 s21, -1
	s_and_saveexec_b32 s23, s25
	s_cbranch_execz .LBB216_529
; %bb.526:                              ;   in Loop: Header=BB216_516 Depth=1
	v_add_nc_u64_e32 v[10:11], v[8:9], v[2:3]
	s_mov_b32 s24, 0
	s_mov_b32 s21, exec_lo
	s_delay_alu instid0(VALU_DEP_1)
	v_cmpx_gt_u64_e64 s[38:39], v[10:11]
	s_cbranch_execz .LBB216_528
; %bb.527:                              ;   in Loop: Header=BB216_516 Depth=1
	s_wait_kmcnt 0x0
	v_mul_u64_e32 v[18:19], s[6:7], v[10:11]
	v_mul_u64_e32 v[10:11], s[8:9], v[10:11]
	s_mov_b32 s24, exec_lo
	s_delay_alu instid0(VALU_DEP_2) | instskip(NEXT) | instid1(VALU_DEP_2)
	v_lshl_add_u64 v[18:19], v[18:19], 1, s[12:13]
	v_lshl_add_u64 v[10:11], v[10:11], 3, s[14:15]
	s_wait_loadcnt 0x0
	global_store_b16 v[18:19], v16, off
	global_store_b64 v[10:11], v[0:1], off
.LBB216_528:                            ;   in Loop: Header=BB216_516 Depth=1
	s_wait_xcnt 0x0
	s_or_b32 exec_lo, exec_lo, s21
	s_delay_alu instid0(SALU_CYCLE_1)
	s_xor_b32 s21, exec_lo, -1
	s_or_not1_b32 s24, s24, exec_lo
.LBB216_529:                            ;   in Loop: Header=BB216_516 Depth=1
	s_or_b32 exec_lo, exec_lo, s23
	s_and_saveexec_b32 s23, s24
	s_cbranch_execz .LBB216_514
; %bb.530:                              ;   in Loop: Header=BB216_516 Depth=1
	v_cmp_le_u64_e32 vcc_lo, s[10:11], v[6:7]
	v_add_nc_u64_e32 v[4:5], s[40:41], v[4:5]
	s_or_b32 s21, s21, exec_lo
	s_or_not1_b32 s22, vcc_lo, exec_lo
	s_branch .LBB216_514
.LBB216_531:
	s_or_b32 s8, s8, exec_lo
	s_trap 2
	s_branch .LBB216_491
.LBB216_532:
	s_or_b32 exec_lo, exec_lo, s5
	s_mov_b32 s0, 0
	s_and_saveexec_b32 s2, s20
	s_delay_alu instid0(SALU_CYCLE_1)
	s_xor_b32 s2, exec_lo, s2
	s_cbranch_execnz .LBB216_538
.LBB216_533:
	s_or_b32 exec_lo, exec_lo, s2
	s_delay_alu instid0(SALU_CYCLE_1)
	s_and_b32 s0, s0, exec_lo
.LBB216_534:
	s_or_b32 exec_lo, exec_lo, s3
	s_delay_alu instid0(SALU_CYCLE_1) | instskip(SKIP_3) | instid1(SALU_CYCLE_1)
	s_and_b32 s5, s0, exec_lo
	s_and_not1_b32 s1, s1, exec_lo
	s_or_b32 exec_lo, exec_lo, s4
	s_and_saveexec_b32 s0, s1
	s_xor_b32 s0, exec_lo, s0
	s_cbranch_execz .LBB216_485
.LBB216_535:
	s_or_b32 s5, s5, exec_lo
	s_trap 2
	s_branch .LBB216_485
.LBB216_536:
	s_or_b32 s8, s8, exec_lo
	s_trap 2
	s_branch .LBB216_489
.LBB216_537:
	s_or_b32 s8, s8, exec_lo
	s_trap 2
	s_branch .LBB216_487
.LBB216_538:
	s_mov_b32 s0, exec_lo
	s_trap 2
	s_branch .LBB216_533
	.section	.rodata,"a",@progbits
	.p2align	6, 0x0
	.amdhsa_kernel _ZN2at6native6sbtopk10gatherTopKIN3c108BFloat16EmLi1ELb0EEEvNS_4cuda6detail10TensorInfoIKT_T0_EESA_SA_bSA_SA_NS7_IS8_SA_EESA_NS7_IlSA_EESA_PS8_
		.amdhsa_group_segment_fixed_size 5152
		.amdhsa_private_segment_fixed_size 0
		.amdhsa_kernarg_size 1568
		.amdhsa_user_sgpr_count 2
		.amdhsa_user_sgpr_dispatch_ptr 0
		.amdhsa_user_sgpr_queue_ptr 0
		.amdhsa_user_sgpr_kernarg_segment_ptr 1
		.amdhsa_user_sgpr_dispatch_id 0
		.amdhsa_user_sgpr_kernarg_preload_length 0
		.amdhsa_user_sgpr_kernarg_preload_offset 0
		.amdhsa_user_sgpr_private_segment_size 0
		.amdhsa_wavefront_size32 1
		.amdhsa_uses_dynamic_stack 0
		.amdhsa_enable_private_segment 0
		.amdhsa_system_sgpr_workgroup_id_x 1
		.amdhsa_system_sgpr_workgroup_id_y 1
		.amdhsa_system_sgpr_workgroup_id_z 1
		.amdhsa_system_sgpr_workgroup_info 0
		.amdhsa_system_vgpr_workitem_id 0
		.amdhsa_next_free_vgpr 57
		.amdhsa_next_free_sgpr 105
		.amdhsa_named_barrier_count 0
		.amdhsa_reserve_vcc 1
		.amdhsa_float_round_mode_32 0
		.amdhsa_float_round_mode_16_64 0
		.amdhsa_float_denorm_mode_32 3
		.amdhsa_float_denorm_mode_16_64 3
		.amdhsa_fp16_overflow 0
		.amdhsa_memory_ordered 1
		.amdhsa_forward_progress 1
		.amdhsa_inst_pref_size 204
		.amdhsa_round_robin_scheduling 0
		.amdhsa_exception_fp_ieee_invalid_op 0
		.amdhsa_exception_fp_denorm_src 0
		.amdhsa_exception_fp_ieee_div_zero 0
		.amdhsa_exception_fp_ieee_overflow 0
		.amdhsa_exception_fp_ieee_underflow 0
		.amdhsa_exception_fp_ieee_inexact 0
		.amdhsa_exception_int_div_zero 0
	.end_amdhsa_kernel
	.section	.text._ZN2at6native6sbtopk10gatherTopKIN3c108BFloat16EmLi1ELb0EEEvNS_4cuda6detail10TensorInfoIKT_T0_EESA_SA_bSA_SA_NS7_IS8_SA_EESA_NS7_IlSA_EESA_PS8_,"axG",@progbits,_ZN2at6native6sbtopk10gatherTopKIN3c108BFloat16EmLi1ELb0EEEvNS_4cuda6detail10TensorInfoIKT_T0_EESA_SA_bSA_SA_NS7_IS8_SA_EESA_NS7_IlSA_EESA_PS8_,comdat
.Lfunc_end216:
	.size	_ZN2at6native6sbtopk10gatherTopKIN3c108BFloat16EmLi1ELb0EEEvNS_4cuda6detail10TensorInfoIKT_T0_EESA_SA_bSA_SA_NS7_IS8_SA_EESA_NS7_IlSA_EESA_PS8_, .Lfunc_end216-_ZN2at6native6sbtopk10gatherTopKIN3c108BFloat16EmLi1ELb0EEEvNS_4cuda6detail10TensorInfoIKT_T0_EESA_SA_bSA_SA_NS7_IS8_SA_EESA_NS7_IlSA_EESA_PS8_
                                        ; -- End function
	.set _ZN2at6native6sbtopk10gatherTopKIN3c108BFloat16EmLi1ELb0EEEvNS_4cuda6detail10TensorInfoIKT_T0_EESA_SA_bSA_SA_NS7_IS8_SA_EESA_NS7_IlSA_EESA_PS8_.num_vgpr, 57
	.set _ZN2at6native6sbtopk10gatherTopKIN3c108BFloat16EmLi1ELb0EEEvNS_4cuda6detail10TensorInfoIKT_T0_EESA_SA_bSA_SA_NS7_IS8_SA_EESA_NS7_IlSA_EESA_PS8_.num_agpr, 0
	.set _ZN2at6native6sbtopk10gatherTopKIN3c108BFloat16EmLi1ELb0EEEvNS_4cuda6detail10TensorInfoIKT_T0_EESA_SA_bSA_SA_NS7_IS8_SA_EESA_NS7_IlSA_EESA_PS8_.numbered_sgpr, 105
	.set _ZN2at6native6sbtopk10gatherTopKIN3c108BFloat16EmLi1ELb0EEEvNS_4cuda6detail10TensorInfoIKT_T0_EESA_SA_bSA_SA_NS7_IS8_SA_EESA_NS7_IlSA_EESA_PS8_.num_named_barrier, 0
	.set _ZN2at6native6sbtopk10gatherTopKIN3c108BFloat16EmLi1ELb0EEEvNS_4cuda6detail10TensorInfoIKT_T0_EESA_SA_bSA_SA_NS7_IS8_SA_EESA_NS7_IlSA_EESA_PS8_.private_seg_size, 0
	.set _ZN2at6native6sbtopk10gatherTopKIN3c108BFloat16EmLi1ELb0EEEvNS_4cuda6detail10TensorInfoIKT_T0_EESA_SA_bSA_SA_NS7_IS8_SA_EESA_NS7_IlSA_EESA_PS8_.uses_vcc, 1
	.set _ZN2at6native6sbtopk10gatherTopKIN3c108BFloat16EmLi1ELb0EEEvNS_4cuda6detail10TensorInfoIKT_T0_EESA_SA_bSA_SA_NS7_IS8_SA_EESA_NS7_IlSA_EESA_PS8_.uses_flat_scratch, 0
	.set _ZN2at6native6sbtopk10gatherTopKIN3c108BFloat16EmLi1ELb0EEEvNS_4cuda6detail10TensorInfoIKT_T0_EESA_SA_bSA_SA_NS7_IS8_SA_EESA_NS7_IlSA_EESA_PS8_.has_dyn_sized_stack, 0
	.set _ZN2at6native6sbtopk10gatherTopKIN3c108BFloat16EmLi1ELb0EEEvNS_4cuda6detail10TensorInfoIKT_T0_EESA_SA_bSA_SA_NS7_IS8_SA_EESA_NS7_IlSA_EESA_PS8_.has_recursion, 0
	.set _ZN2at6native6sbtopk10gatherTopKIN3c108BFloat16EmLi1ELb0EEEvNS_4cuda6detail10TensorInfoIKT_T0_EESA_SA_bSA_SA_NS7_IS8_SA_EESA_NS7_IlSA_EESA_PS8_.has_indirect_call, 0
	.section	.AMDGPU.csdata,"",@progbits
; Kernel info:
; codeLenInByte = 26068
; TotalNumSgprs: 107
; NumVgprs: 57
; ScratchSize: 0
; MemoryBound: 0
; FloatMode: 240
; IeeeMode: 1
; LDSByteSize: 5152 bytes/workgroup (compile time only)
; SGPRBlocks: 0
; VGPRBlocks: 3
; NumSGPRsForWavesPerEU: 107
; NumVGPRsForWavesPerEU: 57
; NamedBarCnt: 0
; Occupancy: 16
; WaveLimiterHint : 1
; COMPUTE_PGM_RSRC2:SCRATCH_EN: 0
; COMPUTE_PGM_RSRC2:USER_SGPR: 2
; COMPUTE_PGM_RSRC2:TRAP_HANDLER: 0
; COMPUTE_PGM_RSRC2:TGID_X_EN: 1
; COMPUTE_PGM_RSRC2:TGID_Y_EN: 1
; COMPUTE_PGM_RSRC2:TGID_Z_EN: 1
; COMPUTE_PGM_RSRC2:TIDIG_COMP_CNT: 0
	.section	.text._ZN2at6native6mbtopk23computeBlockDigitCountsIN3c108BFloat16EmjLi2EEEvNS_4cuda6detail10TensorInfoIKT_T0_EEjPjjSA_iijT1_PSD_Ps,"axG",@progbits,_ZN2at6native6mbtopk23computeBlockDigitCountsIN3c108BFloat16EmjLi2EEEvNS_4cuda6detail10TensorInfoIKT_T0_EEjPjjSA_iijT1_PSD_Ps,comdat
	.protected	_ZN2at6native6mbtopk23computeBlockDigitCountsIN3c108BFloat16EmjLi2EEEvNS_4cuda6detail10TensorInfoIKT_T0_EEjPjjSA_iijT1_PSD_Ps ; -- Begin function _ZN2at6native6mbtopk23computeBlockDigitCountsIN3c108BFloat16EmjLi2EEEvNS_4cuda6detail10TensorInfoIKT_T0_EEjPjjSA_iijT1_PSD_Ps
	.globl	_ZN2at6native6mbtopk23computeBlockDigitCountsIN3c108BFloat16EmjLi2EEEvNS_4cuda6detail10TensorInfoIKT_T0_EEjPjjSA_iijT1_PSD_Ps
	.p2align	8
	.type	_ZN2at6native6mbtopk23computeBlockDigitCountsIN3c108BFloat16EmjLi2EEEvNS_4cuda6detail10TensorInfoIKT_T0_EEjPjjSA_iijT1_PSD_Ps,@function
_ZN2at6native6mbtopk23computeBlockDigitCountsIN3c108BFloat16EmjLi2EEEvNS_4cuda6detail10TensorInfoIKT_T0_EEjPjjSA_iijT1_PSD_Ps: ; @_ZN2at6native6mbtopk23computeBlockDigitCountsIN3c108BFloat16EmjLi2EEEvNS_4cuda6detail10TensorInfoIKT_T0_EEjPjjSA_iijT1_PSD_Ps
; %bb.0:
	s_load_b128 s[4:7], s[0:1], 0x1c0
	s_bfe_u32 s2, ttmp6, 0x40010
	s_and_b32 s8, ttmp7, 0xffff
	s_add_co_i32 s9, s2, 1
	s_bfe_u32 s10, ttmp6, 0x40004
	s_mul_i32 s9, s8, s9
	s_load_b64 s[2:3], s[0:1], 0x1e0
	s_add_co_i32 s10, s10, s9
	s_bfe_u32 s11, ttmp6, 0x4000c
	s_bfe_u32 s13, ttmp6, 0x40014
	s_add_co_i32 s11, s11, 1
	s_and_b32 s12, ttmp6, 15
	s_mul_i32 s11, ttmp9, s11
	s_add_co_i32 s13, s13, 1
	s_add_co_i32 s12, s12, s11
	s_getreg_b32 s14, hwreg(HW_REG_IB_STS2, 6, 4)
	s_wait_kmcnt 0x0
	s_cvt_f32_u32 s9, s6
	s_delay_alu instid0(SALU_CYCLE_3) | instskip(SKIP_1) | instid1(SALU_CYCLE_1)
	v_rcp_iflag_f32_e32 v1, s9
	s_lshr_b32 s9, ttmp7, 16
	s_mul_i32 s11, s9, s13
	s_bfe_u32 s13, ttmp6, 0x40008
	s_delay_alu instid0(SALU_CYCLE_1) | instskip(SKIP_1) | instid1(TRANS32_DEP_1)
	s_add_co_i32 s13, s13, s11
	v_nop
	v_readfirstlane_b32 s15, v1
	s_cmp_eq_u32 s14, 0
	s_cselect_b32 s9, s9, s13
	s_load_b32 s13, s[0:1], 0x1b0
	s_mul_f32 s11, s15, 0x4f7ffffe
	s_mul_i32 s3, s3, s9
	s_cselect_b32 s9, ttmp9, s12
	s_cselect_b32 s8, s8, s10
	s_cvt_u32_f32 s11, s11
	s_sub_co_i32 s10, 0, s6
	s_add_co_i32 s3, s3, s8
	s_delay_alu instid0(SALU_CYCLE_1) | instskip(SKIP_3) | instid1(SALU_CYCLE_1)
	s_mul_i32 s20, s3, s2
	s_mul_i32 s10, s10, s11
	s_add_co_i32 s20, s20, s9
	s_mul_hi_u32 s2, s11, s10
	s_add_co_i32 s11, s11, s2
	s_delay_alu instid0(SALU_CYCLE_1) | instskip(NEXT) | instid1(SALU_CYCLE_1)
	s_mul_hi_u32 s2, s20, s11
	s_mul_i32 s3, s2, s6
	s_add_co_i32 s8, s2, 1
	s_sub_co_i32 s3, s20, s3
	s_delay_alu instid0(SALU_CYCLE_1)
	s_sub_co_i32 s9, s3, s6
	s_cmp_ge_u32 s3, s6
	s_cselect_b32 s2, s8, s2
	s_cselect_b32 s3, s9, s3
	s_add_co_i32 s8, s2, 1
	s_cmp_ge_u32 s3, s6
	s_cselect_b32 s12, s8, s2
	s_wait_kmcnt 0x0
	s_cmp_ge_u32 s12, s13
	s_mov_b32 s13, 0
	s_cbranch_scc1 .LBB217_23
; %bb.1:
	s_load_b64 s[14:15], s[0:1], 0x10
	s_mov_b64 s[16:17], 0
	s_wait_kmcnt 0x0
	v_cmp_lt_u64_e64 s2, s[12:13], s[14:15]
	s_and_b32 vcc_lo, exec_lo, s2
	s_cbranch_vccnz .LBB217_3
; %bb.2:
	v_cvt_f32_u32_e32 v1, s14
	s_sub_co_i32 s3, 0, s14
	s_mov_b32 s17, 0
	s_delay_alu instid0(VALU_DEP_1) | instskip(SKIP_1) | instid1(TRANS32_DEP_1)
	v_rcp_iflag_f32_e32 v1, v1
	v_nop
	v_mul_f32_e32 v1, 0x4f7ffffe, v1
	s_delay_alu instid0(VALU_DEP_1) | instskip(NEXT) | instid1(VALU_DEP_1)
	v_cvt_u32_f32_e32 v1, v1
	v_readfirstlane_b32 s2, v1
	s_mul_i32 s3, s3, s2
	s_delay_alu instid0(SALU_CYCLE_1) | instskip(NEXT) | instid1(SALU_CYCLE_1)
	s_mul_hi_u32 s3, s2, s3
	s_add_co_i32 s2, s2, s3
	s_delay_alu instid0(SALU_CYCLE_1) | instskip(NEXT) | instid1(SALU_CYCLE_1)
	s_mul_hi_u32 s2, s12, s2
	s_mul_i32 s3, s2, s14
	s_add_co_i32 s8, s2, 1
	s_sub_co_i32 s3, s12, s3
	s_delay_alu instid0(SALU_CYCLE_1)
	s_sub_co_i32 s9, s3, s14
	s_cmp_ge_u32 s3, s14
	s_cselect_b32 s2, s8, s2
	s_cselect_b32 s3, s9, s3
	s_add_co_i32 s8, s2, 1
	s_cmp_ge_u32 s3, s14
	s_cselect_b32 s16, s8, s2
.LBB217_3:
	v_cmp_gt_u32_e32 vcc_lo, 0x100, v0
	v_lshlrev_b32_e32 v1, 2, v0
	s_and_saveexec_b32 s2, vcc_lo
; %bb.4:
	v_mov_b32_e32 v2, 0
	ds_store_b32 v1, v2
; %bb.5:
	s_or_b32 exec_lo, exec_lo, s2
	s_clause 0x1
	s_load_b32 s21, s[0:1], 0x1a0
	s_load_b128 s[8:11], s[0:1], 0x1d0
	s_mul_i32 s2, s12, s6
	s_mov_b32 s19, 0
	s_sub_co_i32 s23, s20, s2
	s_wait_dscnt 0x0
	s_mul_i32 s2, s5, s23
	s_add_co_i32 s23, s23, 1
	s_lshl_b32 s22, s2, 8
	s_barrier_signal -1
	s_barrier_wait -1
	s_wait_kmcnt 0x0
	s_sub_co_i32 s18, s21, s22
	s_delay_alu instid0(SALU_CYCLE_1) | instskip(NEXT) | instid1(SALU_CYCLE_1)
	s_add_nc_u64 s[2:3], s[18:19], 0xff
	s_lshr_b64 s[2:3], s[2:3], 8
	s_cmp_lt_u32 s23, s6
	s_cselect_b32 s18, s5, s2
	s_delay_alu instid0(SALU_CYCLE_1)
	s_cmp_lt_i32 s18, 1
	s_cbranch_scc1 .LBB217_21
; %bb.6:
	s_clause 0x1
	s_load_b128 s[24:27], s[0:1], 0xd0
	s_load_b64 s[28:29], s[0:1], 0x0
	s_load_b32 s6, s[8:9], s12 offset:0x0 scale_offset
	s_load_b64 s[2:3], s[0:1], 0x1b8
	s_wait_xcnt 0x0
	s_mul_u64 s[0:1], s[16:17], s[14:15]
	v_add_nc_u32_e32 v6, s22, v0
	s_sub_nc_u64 s[0:1], s[12:13], s[0:1]
	s_wait_kmcnt 0x0
	s_mul_u64 s[8:9], s[16:17], s[24:25]
	s_mul_u64 s[0:1], s[0:1], s[26:27]
	s_lshl_b64 s[8:9], s[8:9], 1
	s_lshl_b64 s[12:13], s[0:1], 1
	s_add_nc_u64 s[8:9], s[28:29], s[8:9]
	s_and_b32 s1, s4, 0xff
	s_cmp_eq_u32 s18, 1
	s_add_nc_u64 s[4:5], s[8:9], s[12:13]
	s_cbranch_scc1 .LBB217_16
; %bb.7:
	v_dual_mov_b32 v3, 0 :: v_dual_mov_b32 v7, 1
	v_mov_b32_e32 v8, 0x8000
	v_mov_b32_e32 v2, v6
	s_and_b32 s8, s18, 0x7ffffffe
	s_mov_b32 s9, 0
	s_branch .LBB217_9
.LBB217_8:                              ;   in Loop: Header=BB217_9 Depth=1
	s_or_b32 exec_lo, exec_lo, s12
	v_add_nc_u32_e32 v2, 0x200, v2
	s_add_co_i32 s9, s9, 2
	s_delay_alu instid0(SALU_CYCLE_1)
	s_cmp_eq_u32 s8, s9
	s_cbranch_scc1 .LBB217_15
.LBB217_9:                              ; =>This Inner Loop Header: Depth=1
	s_mov_b32 s12, exec_lo
	v_cmpx_gt_u32_e64 s21, v2
	s_cbranch_execz .LBB217_12
; %bb.10:                               ;   in Loop: Header=BB217_9 Depth=1
	v_mul_u64_e32 v[4:5], s[2:3], v[2:3]
	s_delay_alu instid0(VALU_DEP_1)
	v_lshl_add_u64 v[4:5], v[4:5], 1, s[4:5]
	global_load_u16 v4, v[4:5], off
	s_wait_loadcnt 0x0
	v_cmp_lt_i16_e64 s0, -1, v4
	s_wait_xcnt 0x0
	v_and_b32_e32 v5, 0xffff, v4
	s_delay_alu instid0(VALU_DEP_2) | instskip(NEXT) | instid1(VALU_DEP_1)
	v_cndmask_b32_e64 v9, 0xffff, v8, s0
	v_dual_lshlrev_b32 v4, 16, v4 :: v_dual_bitop2_b32 v5, v9, v5 bitop3:0x14
	s_delay_alu instid0(VALU_DEP_1) | instskip(NEXT) | instid1(VALU_DEP_1)
	v_cmp_o_f32_e64 s0, v4, v4
	v_cndmask_b32_e64 v4, 0xffff, v5, s0
	s_delay_alu instid0(VALU_DEP_1) | instskip(NEXT) | instid1(VALU_DEP_1)
	v_bitop3_b32 v5, v4, s7, s6 bitop3:0x48
	v_cmp_eq_u32_e64 s0, 0, v5
	s_and_b32 exec_lo, exec_lo, s0
; %bb.11:                               ;   in Loop: Header=BB217_9 Depth=1
	v_bfe_u32 v4, v4, s1, 8
	s_delay_alu instid0(VALU_DEP_1)
	v_lshlrev_b32_e32 v4, 2, v4
	ds_add_u32 v4, v7
.LBB217_12:                             ;   in Loop: Header=BB217_9 Depth=1
	s_or_b32 exec_lo, exec_lo, s12
	v_add_nc_u32_e32 v4, 0x100, v2
	s_mov_b32 s12, exec_lo
	s_delay_alu instid0(VALU_DEP_1)
	v_cmpx_gt_u32_e64 s21, v4
	s_cbranch_execz .LBB217_8
; %bb.13:                               ;   in Loop: Header=BB217_9 Depth=1
	v_mov_b32_e32 v5, v3
	s_delay_alu instid0(VALU_DEP_1) | instskip(NEXT) | instid1(VALU_DEP_1)
	v_mul_u64_e32 v[4:5], s[2:3], v[4:5]
	v_lshl_add_u64 v[4:5], v[4:5], 1, s[4:5]
	global_load_u16 v4, v[4:5], off
	s_wait_loadcnt 0x0
	v_cmp_lt_i16_e64 s0, -1, v4
	v_and_b32_e32 v5, 0xffff, v4
	v_lshlrev_b32_e32 v4, 16, v4
	s_delay_alu instid0(VALU_DEP_3) | instskip(NEXT) | instid1(VALU_DEP_2)
	v_cndmask_b32_e64 v9, 0xffff, v8, s0
	v_cmp_o_f32_e64 s0, v4, v4
	s_delay_alu instid0(VALU_DEP_2) | instskip(NEXT) | instid1(VALU_DEP_1)
	v_xor_b32_e32 v5, v9, v5
	v_cndmask_b32_e64 v4, 0xffff, v5, s0
	s_delay_alu instid0(VALU_DEP_1) | instskip(NEXT) | instid1(VALU_DEP_1)
	v_bitop3_b32 v5, v4, s7, s6 bitop3:0x48
	v_cmp_eq_u32_e64 s0, 0, v5
	s_and_b32 exec_lo, exec_lo, s0
	s_cbranch_execz .LBB217_8
; %bb.14:                               ;   in Loop: Header=BB217_9 Depth=1
	v_bfe_u32 v4, v4, s1, 8
	s_delay_alu instid0(VALU_DEP_1)
	v_lshlrev_b32_e32 v4, 2, v4
	ds_add_u32 v4, v7
	s_branch .LBB217_8
.LBB217_15:
	s_lshl_b32 s19, s8, 8
.LBB217_16:
	s_bitcmp0_b32 s18, 0
	s_cbranch_scc1 .LBB217_21
; %bb.17:
	v_add_nc_u32_e32 v2, s19, v6
	s_mov_b32 s8, exec_lo
	s_delay_alu instid0(VALU_DEP_1)
	v_cmpx_gt_u32_e64 s21, v2
	s_cbranch_execz .LBB217_20
; %bb.18:
	v_mov_b32_e32 v3, 0
	s_delay_alu instid0(VALU_DEP_1) | instskip(NEXT) | instid1(VALU_DEP_1)
	v_mul_u64_e32 v[2:3], s[2:3], v[2:3]
	v_lshl_add_u64 v[2:3], v[2:3], 1, s[4:5]
	global_load_u16 v2, v[2:3], off
	s_wait_xcnt 0x0
	v_mov_b32_e32 v3, 0x8000
	s_wait_loadcnt 0x0
	v_cmp_lt_i16_e64 s0, -1, v2
	v_and_b32_e32 v4, 0xffff, v2
	v_lshlrev_b32_e32 v2, 16, v2
	s_delay_alu instid0(VALU_DEP_3) | instskip(NEXT) | instid1(VALU_DEP_2)
	v_cndmask_b32_e64 v3, 0xffff, v3, s0
	v_cmp_o_f32_e64 s0, v2, v2
	s_delay_alu instid0(VALU_DEP_2) | instskip(NEXT) | instid1(VALU_DEP_1)
	v_xor_b32_e32 v3, v3, v4
	v_cndmask_b32_e64 v2, 0xffff, v3, s0
	s_delay_alu instid0(VALU_DEP_1) | instskip(NEXT) | instid1(VALU_DEP_1)
	v_bitop3_b32 v3, v2, s7, s6 bitop3:0x48
	v_cmp_eq_u32_e64 s0, 0, v3
	s_and_b32 exec_lo, exec_lo, s0
; %bb.19:
	v_bfe_u32 v2, v2, s1, 8
	s_delay_alu instid0(VALU_DEP_1)
	v_dual_mov_b32 v3, 1 :: v_dual_lshlrev_b32 v2, 2, v2
	ds_add_u32 v2, v3
.LBB217_20:
	s_or_b32 exec_lo, exec_lo, s8
.LBB217_21:
	s_wait_dscnt 0x0
	s_barrier_signal -1
	s_barrier_wait -1
	s_and_saveexec_b32 s0, vcc_lo
	s_cbranch_execz .LBB217_23
; %bb.22:
	ds_load_b32 v1, v1
	v_lshl_or_b32 v0, s20, 8, v0
	s_wait_dscnt 0x0
	global_store_b16 v0, v1, s[10:11] scale_offset
.LBB217_23:
	s_endpgm
	.section	.rodata,"a",@progbits
	.p2align	6, 0x0
	.amdhsa_kernel _ZN2at6native6mbtopk23computeBlockDigitCountsIN3c108BFloat16EmjLi2EEEvNS_4cuda6detail10TensorInfoIKT_T0_EEjPjjSA_iijT1_PSD_Ps
		.amdhsa_group_segment_fixed_size 1024
		.amdhsa_private_segment_fixed_size 0
		.amdhsa_kernarg_size 736
		.amdhsa_user_sgpr_count 2
		.amdhsa_user_sgpr_dispatch_ptr 0
		.amdhsa_user_sgpr_queue_ptr 0
		.amdhsa_user_sgpr_kernarg_segment_ptr 1
		.amdhsa_user_sgpr_dispatch_id 0
		.amdhsa_user_sgpr_kernarg_preload_length 0
		.amdhsa_user_sgpr_kernarg_preload_offset 0
		.amdhsa_user_sgpr_private_segment_size 0
		.amdhsa_wavefront_size32 1
		.amdhsa_uses_dynamic_stack 0
		.amdhsa_enable_private_segment 0
		.amdhsa_system_sgpr_workgroup_id_x 1
		.amdhsa_system_sgpr_workgroup_id_y 1
		.amdhsa_system_sgpr_workgroup_id_z 1
		.amdhsa_system_sgpr_workgroup_info 0
		.amdhsa_system_vgpr_workitem_id 0
		.amdhsa_next_free_vgpr 10
		.amdhsa_next_free_sgpr 30
		.amdhsa_named_barrier_count 0
		.amdhsa_reserve_vcc 1
		.amdhsa_float_round_mode_32 0
		.amdhsa_float_round_mode_16_64 0
		.amdhsa_float_denorm_mode_32 3
		.amdhsa_float_denorm_mode_16_64 3
		.amdhsa_fp16_overflow 0
		.amdhsa_memory_ordered 1
		.amdhsa_forward_progress 1
		.amdhsa_inst_pref_size 11
		.amdhsa_round_robin_scheduling 0
		.amdhsa_exception_fp_ieee_invalid_op 0
		.amdhsa_exception_fp_denorm_src 0
		.amdhsa_exception_fp_ieee_div_zero 0
		.amdhsa_exception_fp_ieee_overflow 0
		.amdhsa_exception_fp_ieee_underflow 0
		.amdhsa_exception_fp_ieee_inexact 0
		.amdhsa_exception_int_div_zero 0
	.end_amdhsa_kernel
	.section	.text._ZN2at6native6mbtopk23computeBlockDigitCountsIN3c108BFloat16EmjLi2EEEvNS_4cuda6detail10TensorInfoIKT_T0_EEjPjjSA_iijT1_PSD_Ps,"axG",@progbits,_ZN2at6native6mbtopk23computeBlockDigitCountsIN3c108BFloat16EmjLi2EEEvNS_4cuda6detail10TensorInfoIKT_T0_EEjPjjSA_iijT1_PSD_Ps,comdat
.Lfunc_end217:
	.size	_ZN2at6native6mbtopk23computeBlockDigitCountsIN3c108BFloat16EmjLi2EEEvNS_4cuda6detail10TensorInfoIKT_T0_EEjPjjSA_iijT1_PSD_Ps, .Lfunc_end217-_ZN2at6native6mbtopk23computeBlockDigitCountsIN3c108BFloat16EmjLi2EEEvNS_4cuda6detail10TensorInfoIKT_T0_EEjPjjSA_iijT1_PSD_Ps
                                        ; -- End function
	.set _ZN2at6native6mbtopk23computeBlockDigitCountsIN3c108BFloat16EmjLi2EEEvNS_4cuda6detail10TensorInfoIKT_T0_EEjPjjSA_iijT1_PSD_Ps.num_vgpr, 10
	.set _ZN2at6native6mbtopk23computeBlockDigitCountsIN3c108BFloat16EmjLi2EEEvNS_4cuda6detail10TensorInfoIKT_T0_EEjPjjSA_iijT1_PSD_Ps.num_agpr, 0
	.set _ZN2at6native6mbtopk23computeBlockDigitCountsIN3c108BFloat16EmjLi2EEEvNS_4cuda6detail10TensorInfoIKT_T0_EEjPjjSA_iijT1_PSD_Ps.numbered_sgpr, 30
	.set _ZN2at6native6mbtopk23computeBlockDigitCountsIN3c108BFloat16EmjLi2EEEvNS_4cuda6detail10TensorInfoIKT_T0_EEjPjjSA_iijT1_PSD_Ps.num_named_barrier, 0
	.set _ZN2at6native6mbtopk23computeBlockDigitCountsIN3c108BFloat16EmjLi2EEEvNS_4cuda6detail10TensorInfoIKT_T0_EEjPjjSA_iijT1_PSD_Ps.private_seg_size, 0
	.set _ZN2at6native6mbtopk23computeBlockDigitCountsIN3c108BFloat16EmjLi2EEEvNS_4cuda6detail10TensorInfoIKT_T0_EEjPjjSA_iijT1_PSD_Ps.uses_vcc, 1
	.set _ZN2at6native6mbtopk23computeBlockDigitCountsIN3c108BFloat16EmjLi2EEEvNS_4cuda6detail10TensorInfoIKT_T0_EEjPjjSA_iijT1_PSD_Ps.uses_flat_scratch, 0
	.set _ZN2at6native6mbtopk23computeBlockDigitCountsIN3c108BFloat16EmjLi2EEEvNS_4cuda6detail10TensorInfoIKT_T0_EEjPjjSA_iijT1_PSD_Ps.has_dyn_sized_stack, 0
	.set _ZN2at6native6mbtopk23computeBlockDigitCountsIN3c108BFloat16EmjLi2EEEvNS_4cuda6detail10TensorInfoIKT_T0_EEjPjjSA_iijT1_PSD_Ps.has_recursion, 0
	.set _ZN2at6native6mbtopk23computeBlockDigitCountsIN3c108BFloat16EmjLi2EEEvNS_4cuda6detail10TensorInfoIKT_T0_EEjPjjSA_iijT1_PSD_Ps.has_indirect_call, 0
	.section	.AMDGPU.csdata,"",@progbits
; Kernel info:
; codeLenInByte = 1336
; TotalNumSgprs: 32
; NumVgprs: 10
; ScratchSize: 0
; MemoryBound: 0
; FloatMode: 240
; IeeeMode: 1
; LDSByteSize: 1024 bytes/workgroup (compile time only)
; SGPRBlocks: 0
; VGPRBlocks: 0
; NumSGPRsForWavesPerEU: 32
; NumVGPRsForWavesPerEU: 10
; NamedBarCnt: 0
; Occupancy: 16
; WaveLimiterHint : 1
; COMPUTE_PGM_RSRC2:SCRATCH_EN: 0
; COMPUTE_PGM_RSRC2:USER_SGPR: 2
; COMPUTE_PGM_RSRC2:TRAP_HANDLER: 0
; COMPUTE_PGM_RSRC2:TGID_X_EN: 1
; COMPUTE_PGM_RSRC2:TGID_Y_EN: 1
; COMPUTE_PGM_RSRC2:TGID_Z_EN: 1
; COMPUTE_PGM_RSRC2:TIDIG_COMP_CNT: 0
	.section	.text._ZN2at6native6mbtopk10gatherTopKIN3c108BFloat16EmLi2EEEvNS_4cuda6detail10TensorInfoIKT_T0_EESA_SA_bjSA_NS7_IS8_SA_EESA_NS7_IlSA_EESA_jjPS8_PjSF_j,"axG",@progbits,_ZN2at6native6mbtopk10gatherTopKIN3c108BFloat16EmLi2EEEvNS_4cuda6detail10TensorInfoIKT_T0_EESA_SA_bjSA_NS7_IS8_SA_EESA_NS7_IlSA_EESA_jjPS8_PjSF_j,comdat
	.protected	_ZN2at6native6mbtopk10gatherTopKIN3c108BFloat16EmLi2EEEvNS_4cuda6detail10TensorInfoIKT_T0_EESA_SA_bjSA_NS7_IS8_SA_EESA_NS7_IlSA_EESA_jjPS8_PjSF_j ; -- Begin function _ZN2at6native6mbtopk10gatherTopKIN3c108BFloat16EmLi2EEEvNS_4cuda6detail10TensorInfoIKT_T0_EESA_SA_bjSA_NS7_IS8_SA_EESA_NS7_IlSA_EESA_jjPS8_PjSF_j
	.globl	_ZN2at6native6mbtopk10gatherTopKIN3c108BFloat16EmLi2EEEvNS_4cuda6detail10TensorInfoIKT_T0_EESA_SA_bjSA_NS7_IS8_SA_EESA_NS7_IlSA_EESA_jjPS8_PjSF_j
	.p2align	8
	.type	_ZN2at6native6mbtopk10gatherTopKIN3c108BFloat16EmLi2EEEvNS_4cuda6detail10TensorInfoIKT_T0_EESA_SA_bjSA_NS7_IS8_SA_EESA_NS7_IlSA_EESA_jjPS8_PjSF_j,@function
_ZN2at6native6mbtopk10gatherTopKIN3c108BFloat16EmLi2EEEvNS_4cuda6detail10TensorInfoIKT_T0_EESA_SA_bjSA_NS7_IS8_SA_EESA_NS7_IlSA_EESA_jjPS8_PjSF_j: ; @_ZN2at6native6mbtopk10gatherTopKIN3c108BFloat16EmLi2EEEvNS_4cuda6detail10TensorInfoIKT_T0_EESA_SA_bjSA_NS7_IS8_SA_EESA_NS7_IlSA_EESA_jjPS8_PjSF_j
; %bb.0:
	s_bfe_u32 s2, ttmp6, 0x40010
	s_and_b32 s4, ttmp7, 0xffff
	s_add_co_i32 s5, s2, 1
	s_clause 0x1
	s_load_b32 s6, s[0:1], 0x530
	s_load_b64 s[2:3], s[0:1], 0x538
	s_bfe_u32 s8, ttmp6, 0x4000c
	s_mul_i32 s5, s4, s5
	s_bfe_u32 s7, ttmp6, 0x40004
	s_add_co_i32 s8, s8, 1
	s_bfe_u32 s9, ttmp6, 0x40014
	s_add_co_i32 s7, s7, s5
	s_and_b32 s5, ttmp6, 15
	s_mul_i32 s8, ttmp9, s8
	s_lshr_b32 s10, ttmp7, 16
	s_add_co_i32 s9, s9, 1
	s_add_co_i32 s5, s5, s8
	s_mul_i32 s8, s10, s9
	s_bfe_u32 s9, ttmp6, 0x40008
	s_getreg_b32 s11, hwreg(HW_REG_IB_STS2, 6, 4)
	s_add_co_i32 s9, s9, s8
	s_cmp_eq_u32 s11, 0
	s_cselect_b32 s8, s10, s9
	s_cselect_b32 s4, s4, s7
	s_wait_kmcnt 0x0
	s_mul_i32 s3, s3, s8
	s_cselect_b32 s5, ttmp9, s5
	s_add_co_i32 s3, s3, s4
	s_delay_alu instid0(SALU_CYCLE_1) | instskip(NEXT) | instid1(SALU_CYCLE_1)
	s_mul_i32 s2, s3, s2
	s_add_co_i32 s2, s2, s5
	s_delay_alu instid0(SALU_CYCLE_1)
	s_cmp_ge_u32 s2, s6
	s_cbranch_scc1 .LBB218_48
; %bb.1:
	s_load_b64 s[28:29], s[0:1], 0x510
	s_wait_kmcnt 0x0
	s_cvt_f32_u32 s3, s29
	s_sub_co_i32 s4, 0, s29
	s_lshl_b32 s33, s28, 8
	s_delay_alu instid0(SALU_CYCLE_1) | instskip(SKIP_1) | instid1(TRANS32_DEP_1)
	v_rcp_iflag_f32_e32 v1, s3
	v_nop
	v_readfirstlane_b32 s3, v1
	s_mul_f32 s3, s3, 0x4f7ffffe
	s_delay_alu instid0(SALU_CYCLE_3) | instskip(NEXT) | instid1(SALU_CYCLE_3)
	s_cvt_u32_f32 s3, s3
	s_mul_i32 s4, s4, s3
	s_delay_alu instid0(SALU_CYCLE_1) | instskip(NEXT) | instid1(SALU_CYCLE_1)
	s_mul_hi_u32 s4, s3, s4
	s_add_co_i32 s3, s3, s4
	s_clause 0x1
	s_load_b128 s[4:7], s[0:1], 0x1a0
	s_load_b64 s[34:35], s[0:1], 0x10
	s_mul_hi_u32 s3, s2, s3
	s_delay_alu instid0(SALU_CYCLE_1) | instskip(SKIP_2) | instid1(SALU_CYCLE_1)
	s_mul_i32 s8, s3, s29
	s_add_co_i32 s9, s3, 1
	s_sub_co_i32 s8, s2, s8
	s_sub_co_i32 s10, s8, s29
	s_cmp_ge_u32 s8, s29
	s_cselect_b32 s3, s9, s3
	s_cselect_b32 s8, s10, s8
	s_add_co_i32 s9, s3, 1
	s_cmp_ge_u32 s8, s29
	s_cselect_b32 s30, s9, s3
	s_delay_alu instid0(SALU_CYCLE_1) | instskip(NEXT) | instid1(SALU_CYCLE_1)
	s_mul_i32 s16, s30, s29
	s_sub_co_i32 s48, s2, s16
	s_delay_alu instid0(SALU_CYCLE_1) | instskip(NEXT) | instid1(SALU_CYCLE_1)
	s_add_co_i32 s2, s48, 1
	s_cmp_lt_u32 s2, s29
	s_cbranch_scc1 .LBB218_3
; %bb.2:
	s_mul_i32 s2, s48, s33
	s_mov_b32 s3, 0
	s_wait_kmcnt 0x0
	s_sub_nc_u64 s[8:9], s[4:5], s[2:3]
	s_delay_alu instid0(SALU_CYCLE_1) | instskip(NEXT) | instid1(SALU_CYCLE_1)
	s_add_nc_u64 s[8:9], s[8:9], 0xff
	s_ashr_i32 s2, s9, 31
	s_delay_alu instid0(SALU_CYCLE_1) | instskip(NEXT) | instid1(SALU_CYCLE_1)
	s_lshr_b32 s2, s2, 24
	s_add_nc_u64 s[2:3], s[8:9], s[2:3]
	s_delay_alu instid0(SALU_CYCLE_1) | instskip(NEXT) | instid1(SALU_CYCLE_1)
	s_lshr_b64 s[2:3], s[2:3], 8
	s_mov_b32 s28, s2
.LBB218_3:
	s_load_b64 s[36:37], s[0:1], 0x1d0
	s_mov_b32 s31, 0
	s_mov_b64 s[42:43], 0
	s_wait_kmcnt 0x0
	v_cmp_lt_u64_e64 s2, s[30:31], s[34:35]
	s_mov_b64 s[38:39], 0
	s_and_b32 vcc_lo, exec_lo, s2
	s_cbranch_vccz .LBB218_20
; %bb.4:
	s_load_b64 s[40:41], s[0:1], 0x378
	v_cmp_lt_u64_e64 s2, s[30:31], s[36:37]
	s_and_b32 vcc_lo, exec_lo, s2
	s_cbranch_vccz .LBB218_21
.LBB218_5:
	s_wait_kmcnt 0x0
	v_cmp_lt_u64_e64 s2, s[30:31], s[40:41]
	s_mov_b64 s[44:45], 0
	s_and_b32 vcc_lo, exec_lo, s2
	s_cbranch_vccnz .LBB218_7
.LBB218_6:
	v_cvt_f32_u32_e32 v1, s40
	s_sub_co_i32 s3, 0, s40
	s_mov_b32 s45, 0
	s_delay_alu instid0(VALU_DEP_1) | instskip(SKIP_1) | instid1(TRANS32_DEP_1)
	v_rcp_iflag_f32_e32 v1, v1
	v_nop
	v_mul_f32_e32 v1, 0x4f7ffffe, v1
	s_delay_alu instid0(VALU_DEP_1) | instskip(NEXT) | instid1(VALU_DEP_1)
	v_cvt_u32_f32_e32 v1, v1
	v_readfirstlane_b32 s2, v1
	s_mul_i32 s3, s3, s2
	s_delay_alu instid0(SALU_CYCLE_1) | instskip(NEXT) | instid1(SALU_CYCLE_1)
	s_mul_hi_u32 s3, s2, s3
	s_add_co_i32 s2, s2, s3
	s_delay_alu instid0(SALU_CYCLE_1) | instskip(NEXT) | instid1(SALU_CYCLE_1)
	s_mul_hi_u32 s2, s30, s2
	s_mul_i32 s3, s2, s40
	s_add_co_i32 s8, s2, 1
	s_sub_co_i32 s3, s30, s3
	s_delay_alu instid0(SALU_CYCLE_1)
	s_sub_co_i32 s9, s3, s40
	s_cmp_ge_u32 s3, s40
	s_cselect_b32 s2, s8, s2
	s_cselect_b32 s3, s9, s3
	s_add_co_i32 s8, s2, 1
	s_cmp_ge_u32 s3, s40
	s_cselect_b32 s44, s8, s2
.LBB218_7:
	s_load_b128 s[8:11], s[0:1], 0x518
	v_mov_b32_e32 v1, 0
	s_lshl_b64 s[2:3], s[30:31], 1
	s_mov_b32 s17, 0
	s_wait_kmcnt 0x0
	s_add_nc_u64 s[2:3], s[8:9], s[2:3]
	global_load_u16 v1, v1, s[2:3]
	s_wait_xcnt 0x0
	v_cmp_ne_u32_e64 s2, 0, v0
	v_cmp_eq_u32_e64 s3, 0, v0
	s_wait_loadcnt 0x0
	v_readfirstlane_b32 s49, v1
	s_and_saveexec_b32 s24, s3
	s_cbranch_execz .LBB218_25
; %bb.8:
	s_load_b64 s[18:19], s[0:1], 0x528
	s_lshl_b64 s[20:21], s[16:17], 2
	s_cmp_lt_u32 s29, 4
	s_cbranch_scc1 .LBB218_22
; %bb.9:
	s_mov_b64 s[8:9], 0
	s_mov_b32 s16, 0
.LBB218_10:                             ; =>This Inner Loop Header: Depth=1
	s_add_nc_u64 s[22:23], s[10:11], s[20:21]
	s_cmp_ge_u32 s16, s48
	s_load_b128 s[12:15], s[22:23], 0x0
	s_wait_kmcnt 0x0
	s_add_nc_u64 s[22:23], s[18:19], s[20:21]
	s_cbranch_scc0 .LBB218_17
; %bb.11:                               ;   in Loop: Header=BB218_10 Depth=1
	s_add_co_i32 s25, s16, 1
	s_delay_alu instid0(SALU_CYCLE_1)
	s_cmp_ge_u32 s25, s48
	s_cbranch_scc0 .LBB218_18
.LBB218_12:                             ;   in Loop: Header=BB218_10 Depth=1
	s_add_co_i32 s25, s25, 1
	s_delay_alu instid0(SALU_CYCLE_1)
	s_cmp_ge_u32 s25, s48
	s_cbranch_scc0 .LBB218_19
.LBB218_13:                             ;   in Loop: Header=BB218_10 Depth=1
	s_add_co_i32 s25, s25, 1
	s_delay_alu instid0(SALU_CYCLE_1)
	s_cmp_ge_u32 s25, s48
	s_cbranch_scc1 .LBB218_15
.LBB218_14:                             ;   in Loop: Header=BB218_10 Depth=1
	s_load_b32 s22, s[22:23], 0xc
	s_add_co_i32 s9, s15, s9
	s_wait_kmcnt 0x0
	s_add_co_i32 s8, s22, s8
.LBB218_15:                             ;   in Loop: Header=BB218_10 Depth=1
	s_add_co_i32 s12, s12, s17
	s_add_nc_u64 s[10:11], s[10:11], 16
	s_add_co_i32 s12, s12, s13
	s_add_co_i32 s13, s25, 4
	;; [unrolled: 1-line block ×3, first 2 shown]
	s_add_nc_u64 s[18:19], s[18:19], 16
	s_add_co_i32 s17, s12, s15
	s_add_co_i32 s12, s25, 1
	s_cmp_ge_u32 s13, s29
	s_cbranch_scc1 .LBB218_23
; %bb.16:                               ;   in Loop: Header=BB218_10 Depth=1
	s_mov_b32 s16, s12
	s_branch .LBB218_10
.LBB218_17:                             ;   in Loop: Header=BB218_10 Depth=1
	s_load_b32 s25, s[22:23], 0x0
	s_add_co_i32 s9, s12, s9
	s_wait_kmcnt 0x0
	s_add_co_i32 s8, s25, s8
	s_add_co_i32 s25, s16, 1
	s_delay_alu instid0(SALU_CYCLE_1)
	s_cmp_ge_u32 s25, s48
	s_cbranch_scc1 .LBB218_12
.LBB218_18:                             ;   in Loop: Header=BB218_10 Depth=1
	s_load_b32 s26, s[22:23], 0x4
	s_add_co_i32 s9, s13, s9
	s_wait_kmcnt 0x0
	s_add_co_i32 s8, s26, s8
	s_add_co_i32 s25, s25, 1
	s_delay_alu instid0(SALU_CYCLE_1)
	s_cmp_ge_u32 s25, s48
	s_cbranch_scc1 .LBB218_13
.LBB218_19:                             ;   in Loop: Header=BB218_10 Depth=1
	s_load_b32 s26, s[22:23], 0x8
	s_add_co_i32 s9, s14, s9
	s_wait_kmcnt 0x0
	s_add_co_i32 s8, s26, s8
	s_add_co_i32 s25, s25, 1
	s_delay_alu instid0(SALU_CYCLE_1)
	s_cmp_ge_u32 s25, s48
	s_cbranch_scc0 .LBB218_14
	s_branch .LBB218_15
.LBB218_20:
	v_cvt_f32_u32_e32 v1, s34
	s_sub_co_i32 s3, 0, s34
	s_mov_b32 s39, s31
	s_delay_alu instid0(VALU_DEP_1) | instskip(SKIP_1) | instid1(TRANS32_DEP_1)
	v_rcp_iflag_f32_e32 v1, v1
	v_nop
	v_mul_f32_e32 v1, 0x4f7ffffe, v1
	s_delay_alu instid0(VALU_DEP_1) | instskip(NEXT) | instid1(VALU_DEP_1)
	v_cvt_u32_f32_e32 v1, v1
	v_readfirstlane_b32 s2, v1
	s_mul_i32 s3, s3, s2
	s_delay_alu instid0(SALU_CYCLE_1) | instskip(NEXT) | instid1(SALU_CYCLE_1)
	s_mul_hi_u32 s3, s2, s3
	s_add_co_i32 s2, s2, s3
	s_delay_alu instid0(SALU_CYCLE_1) | instskip(NEXT) | instid1(SALU_CYCLE_1)
	s_mul_hi_u32 s2, s30, s2
	s_mul_i32 s3, s2, s34
	s_add_co_i32 s8, s2, 1
	s_sub_co_i32 s3, s30, s3
	s_delay_alu instid0(SALU_CYCLE_1)
	s_sub_co_i32 s9, s3, s34
	s_cmp_ge_u32 s3, s34
	s_cselect_b32 s2, s8, s2
	s_cselect_b32 s3, s9, s3
	s_add_co_i32 s8, s2, 1
	s_cmp_ge_u32 s3, s34
	s_cselect_b32 s38, s8, s2
	s_load_b64 s[40:41], s[0:1], 0x378
	v_cmp_lt_u64_e64 s2, s[30:31], s[36:37]
	s_and_b32 vcc_lo, exec_lo, s2
	s_cbranch_vccnz .LBB218_5
.LBB218_21:
	v_cvt_f32_u32_e32 v1, s36
	s_sub_co_i32 s3, 0, s36
	s_mov_b32 s43, 0
	s_delay_alu instid0(VALU_DEP_1) | instskip(SKIP_1) | instid1(TRANS32_DEP_1)
	v_rcp_iflag_f32_e32 v1, v1
	v_nop
	v_mul_f32_e32 v1, 0x4f7ffffe, v1
	s_delay_alu instid0(VALU_DEP_1) | instskip(NEXT) | instid1(VALU_DEP_1)
	v_cvt_u32_f32_e32 v1, v1
	v_readfirstlane_b32 s2, v1
	s_mul_i32 s3, s3, s2
	s_delay_alu instid0(SALU_CYCLE_1) | instskip(NEXT) | instid1(SALU_CYCLE_1)
	s_mul_hi_u32 s3, s2, s3
	s_add_co_i32 s2, s2, s3
	s_delay_alu instid0(SALU_CYCLE_1) | instskip(NEXT) | instid1(SALU_CYCLE_1)
	s_mul_hi_u32 s2, s30, s2
	s_mul_i32 s3, s2, s36
	s_add_co_i32 s8, s2, 1
	s_sub_co_i32 s3, s30, s3
	s_delay_alu instid0(SALU_CYCLE_1)
	s_sub_co_i32 s9, s3, s36
	s_cmp_ge_u32 s3, s36
	s_cselect_b32 s2, s8, s2
	s_cselect_b32 s3, s9, s3
	s_add_co_i32 s8, s2, 1
	s_cmp_ge_u32 s3, s36
	s_cselect_b32 s42, s8, s2
	s_wait_kmcnt 0x0
	v_cmp_lt_u64_e64 s2, s[30:31], s[40:41]
	s_mov_b64 s[44:45], 0
	s_and_b32 vcc_lo, exec_lo, s2
	s_cbranch_vccz .LBB218_6
	s_branch .LBB218_7
.LBB218_22:
	s_mov_b64 s[8:9], 0
	s_add_nc_u64 s[10:11], s[10:11], s[20:21]
	s_wait_kmcnt 0x0
	s_add_nc_u64 s[12:13], s[18:19], s[20:21]
	s_mov_b32 s14, 0
	s_delay_alu instid0(SALU_CYCLE_1)
	s_cmp_ge_u32 s14, s29
	s_cbranch_scc0 .LBB218_46
	s_branch .LBB218_24
.LBB218_23:
	s_add_co_i32 s14, s16, 4
	s_add_nc_u64 s[12:13], s[18:19], s[20:21]
	s_add_nc_u64 s[10:11], s[10:11], s[20:21]
	s_cmp_ge_u32 s14, s29
	s_cbranch_scc0 .LBB218_46
.LBB218_24:
	v_dual_mov_b32 v2, s8 :: v_dual_mov_b32 v3, s17
	v_dual_mov_b32 v4, s9 :: v_dual_mov_b32 v1, 0
	ds_store_b96 v1, v[2:4] offset:1056
.LBB218_25:
	s_or_b32 exec_lo, exec_lo, s24
	s_clause 0x5
	s_load_b64 s[46:47], s[0:1], 0x0
	s_load_b128 s[16:19], s[0:1], 0xd0
	s_load_b128 s[8:11], s[0:1], 0x1b8
	;; [unrolled: 1-line block ×5, first 2 shown]
	s_cmp_eq_u32 s28, 0
	s_wait_dscnt 0x0
	s_barrier_signal -1
	s_barrier_wait -1
	s_cbranch_scc1 .LBB218_48
; %bb.26:
	s_mul_u64 s[34:35], s[38:39], s[34:35]
	s_mul_u64 s[36:37], s[42:43], s[36:37]
	s_sub_nc_u64 s[34:35], s[30:31], s[34:35]
	s_wait_kmcnt 0x0
	s_mul_u64 s[16:17], s[38:39], s[16:17]
	s_sub_nc_u64 s[36:37], s[30:31], s[36:37]
	s_mul_u64 s[24:25], s[42:43], s[24:25]
	s_mul_u64 s[18:19], s[34:35], s[18:19]
	s_lshl_b64 s[16:17], s[16:17], 1
	v_dual_mov_b32 v1, 0 :: v_dual_lshrrev_b32 v5, 3, v0
	s_mul_u64 s[26:27], s[36:37], s[26:27]
	s_mul_u64 s[36:37], s[44:45], s[40:41]
	s_add_nc_u64 s[16:17], s[46:47], s[16:17]
	s_lshl_b64 s[18:19], s[18:19], 1
	s_lshl_b64 s[24:25], s[24:25], 1
	s_sub_nc_u64 s[30:31], s[30:31], s[36:37]
	s_mul_u64 s[20:21], s[44:45], s[20:21]
	s_add_nc_u64 s[16:17], s[16:17], s[18:19]
	s_add_nc_u64 s[10:11], s[10:11], s[24:25]
	s_lshl_b64 s[18:19], s[26:27], 1
	s_mul_u64 s[22:23], s[30:31], s[22:23]
	ds_load_b96 v[2:4], v1 offset:1056
	s_add_nc_u64 s[10:11], s[10:11], s[18:19]
	s_lshl_b64 s[18:19], s[20:21], 3
	s_sext_i32_i16 s20, s49
	s_lshl_b64 s[22:23], s[22:23], 3
	s_and_b32 s21, 0xffff, s49
	s_cmp_gt_i32 s20, -1
	s_mov_b32 s20, 0x8000
	s_add_nc_u64 s[18:19], s[14:15], s[18:19]
	s_cselect_b32 s14, s20, 0xffff
	s_lshl_b32 s15, s49, 16
	s_xor_b32 s20, s14, s21
	s_load_b32 s21, s[0:1], 0x1b0
	v_dual_add_nc_u32 v6, -1, v0 :: v_dual_bitop2_b32 v5, 28, v5 bitop3:0x40
	s_cmp_o_f32 s15, s15
	s_load_b64 s[14:15], s[0:1], 0x508
	s_delay_alu instid0(VALU_DEP_1) | instskip(NEXT) | instid1(VALU_DEP_2)
	v_dual_lshlrev_b32 v10, 5, v0 :: v_dual_lshrrev_b32 v7, 3, v6
	v_lshl_add_u32 v5, v0, 2, v5
	s_wait_dscnt 0x0
	v_add_nc_u32_e32 v2, v2, v3
	v_and_b32_e32 v3, 0xfc, v0
	s_wait_xcnt 0x0
	v_cmp_gt_u32_e64 s0, 32, v0
	v_mad_u32 v0, s48, s33, v0
	v_and_b32_e32 v7, 0x1ffffffc, v7
	v_mbcnt_lo_u32_b32 v8, -1, 0
	v_add_nc_u32_e32 v10, v3, v10
	v_mov_b32_e32 v14, 0x8000
	s_cselect_b32 s20, s20, 0xffff
	v_lshl_add_u32 v9, v6, 2, v7
	v_and_b32_e32 v11, 15, v8
	v_bfe_i32 v12, v8, 4, 1
	v_add_nc_u32_e32 v13, -1, v8
	s_wait_kmcnt 0x0
	s_bitcmp1_b32 s21, 0
	s_add_nc_u64 s[18:19], s[18:19], s[22:23]
	s_cselect_b32 s1, -1, 0
                                        ; implicit-def: $vgpr15
	s_branch .LBB218_29
.LBB218_27:                             ;   in Loop: Header=BB218_29 Depth=1
	s_wait_xcnt 0x0
	s_or_b32 exec_lo, exec_lo, s21
	v_add_nc_u32_e32 v2, v3, v2
.LBB218_28:                             ;   in Loop: Header=BB218_29 Depth=1
	v_add_nc_u32_e32 v4, v16, v4
	v_add_nc_u32_e32 v0, 0x100, v0
	s_add_co_i32 s28, s28, -1
	s_delay_alu instid0(SALU_CYCLE_1)
	s_cmp_lg_u32 s28, 0
	s_cbranch_scc0 .LBB218_48
.LBB218_29:                             ; =>This Inner Loop Header: Depth=1
	v_dual_mov_b32 v3, v1 :: v_dual_mov_b32 v6, v1
	s_mov_b32 s21, exec_lo
	v_cmpx_gt_u64_e64 s[4:5], v[0:1]
	s_cbranch_execz .LBB218_31
; %bb.30:                               ;   in Loop: Header=BB218_29 Depth=1
	v_mul_u64_e32 v[6:7], s[8:9], v[0:1]
	s_delay_alu instid0(VALU_DEP_1)
	v_lshl_add_u64 v[6:7], v[6:7], 1, s[16:17]
	global_load_u16 v15, v[6:7], off
	s_wait_loadcnt 0x0
	v_cmp_lt_i16_e32 vcc_lo, -1, v15
	v_and_b32_e32 v3, 0xffff, v15
	s_wait_xcnt 0x0
	v_dual_cndmask_b32 v6, 0xffff, v14 :: v_dual_lshlrev_b32 v7, 16, v15
	s_delay_alu instid0(VALU_DEP_1) | instskip(NEXT) | instid1(VALU_DEP_2)
	v_cmp_o_f32_e32 vcc_lo, v7, v7
	v_xor_b32_e32 v3, v6, v3
	s_delay_alu instid0(VALU_DEP_1) | instskip(NEXT) | instid1(VALU_DEP_1)
	v_cndmask_b32_e32 v6, 0xffff, v3, vcc_lo
	v_cmp_lt_u32_e32 vcc_lo, s20, v6
	v_cndmask_b32_e64 v3, 0, 1, vcc_lo
	v_cmp_gt_u32_e32 vcc_lo, s20, v6
	v_cndmask_b32_e64 v7, 0, 1, vcc_lo
	v_cmp_eq_u32_e32 vcc_lo, s20, v6
	s_delay_alu instid0(VALU_DEP_2) | instskip(SKIP_1) | instid1(VALU_DEP_2)
	v_cndmask_b32_e64 v3, v7, v3, s1
	v_cndmask_b32_e64 v6, 0, 1, vcc_lo
	v_and_b32_e32 v3, 1, v3
.LBB218_31:                             ;   in Loop: Header=BB218_29 Depth=1
	s_or_b32 exec_lo, exec_lo, s21
	ds_store_b32 v5, v3
	s_wait_dscnt 0x0
	s_barrier_signal -1
	s_barrier_wait -1
	s_and_saveexec_b32 s21, s0
	s_cbranch_execz .LBB218_33
; %bb.32:                               ;   in Loop: Header=BB218_29 Depth=1
	ds_load_2addr_b32 v[16:17], v10 offset1:1
	ds_load_2addr_b32 v[18:19], v10 offset0:2 offset1:3
	ds_load_2addr_b32 v[20:21], v10 offset0:4 offset1:5
	;; [unrolled: 1-line block ×3, first 2 shown]
	v_cmp_ne_u32_e32 vcc_lo, 0, v11
	; wave barrier
	s_wait_dscnt 0x3
	v_add_nc_u32_e32 v7, v17, v16
	s_wait_dscnt 0x2
	s_delay_alu instid0(VALU_DEP_1) | instskip(SKIP_1) | instid1(VALU_DEP_1)
	v_add3_u32 v7, v7, v18, v19
	s_wait_dscnt 0x1
	v_add3_u32 v7, v7, v20, v21
	s_wait_dscnt 0x0
	s_delay_alu instid0(VALU_DEP_1) | instskip(NEXT) | instid1(VALU_DEP_1)
	v_add3_u32 v7, v7, v22, v23
	v_mov_b32_dpp v17, v7 row_shr:1 row_mask:0xf bank_mask:0xf
	s_delay_alu instid0(VALU_DEP_1) | instskip(SKIP_1) | instid1(VALU_DEP_2)
	v_cndmask_b32_e32 v17, 0, v17, vcc_lo
	v_cmp_lt_u32_e32 vcc_lo, 1, v11
	v_add_nc_u32_e32 v7, v17, v7
	s_delay_alu instid0(VALU_DEP_1) | instskip(NEXT) | instid1(VALU_DEP_1)
	v_mov_b32_dpp v17, v7 row_shr:2 row_mask:0xf bank_mask:0xf
	v_cndmask_b32_e32 v17, 0, v17, vcc_lo
	v_cmp_lt_u32_e32 vcc_lo, 3, v11
	s_delay_alu instid0(VALU_DEP_2) | instskip(NEXT) | instid1(VALU_DEP_1)
	v_add_nc_u32_e32 v7, v7, v17
	v_mov_b32_dpp v17, v7 row_shr:4 row_mask:0xf bank_mask:0xf
	s_delay_alu instid0(VALU_DEP_1) | instskip(SKIP_1) | instid1(VALU_DEP_2)
	v_cndmask_b32_e32 v17, 0, v17, vcc_lo
	v_cmp_lt_u32_e32 vcc_lo, 7, v11
	v_add_nc_u32_e32 v7, v7, v17
	s_delay_alu instid0(VALU_DEP_1) | instskip(NEXT) | instid1(VALU_DEP_1)
	v_mov_b32_dpp v17, v7 row_shr:8 row_mask:0xf bank_mask:0xf
	v_cndmask_b32_e32 v17, 0, v17, vcc_lo
	v_cmp_gt_i32_e32 vcc_lo, 0, v13
	s_delay_alu instid0(VALU_DEP_2) | instskip(SKIP_3) | instid1(VALU_DEP_1)
	v_dual_cndmask_b32 v18, v13, v8 :: v_dual_add_nc_u32 v7, v7, v17
	ds_swizzle_b32 v17, v7 offset:swizzle(BROADCAST,32,15)
	s_wait_dscnt 0x0
	v_dual_lshlrev_b32 v18, 2, v18 :: v_dual_bitop2_b32 v17, v12, v17 bitop3:0x40
	v_add_nc_u32_e32 v7, v7, v17
	ds_bpermute_b32 v7, v18, v7
	s_wait_dscnt 0x0
	v_add_nc_u32_e32 v7, v7, v16
	s_delay_alu instid0(VALU_DEP_1)
	v_cndmask_b32_e64 v7, v7, v3, s3
	ds_store_b32 v10, v7
	; wave barrier
	ds_load_2addr_b32 v[16:17], v10 offset0:1 offset1:2
	ds_load_2addr_b32 v[18:19], v10 offset0:3 offset1:4
	;; [unrolled: 1-line block ×3, first 2 shown]
	ds_load_b32 v22, v10 offset:28
	s_wait_dscnt 0x3
	v_add_nc_u32_e32 v7, v16, v7
	s_delay_alu instid0(VALU_DEP_1) | instskip(SKIP_1) | instid1(VALU_DEP_1)
	v_add_nc_u32_e32 v16, v17, v7
	s_wait_dscnt 0x2
	v_add_nc_u32_e32 v17, v18, v16
	s_delay_alu instid0(VALU_DEP_1) | instskip(SKIP_1) | instid1(VALU_DEP_1)
	v_add_nc_u32_e32 v18, v19, v17
	;; [unrolled: 4-line block ×3, first 2 shown]
	s_wait_dscnt 0x0
	v_add_nc_u32_e32 v21, v22, v20
	ds_store_2addr_b32 v10, v7, v16 offset0:1 offset1:2
	ds_store_2addr_b32 v10, v17, v18 offset0:3 offset1:4
	;; [unrolled: 1-line block ×3, first 2 shown]
	ds_store_b32 v10, v21 offset:28
.LBB218_33:                             ;   in Loop: Header=BB218_29 Depth=1
	s_or_b32 exec_lo, exec_lo, s21
	v_mov_b32_e32 v7, 0
	s_wait_dscnt 0x0
	s_barrier_signal -1
	s_barrier_wait -1
	s_and_saveexec_b32 s21, s2
; %bb.34:                               ;   in Loop: Header=BB218_29 Depth=1
	ds_load_b32 v7, v9
; %bb.35:                               ;   in Loop: Header=BB218_29 Depth=1
	s_or_b32 exec_lo, exec_lo, s21
	ds_load_b32 v16, v1 offset:1048
	s_mov_b32 s21, exec_lo
	s_wait_dscnt 0x0
	s_barrier_signal -1
	s_barrier_wait -1
	v_cmpx_ne_u32_e32 0, v3
	s_cbranch_execz .LBB218_37
; %bb.36:                               ;   in Loop: Header=BB218_29 Depth=1
	v_dual_mov_b32 v19, v1 :: v_dual_add_nc_u32 v18, v7, v4
	s_delay_alu instid0(VALU_DEP_1) | instskip(SKIP_1) | instid1(VALU_DEP_2)
	v_mul_u64_e32 v[20:21], s[12:13], v[18:19]
	v_mul_u64_e32 v[18:19], s[14:15], v[18:19]
	v_lshl_add_u64 v[20:21], v[20:21], 1, s[10:11]
	s_delay_alu instid0(VALU_DEP_2)
	v_lshl_add_u64 v[18:19], v[18:19], 3, s[18:19]
	global_store_b16 v[20:21], v15, off
	global_store_b64 v[18:19], v[0:1], off
.LBB218_37:                             ;   in Loop: Header=BB218_29 Depth=1
	s_wait_xcnt 0x0
	s_or_b32 exec_lo, exec_lo, s21
	v_mov_b32_e32 v3, v1
	s_delay_alu instid0(VALU_DEP_1)
	v_cmp_le_u64_e32 vcc_lo, s[6:7], v[2:3]
	s_cbranch_vccnz .LBB218_28
; %bb.38:                               ;   in Loop: Header=BB218_29 Depth=1
	ds_store_b32 v5, v6
	s_wait_storecnt_dscnt 0x0
	s_barrier_signal -1
	s_barrier_wait -1
	s_and_saveexec_b32 s21, s0
	s_cbranch_execz .LBB218_40
; %bb.39:                               ;   in Loop: Header=BB218_29 Depth=1
	ds_load_2addr_b32 v[18:19], v10 offset1:1
	ds_load_2addr_b32 v[20:21], v10 offset0:2 offset1:3
	ds_load_2addr_b32 v[22:23], v10 offset0:4 offset1:5
	;; [unrolled: 1-line block ×3, first 2 shown]
	v_cmp_ne_u32_e32 vcc_lo, 0, v11
	; wave barrier
	s_wait_dscnt 0x3
	v_add_nc_u32_e32 v3, v19, v18
	s_wait_dscnt 0x2
	s_delay_alu instid0(VALU_DEP_1) | instskip(SKIP_1) | instid1(VALU_DEP_1)
	v_add3_u32 v3, v3, v20, v21
	s_wait_dscnt 0x1
	v_add3_u32 v3, v3, v22, v23
	s_wait_dscnt 0x0
	s_delay_alu instid0(VALU_DEP_1) | instskip(NEXT) | instid1(VALU_DEP_1)
	v_add3_u32 v3, v3, v24, v25
	v_mov_b32_dpp v7, v3 row_shr:1 row_mask:0xf bank_mask:0xf
	s_delay_alu instid0(VALU_DEP_1) | instskip(SKIP_1) | instid1(VALU_DEP_2)
	v_cndmask_b32_e32 v7, 0, v7, vcc_lo
	v_cmp_lt_u32_e32 vcc_lo, 1, v11
	v_add_nc_u32_e32 v3, v7, v3
	s_delay_alu instid0(VALU_DEP_1) | instskip(NEXT) | instid1(VALU_DEP_1)
	v_mov_b32_dpp v7, v3 row_shr:2 row_mask:0xf bank_mask:0xf
	v_cndmask_b32_e32 v7, 0, v7, vcc_lo
	v_cmp_lt_u32_e32 vcc_lo, 3, v11
	s_delay_alu instid0(VALU_DEP_2) | instskip(NEXT) | instid1(VALU_DEP_1)
	v_add_nc_u32_e32 v3, v3, v7
	v_mov_b32_dpp v7, v3 row_shr:4 row_mask:0xf bank_mask:0xf
	s_delay_alu instid0(VALU_DEP_1) | instskip(SKIP_1) | instid1(VALU_DEP_2)
	v_cndmask_b32_e32 v7, 0, v7, vcc_lo
	v_cmp_lt_u32_e32 vcc_lo, 7, v11
	v_add_nc_u32_e32 v3, v3, v7
	s_delay_alu instid0(VALU_DEP_1) | instskip(NEXT) | instid1(VALU_DEP_1)
	v_mov_b32_dpp v7, v3 row_shr:8 row_mask:0xf bank_mask:0xf
	v_cndmask_b32_e32 v7, 0, v7, vcc_lo
	v_cmp_gt_i32_e32 vcc_lo, 0, v13
	s_delay_alu instid0(VALU_DEP_2) | instskip(SKIP_3) | instid1(VALU_DEP_1)
	v_dual_add_nc_u32 v3, v3, v7 :: v_dual_cndmask_b32 v17, v13, v8, vcc_lo
	ds_swizzle_b32 v7, v3 offset:swizzle(BROADCAST,32,15)
	s_wait_dscnt 0x0
	v_dual_lshlrev_b32 v17, 2, v17 :: v_dual_bitop2_b32 v7, v12, v7 bitop3:0x40
	v_add_nc_u32_e32 v3, v3, v7
	ds_bpermute_b32 v3, v17, v3
	s_wait_dscnt 0x0
	v_add_nc_u32_e32 v3, v3, v18
	s_delay_alu instid0(VALU_DEP_1)
	v_cndmask_b32_e64 v3, v3, v6, s3
	ds_store_b32 v10, v3
	; wave barrier
	ds_load_2addr_b32 v[18:19], v10 offset0:1 offset1:2
	ds_load_2addr_b32 v[20:21], v10 offset0:3 offset1:4
	;; [unrolled: 1-line block ×3, first 2 shown]
	ds_load_b32 v7, v10 offset:28
	s_wait_dscnt 0x3
	v_add_nc_u32_e32 v3, v18, v3
	s_delay_alu instid0(VALU_DEP_1) | instskip(SKIP_1) | instid1(VALU_DEP_1)
	v_add_nc_u32_e32 v17, v19, v3
	s_wait_dscnt 0x2
	v_add_nc_u32_e32 v18, v20, v17
	s_delay_alu instid0(VALU_DEP_1) | instskip(SKIP_1) | instid1(VALU_DEP_1)
	v_add_nc_u32_e32 v19, v21, v18
	s_wait_dscnt 0x1
	v_add_nc_u32_e32 v20, v22, v19
	s_delay_alu instid0(VALU_DEP_1) | instskip(SKIP_1) | instid1(VALU_DEP_1)
	v_add_nc_u32_e32 v21, v23, v20
	s_wait_dscnt 0x0
	v_add_nc_u32_e32 v7, v7, v21
	ds_store_2addr_b32 v10, v3, v17 offset0:1 offset1:2
	ds_store_2addr_b32 v10, v18, v19 offset0:3 offset1:4
	;; [unrolled: 1-line block ×3, first 2 shown]
	ds_store_b32 v10, v7 offset:28
.LBB218_40:                             ;   in Loop: Header=BB218_29 Depth=1
	s_or_b32 exec_lo, exec_lo, s21
	v_mov_b32_e32 v7, 0
	s_wait_dscnt 0x0
	s_barrier_signal -1
	s_barrier_wait -1
	s_and_saveexec_b32 s21, s2
; %bb.41:                               ;   in Loop: Header=BB218_29 Depth=1
	ds_load_b32 v7, v9
; %bb.42:                               ;   in Loop: Header=BB218_29 Depth=1
	s_or_b32 exec_lo, exec_lo, s21
	ds_load_b32 v3, v1 offset:1048
	s_mov_b32 s21, exec_lo
	s_wait_dscnt 0x0
	s_barrier_signal -1
	s_barrier_wait -1
	v_cmpx_ne_u32_e32 0, v6
	s_cbranch_execz .LBB218_27
; %bb.43:                               ;   in Loop: Header=BB218_29 Depth=1
	v_dual_mov_b32 v7, v1 :: v_dual_add_nc_u32 v6, v7, v2
	s_delay_alu instid0(VALU_DEP_1)
	v_cmp_gt_u64_e32 vcc_lo, s[6:7], v[6:7]
	s_and_b32 exec_lo, exec_lo, vcc_lo
	s_cbranch_execz .LBB218_27
; %bb.44:                               ;   in Loop: Header=BB218_29 Depth=1
	v_mul_u64_e32 v[18:19], s[12:13], v[6:7]
	v_mul_u64_e32 v[6:7], s[14:15], v[6:7]
	s_delay_alu instid0(VALU_DEP_2) | instskip(NEXT) | instid1(VALU_DEP_2)
	v_lshl_add_u64 v[18:19], v[18:19], 1, s[10:11]
	v_lshl_add_u64 v[6:7], v[6:7], 3, s[18:19]
	global_store_b16 v[18:19], v15, off
	global_store_b64 v[6:7], v[0:1], off
	s_branch .LBB218_27
.LBB218_45:                             ;   in Loop: Header=BB218_46 Depth=1
	s_add_co_i32 s14, s14, 1
	s_wait_kmcnt 0x0
	s_add_co_i32 s17, s15, s17
	s_add_nc_u64 s[10:11], s[10:11], 4
	s_cmp_lt_u32 s14, s29
	s_add_nc_u64 s[12:13], s[12:13], 4
	s_cbranch_scc0 .LBB218_24
.LBB218_46:                             ; =>This Inner Loop Header: Depth=1
	s_load_b32 s15, s[10:11], 0x0
	s_cmp_ge_u32 s14, s48
	s_cbranch_scc1 .LBB218_45
; %bb.47:                               ;   in Loop: Header=BB218_46 Depth=1
	s_load_b32 s16, s[12:13], 0x0
	s_wait_kmcnt 0x0
	s_add_co_i32 s9, s15, s9
	s_add_co_i32 s8, s16, s8
	s_branch .LBB218_45
.LBB218_48:
	s_endpgm
	.section	.rodata,"a",@progbits
	.p2align	6, 0x0
	.amdhsa_kernel _ZN2at6native6mbtopk10gatherTopKIN3c108BFloat16EmLi2EEEvNS_4cuda6detail10TensorInfoIKT_T0_EESA_SA_bjSA_NS7_IS8_SA_EESA_NS7_IlSA_EESA_jjPS8_PjSF_j
		.amdhsa_group_segment_fixed_size 1068
		.amdhsa_private_segment_fixed_size 0
		.amdhsa_kernarg_size 1592
		.amdhsa_user_sgpr_count 2
		.amdhsa_user_sgpr_dispatch_ptr 0
		.amdhsa_user_sgpr_queue_ptr 0
		.amdhsa_user_sgpr_kernarg_segment_ptr 1
		.amdhsa_user_sgpr_dispatch_id 0
		.amdhsa_user_sgpr_kernarg_preload_length 0
		.amdhsa_user_sgpr_kernarg_preload_offset 0
		.amdhsa_user_sgpr_private_segment_size 0
		.amdhsa_wavefront_size32 1
		.amdhsa_uses_dynamic_stack 0
		.amdhsa_enable_private_segment 0
		.amdhsa_system_sgpr_workgroup_id_x 1
		.amdhsa_system_sgpr_workgroup_id_y 1
		.amdhsa_system_sgpr_workgroup_id_z 1
		.amdhsa_system_sgpr_workgroup_info 0
		.amdhsa_system_vgpr_workitem_id 0
		.amdhsa_next_free_vgpr 26
		.amdhsa_next_free_sgpr 50
		.amdhsa_named_barrier_count 0
		.amdhsa_reserve_vcc 1
		.amdhsa_float_round_mode_32 0
		.amdhsa_float_round_mode_16_64 0
		.amdhsa_float_denorm_mode_32 3
		.amdhsa_float_denorm_mode_16_64 3
		.amdhsa_fp16_overflow 0
		.amdhsa_memory_ordered 1
		.amdhsa_forward_progress 1
		.amdhsa_inst_pref_size 25
		.amdhsa_round_robin_scheduling 0
		.amdhsa_exception_fp_ieee_invalid_op 0
		.amdhsa_exception_fp_denorm_src 0
		.amdhsa_exception_fp_ieee_div_zero 0
		.amdhsa_exception_fp_ieee_overflow 0
		.amdhsa_exception_fp_ieee_underflow 0
		.amdhsa_exception_fp_ieee_inexact 0
		.amdhsa_exception_int_div_zero 0
	.end_amdhsa_kernel
	.section	.text._ZN2at6native6mbtopk10gatherTopKIN3c108BFloat16EmLi2EEEvNS_4cuda6detail10TensorInfoIKT_T0_EESA_SA_bjSA_NS7_IS8_SA_EESA_NS7_IlSA_EESA_jjPS8_PjSF_j,"axG",@progbits,_ZN2at6native6mbtopk10gatherTopKIN3c108BFloat16EmLi2EEEvNS_4cuda6detail10TensorInfoIKT_T0_EESA_SA_bjSA_NS7_IS8_SA_EESA_NS7_IlSA_EESA_jjPS8_PjSF_j,comdat
.Lfunc_end218:
	.size	_ZN2at6native6mbtopk10gatherTopKIN3c108BFloat16EmLi2EEEvNS_4cuda6detail10TensorInfoIKT_T0_EESA_SA_bjSA_NS7_IS8_SA_EESA_NS7_IlSA_EESA_jjPS8_PjSF_j, .Lfunc_end218-_ZN2at6native6mbtopk10gatherTopKIN3c108BFloat16EmLi2EEEvNS_4cuda6detail10TensorInfoIKT_T0_EESA_SA_bjSA_NS7_IS8_SA_EESA_NS7_IlSA_EESA_jjPS8_PjSF_j
                                        ; -- End function
	.set _ZN2at6native6mbtopk10gatherTopKIN3c108BFloat16EmLi2EEEvNS_4cuda6detail10TensorInfoIKT_T0_EESA_SA_bjSA_NS7_IS8_SA_EESA_NS7_IlSA_EESA_jjPS8_PjSF_j.num_vgpr, 26
	.set _ZN2at6native6mbtopk10gatherTopKIN3c108BFloat16EmLi2EEEvNS_4cuda6detail10TensorInfoIKT_T0_EESA_SA_bjSA_NS7_IS8_SA_EESA_NS7_IlSA_EESA_jjPS8_PjSF_j.num_agpr, 0
	.set _ZN2at6native6mbtopk10gatherTopKIN3c108BFloat16EmLi2EEEvNS_4cuda6detail10TensorInfoIKT_T0_EESA_SA_bjSA_NS7_IS8_SA_EESA_NS7_IlSA_EESA_jjPS8_PjSF_j.numbered_sgpr, 50
	.set _ZN2at6native6mbtopk10gatherTopKIN3c108BFloat16EmLi2EEEvNS_4cuda6detail10TensorInfoIKT_T0_EESA_SA_bjSA_NS7_IS8_SA_EESA_NS7_IlSA_EESA_jjPS8_PjSF_j.num_named_barrier, 0
	.set _ZN2at6native6mbtopk10gatherTopKIN3c108BFloat16EmLi2EEEvNS_4cuda6detail10TensorInfoIKT_T0_EESA_SA_bjSA_NS7_IS8_SA_EESA_NS7_IlSA_EESA_jjPS8_PjSF_j.private_seg_size, 0
	.set _ZN2at6native6mbtopk10gatherTopKIN3c108BFloat16EmLi2EEEvNS_4cuda6detail10TensorInfoIKT_T0_EESA_SA_bjSA_NS7_IS8_SA_EESA_NS7_IlSA_EESA_jjPS8_PjSF_j.uses_vcc, 1
	.set _ZN2at6native6mbtopk10gatherTopKIN3c108BFloat16EmLi2EEEvNS_4cuda6detail10TensorInfoIKT_T0_EESA_SA_bjSA_NS7_IS8_SA_EESA_NS7_IlSA_EESA_jjPS8_PjSF_j.uses_flat_scratch, 0
	.set _ZN2at6native6mbtopk10gatherTopKIN3c108BFloat16EmLi2EEEvNS_4cuda6detail10TensorInfoIKT_T0_EESA_SA_bjSA_NS7_IS8_SA_EESA_NS7_IlSA_EESA_jjPS8_PjSF_j.has_dyn_sized_stack, 0
	.set _ZN2at6native6mbtopk10gatherTopKIN3c108BFloat16EmLi2EEEvNS_4cuda6detail10TensorInfoIKT_T0_EESA_SA_bjSA_NS7_IS8_SA_EESA_NS7_IlSA_EESA_jjPS8_PjSF_j.has_recursion, 0
	.set _ZN2at6native6mbtopk10gatherTopKIN3c108BFloat16EmLi2EEEvNS_4cuda6detail10TensorInfoIKT_T0_EESA_SA_bjSA_NS7_IS8_SA_EESA_NS7_IlSA_EESA_jjPS8_PjSF_j.has_indirect_call, 0
	.section	.AMDGPU.csdata,"",@progbits
; Kernel info:
; codeLenInByte = 3112
; TotalNumSgprs: 52
; NumVgprs: 26
; ScratchSize: 0
; MemoryBound: 0
; FloatMode: 240
; IeeeMode: 1
; LDSByteSize: 1068 bytes/workgroup (compile time only)
; SGPRBlocks: 0
; VGPRBlocks: 1
; NumSGPRsForWavesPerEU: 52
; NumVGPRsForWavesPerEU: 26
; NamedBarCnt: 0
; Occupancy: 16
; WaveLimiterHint : 1
; COMPUTE_PGM_RSRC2:SCRATCH_EN: 0
; COMPUTE_PGM_RSRC2:USER_SGPR: 2
; COMPUTE_PGM_RSRC2:TRAP_HANDLER: 0
; COMPUTE_PGM_RSRC2:TGID_X_EN: 1
; COMPUTE_PGM_RSRC2:TGID_Y_EN: 1
; COMPUTE_PGM_RSRC2:TGID_Z_EN: 1
; COMPUTE_PGM_RSRC2:TIDIG_COMP_CNT: 0
	.section	.text._ZN2at6native6sbtopk10gatherTopKIN3c108BFloat16EmLi2ELb0EEEvNS_4cuda6detail10TensorInfoIKT_T0_EESA_SA_bSA_SA_NS7_IS8_SA_EESA_NS7_IlSA_EESA_PS8_,"axG",@progbits,_ZN2at6native6sbtopk10gatherTopKIN3c108BFloat16EmLi2ELb0EEEvNS_4cuda6detail10TensorInfoIKT_T0_EESA_SA_bSA_SA_NS7_IS8_SA_EESA_NS7_IlSA_EESA_PS8_,comdat
	.protected	_ZN2at6native6sbtopk10gatherTopKIN3c108BFloat16EmLi2ELb0EEEvNS_4cuda6detail10TensorInfoIKT_T0_EESA_SA_bSA_SA_NS7_IS8_SA_EESA_NS7_IlSA_EESA_PS8_ ; -- Begin function _ZN2at6native6sbtopk10gatherTopKIN3c108BFloat16EmLi2ELb0EEEvNS_4cuda6detail10TensorInfoIKT_T0_EESA_SA_bSA_SA_NS7_IS8_SA_EESA_NS7_IlSA_EESA_PS8_
	.globl	_ZN2at6native6sbtopk10gatherTopKIN3c108BFloat16EmLi2ELb0EEEvNS_4cuda6detail10TensorInfoIKT_T0_EESA_SA_bSA_SA_NS7_IS8_SA_EESA_NS7_IlSA_EESA_PS8_
	.p2align	8
	.type	_ZN2at6native6sbtopk10gatherTopKIN3c108BFloat16EmLi2ELb0EEEvNS_4cuda6detail10TensorInfoIKT_T0_EESA_SA_bSA_SA_NS7_IS8_SA_EESA_NS7_IlSA_EESA_PS8_,@function
_ZN2at6native6sbtopk10gatherTopKIN3c108BFloat16EmLi2ELb0EEEvNS_4cuda6detail10TensorInfoIKT_T0_EESA_SA_bSA_SA_NS7_IS8_SA_EESA_NS7_IlSA_EESA_PS8_: ; @_ZN2at6native6sbtopk10gatherTopKIN3c108BFloat16EmLi2ELb0EEEvNS_4cuda6detail10TensorInfoIKT_T0_EESA_SA_bSA_SA_NS7_IS8_SA_EESA_NS7_IlSA_EESA_PS8_
; %bb.0:
	s_clause 0x1
	s_load_b128 s[24:27], s[0:1], 0x1b8
	s_load_b64 s[12:13], s[0:1], 0x520
	s_bfe_u32 s2, ttmp6, 0x40010
	s_and_b32 s3, ttmp7, 0xffff
	s_add_co_i32 s2, s2, 1
	s_bfe_u32 s5, ttmp6, 0x4000c
	s_mul_i32 s2, s3, s2
	s_bfe_u32 s4, ttmp6, 0x40004
	s_add_co_i32 s5, s5, 1
	s_bfe_u32 s6, ttmp6, 0x40014
	s_add_co_i32 s4, s4, s2
	s_and_b32 s2, ttmp6, 15
	s_mul_i32 s5, ttmp9, s5
	s_lshr_b32 s7, ttmp7, 16
	s_add_co_i32 s6, s6, 1
	s_add_co_i32 s2, s2, s5
	s_mul_i32 s5, s7, s6
	s_bfe_u32 s6, ttmp6, 0x40008
	s_getreg_b32 s8, hwreg(HW_REG_IB_STS2, 6, 4)
	s_add_co_i32 s6, s6, s5
	s_cmp_eq_u32 s8, 0
	s_mov_b32 s45, 0
	s_cselect_b32 s5, s7, s6
	s_cselect_b32 s3, s3, s4
	s_wait_kmcnt 0x0
	s_mul_i32 s5, s13, s5
	s_cselect_b32 s13, ttmp9, s2
	s_add_co_i32 s2, s5, s3
	s_delay_alu instid0(SALU_CYCLE_1) | instskip(NEXT) | instid1(SALU_CYCLE_1)
	s_mul_i32 s2, s2, s12
	s_add_co_i32 s44, s2, s13
	s_delay_alu instid0(SALU_CYCLE_1)
	v_cmp_le_u64_e64 s2, s[24:25], s[44:45]
	s_and_b32 vcc_lo, exec_lo, s2
	s_cbranch_vccnz .LBB219_478
; %bb.1:
	s_clause 0x1
	s_load_b64 s[2:3], s[0:1], 0x10
	s_load_b64 s[50:51], s[0:1], 0x1d8
	s_mov_b64 s[52:53], 0
	s_mov_b64 s[6:7], 0
	s_wait_kmcnt 0x0
	v_cmp_lt_u64_e64 s4, s[44:45], s[2:3]
	s_and_b32 vcc_lo, exec_lo, s4
	s_cbranch_vccnz .LBB219_3
; %bb.2:
	v_cvt_f32_u32_e32 v1, s2
	s_sub_co_i32 s5, 0, s2
	s_delay_alu instid0(VALU_DEP_1) | instskip(SKIP_1) | instid1(TRANS32_DEP_1)
	v_rcp_iflag_f32_e32 v1, v1
	v_nop
	v_mul_f32_e32 v1, 0x4f7ffffe, v1
	s_delay_alu instid0(VALU_DEP_1) | instskip(NEXT) | instid1(VALU_DEP_1)
	v_cvt_u32_f32_e32 v1, v1
	v_readfirstlane_b32 s4, v1
	s_mul_i32 s5, s5, s4
	s_delay_alu instid0(SALU_CYCLE_1) | instskip(NEXT) | instid1(SALU_CYCLE_1)
	s_mul_hi_u32 s5, s4, s5
	s_add_co_i32 s4, s4, s5
	s_delay_alu instid0(SALU_CYCLE_1) | instskip(NEXT) | instid1(SALU_CYCLE_1)
	s_mul_hi_u32 s4, s44, s4
	s_mul_i32 s5, s4, s2
	s_add_co_i32 s6, s4, 1
	s_sub_co_i32 s5, s44, s5
	s_delay_alu instid0(SALU_CYCLE_1)
	s_sub_co_i32 s7, s5, s2
	s_cmp_ge_u32 s5, s2
	s_cselect_b32 s4, s6, s4
	s_cselect_b32 s5, s7, s5
	s_add_co_i32 s6, s4, 1
	s_cmp_ge_u32 s5, s2
	s_mov_b32 s7, 0
	s_cselect_b32 s6, s6, s4
.LBB219_3:
	s_load_b64 s[10:11], s[0:1], 0x380
	v_cmp_lt_u64_e64 s4, s[44:45], s[50:51]
	s_and_b32 vcc_lo, exec_lo, s4
	s_cbranch_vccnz .LBB219_5
; %bb.4:
	v_cvt_f32_u32_e32 v1, s50
	s_sub_co_i32 s5, 0, s50
	s_mov_b32 s53, 0
	s_delay_alu instid0(VALU_DEP_1) | instskip(SKIP_1) | instid1(TRANS32_DEP_1)
	v_rcp_iflag_f32_e32 v1, v1
	v_nop
	v_mul_f32_e32 v1, 0x4f7ffffe, v1
	s_delay_alu instid0(VALU_DEP_1) | instskip(NEXT) | instid1(VALU_DEP_1)
	v_cvt_u32_f32_e32 v1, v1
	v_readfirstlane_b32 s4, v1
	s_mul_i32 s5, s5, s4
	s_delay_alu instid0(SALU_CYCLE_1) | instskip(NEXT) | instid1(SALU_CYCLE_1)
	s_mul_hi_u32 s5, s4, s5
	s_add_co_i32 s4, s4, s5
	s_delay_alu instid0(SALU_CYCLE_1) | instskip(NEXT) | instid1(SALU_CYCLE_1)
	s_mul_hi_u32 s4, s44, s4
	s_mul_i32 s5, s4, s50
	s_add_co_i32 s8, s4, 1
	s_sub_co_i32 s5, s44, s5
	s_delay_alu instid0(SALU_CYCLE_1)
	s_sub_co_i32 s9, s5, s50
	s_cmp_ge_u32 s5, s50
	s_cselect_b32 s4, s8, s4
	s_cselect_b32 s5, s9, s5
	s_add_co_i32 s8, s4, 1
	s_cmp_ge_u32 s5, s50
	s_cselect_b32 s52, s8, s4
.LBB219_5:
	s_wait_kmcnt 0x0
	v_cmp_lt_u64_e64 s4, s[44:45], s[10:11]
                                        ; implicit-def: $vgpr46 : SGPR spill to VGPR lane
	s_and_b32 vcc_lo, exec_lo, s4
	s_mov_b64 s[4:5], 0
	s_delay_alu instid0(SALU_CYCLE_1)
	v_writelane_b32 v46, s4, 0
	v_writelane_b32 v46, s5, 1
	s_cbranch_vccnz .LBB219_7
; %bb.6:
	v_cvt_f32_u32_e32 v1, s10
	s_sub_co_i32 s5, 0, s10
	s_delay_alu instid0(VALU_DEP_1) | instskip(SKIP_1) | instid1(TRANS32_DEP_1)
	v_rcp_iflag_f32_e32 v1, v1
	v_nop
	v_mul_f32_e32 v1, 0x4f7ffffe, v1
	s_delay_alu instid0(VALU_DEP_1) | instskip(NEXT) | instid1(VALU_DEP_1)
	v_cvt_u32_f32_e32 v1, v1
	v_readfirstlane_b32 s4, v1
	s_mul_i32 s5, s5, s4
	s_delay_alu instid0(SALU_CYCLE_1) | instskip(NEXT) | instid1(SALU_CYCLE_1)
	s_mul_hi_u32 s5, s4, s5
	s_add_co_i32 s4, s4, s5
	s_delay_alu instid0(SALU_CYCLE_1) | instskip(NEXT) | instid1(SALU_CYCLE_1)
	s_mul_hi_u32 s4, s44, s4
	s_mul_i32 s5, s4, s10
	s_add_co_i32 s8, s4, 1
	s_sub_co_i32 s5, s44, s5
	s_delay_alu instid0(SALU_CYCLE_1)
	s_sub_co_i32 s9, s5, s10
	s_cmp_ge_u32 s5, s10
	s_cselect_b32 s4, s8, s4
	s_cselect_b32 s5, s9, s5
	s_add_co_i32 s8, s4, 1
	s_cmp_ge_u32 s5, s10
	s_mov_b32 s5, 0
	s_cselect_b32 s4, s8, s4
	s_delay_alu instid0(SALU_CYCLE_1)
	v_writelane_b32 v46, s4, 0
	v_writelane_b32 v46, s5, 1
.LBB219_7:
	v_writelane_b32 v46, s10, 2
	v_cmp_eq_u32_e64 s5, 0, v0
	s_add_nc_u64 s[14:15], s[0:1], 0x520
	s_mov_b32 s23, 0
	v_writelane_b32 v46, s11, 3
	s_clause 0x2
	s_load_b128 s[8:11], s[0:1], 0xd0
	s_load_b64 s[16:17], s[0:1], 0x0
	s_load_b128 s[28:31], s[0:1], 0x1a0
	s_and_saveexec_b32 s4, s5
	s_cbranch_execz .LBB219_9
; %bb.8:
	s_wait_kmcnt 0x0
	v_dual_mov_b32 v2, 0 :: v_dual_mov_b32 v4, s28
	s_delay_alu instid0(VALU_DEP_1)
	v_dual_mov_b32 v5, s29 :: v_dual_mov_b32 v3, v2
	ds_store_b32 v2, v2 offset:5144
	ds_store_b128 v2, v[2:5] offset:5120
.LBB219_9:
	s_or_b32 exec_lo, exec_lo, s4
	s_clause 0x1
	s_load_b128 s[36:39], s[0:1], 0x440
	s_load_b64 s[18:19], s[0:1], 0x370
	v_dual_mov_b32 v3, 0 :: v_dual_add_nc_u32 v2, 2, v0
	s_mul_u64 s[2:3], s[6:7], s[2:3]
	v_lshlrev_b32_e32 v16, 2, v0
	s_wait_kmcnt 0x0
	s_mul_u64 s[8:9], s[6:7], s[8:9]
	v_mov_b32_e32 v1, v3
	v_max_u64 v[6:7], s[28:29], v[2:3]
	s_clause 0x1
	s_load_b64 s[6:7], s[0:1], 0x1c8
	s_load_b32 s4, s[0:1], 0x1b0
	s_wait_dscnt 0x0
	v_mul_u64_e32 v[4:5], s[26:27], v[0:1]
	s_barrier_signal -1
	s_barrier_wait -1
	v_mbcnt_lo_u32_b32 v13, -1, 0
	s_sub_nc_u64 s[2:3], s[44:45], s[2:3]
	s_lshl_b64 s[8:9], s[8:9], 1
	s_mul_u64 s[10:11], s[2:3], s[10:11]
	v_writelane_b32 v46, s36, 4
	v_dual_mov_b32 v9, -1 :: v_dual_lshlrev_b32 v28, 1, v0
	v_not_b32_e32 v8, v0
	v_cmp_gt_u32_e32 vcc_lo, 32, v0
	v_writelane_b32 v46, s37, 5
	s_add_nc_u64 s[8:9], s[16:17], s[8:9]
	s_lshl_b64 s[10:11], s[10:11], 1
	v_lshlrev_b64_e64 v[10:11], v13, -1
	s_add_nc_u64 s[24:25], s[8:9], s[10:11]
	v_writelane_b32 v46, s38, 6
	s_wait_kmcnt 0x0
	s_bitcmp1_b32 s4, 0
	v_cmp_lt_u64_e64 s33, 0x600, s[28:29]
	s_cselect_b32 s49, -1, 0
	v_cmp_gt_u64_e64 s3, s[28:29], v[0:1]
	v_writelane_b32 v46, s39, 7
	s_load_b128 s[36:39], s[0:1], 0x298
	s_xor_b32 s87, s49, -1
	v_mov_b64_e32 v[22:23], s[30:31]
	s_mov_b32 s35, s23
	v_writelane_b32 v46, s18, 8
	v_cmp_eq_u32_e64 s2, 0, v13
	v_dual_mov_b32 v36, 0 :: v_dual_add_nc_u32 v29, 0xc00, v28
	v_lshl_add_u64 v[14:15], v[4:5], 1, s[24:25]
	v_writelane_b32 v46, s19, 9
	s_load_b32 s18, s[14:15], 0xc
	v_add_nc_u64_e32 v[4:5], v[6:7], v[8:9]
	v_dual_mov_b32 v17, v3 :: v_dual_lshlrev_b32 v32, 3, v0
	v_not_b32_e32 v12, v10
	v_lshl_or_b32 v33, v13, 3, 0xc00
	v_dual_mov_b32 v34, 0x8000 :: v_dual_mov_b32 v31, 0
	v_dual_mov_b32 v19, v5 :: v_dual_bitop2_b32 v18, -4, v4 bitop3:0x40
	s_wait_kmcnt 0x0
	v_writelane_b32 v46, s36, 10
	v_mov_b32_e32 v35, 0
	s_mov_b32 s62, s26
	s_mov_b32 s63, s27
	v_add_nc_u64_e32 v[20:21], v[18:19], v[0:1]
	v_writelane_b32 v46, s37, 11
	s_mov_b32 s64, s26
	s_mov_b32 s65, s27
	s_mov_b32 s66, s26
	s_mov_b32 s67, s27
	v_writelane_b32 v46, s38, 12
	s_and_b32 s34, s18, 0xffff
	s_bfe_u32 s4, s18, 0xb0005
	s_add_nc_u64 s[58:59], s[34:35], -1
	s_mov_b32 s96, 14
	v_writelane_b32 v46, s39, 13
	s_add_nc_u64 s[60:61], s[58:59], s[28:29]
	s_mov_b32 s94, 0x4f800000
	s_movk_i32 s95, 0x3f80
	s_mov_b32 s97, 0
	v_writelane_b32 v46, s6, 14
	s_mov_b32 s99, 0
                                        ; implicit-def: $sgpr98
                                        ; implicit-def: $sgpr102
                                        ; implicit-def: $sgpr101
                                        ; implicit-def: $sgpr103
                                        ; implicit-def: $sgpr100
                                        ; implicit-def: $sgpr55
                                        ; implicit-def: $sgpr56
                                        ; implicit-def: $sgpr104
                                        ; implicit-def: $sgpr54
                                        ; implicit-def: $vcc_hi
	v_writelane_b32 v46, s7, 15
	v_cmp_gt_i32_e64 s7, 4, v13
	v_cmp_gt_u32_e64 s6, 2, v0
	s_and_b32 s86, vcc_lo, s7
	s_cmp_gt_u32 s34, 31
	s_movk_i32 s7, 0x3e0
	s_cselect_b32 s88, -1, 0
	s_cmp_lt_u32 s13, s12
	v_and_or_b32 v30, v0, s7, 0xc00
	s_cselect_b32 s22, 12, 18
	s_add_co_i32 s8, s4, -1
	s_bfe_u32 s89, s34, 0x30005
	s_and_b32 s8, s8, 0xffff
	v_cmp_lt_u64_e64 s7, 3, v[4:5]
	s_cmp_gt_u32 s8, 6
	s_add_nc_u64 s[70:71], s[14:15], s[22:23]
	s_cselect_b32 s90, -1, 0
	s_and_b32 s91, s4, 0x7f8
	v_cmp_ne_u64_e64 s4, v[4:5], v[18:19]
	s_cmp_lg_u32 s89, 0
	s_cselect_b32 s92, -1, 0
	s_lshl_b32 s93, s34, 1
	s_and_b64 s[68:69], s[28:29], 0xffffffff00000000
	v_writelane_b32 v46, s4, 16
	s_branch .LBB219_12
.LBB219_10:                             ;   in Loop: Header=BB219_12 Depth=1
	s_or_b32 exec_lo, exec_lo, s4
	v_mov_b64_e32 v[22:23], v[4:5]
	s_and_not1_b32 s4, vcc_hi, exec_lo
	s_and_b32 s8, s8, exec_lo
	s_and_not1_b32 s54, s54, exec_lo
	s_or_b32 vcc_hi, s4, s8
	s_and_not1_b32 s104, s104, exec_lo
	s_and_not1_b32 s56, s56, exec_lo
	;; [unrolled: 1-line block ×3, first 2 shown]
	s_or_not1_b32 s10, s10, exec_lo
.LBB219_11:                             ;   in Loop: Header=BB219_12 Depth=1
	s_or_b32 exec_lo, exec_lo, s9
	s_delay_alu instid0(SALU_CYCLE_1) | instskip(NEXT) | instid1(SALU_CYCLE_1)
	s_and_b32 s4, exec_lo, s10
	s_or_b32 s97, s4, s97
	s_and_not1_b32 s4, s100, exec_lo
	s_and_b32 s8, vcc_hi, exec_lo
	s_and_not1_b32 s9, s103, exec_lo
	s_or_b32 s100, s4, s8
	s_and_b32 s4, s54, exec_lo
	s_and_not1_b32 s8, s101, exec_lo
	s_and_b32 s10, s104, exec_lo
	s_or_b32 s103, s9, s4
	s_or_b32 s101, s8, s10
	s_and_not1_b32 s4, s102, exec_lo
	s_and_b32 s8, s56, exec_lo
	s_and_not1_b32 s9, s98, exec_lo
	s_and_b32 s10, s55, exec_lo
	s_or_b32 s102, s4, s8
	s_or_b32 s98, s9, s10
	s_and_not1_b32 exec_lo, exec_lo, s97
	s_cbranch_execz .LBB219_474
.LBB219_12:                             ; =>This Loop Header: Depth=1
                                        ;     Child Loop BB219_17 Depth 2
                                        ;     Child Loop BB219_31 Depth 2
	;; [unrolled: 1-line block ×25, first 2 shown]
	ds_load_b128 v[4:7], v3 offset:5120
	s_wait_dscnt 0x0
	v_readfirstlane_b32 s73, v5
	v_readfirstlane_b32 s72, v4
	s_cmp_lg_u64 s[72:73], 0
	s_cbranch_scc1 .LBB219_44
; %bb.13:                               ;   in Loop: Header=BB219_12 Depth=1
	s_and_b32 vcc_lo, exec_lo, s33
	s_cbranch_vccz .LBB219_25
; %bb.14:                               ;   in Loop: Header=BB219_12 Depth=1
	v_cmp_gt_u64_e32 vcc_lo, 0x601, v[6:7]
	s_mov_b32 s11, 0
	s_mov_b32 s9, 0
	s_cbranch_vccz .LBB219_26
; %bb.15:                               ;   in Loop: Header=BB219_12 Depth=1
	global_load_u16 v2, v3, s[70:71]
	global_load_u16 v6, v[14:15], off
	v_mov_b64_e32 v[4:5], v[0:1]
	s_mov_b32 s12, 0
	s_wait_loadcnt 0x1
	v_and_b32_e32 v2, 0xffff, v2
	s_branch .LBB219_17
.LBB219_16:                             ;   in Loop: Header=BB219_17 Depth=2
	s_or_b32 exec_lo, exec_lo, s4
	v_mov_b32_e32 v6, v7
	s_and_not1_b32 exec_lo, exec_lo, s12
	s_cbranch_execz .LBB219_98
.LBB219_17:                             ;   Parent Loop BB219_12 Depth=1
                                        ; =>  This Inner Loop Header: Depth=2
	s_delay_alu instid0(VALU_DEP_1) | instskip(SKIP_3) | instid1(VALU_DEP_2)
	v_add_nc_u64_e32 v[4:5], v[4:5], v[2:3]
	s_wait_dscnt 0x0
	v_dual_mov_b32 v8, 0 :: v_dual_mov_b32 v7, 0
	s_mov_b32 s4, exec_lo
	v_cmp_le_u64_e32 vcc_lo, s[28:29], v[4:5]
	s_wait_xcnt 0x0
	v_cmpx_gt_u64_e64 s[28:29], v[4:5]
	s_cbranch_execz .LBB219_19
; %bb.18:                               ;   in Loop: Header=BB219_17 Depth=2
	v_mul_u64_e32 v[10:11], s[26:27], v[4:5]
	s_delay_alu instid0(VALU_DEP_1)
	v_lshl_add_u64 v[10:11], v[10:11], 1, s[24:25]
	global_load_u16 v7, v[10:11], off
.LBB219_19:                             ;   in Loop: Header=BB219_17 Depth=2
	s_wait_xcnt 0x0
	s_or_b32 exec_lo, exec_lo, s4
	s_wait_loadcnt 0x0
	v_cmp_lt_i16_e64 s9, -1, v6
	v_and_b32_e32 v9, 0xffff, v6
	s_delay_alu instid0(VALU_DEP_2) | instskip(NEXT) | instid1(VALU_DEP_1)
	v_cndmask_b32_e64 v10, 0xffff, v34, s9
	v_dual_lshlrev_b32 v11, 16, v6 :: v_dual_bitop2_b32 v9, v10, v9 bitop3:0x14
	s_delay_alu instid0(VALU_DEP_1) | instskip(NEXT) | instid1(VALU_DEP_1)
	v_cmp_o_f32_e64 s9, v11, v11
	v_cndmask_b32_e64 v9, 0xffff, v9, s9
	s_delay_alu instid0(VALU_DEP_1) | instskip(NEXT) | instid1(VALU_DEP_1)
	v_and_b32_e32 v9, v9, v35
	v_cmp_eq_u32_e64 s9, v9, v31
	s_cmp_lg_u32 s9, 0
	s_cselect_b32 s4, -1, 0
	s_delay_alu instid0(SALU_CYCLE_1) | instskip(NEXT) | instid1(SALU_CYCLE_1)
	s_and_b32 s4, s2, s4
	s_and_saveexec_b32 s13, s4
	s_cbranch_execz .LBB219_23
; %bb.20:                               ;   in Loop: Header=BB219_17 Depth=2
	s_mov_b32 s14, exec_lo
	s_bcnt1_i32_b32 s4, s9
	v_mbcnt_lo_u32_b32 v8, s14, 0
	s_mov_b32 s8, exec_lo
                                        ; implicit-def: $vgpr9
	s_delay_alu instid0(VALU_DEP_1)
	v_cmpx_eq_u32_e32 0, v8
; %bb.21:                               ;   in Loop: Header=BB219_17 Depth=2
	s_bcnt1_i32_b32 s10, s14
	s_delay_alu instid0(SALU_CYCLE_1) | instskip(NEXT) | instid1(SALU_CYCLE_1)
	s_mul_i32 s10, s4, s10
	v_mov_b32_e32 v9, s10
	ds_add_rtn_u32 v9, v3, v9 offset:5144
; %bb.22:                               ;   in Loop: Header=BB219_17 Depth=2
	s_or_b32 exec_lo, exec_lo, s8
	s_wait_dscnt 0x0
	v_readfirstlane_b32 s8, v9
	s_delay_alu instid0(VALU_DEP_1)
	v_mad_u32_u24 v8, s4, v8, s8
.LBB219_23:                             ;   in Loop: Header=BB219_17 Depth=2
	s_or_b32 exec_lo, exec_lo, s13
	ds_bpermute_b32 v8, v3, v8
	s_and_b32 s4, exec_lo, vcc_lo
	s_delay_alu instid0(SALU_CYCLE_1)
	s_or_b32 s12, s4, s12
	s_and_saveexec_b32 s4, s9
	s_cbranch_execz .LBB219_16
; %bb.24:                               ;   in Loop: Header=BB219_17 Depth=2
	v_and_b32_e32 v9, s9, v12
	s_delay_alu instid0(VALU_DEP_1) | instskip(NEXT) | instid1(VALU_DEP_1)
	v_bcnt_u32_b32 v9, v9, 0
	v_lshlrev_b32_e32 v9, 1, v9
	s_wait_dscnt 0x0
	s_delay_alu instid0(VALU_DEP_1)
	v_lshl_add_u32 v8, v8, 1, v9
	ds_store_b16 v8, v6
	s_branch .LBB219_16
.LBB219_25:                             ;   in Loop: Header=BB219_12 Depth=1
	s_mov_b32 s11, -1
	s_mov_b32 s9, 0
.LBB219_26:                             ;   in Loop: Header=BB219_12 Depth=1
	s_and_b32 vcc_lo, exec_lo, s11
	s_cbranch_vccz .LBB219_42
.LBB219_27:                             ;   in Loop: Header=BB219_12 Depth=1
	s_and_saveexec_b32 s9, s3
	s_cbranch_execz .LBB219_39
; %bb.28:                               ;   in Loop: Header=BB219_12 Depth=1
	global_load_u16 v4, v3, s[70:71]
	global_load_u16 v26, v[14:15], off
	s_mov_b32 s12, exec_lo
	v_mov_b32_e32 v8, v0
	s_wait_loadcnt 0x1
	v_and_b32_e32 v2, 0xffff, v4
	v_readfirstlane_b32 s4, v4
	s_delay_alu instid0(VALU_DEP_2) | instskip(SKIP_1) | instid1(VALU_DEP_1)
	v_add_nc_u32_e32 v2, v2, v0
	s_wait_xcnt 0x0
	v_cmpx_gt_u64_e64 s[28:29], v[2:3]
	s_cbranch_execz .LBB219_38
; %bb.29:                               ;   in Loop: Header=BB219_12 Depth=1
	s_and_b32 s22, s4, 0xffff
	v_mov_b64_e32 v[6:7], v[0:1]
	v_mov_b64_e32 v[4:5], v[2:3]
	s_cmp_eq_u32 s22, 1
	s_mov_b32 s8, -1
	s_cselect_b32 s4, -1, 0
                                        ; implicit-def: $vgpr8_vgpr9
	s_delay_alu instid0(SALU_CYCLE_1) | instskip(NEXT) | instid1(SALU_CYCLE_1)
	s_and_b32 s4, s7, s4
	s_and_saveexec_b32 s10, s4
	s_cbranch_execz .LBB219_33
; %bb.30:                               ;   in Loop: Header=BB219_12 Depth=1
	v_add_nc_u64_e32 v[8:9], 3, v[2:3]
	v_add_nc_u64_e32 v[6:7], 2, v[2:3]
	;; [unrolled: 1-line block ×3, first 2 shown]
	v_mov_b64_e32 v[24:25], v[18:19]
	s_wait_loadcnt 0x0
	v_dual_lshlrev_b32 v37, 16, v26 :: v_dual_mov_b32 v27, v28
	s_mov_b32 s11, 0
	v_mov_b64_e32 v[10:11], v[8:9]
	v_mov_b64_e32 v[8:9], v[6:7]
	;; [unrolled: 1-line block ×4, first 2 shown]
.LBB219_31:                             ;   Parent Loop BB219_12 Depth=1
                                        ; =>  This Inner Loop Header: Depth=2
	s_delay_alu instid0(VALU_DEP_2) | instskip(NEXT) | instid1(VALU_DEP_4)
	v_mul_u64_e32 v[38:39], s[26:27], v[6:7]
	v_mul_u64_e32 v[40:41], s[64:65], v[8:9]
	s_delay_alu instid0(VALU_DEP_3)
	v_mul_u64_e32 v[42:43], s[62:63], v[4:5]
	v_mul_u64_e32 v[44:45], s[66:67], v[10:11]
	v_add_nc_u64_e32 v[24:25], -4, v[24:25]
	v_add_nc_u64_e32 v[10:11], 4, v[10:11]
	v_add_nc_u64_e32 v[8:9], 4, v[8:9]
	;; [unrolled: 1-line block ×4, first 2 shown]
	v_cmp_eq_u64_e32 vcc_lo, 0, v[24:25]
	s_or_b32 s11, vcc_lo, s11
	v_lshl_add_u64 v[38:39], v[38:39], 1, s[24:25]
	v_lshl_add_u64 v[40:41], v[40:41], 1, s[24:25]
	;; [unrolled: 1-line block ×4, first 2 shown]
	s_clause 0x3
	global_load_u16 v38, v[38:39], off
	global_load_u16 v40, v[40:41], off
	;; [unrolled: 1-line block ×4, first 2 shown]
	s_wait_loadcnt 0x2
	v_perm_b32 v39, v40, v38, 0x5040100
	s_wait_loadcnt 0x1
	v_alignbit_b32 v38, v41, v37, 16
	s_wait_loadcnt 0x0
	v_perm_b32 v37, v26, v40, 0x5040100
	ds_store_b64 v27, v[38:39]
	v_add_nc_u32_e32 v27, 8, v27
	s_wait_xcnt 0x0
	s_and_not1_b32 exec_lo, exec_lo, s11
	s_cbranch_execnz .LBB219_31
; %bb.32:                               ;   in Loop: Header=BB219_12 Depth=1
	s_or_b32 exec_lo, exec_lo, s11
	v_add_nc_u64_e32 v[4:5], v[2:3], v[18:19]
	v_mov_b64_e32 v[6:7], v[20:21]
	v_readlane_b32 s4, v46, 16
	s_or_not1_b32 s8, s4, exec_lo
	v_add_nc_u64_e32 v[8:9], -1, v[4:5]
.LBB219_33:                             ;   in Loop: Header=BB219_12 Depth=1
	s_or_b32 exec_lo, exec_lo, s10
	s_and_saveexec_b32 s13, s8
	s_cbranch_execz .LBB219_37
; %bb.34:                               ;   in Loop: Header=BB219_12 Depth=1
	s_sub_nc_u64 s[10:11], 0, s[22:23]
	s_mov_b32 s14, 0
.LBB219_35:                             ;   Parent Loop BB219_12 Depth=1
                                        ; =>  This Inner Loop Header: Depth=2
	v_mov_b64_e32 v[8:9], v[4:5]
	s_wait_loadcnt 0x0
	v_dual_mov_b32 v2, v26 :: v_dual_lshlrev_b32 v10, 1, v6
	ds_store_b16 v10, v2
	v_mul_u64_e32 v[4:5], s[26:27], v[8:9]
	v_mov_b64_e32 v[6:7], v[8:9]
	s_delay_alu instid0(VALU_DEP_2) | instskip(SKIP_3) | instid1(VALU_DEP_1)
	v_lshl_add_u64 v[4:5], v[4:5], 1, s[24:25]
	global_load_u16 v26, v[4:5], off
	s_wait_xcnt 0x0
	v_add_nc_u64_e32 v[4:5], s[22:23], v[8:9]
	v_cmp_le_u64_e32 vcc_lo, s[28:29], v[4:5]
	s_or_b32 s14, vcc_lo, s14
	s_delay_alu instid0(SALU_CYCLE_1)
	s_and_not1_b32 exec_lo, exec_lo, s14
	s_cbranch_execnz .LBB219_35
; %bb.36:                               ;   in Loop: Header=BB219_12 Depth=1
	s_or_b32 exec_lo, exec_lo, s14
	v_add_nc_u64_e32 v[8:9], s[10:11], v[4:5]
.LBB219_37:                             ;   in Loop: Header=BB219_12 Depth=1
	s_or_b32 exec_lo, exec_lo, s13
.LBB219_38:                             ;   in Loop: Header=BB219_12 Depth=1
	s_delay_alu instid0(SALU_CYCLE_1) | instskip(NEXT) | instid1(VALU_DEP_1)
	s_or_b32 exec_lo, exec_lo, s12
	v_lshlrev_b32_e32 v2, 1, v8
	s_wait_loadcnt 0x0
	ds_store_b16 v2, v26
.LBB219_39:                             ;   in Loop: Header=BB219_12 Depth=1
	s_or_b32 exec_lo, exec_lo, s9
	s_wait_dscnt 0x0
	s_barrier_signal -1
	s_barrier_wait -1
	s_and_saveexec_b32 s4, s5
; %bb.40:                               ;   in Loop: Header=BB219_12 Depth=1
	v_mov_b64_e32 v[4:5], s[28:29]
	ds_store_b64 v3, v[4:5] offset:5120
; %bb.41:                               ;   in Loop: Header=BB219_12 Depth=1
	s_or_b32 exec_lo, exec_lo, s4
	s_mov_b32 s9, -1
	s_wait_dscnt 0x0
	s_barrier_signal -1
	s_barrier_wait -1
.LBB219_42:                             ;   in Loop: Header=BB219_12 Depth=1
	s_and_b32 vcc_lo, exec_lo, s9
	s_mov_b64 s[72:73], 0
	s_cbranch_vccz .LBB219_44
; %bb.43:                               ;   in Loop: Header=BB219_12 Depth=1
	ds_load_b64 v[4:5], v3 offset:5120
	s_wait_dscnt 0x0
	v_readfirstlane_b32 s72, v4
	v_readfirstlane_b32 s73, v5
.LBB219_44:                             ;   in Loop: Header=BB219_12 Depth=1
	s_delay_alu instid0(VALU_DEP_2)
	s_cmp_lt_i32 s72, 1
	s_mov_b32 s8, -1
                                        ; implicit-def: $vgpr4_vgpr5
                                        ; implicit-def: $vgpr8_vgpr9
	s_cbranch_scc1 .LBB219_54
; %bb.45:                               ;   in Loop: Header=BB219_12 Depth=1
	s_and_b32 vcc_lo, exec_lo, s8
	s_cbranch_vccnz .LBB219_68
.LBB219_46:                             ;   in Loop: Header=BB219_12 Depth=1
	s_lshl_b32 s9, s99, 7
	s_and_saveexec_b32 s4, s2
	s_cbranch_execz .LBB219_48
.LBB219_47:                             ;   in Loop: Header=BB219_12 Depth=1
	v_lshl_add_u32 v2, s9, 3, v30
	ds_store_b128 v2, v[4:7]
	ds_store_b128 v2, v[8:11] offset:16
.LBB219_48:                             ;   in Loop: Header=BB219_12 Depth=1
	s_or_b32 exec_lo, exec_lo, s4
	s_wait_dscnt 0x0
	s_barrier_signal -1
	s_barrier_wait -1
	s_and_saveexec_b32 s10, s86
	s_cbranch_execz .LBB219_82
; %bb.49:                               ;   in Loop: Header=BB219_12 Depth=1
	v_mov_b64_e32 v[4:5], 0
	s_and_not1_b32 vcc_lo, exec_lo, s88
	s_cbranch_vccnz .LBB219_81
; %bb.50:                               ;   in Loop: Header=BB219_12 Depth=1
	v_mov_b64_e32 v[4:5], 0
	s_and_not1_b32 vcc_lo, exec_lo, s90
	s_cbranch_vccnz .LBB219_78
; %bb.51:                               ;   in Loop: Header=BB219_12 Depth=1
	v_lshl_add_u32 v2, s99, 10, v33
	s_mov_b32 s11, 0
.LBB219_52:                             ;   Parent Loop BB219_12 Depth=1
                                        ; =>  This Inner Loop Header: Depth=2
	ds_load_2addr_b64 v[6:9], v2 offset1:4
	ds_load_2addr_b64 v[24:27], v2 offset0:8 offset1:12
	s_add_co_i32 s11, s11, 8
	s_delay_alu instid0(SALU_CYCLE_1) | instskip(SKIP_2) | instid1(VALU_DEP_1)
	s_cmp_eq_u32 s91, s11
	s_wait_dscnt 0x1
	v_add_nc_u64_e32 v[4:5], v[6:7], v[4:5]
	v_add_nc_u64_e32 v[8:9], v[8:9], v[4:5]
	ds_load_2addr_b64 v[4:7], v2 offset0:16 offset1:20
	s_wait_dscnt 0x1
	v_add_nc_u64_e32 v[8:9], v[24:25], v[8:9]
	s_delay_alu instid0(VALU_DEP_1) | instskip(SKIP_4) | instid1(VALU_DEP_1)
	v_add_nc_u64_e32 v[24:25], v[26:27], v[8:9]
	ds_load_2addr_b64 v[8:11], v2 offset0:24 offset1:28
	v_add_nc_u32_e32 v2, 0x100, v2
	s_wait_dscnt 0x1
	v_add_nc_u64_e32 v[4:5], v[4:5], v[24:25]
	v_add_nc_u64_e32 v[4:5], v[6:7], v[4:5]
	s_wait_dscnt 0x0
	s_delay_alu instid0(VALU_DEP_1) | instskip(NEXT) | instid1(VALU_DEP_1)
	v_add_nc_u64_e32 v[4:5], v[8:9], v[4:5]
	v_add_nc_u64_e32 v[4:5], v[10:11], v[4:5]
	s_cbranch_scc0 .LBB219_52
; %bb.53:                               ;   in Loop: Header=BB219_12 Depth=1
	s_mov_b32 s8, s91
	s_and_not1_b32 vcc_lo, exec_lo, s92
	s_cbranch_vccz .LBB219_79
	s_branch .LBB219_81
.LBB219_54:                             ;   in Loop: Header=BB219_12 Depth=1
	global_load_u16 v2, v3, s[70:71]
	s_mov_b32 s19, s23
	s_wait_loadcnt 0x0
	v_readfirstlane_b32 s4, v2
	s_and_b32 s4, 0xffff, s4
	s_delay_alu instid0(SALU_CYCLE_1)
	s_lshl_b32 s18, s4, 2
	s_cmp_lg_u64 s[68:69], 0
	s_cbranch_scc0 .LBB219_77
; %bb.55:                               ;   in Loop: Header=BB219_12 Depth=1
	s_cvt_f32_u32 s4, s18
	s_sub_nc_u64 s[10:11], 0, s[18:19]
	s_delay_alu instid0(SALU_CYCLE_2) | instskip(NEXT) | instid1(SALU_CYCLE_3)
	s_fmamk_f32 s4, s94, 0x0, s4
	v_s_rcp_f32 s4, s4
	s_delay_alu instid0(TRANS32_DEP_1) | instskip(NEXT) | instid1(SALU_CYCLE_3)
	s_mul_f32 s4, s4, 0x5f7ffffc
	s_mul_f32 s8, s4, 0x2f800000
	s_delay_alu instid0(SALU_CYCLE_3) | instskip(NEXT) | instid1(SALU_CYCLE_3)
	s_trunc_f32 s8, s8
	s_fmamk_f32 s4, s8, 0xcf800000, s4
	s_cvt_u32_f32 s9, s8
	s_delay_alu instid0(SALU_CYCLE_2) | instskip(NEXT) | instid1(SALU_CYCLE_3)
	s_cvt_u32_f32 s8, s4
	s_mul_u64 s[12:13], s[10:11], s[8:9]
	s_delay_alu instid0(SALU_CYCLE_1)
	s_mul_hi_u32 s15, s8, s13
	s_mul_i32 s14, s8, s13
	s_mul_hi_u32 s22, s8, s12
	s_mul_i32 s16, s9, s12
	s_add_nc_u64 s[14:15], s[22:23], s[14:15]
	s_mul_hi_u32 s4, s9, s12
	s_mul_hi_u32 s17, s9, s13
	s_mul_i32 s12, s9, s13
	s_add_co_u32 s13, s14, s16
	s_add_co_ci_u32 s22, s15, s4
	s_add_co_ci_u32 s13, s17, 0
	s_delay_alu instid0(SALU_CYCLE_1) | instskip(NEXT) | instid1(SALU_CYCLE_1)
	s_add_nc_u64 s[12:13], s[22:23], s[12:13]
	s_add_co_u32 s8, s8, s12
	s_cselect_b32 s4, -1, 0
	s_delay_alu instid0(SALU_CYCLE_1) | instskip(SKIP_1) | instid1(SALU_CYCLE_1)
	s_cmp_lg_u32 s4, 0
	s_add_co_ci_u32 s9, s9, s13
	s_mul_u64 s[10:11], s[10:11], s[8:9]
	s_delay_alu instid0(SALU_CYCLE_1)
	s_mul_hi_u32 s13, s8, s11
	s_mul_i32 s12, s8, s11
	s_mul_hi_u32 s22, s8, s10
	s_mul_i32 s14, s9, s10
	s_add_nc_u64 s[12:13], s[22:23], s[12:13]
	s_mul_hi_u32 s4, s9, s10
	s_mul_hi_u32 s15, s9, s11
	s_mul_i32 s10, s9, s11
	s_add_co_u32 s11, s12, s14
	s_add_co_ci_u32 s22, s13, s4
	s_add_co_ci_u32 s11, s15, 0
	s_delay_alu instid0(SALU_CYCLE_1) | instskip(NEXT) | instid1(SALU_CYCLE_1)
	s_add_nc_u64 s[10:11], s[22:23], s[10:11]
	s_add_co_u32 s4, s8, s10
	s_cselect_b32 s8, -1, 0
	s_mul_hi_u32 s22, s28, s4
	s_cmp_lg_u32 s8, 0
	s_mul_hi_u32 s12, s29, s4
	s_add_co_ci_u32 s10, s9, s11
	s_mul_i32 s4, s29, s4
	s_mul_hi_u32 s9, s28, s10
	s_mul_i32 s8, s28, s10
	s_mul_hi_u32 s11, s29, s10
	s_add_nc_u64 s[8:9], s[22:23], s[8:9]
	s_mul_i32 s10, s29, s10
	s_add_co_u32 s4, s8, s4
	s_add_co_ci_u32 s22, s9, s12
	s_add_co_ci_u32 s11, s11, 0
	s_delay_alu instid0(SALU_CYCLE_1) | instskip(NEXT) | instid1(SALU_CYCLE_1)
	s_add_nc_u64 s[8:9], s[22:23], s[10:11]
	s_and_b64 s[10:11], s[8:9], 0xffffffff00000000
	s_delay_alu instid0(SALU_CYCLE_1) | instskip(NEXT) | instid1(SALU_CYCLE_1)
	s_or_b32 s10, s10, s8
	s_mul_u64 s[8:9], s[18:19], s[10:11]
	s_delay_alu instid0(SALU_CYCLE_1) | instskip(SKIP_1) | instid1(SALU_CYCLE_1)
	s_sub_co_u32 s4, s28, s8
	s_cselect_b32 s8, -1, 0
	s_cmp_lg_u32 s8, 0
	s_sub_co_ci_u32 s8, s29, s9
	s_sub_co_u32 s9, s4, s18
	s_cselect_b32 s10, -1, 0
	s_delay_alu instid0(SALU_CYCLE_1) | instskip(SKIP_3) | instid1(SALU_CYCLE_1)
	s_cmp_lg_u32 s10, 0
	s_sub_co_ci_u32 s10, s8, 0
	s_sub_co_u32 s11, s9, s18
	s_cselect_b32 s12, -1, 0
	s_cmp_lg_u32 s12, 0
	s_sub_co_ci_u32 s12, s10, 0
	s_cmp_ge_u32 s9, s18
	s_cselect_b32 s13, -1, 0
	s_cmp_eq_u32 s10, 0
	s_cselect_b32 s13, s13, -1
	s_delay_alu instid0(SALU_CYCLE_1)
	s_cmp_lg_u32 s13, 0
	s_cselect_b32 s10, s12, s10
	s_cselect_b32 s9, s11, s9
	s_cmp_ge_u32 s4, s18
	s_cselect_b32 s11, -1, 0
	s_cmp_eq_u32 s8, 0
	s_cselect_b32 s11, s11, -1
	s_delay_alu instid0(SALU_CYCLE_1)
	s_cmp_lg_u32 s11, 0
	s_cselect_b32 s11, s10, s8
	s_cselect_b32 s10, s9, s4
	s_cbranch_execnz .LBB219_57
.LBB219_56:                             ;   in Loop: Header=BB219_12 Depth=1
	v_cvt_f32_u32_e32 v4, s18
	s_sub_co_i32 s8, 0, s18
	s_delay_alu instid0(VALU_DEP_1) | instskip(SKIP_1) | instid1(TRANS32_DEP_1)
	v_rcp_iflag_f32_e32 v4, v4
	v_nop
	v_mul_f32_e32 v4, 0x4f7ffffe, v4
	s_delay_alu instid0(VALU_DEP_1) | instskip(NEXT) | instid1(VALU_DEP_1)
	v_cvt_u32_f32_e32 v4, v4
	v_readfirstlane_b32 s4, v4
	s_mul_i32 s8, s8, s4
	s_delay_alu instid0(SALU_CYCLE_1) | instskip(NEXT) | instid1(SALU_CYCLE_1)
	s_mul_hi_u32 s8, s4, s8
	s_add_co_i32 s4, s4, s8
	s_delay_alu instid0(SALU_CYCLE_1) | instskip(NEXT) | instid1(SALU_CYCLE_1)
	s_mul_hi_u32 s4, s28, s4
	s_mul_i32 s4, s4, s18
	s_delay_alu instid0(SALU_CYCLE_1) | instskip(NEXT) | instid1(SALU_CYCLE_1)
	s_sub_co_i32 s4, s28, s4
	s_sub_co_i32 s8, s4, s18
	s_cmp_ge_u32 s4, s18
	s_cselect_b32 s4, s8, s4
	s_delay_alu instid0(SALU_CYCLE_1) | instskip(SKIP_2) | instid1(SALU_CYCLE_1)
	s_sub_co_i32 s8, s4, s18
	s_cmp_ge_u32 s4, s18
	s_cselect_b32 s22, s8, s4
	s_mov_b64 s[10:11], s[22:23]
.LBB219_57:                             ;   in Loop: Header=BB219_12 Depth=1
	v_mov_b64_e32 v[4:5], 0
	v_mov_b64_e32 v[6:7], 0
	;; [unrolled: 1-line block ×4, first 2 shown]
	s_sub_nc_u64 s[20:21], s[28:29], s[10:11]
	s_mov_b32 s36, exec_lo
	s_wait_xcnt 0x0
	v_cmpx_gt_u64_e64 s[20:21], v[16:17]
	s_cbranch_execz .LBB219_61
; %bb.58:                               ;   in Loop: Header=BB219_12 Depth=1
	v_mov_b64_e32 v[24:25], v[16:17]
	s_mov_b64 s[74:75], 0
	s_mov_b32 s37, 0
	s_mov_b64 s[76:77], 0
	s_mov_b64 s[78:79], 0
	;; [unrolled: 1-line block ×3, first 2 shown]
.LBB219_59:                             ;   Parent Loop BB219_12 Depth=1
                                        ; =>  This Inner Loop Header: Depth=2
	s_delay_alu instid0(VALU_DEP_1) | instskip(SKIP_2) | instid1(VALU_DEP_1)
	v_mul_u64_e32 v[4:5], s[26:27], v[24:25]
	s_lshl_b64 s[8:9], s[26:27], 1
	v_add_nc_u64_e32 v[24:25], s[18:19], v[24:25]
	v_cmp_le_u64_e32 vcc_lo, s[20:21], v[24:25]
	s_delay_alu instid0(VALU_DEP_3) | instskip(NEXT) | instid1(VALU_DEP_1)
	v_lshl_add_u64 v[4:5], v[4:5], 1, s[24:25]
	v_add_nc_u64_e32 v[6:7], s[8:9], v[4:5]
	s_clause 0x1
	global_load_u16 v8, v[4:5], off
	global_load_u16 v9, v[6:7], off
	s_wait_xcnt 0x1
	v_add_nc_u64_e32 v[4:5], s[8:9], v[6:7]
	global_load_u16 v6, v[4:5], off
	s_wait_xcnt 0x0
	v_add_nc_u64_e32 v[4:5], s[8:9], v[4:5]
	global_load_u16 v4, v[4:5], off
	s_wait_loadcnt 0x3
	v_cmp_lt_i16_e64 s9, -1, v8
	v_and_b32_e32 v7, 0xffff, v8
	s_wait_xcnt 0x0
	v_lshlrev_b32_e32 v5, 16, v8
	s_wait_loadcnt 0x2
	v_cmp_lt_i16_e64 s10, -1, v9
	v_cndmask_b32_e64 v8, 0xffff, v34, s9
	s_wait_loadcnt 0x1
	v_cmp_lt_i16_e64 s11, -1, v6
	s_delay_alu instid0(VALU_DEP_2) | instskip(SKIP_4) | instid1(VALU_DEP_4)
	v_xor_b32_e32 v7, v8, v7
	v_cmp_o_f32_e64 s9, v5, v5
	v_lshlrev_b32_e32 v5, 16, v9
	v_and_b32_e32 v9, 0xffff, v9
	v_cndmask_b32_e64 v8, 0xffff, v34, s10
	v_cndmask_b32_e64 v7, 0xffff, v7, s9
	s_delay_alu instid0(VALU_DEP_4) | instskip(SKIP_1) | instid1(VALU_DEP_4)
	v_cmp_o_f32_e64 s10, v5, v5
	v_and_b32_e32 v5, 0xffff, v6
	v_dual_lshlrev_b32 v6, 16, v6 :: v_dual_bitop2_b32 v8, v8, v9 bitop3:0x14
	v_cndmask_b32_e64 v9, 0xffff, v34, s11
	s_wait_loadcnt 0x0
	v_cmp_lt_i16_e64 s11, -1, v4
	v_and_b32_e32 v10, 0xffff, v4
	v_cmp_o_f32_e64 s9, v6, v6
	v_and_b32_e32 v6, v7, v35
	v_bfe_u32 v7, v7, s96, 2
	v_lshlrev_b32_e32 v4, 16, v4
	v_cndmask_b32_e64 v8, 0xffff, v8, s10
	v_xor_b32_e32 v5, v9, v5
	v_cmp_eq_u32_e64 s10, v6, v31
	v_cmp_eq_u32_e64 s12, 0, v7
	;; [unrolled: 1-line block ×5, first 2 shown]
	v_cndmask_b32_e64 v6, 0xffff, v34, s11
	v_cmp_o_f32_e64 s11, v4, v4
	v_and_b32_e32 v4, v8, v35
	v_bfe_u32 v7, v8, s96, 2
	v_cndmask_b32_e64 v5, 0xffff, v5, s9
	s_and_b32 s4, s10, s12
	s_and_b32 s8, s10, s13
	;; [unrolled: 1-line block ×4, first 2 shown]
	v_xor_b32_e32 v6, v6, v10
	v_cndmask_b32_e64 v10, 0, 1, s9
	v_cndmask_b32_e64 v11, 0, 1, s10
	v_cmp_eq_u32_e64 s9, v4, v31
	v_cmp_eq_u32_e64 s10, 0, v7
	;; [unrolled: 1-line block ×5, first 2 shown]
	v_cndmask_b32_e64 v8, 0, 1, s4
	v_cndmask_b32_e64 v9, 0, 1, s8
	v_and_b32_e32 v4, v5, v35
	v_bfe_u32 v5, v5, s96, 2
	v_cndmask_b32_e64 v6, 0xffff, v6, s11
	s_and_b32 s4, s9, s10
	s_and_b32 s8, s9, s12
	;; [unrolled: 1-line block ×4, first 2 shown]
	v_cmp_ne_u32_e64 s11, 0, v8
	v_cmp_ne_u32_e64 s15, 0, v9
	;; [unrolled: 1-line block ×3, first 2 shown]
	v_cndmask_b32_e64 v7, 0, 1, s4
	v_cndmask_b32_e64 v9, 0, 1, s10
	;; [unrolled: 1-line block ×3, first 2 shown]
	v_cmp_eq_u32_e64 s9, v4, v31
	v_cmp_eq_u32_e64 s10, 0, v5
	v_cmp_eq_u32_e64 s12, 1, v5
	v_cmp_eq_u32_e64 s13, 2, v5
	v_cmp_eq_u32_e64 s14, 3, v5
	v_cndmask_b32_e64 v8, 0, 1, s8
	v_and_b32_e32 v4, v6, v35
	v_bfe_u32 v5, v6, s96, 2
	s_bcnt1_i32_b32 s4, s11
	v_cmp_ne_u32_e64 s11, 0, v7
	s_and_b32 s10, s9, s10
	s_and_b32 s12, s9, s12
	;; [unrolled: 1-line block ×4, first 2 shown]
	s_bcnt1_i32_b32 s8, s15
	s_bcnt1_i32_b32 s22, s16
	v_cmp_ne_u32_e64 s15, 0, v8
	v_cmp_ne_u32_e64 s16, 0, v9
	v_cndmask_b32_e64 v6, 0, 1, s10
	v_cndmask_b32_e64 v9, 0, 1, s9
	v_cmp_eq_u32_e64 s9, v4, v31
	v_cmp_eq_u32_e64 s10, 0, v5
	v_cndmask_b32_e64 v7, 0, 1, s12
	v_cmp_eq_u32_e64 s12, 1, v5
	v_cndmask_b32_e64 v8, 0, 1, s13
	v_cmp_eq_u32_e64 s13, 2, v5
	v_cmp_eq_u32_e64 s14, 3, v5
	s_bcnt1_i32_b32 s11, s11
	v_cmp_ne_u32_e64 s17, 0, v11
	s_bcnt1_i32_b32 s15, s15
	s_add_co_i32 s4, s11, s4
	v_cmp_ne_u32_e64 s11, 0, v6
	s_and_b32 s10, s9, s10
	s_bcnt1_i32_b32 s16, s16
	s_add_co_i32 s8, s15, s8
	v_cmp_ne_u32_e64 s15, 0, v7
	s_and_b32 s12, s9, s12
	v_cndmask_b32_e64 v4, 0, 1, s10
	s_and_b32 s13, s9, s13
	s_and_b32 s9, s9, s14
	s_bcnt1_i32_b32 s38, s17
	v_cmp_ne_u32_e64 s17, 0, v10
	s_add_co_i32 s22, s16, s22
	v_cmp_ne_u32_e64 s16, 0, v8
	v_cndmask_b32_e64 v5, 0, 1, s12
	v_cndmask_b32_e64 v7, 0, 1, s9
	s_bcnt1_i32_b32 s9, s11
	v_cndmask_b32_e64 v6, 0, 1, s13
	s_bcnt1_i32_b32 s10, s15
	s_add_co_i32 s4, s4, s9
	v_cmp_ne_u32_e64 s9, 0, v4
	s_bcnt1_i32_b32 s17, s17
	s_bcnt1_i32_b32 s11, s16
	s_add_co_i32 s8, s8, s10
	v_cmp_ne_u32_e64 s10, 0, v5
	s_add_co_i32 s38, s17, s38
	v_cmp_ne_u32_e64 s17, 0, v9
	;; [unrolled: 2-line block ×3, first 2 shown]
	s_bcnt1_i32_b32 s9, s9
	v_cmp_ne_u32_e64 s12, 0, v7
	s_bcnt1_i32_b32 s10, s10
	s_add_co_i32 s22, s4, s9
	s_bcnt1_i32_b32 s13, s17
	s_bcnt1_i32_b32 s11, s11
	s_add_nc_u64 s[80:81], s[80:81], s[22:23]
	s_add_co_i32 s22, s8, s10
	s_add_co_i32 s13, s38, s13
	s_bcnt1_i32_b32 s12, s12
	s_add_nc_u64 s[78:79], s[78:79], s[22:23]
	s_add_co_i32 s22, s14, s11
	v_mov_b64_e32 v[4:5], s[80:81]
	s_add_nc_u64 s[76:77], s[76:77], s[22:23]
	s_add_co_i32 s22, s13, s12
	v_mov_b64_e32 v[6:7], s[78:79]
	s_add_nc_u64 s[74:75], s[74:75], s[22:23]
	v_mov_b64_e32 v[8:9], s[76:77]
	v_mov_b64_e32 v[10:11], s[74:75]
	s_or_b32 s37, vcc_lo, s37
	s_delay_alu instid0(SALU_CYCLE_1)
	s_and_not1_b32 exec_lo, exec_lo, s37
	s_cbranch_execnz .LBB219_59
; %bb.60:                               ;   in Loop: Header=BB219_12 Depth=1
	s_or_b32 exec_lo, exec_lo, s37
.LBB219_61:                             ;   in Loop: Header=BB219_12 Depth=1
	s_delay_alu instid0(SALU_CYCLE_1) | instskip(SKIP_3) | instid1(VALU_DEP_2)
	s_or_b32 exec_lo, exec_lo, s36
	v_add_nc_u64_e32 v[24:25], s[20:21], v[0:1]
	v_and_b32_e32 v2, 0xffff, v2
	s_mov_b32 s12, exec_lo
	v_cmpx_gt_u64_e64 s[28:29], v[24:25]
	s_cbranch_execz .LBB219_67
; %bb.62:                               ;   in Loop: Header=BB219_12 Depth=1
	v_mul_u64_e32 v[26:27], s[26:27], v[24:25]
	s_mov_b32 s13, 0
	s_delay_alu instid0(VALU_DEP_1)
	v_lshl_add_u64 v[26:27], v[26:27], 1, s[24:25]
	global_load_u16 v27, v[26:27], off
	s_branch .LBB219_64
.LBB219_63:                             ;   in Loop: Header=BB219_64 Depth=2
	s_wait_xcnt 0x0
	s_or_b32 exec_lo, exec_lo, s4
	s_wait_loadcnt 0x0
	v_cmp_lt_i16_e64 s9, -1, v27
	v_and_b32_e32 v37, 0xffff, v27
	s_and_b32 s4, exec_lo, vcc_lo
	s_delay_alu instid0(SALU_CYCLE_1) | instskip(SKIP_1) | instid1(VALU_DEP_1)
	s_or_b32 s13, s4, s13
	v_cndmask_b32_e64 v38, 0xffff, v34, s9
	v_dual_lshlrev_b32 v27, 16, v27 :: v_dual_bitop2_b32 v37, v38, v37 bitop3:0x14
	s_delay_alu instid0(VALU_DEP_1) | instskip(NEXT) | instid1(VALU_DEP_1)
	v_cmp_o_f32_e64 s9, v27, v27
	v_cndmask_b32_e64 v27, 0xffff, v37, s9
	s_delay_alu instid0(VALU_DEP_1) | instskip(SKIP_1) | instid1(VALU_DEP_2)
	v_and_b32_e32 v37, v27, v35
	v_bfe_u32 v27, v27, s96, 2
	v_cmp_eq_u32_e64 s9, v37, v31
	s_delay_alu instid0(VALU_DEP_2)
	v_cmp_eq_u32_e64 s10, 0, v27
	v_cmp_eq_u32_e32 vcc_lo, 1, v27
	s_and_b32 s4, s9, s10
	v_cmp_eq_u32_e64 s10, 2, v27
	v_cndmask_b32_e64 v37, 0, 1, s4
	s_and_b32 s4, s9, vcc_lo
	v_cmp_eq_u32_e32 vcc_lo, 3, v27
	v_cndmask_b32_e64 v38, 0, 1, s4
	s_and_b32 s4, s9, s10
	v_cmp_ne_u32_e64 s11, 0, v37
	v_cndmask_b32_e64 v27, 0, 1, s4
	s_and_b32 s4, s9, vcc_lo
	v_cmp_ne_u32_e64 s10, 0, v38
	v_cndmask_b32_e64 v37, 0, 1, s4
	s_bcnt1_i32_b32 s22, s11
	v_cmp_ne_u32_e32 vcc_lo, 0, v27
	v_add_nc_u64_e32 v[4:5], s[22:23], v[4:5]
	s_bcnt1_i32_b32 s22, s10
	v_cmp_ne_u32_e64 s9, 0, v37
	v_add_nc_u64_e32 v[6:7], s[22:23], v[6:7]
	s_bcnt1_i32_b32 s22, vcc_lo
	v_mov_b32_e32 v27, v26
	v_add_nc_u64_e32 v[8:9], s[22:23], v[8:9]
	s_bcnt1_i32_b32 s22, s9
	s_delay_alu instid0(SALU_CYCLE_1)
	v_add_nc_u64_e32 v[10:11], s[22:23], v[10:11]
	s_and_not1_b32 exec_lo, exec_lo, s13
	s_cbranch_execz .LBB219_66
.LBB219_64:                             ;   Parent Loop BB219_12 Depth=1
                                        ; =>  This Inner Loop Header: Depth=2
	v_add_nc_u64_e32 v[24:25], v[24:25], v[2:3]
	s_wait_xcnt 0x0
	v_mov_b32_e32 v26, 0
	s_mov_b32 s4, exec_lo
	s_delay_alu instid0(VALU_DEP_2)
	v_cmp_le_u64_e32 vcc_lo, s[28:29], v[24:25]
	v_cmpx_gt_u64_e64 s[28:29], v[24:25]
	s_cbranch_execz .LBB219_63
; %bb.65:                               ;   in Loop: Header=BB219_64 Depth=2
	v_mul_u64_e32 v[38:39], s[26:27], v[24:25]
	s_delay_alu instid0(VALU_DEP_1)
	v_lshl_add_u64 v[38:39], v[38:39], 1, s[24:25]
	global_load_u16 v26, v[38:39], off
	s_branch .LBB219_63
.LBB219_66:                             ;   in Loop: Header=BB219_12 Depth=1
	s_or_b32 exec_lo, exec_lo, s13
.LBB219_67:                             ;   in Loop: Header=BB219_12 Depth=1
	s_delay_alu instid0(SALU_CYCLE_1)
	s_or_b32 exec_lo, exec_lo, s12
	s_branch .LBB219_46
.LBB219_68:                             ;   in Loop: Header=BB219_12 Depth=1
	global_load_u16 v2, v3, s[70:71]
	s_mov_b32 s75, s23
	v_mov_b64_e32 v[6:7], 0
	v_mov_b64_e32 v[8:9], 0
	;; [unrolled: 1-line block ×3, first 2 shown]
	s_mov_b32 s37, exec_lo
	s_wait_loadcnt 0x0
	v_readfirstlane_b32 s4, v2
	v_and_b32_e32 v2, 0xffff, v2
	s_and_b32 s36, 0xffff, s4
	s_delay_alu instid0(SALU_CYCLE_1) | instskip(NEXT) | instid1(SALU_CYCLE_1)
	s_lshl_b32 s76, s36, 2
	s_cvt_f32_u32 s4, s76
	s_sub_co_i32 s8, 0, s76
	s_delay_alu instid0(SALU_CYCLE_2) | instskip(SKIP_1) | instid1(TRANS32_DEP_1)
	v_rcp_iflag_f32_e32 v4, s4
	v_nop
	v_readfirstlane_b32 s4, v4
	s_mul_f32 s4, s4, 0x4f7ffffe
	s_delay_alu instid0(SALU_CYCLE_3) | instskip(NEXT) | instid1(SALU_CYCLE_3)
	s_cvt_u32_f32 s4, s4
	s_mul_i32 s8, s8, s4
	s_delay_alu instid0(SALU_CYCLE_1) | instskip(NEXT) | instid1(SALU_CYCLE_1)
	s_mul_hi_u32 s8, s4, s8
	s_add_co_i32 s4, s4, s8
	s_delay_alu instid0(SALU_CYCLE_1) | instskip(NEXT) | instid1(SALU_CYCLE_1)
	s_mul_hi_u32 s4, s72, s4
	s_mul_i32 s8, s4, s76
	s_add_co_i32 s9, s4, 1
	s_sub_co_i32 s8, s72, s8
	s_delay_alu instid0(SALU_CYCLE_1)
	s_sub_co_i32 s10, s8, s76
	s_cmp_ge_u32 s8, s76
	s_cselect_b32 s4, s9, s4
	s_cselect_b32 s8, s10, s8
	s_add_co_i32 s9, s4, 1
	s_cmp_ge_u32 s8, s76
	s_cselect_b32 s74, s9, s4
	s_delay_alu instid0(SALU_CYCLE_1) | instskip(NEXT) | instid1(VALU_DEP_1)
	v_mul_u64_e32 v[4:5], s[74:75], v[2:3]
	v_lshlrev_b64_e32 v[24:25], 2, v[4:5]
	v_mov_b64_e32 v[4:5], 0
	s_wait_xcnt 0x0
	s_delay_alu instid0(VALU_DEP_2)
	v_cmpx_gt_u64_e64 v[24:25], v[16:17]
	s_cbranch_execz .LBB219_72
; %bb.69:                               ;   in Loop: Header=BB219_12 Depth=1
	v_mov_b64_e32 v[26:27], v[16:17]
	v_mov_b32_e32 v37, v32
	s_mov_b32 s77, s23
	s_lshl_b32 s38, s36, 3
	s_mov_b64 s[78:79], 0
	s_mov_b32 s39, 0
	s_mov_b64 s[80:81], 0
	s_mov_b64 s[82:83], 0
	s_mov_b64 s[84:85], 0
.LBB219_70:                             ;   Parent Loop BB219_12 Depth=1
                                        ; =>  This Inner Loop Header: Depth=2
	ds_load_b64 v[4:5], v37
	v_add_nc_u32_e32 v37, s38, v37
	v_add_nc_u64_e32 v[26:27], s[76:77], v[26:27]
	s_delay_alu instid0(VALU_DEP_1)
	v_cmp_ge_u64_e32 vcc_lo, v[26:27], v[24:25]
	s_wait_dscnt 0x0
	v_lshrrev_b32_e32 v6, 16, v4
	v_cmp_lt_i16_e64 s9, -1, v4
	v_dual_lshrrev_b32 v7, 16, v5 :: v_dual_lshlrev_b32 v8, 16, v4
	v_cmp_lt_i16_e64 s10, -1, v5
	v_and_b32_e32 v9, 0xffff0000, v4
	s_delay_alu instid0(VALU_DEP_4)
	v_cndmask_b32_e64 v38, 0xffff, v34, s9
	v_cmp_lt_i16_e64 s9, -1, v6
	v_cmp_lt_i16_e64 s11, -1, v7
	v_cndmask_b32_e64 v39, 0xffff, v34, s10
	v_cmp_o_f32_e64 s12, v8, v8
	v_bitop3_b32 v4, v38, v4, 0xffff bitop3:0x78
	v_cndmask_b32_e64 v8, 0xffff, v34, s9
	v_lshlrev_b32_e32 v10, 16, v5
	v_and_b32_e32 v11, 0xffff0000, v5
	v_cmp_o_f32_e64 s14, v9, v9
	v_cndmask_b32_e64 v9, 0xffff, v34, s11
	v_bitop3_b32 v5, v39, v5, 0xffff bitop3:0x78
	v_xor_b32_e32 v6, v8, v6
	v_cmp_o_f32_e64 s10, v10, v10
	v_cndmask_b32_e64 v4, 0xffff, v4, s12
	v_cmp_o_f32_e64 s13, v11, v11
	v_xor_b32_e32 v7, v9, v7
	v_cndmask_b32_e64 v6, 0xffff, v6, s14
	v_cndmask_b32_e64 v5, 0xffff, v5, s10
	v_and_b32_e32 v8, v4, v35
	v_bfe_u32 v4, v4, s96, 2
	v_cndmask_b32_e64 v7, 0xffff, v7, s13
	s_delay_alu instid0(VALU_DEP_4)
	v_and_b32_e32 v9, v5, v35
	v_bfe_u32 v5, v5, s96, 2
	v_cmp_eq_u32_e64 s9, v8, v31
	v_and_b32_e32 v8, v6, v35
	v_bfe_u32 v6, v6, s96, 2
	v_cmp_eq_u32_e64 s11, 0, v4
	v_cmp_eq_u32_e64 s13, 1, v4
	;; [unrolled: 1-line block ×5, first 2 shown]
	v_and_b32_e32 v9, v7, v35
	v_bfe_u32 v7, v7, s96, 2
	v_cmp_eq_u32_e64 s12, 0, v5
	v_cmp_eq_u32_e64 s19, v8, v31
	;; [unrolled: 1-line block ×3, first 2 shown]
	s_and_b32 s4, s9, s11
	v_cmp_eq_u32_e64 s14, 1, v5
	v_cmp_eq_u32_e64 s11, 1, v6
	s_and_b32 s40, s9, s13
	v_cmp_eq_u32_e64 s13, 2, v6
	s_and_b32 s42, s9, s15
	;; [unrolled: 2-line block ×3, first 2 shown]
	v_cndmask_b32_e64 v4, 0, 1, s4
	v_cmp_eq_u32_e64 s16, 2, v5
	v_cmp_eq_u32_e64 s18, 3, v5
	v_cmp_eq_u32_e64 s20, v9, v31
	v_cmp_eq_u32_e64 s22, 0, v7
	s_and_b32 s8, s10, s12
	v_cndmask_b32_e64 v6, 0, 1, s40
	v_cndmask_b32_e64 v8, 0, 1, s42
	;; [unrolled: 1-line block ×3, first 2 shown]
	s_and_b32 s4, s19, s21
	v_cmp_eq_u32_e64 s12, 1, v7
	s_and_b32 s41, s10, s14
	v_cndmask_b32_e64 v5, 0, 1, s8
	s_and_b32 s17, s19, s11
	s_and_b32 s21, s19, s13
	;; [unrolled: 1-line block ×3, first 2 shown]
	v_cmp_ne_u32_e64 s9, 0, v4
	v_cndmask_b32_e64 v4, 0, 1, s4
	v_cmp_eq_u32_e64 s14, 2, v7
	s_and_b32 s43, s10, s16
	v_cmp_eq_u32_e64 s16, 3, v7
	v_cndmask_b32_e64 v7, 0, 1, s41
	s_and_b32 s10, s10, s18
	s_and_b32 s8, s20, s22
	v_cmp_ne_u32_e64 s11, 0, v6
	v_cndmask_b32_e64 v6, 0, 1, s17
	v_cmp_ne_u32_e64 s13, 0, v8
	v_cndmask_b32_e64 v8, 0, 1, s21
	;; [unrolled: 2-line block ×3, first 2 shown]
	v_cndmask_b32_e64 v9, 0, 1, s43
	v_cndmask_b32_e64 v11, 0, 1, s10
	s_and_b32 s18, s20, s12
	v_cmp_ne_u32_e64 s10, 0, v5
	v_cndmask_b32_e64 v5, 0, 1, s8
	s_bcnt1_i32_b32 s4, s9
	v_cmp_ne_u32_e64 s9, 0, v4
	s_and_b32 s22, s20, s14
	v_cmp_ne_u32_e64 s12, 0, v7
	v_cndmask_b32_e64 v7, 0, 1, s18
	s_bcnt1_i32_b32 s17, s11
	v_cmp_ne_u32_e64 s11, 0, v6
	s_bcnt1_i32_b32 s19, s13
	v_cmp_ne_u32_e64 s13, 0, v8
	;; [unrolled: 2-line block ×3, first 2 shown]
	s_and_b32 s20, s20, s16
	v_cmp_ne_u32_e64 s14, 0, v9
	v_cndmask_b32_e64 v9, 0, 1, s22
	v_cmp_ne_u32_e64 s16, 0, v11
	s_bcnt1_i32_b32 s8, s10
	v_cmp_ne_u32_e64 s10, 0, v5
	v_cndmask_b32_e64 v11, 0, 1, s20
	s_bcnt1_i32_b32 s9, s9
	s_bcnt1_i32_b32 s18, s12
	v_cmp_ne_u32_e64 s12, 0, v7
	s_bcnt1_i32_b32 s11, s11
	s_bcnt1_i32_b32 s13, s13
	;; [unrolled: 1-line block ×3, first 2 shown]
	s_add_co_i32 s4, s9, s4
	s_bcnt1_i32_b32 s20, s14
	v_cmp_ne_u32_e64 s14, 0, v9
	s_bcnt1_i32_b32 s22, s16
	s_bcnt1_i32_b32 s10, s10
	s_add_co_i32 s9, s11, s17
	s_add_co_i32 s11, s13, s19
	;; [unrolled: 1-line block ×4, first 2 shown]
	v_cmp_ne_u32_e64 s16, 0, v11
	s_bcnt1_i32_b32 s12, s12
	s_add_co_i32 s8, s9, s18
	s_add_co_i32 s9, s11, s20
	;; [unrolled: 1-line block ×4, first 2 shown]
	s_bcnt1_i32_b32 s14, s14
	s_add_nc_u64 s[84:85], s[84:85], s[22:23]
	s_add_co_i32 s22, s8, s12
	s_bcnt1_i32_b32 s16, s16
	s_add_nc_u64 s[82:83], s[82:83], s[22:23]
	s_add_co_i32 s22, s9, s14
	v_mov_b64_e32 v[4:5], s[84:85]
	s_add_nc_u64 s[80:81], s[80:81], s[22:23]
	s_add_co_i32 s22, s11, s16
	v_mov_b64_e32 v[6:7], s[82:83]
	s_add_nc_u64 s[78:79], s[78:79], s[22:23]
	v_mov_b64_e32 v[8:9], s[80:81]
	v_mov_b64_e32 v[10:11], s[78:79]
	s_or_b32 s39, vcc_lo, s39
	s_delay_alu instid0(SALU_CYCLE_1)
	s_and_not1_b32 exec_lo, exec_lo, s39
	s_cbranch_execnz .LBB219_70
; %bb.71:                               ;   in Loop: Header=BB219_12 Depth=1
	s_or_b32 exec_lo, exec_lo, s39
.LBB219_72:                             ;   in Loop: Header=BB219_12 Depth=1
	s_delay_alu instid0(SALU_CYCLE_1) | instskip(SKIP_3) | instid1(VALU_DEP_1)
	s_or_b32 exec_lo, exec_lo, s37
	v_add_nc_u64_e32 v[24:25], v[24:25], v[0:1]
	s_and_b64 s[14:15], s[72:73], 0x7fffffff
	s_mov_b32 s16, exec_lo
	v_cmpx_gt_u64_e64 s[14:15], v[24:25]
	s_cbranch_execz .LBB219_76
; %bb.73:                               ;   in Loop: Header=BB219_12 Depth=1
	s_mul_i32 s4, s74, s36
	s_lshl_b32 s18, s36, 1
	v_lshl_add_u32 v26, s4, 3, v28
	s_mov_b32 s17, 0
.LBB219_74:                             ;   Parent Loop BB219_12 Depth=1
                                        ; =>  This Inner Loop Header: Depth=2
	ds_load_u16 v27, v26
	v_add_nc_u64_e32 v[24:25], v[24:25], v[2:3]
	v_add_nc_u32_e32 v26, s18, v26
	s_delay_alu instid0(VALU_DEP_2) | instskip(SKIP_3) | instid1(VALU_DEP_2)
	v_cmp_le_u64_e32 vcc_lo, s[14:15], v[24:25]
	s_wait_dscnt 0x0
	v_cmp_lt_i16_e64 s9, -1, v27
	v_and_b32_e32 v37, 0xffff, v27
	v_cndmask_b32_e64 v38, 0xffff, v34, s9
	s_delay_alu instid0(VALU_DEP_1) | instskip(NEXT) | instid1(VALU_DEP_1)
	v_dual_lshlrev_b32 v27, 16, v27 :: v_dual_bitop2_b32 v37, v38, v37 bitop3:0x14
	v_cmp_o_f32_e64 s9, v27, v27
	s_delay_alu instid0(VALU_DEP_1) | instskip(NEXT) | instid1(VALU_DEP_1)
	v_cndmask_b32_e64 v27, 0xffff, v37, s9
	v_and_b32_e32 v37, v27, v35
	v_bfe_u32 v27, v27, s96, 2
	s_delay_alu instid0(VALU_DEP_2) | instskip(NEXT) | instid1(VALU_DEP_2)
	v_cmp_eq_u32_e64 s9, v37, v31
	v_cmp_eq_u32_e64 s10, 0, v27
	;; [unrolled: 1-line block ×5, first 2 shown]
	s_and_b32 s4, s9, s10
	s_delay_alu instid0(SALU_CYCLE_1) | instskip(SKIP_1) | instid1(SALU_CYCLE_1)
	v_cndmask_b32_e64 v27, 0, 1, s4
	s_and_b32 s4, s9, s11
	v_cndmask_b32_e64 v37, 0, 1, s4
	s_and_b32 s4, s9, s12
	s_delay_alu instid0(SALU_CYCLE_1)
	v_cndmask_b32_e64 v38, 0, 1, s4
	s_and_b32 s4, s9, s13
	v_cmp_ne_u32_e64 s9, 0, v27
	v_cndmask_b32_e64 v39, 0, 1, s4
	v_cmp_ne_u32_e64 s10, 0, v37
	v_cmp_ne_u32_e64 s11, 0, v38
	s_bcnt1_i32_b32 s22, s9
	v_cmp_ne_u32_e64 s12, 0, v39
	v_add_nc_u64_e32 v[4:5], s[22:23], v[4:5]
	s_bcnt1_i32_b32 s22, s10
	s_delay_alu instid0(SALU_CYCLE_1) | instskip(SKIP_1) | instid1(SALU_CYCLE_1)
	v_add_nc_u64_e32 v[6:7], s[22:23], v[6:7]
	s_bcnt1_i32_b32 s22, s11
	v_add_nc_u64_e32 v[8:9], s[22:23], v[8:9]
	s_bcnt1_i32_b32 s22, s12
	s_or_b32 s17, vcc_lo, s17
	v_add_nc_u64_e32 v[10:11], s[22:23], v[10:11]
	s_and_not1_b32 exec_lo, exec_lo, s17
	s_cbranch_execnz .LBB219_74
; %bb.75:                               ;   in Loop: Header=BB219_12 Depth=1
	s_or_b32 exec_lo, exec_lo, s17
.LBB219_76:                             ;   in Loop: Header=BB219_12 Depth=1
	s_delay_alu instid0(SALU_CYCLE_1)
	s_or_b32 exec_lo, exec_lo, s16
	s_lshl_b32 s9, s99, 7
	s_and_saveexec_b32 s4, s2
	s_cbranch_execnz .LBB219_47
	s_branch .LBB219_48
.LBB219_77:                             ;   in Loop: Header=BB219_12 Depth=1
                                        ; implicit-def: $sgpr10_sgpr11
	s_branch .LBB219_56
.LBB219_78:                             ;   in Loop: Header=BB219_12 Depth=1
	s_mov_b32 s8, 0
	s_and_not1_b32 vcc_lo, exec_lo, s92
	s_cbranch_vccnz .LBB219_81
.LBB219_79:                             ;   in Loop: Header=BB219_12 Depth=1
	s_lshl_b32 s4, s99, 10
	s_lshl_b32 s8, s8, 5
	s_delay_alu instid0(SALU_CYCLE_1)
	v_add3_u32 v2, s4, s8, v33
	s_mov_b32 s4, s89
.LBB219_80:                             ;   Parent Loop BB219_12 Depth=1
                                        ; =>  This Inner Loop Header: Depth=2
	ds_load_b64 v[6:7], v2
	v_add_nc_u32_e32 v2, 32, v2
	s_add_co_i32 s4, s4, -1
	s_delay_alu instid0(SALU_CYCLE_1)
	s_cmp_lg_u32 s4, 0
	s_wait_dscnt 0x0
	v_add_nc_u64_e32 v[4:5], v[6:7], v[4:5]
	s_cbranch_scc1 .LBB219_80
.LBB219_81:                             ;   in Loop: Header=BB219_12 Depth=1
	v_add_lshl_u32 v2, s9, v13, 3
	ds_store_b64 v2, v[4:5] offset:3072
.LBB219_82:                             ;   in Loop: Header=BB219_12 Depth=1
	s_or_b32 exec_lo, exec_lo, s10
	s_lshl_b32 s4, s9, 3
	s_wait_dscnt 0x0
	v_mov_b32_e32 v2, s4
	s_barrier_signal -1
	s_barrier_wait -1
	v_cmp_eq_u64_e64 s9, 1, v[22:23]
	ds_load_b128 v[4:7], v2 offset:3072
	ds_load_b128 v[8:11], v2 offset:3088
	s_lshl_b32 s57, 3, s96
	s_mov_b32 s80, -1
	s_not_b32 s74, s57
	s_mov_b32 s75, 0
	s_and_not1_b32 vcc_lo, exec_lo, s87
	s_mov_b32 s77, 0
	s_mov_b32 s76, 0
                                        ; implicit-def: $sgpr78
                                        ; implicit-def: $sgpr79
                                        ; implicit-def: $vgpr2
	s_wait_dscnt 0x1
	v_readfirstlane_b32 s13, v5
	v_readfirstlane_b32 s12, v4
	;; [unrolled: 1-line block ×4, first 2 shown]
	s_wait_dscnt 0x0
	v_readfirstlane_b32 s17, v9
	v_readfirstlane_b32 s16, v8
	;; [unrolled: 1-line block ×4, first 2 shown]
                                        ; implicit-def: $vgpr4_vgpr5
                                        ; implicit-def: $vgpr8
                                        ; implicit-def: $vgpr9
                                        ; implicit-def: $vgpr10
	s_cbranch_vccnz .LBB219_277
; %bb.83:                               ;   in Loop: Header=BB219_12 Depth=1
	s_cmp_eq_u64 s[12:13], 1
	v_dual_mov_b32 v8, v31 :: v_dual_mov_b32 v9, v35
	v_mov_b32_e32 v10, v36
	s_cselect_b32 s4, -1, 0
	s_mov_b32 s10, -1
	s_and_b32 s36, s4, s9
                                        ; implicit-def: $sgpr79
                                        ; implicit-def: $sgpr78
	s_delay_alu instid0(SALU_CYCLE_1)
	s_and_saveexec_b32 s37, s36
	s_cbranch_execz .LBB219_118
; %bb.84:                               ;   in Loop: Header=BB219_12 Depth=1
	ds_load_b64 v[4:5], v3 offset:5120
	s_wait_dscnt 0x0
	s_barrier_signal -1
	s_barrier_wait -1
	v_readfirstlane_b32 s10, v4
	v_readfirstlane_b32 s11, v5
	s_and_saveexec_b32 s4, s6
; %bb.85:                               ;   in Loop: Header=BB219_12 Depth=1
	ds_store_b16 v29, v3
; %bb.86:                               ;   in Loop: Header=BB219_12 Depth=1
	s_or_b32 exec_lo, exec_lo, s4
	v_and_b32_e32 v8, s74, v31
	v_or_b32_e32 v9, s57, v35
	s_mov_b32 s78, -1
	s_mov_b32 s79, 0
	s_cmp_eq_u64 s[10:11], 0
	s_mov_b32 s38, 0
	s_mov_b32 s22, -1
	s_wait_dscnt 0x0
	s_barrier_signal -1
	s_barrier_wait -1
                                        ; implicit-def: $vgpr10
	s_cbranch_scc1 .LBB219_103
; %bb.87:                               ;   in Loop: Header=BB219_12 Depth=1
	s_add_nc_u64 s[20:21], s[10:11], s[58:59]
	s_delay_alu instid0(SALU_CYCLE_1) | instskip(NEXT) | instid1(SALU_CYCLE_1)
	s_and_b64 s[38:39], s[20:21], 0xffffffff00000000
	s_cmp_lg_u64 s[38:39], 0
	s_cbranch_scc0 .LBB219_144
; %bb.88:                               ;   in Loop: Header=BB219_12 Depth=1
	s_cvt_f32_u32 s4, s34
	s_sub_nc_u64 s[40:41], 0, s[34:35]
	s_delay_alu instid0(SALU_CYCLE_2) | instskip(NEXT) | instid1(SALU_CYCLE_3)
	s_fmamk_f32 s4, s94, 0x0, s4
	v_s_rcp_f32 s4, s4
	s_delay_alu instid0(TRANS32_DEP_1) | instskip(NEXT) | instid1(SALU_CYCLE_3)
	s_mul_f32 s4, s4, 0x5f7ffffc
	s_mul_f32 s8, s4, 0x2f800000
	s_delay_alu instid0(SALU_CYCLE_3) | instskip(NEXT) | instid1(SALU_CYCLE_3)
	s_trunc_f32 s8, s8
	s_fmamk_f32 s4, s8, 0xcf800000, s4
	s_cvt_u32_f32 s39, s8
	s_delay_alu instid0(SALU_CYCLE_2) | instskip(NEXT) | instid1(SALU_CYCLE_3)
	s_cvt_u32_f32 s38, s4
	s_mul_u64 s[42:43], s[40:41], s[38:39]
	s_delay_alu instid0(SALU_CYCLE_1)
	s_mul_hi_u32 s47, s38, s43
	s_mul_i32 s46, s38, s43
	s_mul_hi_u32 s22, s38, s42
	s_mul_i32 s8, s39, s42
	s_add_nc_u64 s[46:47], s[22:23], s[46:47]
	s_mul_hi_u32 s4, s39, s42
	s_mul_hi_u32 s48, s39, s43
	s_add_co_u32 s8, s46, s8
	s_add_co_ci_u32 s22, s47, s4
	s_mul_i32 s42, s39, s43
	s_add_co_ci_u32 s43, s48, 0
	s_delay_alu instid0(SALU_CYCLE_1) | instskip(NEXT) | instid1(SALU_CYCLE_1)
	s_add_nc_u64 s[42:43], s[22:23], s[42:43]
	s_add_co_u32 s38, s38, s42
	s_cselect_b32 s4, -1, 0
	s_delay_alu instid0(SALU_CYCLE_1) | instskip(SKIP_1) | instid1(SALU_CYCLE_1)
	s_cmp_lg_u32 s4, 0
	s_add_co_ci_u32 s39, s39, s43
	s_mul_u64 s[40:41], s[40:41], s[38:39]
	s_delay_alu instid0(SALU_CYCLE_1)
	s_mul_hi_u32 s43, s38, s41
	s_mul_i32 s42, s38, s41
	s_mul_hi_u32 s22, s38, s40
	s_mul_i32 s8, s39, s40
	s_add_nc_u64 s[42:43], s[22:23], s[42:43]
	s_mul_hi_u32 s4, s39, s40
	s_mul_hi_u32 s46, s39, s41
	s_add_co_u32 s8, s42, s8
	s_add_co_ci_u32 s22, s43, s4
	s_mul_i32 s40, s39, s41
	s_add_co_ci_u32 s41, s46, 0
	s_delay_alu instid0(SALU_CYCLE_1) | instskip(NEXT) | instid1(SALU_CYCLE_1)
	s_add_nc_u64 s[40:41], s[22:23], s[40:41]
	s_add_co_u32 s4, s38, s40
	s_cselect_b32 s8, -1, 0
	s_mul_hi_u32 s22, s20, s4
	s_cmp_lg_u32 s8, 0
	s_mul_hi_u32 s8, s21, s4
	s_add_co_ci_u32 s40, s39, s41
	s_mul_i32 s4, s21, s4
	s_mul_hi_u32 s39, s20, s40
	s_mul_i32 s38, s20, s40
	s_mul_hi_u32 s41, s21, s40
	s_add_nc_u64 s[38:39], s[22:23], s[38:39]
	s_mul_i32 s40, s21, s40
	s_add_co_u32 s4, s38, s4
	s_add_co_ci_u32 s22, s39, s8
	s_add_co_ci_u32 s41, s41, 0
	s_delay_alu instid0(SALU_CYCLE_1) | instskip(NEXT) | instid1(SALU_CYCLE_1)
	s_add_nc_u64 s[38:39], s[22:23], s[40:41]
	s_and_b64 s[40:41], s[38:39], 0xffffffff00000000
	s_delay_alu instid0(SALU_CYCLE_1) | instskip(NEXT) | instid1(SALU_CYCLE_1)
	s_or_b32 s40, s40, s38
	s_mul_u64 s[38:39], s[34:35], s[40:41]
	s_delay_alu instid0(SALU_CYCLE_1) | instskip(SKIP_1) | instid1(SALU_CYCLE_1)
	s_sub_co_u32 s4, s20, s38
	s_cselect_b32 s8, -1, 0
	s_cmp_lg_u32 s8, 0
	s_sub_co_ci_u32 s8, s21, s39
	s_sub_co_u32 s22, s4, s34
	s_cselect_b32 s38, -1, 0
	s_delay_alu instid0(SALU_CYCLE_1) | instskip(SKIP_3) | instid1(SALU_CYCLE_1)
	s_cmp_lg_u32 s38, 0
	s_sub_co_ci_u32 s38, s8, 0
	s_sub_co_u32 s39, s22, s34
	s_cselect_b32 s40, -1, 0
	s_cmp_lg_u32 s40, 0
	s_sub_co_ci_u32 s40, s38, 0
	s_cmp_ge_u32 s22, s34
	s_cselect_b32 s41, -1, 0
	s_cmp_eq_u32 s38, 0
	s_cselect_b32 s41, s41, -1
	s_delay_alu instid0(SALU_CYCLE_1)
	s_cmp_lg_u32 s41, 0
	s_cselect_b32 s38, s40, s38
	s_cselect_b32 s22, s39, s22
	s_cmp_ge_u32 s4, s34
	s_cselect_b32 s39, -1, 0
	s_cmp_eq_u32 s8, 0
	s_cselect_b32 s39, s39, -1
	s_delay_alu instid0(SALU_CYCLE_1)
	s_cmp_lg_u32 s39, 0
	s_cselect_b32 s73, s38, s8
	s_cselect_b32 s72, s22, s4
	s_cbranch_execnz .LBB219_90
.LBB219_89:                             ;   in Loop: Header=BB219_12 Depth=1
	v_cvt_f32_u32_e32 v2, s34
	s_sub_co_i32 s8, 0, s34
	s_delay_alu instid0(VALU_DEP_1) | instskip(SKIP_1) | instid1(TRANS32_DEP_1)
	v_rcp_iflag_f32_e32 v2, v2
	v_nop
	v_mul_f32_e32 v2, 0x4f7ffffe, v2
	s_delay_alu instid0(VALU_DEP_1) | instskip(NEXT) | instid1(VALU_DEP_1)
	v_cvt_u32_f32_e32 v2, v2
	v_readfirstlane_b32 s4, v2
	s_mul_i32 s8, s8, s4
	s_delay_alu instid0(SALU_CYCLE_1) | instskip(NEXT) | instid1(SALU_CYCLE_1)
	s_mul_hi_u32 s8, s4, s8
	s_add_co_i32 s4, s4, s8
	s_delay_alu instid0(SALU_CYCLE_1) | instskip(NEXT) | instid1(SALU_CYCLE_1)
	s_mul_hi_u32 s4, s20, s4
	s_mul_i32 s4, s4, s34
	s_delay_alu instid0(SALU_CYCLE_1) | instskip(NEXT) | instid1(SALU_CYCLE_1)
	s_sub_co_i32 s4, s20, s4
	s_sub_co_i32 s8, s4, s34
	s_cmp_ge_u32 s4, s34
	s_cselect_b32 s4, s8, s4
	s_delay_alu instid0(SALU_CYCLE_1) | instskip(SKIP_2) | instid1(SALU_CYCLE_1)
	s_sub_co_i32 s8, s4, s34
	s_cmp_ge_u32 s4, s34
	s_cselect_b32 s22, s8, s4
	s_mov_b64 s[72:73], s[22:23]
.LBB219_90:                             ;   in Loop: Header=BB219_12 Depth=1
	s_delay_alu instid0(SALU_CYCLE_1)
	s_sub_nc_u64 s[20:21], s[20:21], s[72:73]
	s_mov_b32 s22, 0
	s_mov_b32 s38, 0
	s_mov_b32 s39, exec_lo
                                        ; implicit-def: $vgpr10
	v_cmpx_gt_u64_e64 s[20:21], v[0:1]
	s_cbranch_execz .LBB219_102
; %bb.91:                               ;   in Loop: Header=BB219_12 Depth=1
	v_mov_b64_e32 v[4:5], v[0:1]
	v_mov_b32_e32 v2, v28
                                        ; implicit-def: $sgpr40
	s_branch .LBB219_94
.LBB219_92:                             ;   in Loop: Header=BB219_94 Depth=2
	s_or_b32 exec_lo, exec_lo, s8
	s_wait_dscnt 0x0
	s_barrier_signal -1
	s_barrier_wait -1
	ds_load_b32 v6, v3 offset:3072
	s_mov_b32 s8, -1
	s_mov_b32 s41, -1
	s_wait_dscnt 0x0
	s_barrier_signal -1
	s_barrier_wait -1
	v_and_b32_e32 v7, 0x7fff, v6
	s_delay_alu instid0(VALU_DEP_1)
	v_cmp_ne_u32_e32 vcc_lo, 0, v7
	s_cbranch_vccz .LBB219_97
.LBB219_93:                             ;   in Loop: Header=BB219_94 Depth=2
	s_and_b32 s4, exec_lo, s8
	s_delay_alu instid0(SALU_CYCLE_1) | instskip(SKIP_2) | instid1(SALU_CYCLE_1)
	s_or_b32 s38, s4, s38
	s_and_not1_b32 s4, s40, exec_lo
	s_and_b32 s8, s41, exec_lo
	s_or_b32 s40, s4, s8
	s_and_not1_b32 exec_lo, exec_lo, s38
	s_cbranch_execz .LBB219_101
.LBB219_94:                             ;   Parent Loop BB219_12 Depth=1
                                        ; =>  This Inner Loop Header: Depth=2
	s_mov_b32 s8, exec_lo
	s_delay_alu instid0(VALU_DEP_2)
	v_cmpx_gt_u64_e64 s[10:11], v[4:5]
	s_cbranch_execz .LBB219_92
; %bb.95:                               ;   in Loop: Header=BB219_94 Depth=2
	ds_load_u16 v6, v2
	s_wait_dscnt 0x0
	v_cmp_lt_i16_e32 vcc_lo, -1, v6
	v_and_b32_e32 v7, 0xffff, v6
	v_cndmask_b32_e32 v10, 0xffff, v34, vcc_lo
	s_delay_alu instid0(VALU_DEP_1) | instskip(NEXT) | instid1(VALU_DEP_1)
	v_dual_lshlrev_b32 v11, 16, v6 :: v_dual_bitop2_b32 v7, v10, v7 bitop3:0x14
	v_cmp_o_f32_e32 vcc_lo, v11, v11
	s_delay_alu instid0(VALU_DEP_2) | instskip(NEXT) | instid1(VALU_DEP_1)
	v_cndmask_b32_e32 v7, 0xffff, v7, vcc_lo
	v_and_b32_e32 v7, v7, v9
	s_delay_alu instid0(VALU_DEP_1)
	v_cmp_eq_u32_e32 vcc_lo, v7, v8
	s_and_b32 exec_lo, exec_lo, vcc_lo
	s_cbranch_execz .LBB219_92
; %bb.96:                               ;   in Loop: Header=BB219_94 Depth=2
	v_perm_b32 v6, v6, s95, 0x5040100
	ds_store_b32 v3, v6 offset:3072
	s_branch .LBB219_92
.LBB219_97:                             ;   in Loop: Header=BB219_94 Depth=2
	v_add_nc_u64_e32 v[4:5], s[34:35], v[4:5]
	v_add_nc_u32_e32 v2, s93, v2
	s_mov_b32 s41, 0
	s_delay_alu instid0(VALU_DEP_2)
	v_cmp_le_u64_e32 vcc_lo, s[20:21], v[4:5]
	s_or_not1_b32 s8, vcc_lo, exec_lo
	s_branch .LBB219_93
.LBB219_98:                             ;   in Loop: Header=BB219_12 Depth=1
	s_or_b32 exec_lo, exec_lo, s12
	s_wait_dscnt 0x0
	s_barrier_signal -1
	s_barrier_wait -1
	s_and_saveexec_b32 s4, s5
	s_cbranch_execz .LBB219_100
; %bb.99:                               ;   in Loop: Header=BB219_12 Depth=1
	ds_load_b32 v4, v3 offset:5144
	s_wait_dscnt 0x0
	v_ashrrev_i32_e32 v5, 31, v4
	ds_store_b64 v3, v[4:5] offset:5120
.LBB219_100:                            ;   in Loop: Header=BB219_12 Depth=1
	s_or_b32 exec_lo, exec_lo, s4
	s_wait_dscnt 0x0
	s_barrier_signal -1
	s_mov_b32 s9, -1
	s_barrier_wait -1
	s_and_b32 vcc_lo, exec_lo, s11
	s_cbranch_vccnz .LBB219_27
	s_branch .LBB219_42
.LBB219_101:                            ;   in Loop: Header=BB219_12 Depth=1
	s_or_b32 exec_lo, exec_lo, s38
	v_lshrrev_b32_e32 v10, 16, v6
	s_and_b32 s38, s40, exec_lo
.LBB219_102:                            ;   in Loop: Header=BB219_12 Depth=1
	s_or_b32 exec_lo, exec_lo, s39
.LBB219_103:                            ;   in Loop: Header=BB219_12 Depth=1
	s_delay_alu instid0(SALU_CYCLE_1)
	s_and_b32 vcc_lo, exec_lo, s22
	s_cbranch_vccz .LBB219_117
; %bb.104:                              ;   in Loop: Header=BB219_12 Depth=1
	s_and_b64 s[10:11], s[60:61], 0xffffffff00000000
	s_delay_alu instid0(SALU_CYCLE_1)
	s_cmp_lg_u64 s[10:11], 0
	s_cbranch_scc0 .LBB219_145
; %bb.105:                              ;   in Loop: Header=BB219_12 Depth=1
	s_cvt_f32_u32 s4, s34
	s_sub_nc_u64 s[20:21], 0, s[34:35]
	s_delay_alu instid0(SALU_CYCLE_2) | instskip(NEXT) | instid1(SALU_CYCLE_3)
	s_fmamk_f32 s4, s94, 0x0, s4
	v_s_rcp_f32 s4, s4
	s_delay_alu instid0(TRANS32_DEP_1) | instskip(NEXT) | instid1(SALU_CYCLE_3)
	s_mul_f32 s4, s4, 0x5f7ffffc
	s_mul_f32 s8, s4, 0x2f800000
	s_delay_alu instid0(SALU_CYCLE_3) | instskip(NEXT) | instid1(SALU_CYCLE_3)
	s_trunc_f32 s8, s8
	s_fmamk_f32 s4, s8, 0xcf800000, s4
	s_cvt_u32_f32 s11, s8
	s_delay_alu instid0(SALU_CYCLE_2) | instskip(NEXT) | instid1(SALU_CYCLE_3)
	s_cvt_u32_f32 s10, s4
	s_mul_u64 s[40:41], s[20:21], s[10:11]
	s_delay_alu instid0(SALU_CYCLE_1)
	s_mul_hi_u32 s43, s10, s41
	s_mul_i32 s42, s10, s41
	s_mul_hi_u32 s22, s10, s40
	s_mul_i32 s8, s11, s40
	s_add_nc_u64 s[42:43], s[22:23], s[42:43]
	s_mul_hi_u32 s4, s11, s40
	s_mul_hi_u32 s39, s11, s41
	s_add_co_u32 s8, s42, s8
	s_add_co_ci_u32 s22, s43, s4
	s_mul_i32 s40, s11, s41
	s_add_co_ci_u32 s41, s39, 0
	s_delay_alu instid0(SALU_CYCLE_1) | instskip(NEXT) | instid1(SALU_CYCLE_1)
	s_add_nc_u64 s[40:41], s[22:23], s[40:41]
	s_add_co_u32 s10, s10, s40
	s_cselect_b32 s4, -1, 0
	s_delay_alu instid0(SALU_CYCLE_1) | instskip(SKIP_1) | instid1(SALU_CYCLE_1)
	s_cmp_lg_u32 s4, 0
	s_add_co_ci_u32 s11, s11, s41
	s_mul_u64 s[20:21], s[20:21], s[10:11]
	s_delay_alu instid0(SALU_CYCLE_1)
	s_mul_hi_u32 s41, s10, s21
	s_mul_i32 s40, s10, s21
	s_mul_hi_u32 s22, s10, s20
	s_mul_i32 s8, s11, s20
	s_add_nc_u64 s[40:41], s[22:23], s[40:41]
	s_mul_hi_u32 s4, s11, s20
	s_mul_hi_u32 s39, s11, s21
	s_add_co_u32 s8, s40, s8
	s_add_co_ci_u32 s22, s41, s4
	s_mul_i32 s20, s11, s21
	s_add_co_ci_u32 s21, s39, 0
	s_delay_alu instid0(SALU_CYCLE_1) | instskip(NEXT) | instid1(SALU_CYCLE_1)
	s_add_nc_u64 s[20:21], s[22:23], s[20:21]
	s_add_co_u32 s4, s10, s20
	s_cselect_b32 s8, -1, 0
	s_mul_hi_u32 s22, s60, s4
	s_cmp_lg_u32 s8, 0
	s_mul_hi_u32 s8, s61, s4
	s_add_co_ci_u32 s20, s11, s21
	s_mul_i32 s4, s61, s4
	s_mul_hi_u32 s11, s60, s20
	s_mul_i32 s10, s60, s20
	s_mul_hi_u32 s21, s61, s20
	s_add_nc_u64 s[10:11], s[22:23], s[10:11]
	s_mul_i32 s20, s61, s20
	s_add_co_u32 s4, s10, s4
	s_add_co_ci_u32 s22, s11, s8
	s_add_co_ci_u32 s21, s21, 0
	s_delay_alu instid0(SALU_CYCLE_1) | instskip(NEXT) | instid1(SALU_CYCLE_1)
	s_add_nc_u64 s[10:11], s[22:23], s[20:21]
	s_and_b64 s[20:21], s[10:11], 0xffffffff00000000
	s_delay_alu instid0(SALU_CYCLE_1) | instskip(NEXT) | instid1(SALU_CYCLE_1)
	s_or_b32 s20, s20, s10
	s_mul_u64 s[10:11], s[34:35], s[20:21]
	s_delay_alu instid0(SALU_CYCLE_1) | instskip(SKIP_1) | instid1(SALU_CYCLE_1)
	s_sub_co_u32 s4, s60, s10
	s_cselect_b32 s8, -1, 0
	s_cmp_lg_u32 s8, 0
	s_sub_co_ci_u32 s8, s61, s11
	s_sub_co_u32 s10, s4, s34
	s_cselect_b32 s11, -1, 0
	s_delay_alu instid0(SALU_CYCLE_1) | instskip(SKIP_3) | instid1(SALU_CYCLE_1)
	s_cmp_lg_u32 s11, 0
	s_sub_co_ci_u32 s11, s8, 0
	s_sub_co_u32 s20, s10, s34
	s_cselect_b32 s21, -1, 0
	s_cmp_lg_u32 s21, 0
	s_sub_co_ci_u32 s21, s11, 0
	s_cmp_ge_u32 s10, s34
	s_cselect_b32 s22, -1, 0
	s_cmp_eq_u32 s11, 0
	s_cselect_b32 s22, s22, -1
	s_delay_alu instid0(SALU_CYCLE_1)
	s_cmp_lg_u32 s22, 0
	s_cselect_b32 s11, s21, s11
	s_cselect_b32 s10, s20, s10
	s_cmp_ge_u32 s4, s34
	s_cselect_b32 s20, -1, 0
	s_cmp_eq_u32 s8, 0
	s_cselect_b32 s20, s20, -1
	s_delay_alu instid0(SALU_CYCLE_1)
	s_cmp_lg_u32 s20, 0
	s_cselect_b32 s11, s11, s8
	s_cselect_b32 s10, s10, s4
	s_cbranch_execnz .LBB219_107
.LBB219_106:                            ;   in Loop: Header=BB219_12 Depth=1
	v_cvt_f32_u32_e32 v2, s34
	s_sub_co_i32 s8, 0, s34
	s_delay_alu instid0(VALU_DEP_1) | instskip(SKIP_1) | instid1(TRANS32_DEP_1)
	v_rcp_iflag_f32_e32 v2, v2
	v_nop
	v_mul_f32_e32 v2, 0x4f7ffffe, v2
	s_delay_alu instid0(VALU_DEP_1) | instskip(NEXT) | instid1(VALU_DEP_1)
	v_cvt_u32_f32_e32 v2, v2
	v_readfirstlane_b32 s4, v2
	s_mul_i32 s8, s8, s4
	s_delay_alu instid0(SALU_CYCLE_1) | instskip(NEXT) | instid1(SALU_CYCLE_1)
	s_mul_hi_u32 s8, s4, s8
	s_add_co_i32 s4, s4, s8
	s_delay_alu instid0(SALU_CYCLE_1) | instskip(NEXT) | instid1(SALU_CYCLE_1)
	s_mul_hi_u32 s4, s60, s4
	s_mul_i32 s4, s4, s34
	s_delay_alu instid0(SALU_CYCLE_1) | instskip(NEXT) | instid1(SALU_CYCLE_1)
	s_sub_co_i32 s4, s60, s4
	s_sub_co_i32 s8, s4, s34
	s_cmp_ge_u32 s4, s34
	s_cselect_b32 s4, s8, s4
	s_delay_alu instid0(SALU_CYCLE_1) | instskip(SKIP_2) | instid1(SALU_CYCLE_1)
	s_sub_co_i32 s8, s4, s34
	s_cmp_ge_u32 s4, s34
	s_cselect_b32 s22, s8, s4
	s_mov_b64 s[10:11], s[22:23]
.LBB219_107:                            ;   in Loop: Header=BB219_12 Depth=1
	s_delay_alu instid0(SALU_CYCLE_1)
	s_sub_nc_u64 s[10:11], s[60:61], s[10:11]
	s_mov_b32 s20, exec_lo
                                        ; implicit-def: $vgpr10
	v_cmpx_gt_u64_e64 s[10:11], v[0:1]
	s_cbranch_execz .LBB219_116
; %bb.108:                              ;   in Loop: Header=BB219_12 Depth=1
	v_mov_b64_e32 v[4:5], v[0:1]
	s_mov_b32 s21, 0
                                        ; implicit-def: $sgpr22
	s_branch .LBB219_111
.LBB219_109:                            ;   in Loop: Header=BB219_111 Depth=2
	s_or_b32 exec_lo, exec_lo, s39
	s_wait_dscnt 0x0
	s_barrier_signal -1
	s_barrier_wait -1
	ds_load_b32 v2, v3 offset:3072
	s_mov_b32 s8, -1
	s_mov_b32 s4, -1
	s_wait_dscnt 0x0
	s_barrier_signal -1
	s_barrier_wait -1
	v_and_b32_e32 v6, 0x7fff, v2
	s_delay_alu instid0(VALU_DEP_1)
	v_cmp_ne_u32_e32 vcc_lo, 0, v6
	s_cbranch_vccz .LBB219_114
.LBB219_110:                            ;   in Loop: Header=BB219_111 Depth=2
	s_and_b32 s8, exec_lo, s8
	s_delay_alu instid0(SALU_CYCLE_1) | instskip(SKIP_2) | instid1(SALU_CYCLE_1)
	s_or_b32 s21, s8, s21
	s_and_not1_b32 s8, s22, exec_lo
	s_and_b32 s4, s4, exec_lo
	s_or_b32 s22, s8, s4
	s_and_not1_b32 exec_lo, exec_lo, s21
	s_cbranch_execz .LBB219_115
.LBB219_111:                            ;   Parent Loop BB219_12 Depth=1
                                        ; =>  This Inner Loop Header: Depth=2
	s_mov_b32 s39, exec_lo
	s_delay_alu instid0(VALU_DEP_1)
	v_cmpx_gt_u64_e64 s[28:29], v[4:5]
	s_cbranch_execz .LBB219_109
; %bb.112:                              ;   in Loop: Header=BB219_111 Depth=2
	v_mul_u64_e32 v[6:7], s[26:27], v[4:5]
	s_delay_alu instid0(VALU_DEP_1)
	v_lshl_add_u64 v[6:7], v[6:7], 1, s[24:25]
	global_load_u16 v2, v[6:7], off
	s_wait_loadcnt 0x0
	v_cmp_lt_i16_e32 vcc_lo, -1, v2
	s_wait_xcnt 0x0
	v_and_b32_e32 v6, 0xffff, v2
	v_lshlrev_b32_e32 v10, 16, v2
	v_cndmask_b32_e32 v7, 0xffff, v34, vcc_lo
	s_delay_alu instid0(VALU_DEP_2) | instskip(NEXT) | instid1(VALU_DEP_2)
	v_cmp_o_f32_e32 vcc_lo, v10, v10
	v_xor_b32_e32 v6, v7, v6
	s_delay_alu instid0(VALU_DEP_1) | instskip(NEXT) | instid1(VALU_DEP_1)
	v_cndmask_b32_e32 v6, 0xffff, v6, vcc_lo
	v_and_b32_e32 v6, v6, v9
	s_delay_alu instid0(VALU_DEP_1)
	v_cmp_eq_u32_e32 vcc_lo, v6, v8
	s_and_b32 exec_lo, exec_lo, vcc_lo
	s_cbranch_execz .LBB219_109
; %bb.113:                              ;   in Loop: Header=BB219_111 Depth=2
	v_perm_b32 v2, v2, s95, 0x5040100
	ds_store_b32 v3, v2 offset:3072
	s_branch .LBB219_109
.LBB219_114:                            ;   in Loop: Header=BB219_111 Depth=2
	v_add_nc_u64_e32 v[4:5], s[34:35], v[4:5]
	s_mov_b32 s4, 0
	s_delay_alu instid0(VALU_DEP_1)
	v_cmp_le_u64_e32 vcc_lo, s[10:11], v[4:5]
	s_or_not1_b32 s8, vcc_lo, exec_lo
	s_branch .LBB219_110
.LBB219_115:                            ;   in Loop: Header=BB219_12 Depth=1
	s_or_b32 exec_lo, exec_lo, s21
	v_lshrrev_b32_e32 v10, 16, v2
	s_and_not1_b32 s4, s38, exec_lo
	s_and_b32 s8, s22, exec_lo
	s_delay_alu instid0(SALU_CYCLE_1)
	s_or_b32 s38, s4, s8
.LBB219_116:                            ;   in Loop: Header=BB219_12 Depth=1
	s_or_b32 exec_lo, exec_lo, s20
	s_mov_b32 s78, 0
	s_mov_b32 s79, -1
.LBB219_117:                            ;   in Loop: Header=BB219_12 Depth=1
	s_or_not1_b32 s10, s38, exec_lo
.LBB219_118:                            ;   in Loop: Header=BB219_12 Depth=1
	s_or_b32 exec_lo, exec_lo, s37
	s_mov_b32 s80, 0
	s_mov_b32 s77, 0
	;; [unrolled: 1-line block ×3, first 2 shown]
                                        ; implicit-def: $vgpr4_vgpr5
                                        ; implicit-def: $vgpr2
	s_and_saveexec_b32 s81, s10
	s_cbranch_execz .LBB219_276
; %bb.119:                              ;   in Loop: Header=BB219_12 Depth=1
	v_mov_b64_e32 v[4:5], 1
	v_mov_b32_e32 v2, 1
	s_xor_b32 s4, s36, -1
	s_mov_b32 s11, 0
	s_and_saveexec_b32 s10, s4
	s_cbranch_execz .LBB219_128
; %bb.120:                              ;   in Loop: Header=BB219_12 Depth=1
	s_mov_b32 s4, exec_lo
	v_cmpx_ge_u64_e64 s[12:13], v[22:23]
	s_xor_b32 s11, exec_lo, s4
	s_cbranch_execz .LBB219_125
; %bb.121:                              ;   in Loop: Header=BB219_12 Depth=1
	ds_load_b64 v[4:5], v3 offset:5120
	v_and_b32_e32 v8, s74, v8
	v_or_b32_e32 v9, s57, v9
	s_wait_dscnt 0x0
	v_cmp_ne_u64_e32 vcc_lo, 0, v[4:5]
	s_cbranch_vccnz .LBB219_125
; %bb.122:                              ;   in Loop: Header=BB219_12 Depth=1
	s_and_saveexec_b32 s4, s5
; %bb.123:                              ;   in Loop: Header=BB219_12 Depth=1
	v_mov_b64_e32 v[4:5], s[12:13]
	ds_store_b64 v3, v[4:5] offset:5128
; %bb.124:                              ;   in Loop: Header=BB219_12 Depth=1
	s_or_b32 exec_lo, exec_lo, s4
	s_wait_dscnt 0x0
	s_barrier_signal -1
	s_barrier_wait -1
.LBB219_125:                            ;   in Loop: Header=BB219_12 Depth=1
	s_or_saveexec_b32 s11, s11
	v_mov_b64_e32 v[4:5], v[22:23]
	v_mov_b32_e32 v2, 8
	s_mov_b32 s8, 0
	s_xor_b32 exec_lo, exec_lo, s11
; %bb.126:                              ;   in Loop: Header=BB219_12 Depth=1
	v_sub_nc_u64_e64 v[4:5], v[22:23], s[12:13]
	v_mov_b32_e32 v2, 0
	s_mov_b32 s8, exec_lo
; %bb.127:                              ;   in Loop: Header=BB219_12 Depth=1
	s_or_b32 exec_lo, exec_lo, s11
	s_delay_alu instid0(SALU_CYCLE_1)
	s_and_b32 s11, s8, exec_lo
.LBB219_128:                            ;   in Loop: Header=BB219_12 Depth=1
	s_or_b32 exec_lo, exec_lo, s10
	s_mov_b32 s10, -1
                                        ; implicit-def: $sgpr77
                                        ; implicit-def: $sgpr82
	s_and_saveexec_b32 s4, s11
	s_delay_alu instid0(SALU_CYCLE_1)
	s_xor_b32 s76, exec_lo, s4
	s_cbranch_execz .LBB219_273
; %bb.129:                              ;   in Loop: Header=BB219_12 Depth=1
	v_cmp_eq_u64_e32 vcc_lo, 1, v[4:5]
	s_cmp_eq_u64 s[14:15], 1
                                        ; implicit-def: $sgpr82
                                        ; implicit-def: $sgpr77
	s_cselect_b32 s4, -1, 0
	s_delay_alu instid0(SALU_CYCLE_1) | instskip(NEXT) | instid1(SALU_CYCLE_1)
	s_and_b32 s36, s4, vcc_lo
	s_and_saveexec_b32 s37, s36
	s_cbranch_execz .LBB219_163
; %bb.130:                              ;   in Loop: Header=BB219_12 Depth=1
	ds_load_b64 v[6:7], v3 offset:5120
	s_wait_dscnt 0x0
	s_barrier_signal -1
	s_barrier_wait -1
	v_readfirstlane_b32 s10, v6
	v_readfirstlane_b32 s11, v7
	s_and_saveexec_b32 s4, s6
; %bb.131:                              ;   in Loop: Header=BB219_12 Depth=1
	ds_store_b16 v29, v3
; %bb.132:                              ;   in Loop: Header=BB219_12 Depth=1
	s_or_b32 exec_lo, exec_lo, s4
	s_lshl_b32 s4, 1, s96
	v_or_b32_e32 v9, s57, v9
	v_and_or_b32 v8, v8, s74, s4
	s_mov_b32 s77, -1
	s_mov_b32 s82, 0
	s_cmp_eq_u64 s[10:11], 0
	s_mov_b32 s38, 0
	s_mov_b32 s22, -1
	s_wait_dscnt 0x0
	s_barrier_signal -1
	s_barrier_wait -1
                                        ; implicit-def: $vgpr10
	s_cbranch_scc1 .LBB219_148
; %bb.133:                              ;   in Loop: Header=BB219_12 Depth=1
	s_add_nc_u64 s[20:21], s[10:11], s[58:59]
	s_delay_alu instid0(SALU_CYCLE_1) | instskip(NEXT) | instid1(SALU_CYCLE_1)
	s_and_b64 s[38:39], s[20:21], 0xffffffff00000000
	s_cmp_lg_u64 s[38:39], 0
	s_cbranch_scc0 .LBB219_189
; %bb.134:                              ;   in Loop: Header=BB219_12 Depth=1
	s_cvt_f32_u32 s4, s34
	s_sub_nc_u64 s[40:41], 0, s[34:35]
	s_delay_alu instid0(SALU_CYCLE_2) | instskip(NEXT) | instid1(SALU_CYCLE_3)
	s_fmamk_f32 s4, s94, 0x0, s4
	v_s_rcp_f32 s4, s4
	s_delay_alu instid0(TRANS32_DEP_1) | instskip(NEXT) | instid1(SALU_CYCLE_3)
	s_mul_f32 s4, s4, 0x5f7ffffc
	s_mul_f32 s8, s4, 0x2f800000
	s_delay_alu instid0(SALU_CYCLE_3) | instskip(NEXT) | instid1(SALU_CYCLE_3)
	s_trunc_f32 s8, s8
	s_fmamk_f32 s4, s8, 0xcf800000, s4
	s_cvt_u32_f32 s39, s8
	s_delay_alu instid0(SALU_CYCLE_2) | instskip(NEXT) | instid1(SALU_CYCLE_3)
	s_cvt_u32_f32 s38, s4
	s_mul_u64 s[42:43], s[40:41], s[38:39]
	s_delay_alu instid0(SALU_CYCLE_1)
	s_mul_hi_u32 s73, s38, s43
	s_mul_i32 s72, s38, s43
	s_mul_hi_u32 s22, s38, s42
	s_mul_i32 s8, s39, s42
	s_add_nc_u64 s[72:73], s[22:23], s[72:73]
	s_mul_hi_u32 s4, s39, s42
	s_mul_hi_u32 s46, s39, s43
	s_add_co_u32 s8, s72, s8
	s_add_co_ci_u32 s22, s73, s4
	s_mul_i32 s42, s39, s43
	s_add_co_ci_u32 s43, s46, 0
	s_delay_alu instid0(SALU_CYCLE_1) | instskip(NEXT) | instid1(SALU_CYCLE_1)
	s_add_nc_u64 s[42:43], s[22:23], s[42:43]
	s_add_co_u32 s38, s38, s42
	s_cselect_b32 s4, -1, 0
	s_delay_alu instid0(SALU_CYCLE_1) | instskip(SKIP_1) | instid1(SALU_CYCLE_1)
	s_cmp_lg_u32 s4, 0
	s_add_co_ci_u32 s39, s39, s43
	s_mul_u64 s[40:41], s[40:41], s[38:39]
	s_delay_alu instid0(SALU_CYCLE_1)
	s_mul_hi_u32 s43, s38, s41
	s_mul_i32 s42, s38, s41
	s_mul_hi_u32 s22, s38, s40
	s_mul_i32 s8, s39, s40
	s_add_nc_u64 s[42:43], s[22:23], s[42:43]
	s_mul_hi_u32 s4, s39, s40
	s_mul_hi_u32 s46, s39, s41
	s_add_co_u32 s8, s42, s8
	s_add_co_ci_u32 s22, s43, s4
	s_mul_i32 s40, s39, s41
	s_add_co_ci_u32 s41, s46, 0
	s_delay_alu instid0(SALU_CYCLE_1) | instskip(NEXT) | instid1(SALU_CYCLE_1)
	s_add_nc_u64 s[40:41], s[22:23], s[40:41]
	s_add_co_u32 s4, s38, s40
	s_cselect_b32 s8, -1, 0
	s_mul_hi_u32 s22, s20, s4
	s_cmp_lg_u32 s8, 0
	s_mul_hi_u32 s8, s21, s4
	s_add_co_ci_u32 s40, s39, s41
	s_mul_i32 s4, s21, s4
	s_mul_hi_u32 s39, s20, s40
	s_mul_i32 s38, s20, s40
	s_mul_hi_u32 s41, s21, s40
	s_add_nc_u64 s[38:39], s[22:23], s[38:39]
	s_mul_i32 s40, s21, s40
	s_add_co_u32 s4, s38, s4
	s_add_co_ci_u32 s22, s39, s8
	s_add_co_ci_u32 s41, s41, 0
	s_delay_alu instid0(SALU_CYCLE_1) | instskip(NEXT) | instid1(SALU_CYCLE_1)
	s_add_nc_u64 s[38:39], s[22:23], s[40:41]
	s_and_b64 s[40:41], s[38:39], 0xffffffff00000000
	s_delay_alu instid0(SALU_CYCLE_1) | instskip(NEXT) | instid1(SALU_CYCLE_1)
	s_or_b32 s40, s40, s38
	s_mul_u64 s[38:39], s[34:35], s[40:41]
	s_delay_alu instid0(SALU_CYCLE_1) | instskip(SKIP_1) | instid1(SALU_CYCLE_1)
	s_sub_co_u32 s4, s20, s38
	s_cselect_b32 s8, -1, 0
	s_cmp_lg_u32 s8, 0
	s_sub_co_ci_u32 s8, s21, s39
	s_sub_co_u32 s22, s4, s34
	s_cselect_b32 s38, -1, 0
	s_delay_alu instid0(SALU_CYCLE_1) | instskip(SKIP_3) | instid1(SALU_CYCLE_1)
	s_cmp_lg_u32 s38, 0
	s_sub_co_ci_u32 s38, s8, 0
	s_sub_co_u32 s39, s22, s34
	s_cselect_b32 s40, -1, 0
	s_cmp_lg_u32 s40, 0
	s_sub_co_ci_u32 s40, s38, 0
	s_cmp_ge_u32 s22, s34
	s_cselect_b32 s41, -1, 0
	s_cmp_eq_u32 s38, 0
	s_cselect_b32 s41, s41, -1
	s_delay_alu instid0(SALU_CYCLE_1)
	s_cmp_lg_u32 s41, 0
	s_cselect_b32 s38, s40, s38
	s_cselect_b32 s22, s39, s22
	s_cmp_ge_u32 s4, s34
	s_cselect_b32 s39, -1, 0
	s_cmp_eq_u32 s8, 0
	s_cselect_b32 s39, s39, -1
	s_delay_alu instid0(SALU_CYCLE_1)
	s_cmp_lg_u32 s39, 0
	s_cselect_b32 s73, s38, s8
	s_cselect_b32 s72, s22, s4
	s_cbranch_execnz .LBB219_136
.LBB219_135:                            ;   in Loop: Header=BB219_12 Depth=1
	v_cvt_f32_u32_e32 v6, s34
	s_sub_co_i32 s8, 0, s34
	s_delay_alu instid0(VALU_DEP_1) | instskip(SKIP_1) | instid1(TRANS32_DEP_1)
	v_rcp_iflag_f32_e32 v6, v6
	v_nop
	v_mul_f32_e32 v6, 0x4f7ffffe, v6
	s_delay_alu instid0(VALU_DEP_1) | instskip(NEXT) | instid1(VALU_DEP_1)
	v_cvt_u32_f32_e32 v6, v6
	v_readfirstlane_b32 s4, v6
	s_mul_i32 s8, s8, s4
	s_delay_alu instid0(SALU_CYCLE_1) | instskip(NEXT) | instid1(SALU_CYCLE_1)
	s_mul_hi_u32 s8, s4, s8
	s_add_co_i32 s4, s4, s8
	s_delay_alu instid0(SALU_CYCLE_1) | instskip(NEXT) | instid1(SALU_CYCLE_1)
	s_mul_hi_u32 s4, s20, s4
	s_mul_i32 s4, s4, s34
	s_delay_alu instid0(SALU_CYCLE_1) | instskip(NEXT) | instid1(SALU_CYCLE_1)
	s_sub_co_i32 s4, s20, s4
	s_sub_co_i32 s8, s4, s34
	s_cmp_ge_u32 s4, s34
	s_cselect_b32 s4, s8, s4
	s_delay_alu instid0(SALU_CYCLE_1) | instskip(SKIP_2) | instid1(SALU_CYCLE_1)
	s_sub_co_i32 s8, s4, s34
	s_cmp_ge_u32 s4, s34
	s_cselect_b32 s22, s8, s4
	s_mov_b64 s[72:73], s[22:23]
.LBB219_136:                            ;   in Loop: Header=BB219_12 Depth=1
	s_delay_alu instid0(SALU_CYCLE_1)
	s_sub_nc_u64 s[20:21], s[20:21], s[72:73]
	s_mov_b32 s22, 0
	s_mov_b32 s38, 0
	s_mov_b32 s39, exec_lo
                                        ; implicit-def: $vgpr10
	v_cmpx_gt_u64_e64 s[20:21], v[0:1]
	s_cbranch_execz .LBB219_147
; %bb.137:                              ;   in Loop: Header=BB219_12 Depth=1
	v_mov_b64_e32 v[6:7], v[0:1]
	v_mov_b32_e32 v10, v28
                                        ; implicit-def: $sgpr40
	s_branch .LBB219_140
.LBB219_138:                            ;   in Loop: Header=BB219_140 Depth=2
	s_or_b32 exec_lo, exec_lo, s41
	s_wait_dscnt 0x0
	s_barrier_signal -1
	s_barrier_wait -1
	ds_load_b32 v11, v3 offset:3072
	s_mov_b32 s8, -1
	s_mov_b32 s41, -1
	s_wait_dscnt 0x0
	s_barrier_signal -1
	s_barrier_wait -1
	v_and_b32_e32 v24, 0x7fff, v11
	s_delay_alu instid0(VALU_DEP_1)
	v_cmp_ne_u32_e32 vcc_lo, 0, v24
	s_cbranch_vccz .LBB219_143
.LBB219_139:                            ;   in Loop: Header=BB219_140 Depth=2
	s_and_b32 s4, exec_lo, s8
	s_delay_alu instid0(SALU_CYCLE_1) | instskip(SKIP_2) | instid1(SALU_CYCLE_1)
	s_or_b32 s38, s4, s38
	s_and_not1_b32 s4, s40, exec_lo
	s_and_b32 s8, s41, exec_lo
	s_or_b32 s40, s4, s8
	s_and_not1_b32 exec_lo, exec_lo, s38
	s_cbranch_execz .LBB219_146
.LBB219_140:                            ;   Parent Loop BB219_12 Depth=1
                                        ; =>  This Inner Loop Header: Depth=2
	s_mov_b32 s41, exec_lo
	s_delay_alu instid0(VALU_DEP_2)
	v_cmpx_gt_u64_e64 s[10:11], v[6:7]
	s_cbranch_execz .LBB219_138
; %bb.141:                              ;   in Loop: Header=BB219_140 Depth=2
	ds_load_u16 v11, v10
	s_wait_dscnt 0x0
	v_cmp_lt_i16_e32 vcc_lo, -1, v11
	v_and_b32_e32 v24, 0xffff, v11
	v_dual_cndmask_b32 v25, 0xffff, v34 :: v_dual_lshlrev_b32 v26, 16, v11
	s_delay_alu instid0(VALU_DEP_1) | instskip(NEXT) | instid1(VALU_DEP_2)
	v_cmp_o_f32_e32 vcc_lo, v26, v26
	v_xor_b32_e32 v24, v25, v24
	s_delay_alu instid0(VALU_DEP_1) | instskip(NEXT) | instid1(VALU_DEP_1)
	v_cndmask_b32_e32 v24, 0xffff, v24, vcc_lo
	v_and_b32_e32 v24, v24, v9
	s_delay_alu instid0(VALU_DEP_1)
	v_cmp_eq_u32_e32 vcc_lo, v24, v8
	s_and_b32 exec_lo, exec_lo, vcc_lo
	s_cbranch_execz .LBB219_138
; %bb.142:                              ;   in Loop: Header=BB219_140 Depth=2
	v_perm_b32 v11, v11, s95, 0x5040100
	ds_store_b32 v3, v11 offset:3072
	s_branch .LBB219_138
.LBB219_143:                            ;   in Loop: Header=BB219_140 Depth=2
	v_add_nc_u64_e32 v[6:7], s[34:35], v[6:7]
	v_add_nc_u32_e32 v10, s93, v10
	s_mov_b32 s41, 0
	s_delay_alu instid0(VALU_DEP_2)
	v_cmp_le_u64_e32 vcc_lo, s[20:21], v[6:7]
	s_or_not1_b32 s8, vcc_lo, exec_lo
	s_branch .LBB219_139
.LBB219_144:                            ;   in Loop: Header=BB219_12 Depth=1
                                        ; implicit-def: $sgpr72_sgpr73
	s_branch .LBB219_89
.LBB219_145:                            ;   in Loop: Header=BB219_12 Depth=1
                                        ; implicit-def: $sgpr10_sgpr11
	s_branch .LBB219_106
.LBB219_146:                            ;   in Loop: Header=BB219_12 Depth=1
	s_or_b32 exec_lo, exec_lo, s38
	v_lshrrev_b32_e32 v10, 16, v11
	s_and_b32 s38, s40, exec_lo
.LBB219_147:                            ;   in Loop: Header=BB219_12 Depth=1
	s_or_b32 exec_lo, exec_lo, s39
.LBB219_148:                            ;   in Loop: Header=BB219_12 Depth=1
	s_delay_alu instid0(SALU_CYCLE_1)
	s_and_b32 vcc_lo, exec_lo, s22
	s_cbranch_vccz .LBB219_162
; %bb.149:                              ;   in Loop: Header=BB219_12 Depth=1
	s_and_b64 s[10:11], s[60:61], 0xffffffff00000000
	s_delay_alu instid0(SALU_CYCLE_1)
	s_cmp_lg_u64 s[10:11], 0
	s_cbranch_scc0 .LBB219_190
; %bb.150:                              ;   in Loop: Header=BB219_12 Depth=1
	s_cvt_f32_u32 s4, s34
	s_sub_nc_u64 s[20:21], 0, s[34:35]
	s_delay_alu instid0(SALU_CYCLE_2) | instskip(NEXT) | instid1(SALU_CYCLE_3)
	s_fmamk_f32 s4, s94, 0x0, s4
	v_s_rcp_f32 s4, s4
	s_delay_alu instid0(TRANS32_DEP_1) | instskip(NEXT) | instid1(SALU_CYCLE_3)
	s_mul_f32 s4, s4, 0x5f7ffffc
	s_mul_f32 s8, s4, 0x2f800000
	s_delay_alu instid0(SALU_CYCLE_3) | instskip(NEXT) | instid1(SALU_CYCLE_3)
	s_trunc_f32 s8, s8
	s_fmamk_f32 s4, s8, 0xcf800000, s4
	s_cvt_u32_f32 s11, s8
	s_delay_alu instid0(SALU_CYCLE_2) | instskip(NEXT) | instid1(SALU_CYCLE_3)
	s_cvt_u32_f32 s10, s4
	s_mul_u64 s[40:41], s[20:21], s[10:11]
	s_delay_alu instid0(SALU_CYCLE_1)
	s_mul_hi_u32 s43, s10, s41
	s_mul_i32 s42, s10, s41
	s_mul_hi_u32 s22, s10, s40
	s_mul_i32 s8, s11, s40
	s_add_nc_u64 s[42:43], s[22:23], s[42:43]
	s_mul_hi_u32 s4, s11, s40
	s_mul_hi_u32 s39, s11, s41
	s_add_co_u32 s8, s42, s8
	s_add_co_ci_u32 s22, s43, s4
	s_mul_i32 s40, s11, s41
	s_add_co_ci_u32 s41, s39, 0
	s_delay_alu instid0(SALU_CYCLE_1) | instskip(NEXT) | instid1(SALU_CYCLE_1)
	s_add_nc_u64 s[40:41], s[22:23], s[40:41]
	s_add_co_u32 s10, s10, s40
	s_cselect_b32 s4, -1, 0
	s_delay_alu instid0(SALU_CYCLE_1) | instskip(SKIP_1) | instid1(SALU_CYCLE_1)
	s_cmp_lg_u32 s4, 0
	s_add_co_ci_u32 s11, s11, s41
	s_mul_u64 s[20:21], s[20:21], s[10:11]
	s_delay_alu instid0(SALU_CYCLE_1)
	s_mul_hi_u32 s41, s10, s21
	s_mul_i32 s40, s10, s21
	s_mul_hi_u32 s22, s10, s20
	s_mul_i32 s8, s11, s20
	s_add_nc_u64 s[40:41], s[22:23], s[40:41]
	s_mul_hi_u32 s4, s11, s20
	s_mul_hi_u32 s39, s11, s21
	s_add_co_u32 s8, s40, s8
	s_add_co_ci_u32 s22, s41, s4
	s_mul_i32 s20, s11, s21
	s_add_co_ci_u32 s21, s39, 0
	s_delay_alu instid0(SALU_CYCLE_1) | instskip(NEXT) | instid1(SALU_CYCLE_1)
	s_add_nc_u64 s[20:21], s[22:23], s[20:21]
	s_add_co_u32 s4, s10, s20
	s_cselect_b32 s8, -1, 0
	s_mul_hi_u32 s22, s60, s4
	s_cmp_lg_u32 s8, 0
	s_mul_hi_u32 s8, s61, s4
	s_add_co_ci_u32 s20, s11, s21
	s_mul_i32 s4, s61, s4
	s_mul_hi_u32 s11, s60, s20
	s_mul_i32 s10, s60, s20
	s_mul_hi_u32 s21, s61, s20
	s_add_nc_u64 s[10:11], s[22:23], s[10:11]
	s_mul_i32 s20, s61, s20
	s_add_co_u32 s4, s10, s4
	s_add_co_ci_u32 s22, s11, s8
	s_add_co_ci_u32 s21, s21, 0
	s_delay_alu instid0(SALU_CYCLE_1) | instskip(NEXT) | instid1(SALU_CYCLE_1)
	s_add_nc_u64 s[10:11], s[22:23], s[20:21]
	s_and_b64 s[20:21], s[10:11], 0xffffffff00000000
	s_delay_alu instid0(SALU_CYCLE_1) | instskip(NEXT) | instid1(SALU_CYCLE_1)
	s_or_b32 s20, s20, s10
	s_mul_u64 s[10:11], s[34:35], s[20:21]
	s_delay_alu instid0(SALU_CYCLE_1) | instskip(SKIP_1) | instid1(SALU_CYCLE_1)
	s_sub_co_u32 s4, s60, s10
	s_cselect_b32 s8, -1, 0
	s_cmp_lg_u32 s8, 0
	s_sub_co_ci_u32 s8, s61, s11
	s_sub_co_u32 s10, s4, s34
	s_cselect_b32 s11, -1, 0
	s_delay_alu instid0(SALU_CYCLE_1) | instskip(SKIP_3) | instid1(SALU_CYCLE_1)
	s_cmp_lg_u32 s11, 0
	s_sub_co_ci_u32 s11, s8, 0
	s_sub_co_u32 s20, s10, s34
	s_cselect_b32 s21, -1, 0
	s_cmp_lg_u32 s21, 0
	s_sub_co_ci_u32 s21, s11, 0
	s_cmp_ge_u32 s10, s34
	s_cselect_b32 s22, -1, 0
	s_cmp_eq_u32 s11, 0
	s_cselect_b32 s22, s22, -1
	s_delay_alu instid0(SALU_CYCLE_1)
	s_cmp_lg_u32 s22, 0
	s_cselect_b32 s11, s21, s11
	s_cselect_b32 s10, s20, s10
	s_cmp_ge_u32 s4, s34
	s_cselect_b32 s20, -1, 0
	s_cmp_eq_u32 s8, 0
	s_cselect_b32 s20, s20, -1
	s_delay_alu instid0(SALU_CYCLE_1)
	s_cmp_lg_u32 s20, 0
	s_cselect_b32 s11, s11, s8
	s_cselect_b32 s10, s10, s4
	s_cbranch_execnz .LBB219_152
.LBB219_151:                            ;   in Loop: Header=BB219_12 Depth=1
	v_cvt_f32_u32_e32 v6, s34
	s_sub_co_i32 s8, 0, s34
	s_delay_alu instid0(VALU_DEP_1) | instskip(SKIP_1) | instid1(TRANS32_DEP_1)
	v_rcp_iflag_f32_e32 v6, v6
	v_nop
	v_mul_f32_e32 v6, 0x4f7ffffe, v6
	s_delay_alu instid0(VALU_DEP_1) | instskip(NEXT) | instid1(VALU_DEP_1)
	v_cvt_u32_f32_e32 v6, v6
	v_readfirstlane_b32 s4, v6
	s_mul_i32 s8, s8, s4
	s_delay_alu instid0(SALU_CYCLE_1) | instskip(NEXT) | instid1(SALU_CYCLE_1)
	s_mul_hi_u32 s8, s4, s8
	s_add_co_i32 s4, s4, s8
	s_delay_alu instid0(SALU_CYCLE_1) | instskip(NEXT) | instid1(SALU_CYCLE_1)
	s_mul_hi_u32 s4, s60, s4
	s_mul_i32 s4, s4, s34
	s_delay_alu instid0(SALU_CYCLE_1) | instskip(NEXT) | instid1(SALU_CYCLE_1)
	s_sub_co_i32 s4, s60, s4
	s_sub_co_i32 s8, s4, s34
	s_cmp_ge_u32 s4, s34
	s_cselect_b32 s4, s8, s4
	s_delay_alu instid0(SALU_CYCLE_1) | instskip(SKIP_2) | instid1(SALU_CYCLE_1)
	s_sub_co_i32 s8, s4, s34
	s_cmp_ge_u32 s4, s34
	s_cselect_b32 s22, s8, s4
	s_mov_b64 s[10:11], s[22:23]
.LBB219_152:                            ;   in Loop: Header=BB219_12 Depth=1
	s_delay_alu instid0(SALU_CYCLE_1)
	s_sub_nc_u64 s[10:11], s[60:61], s[10:11]
	s_mov_b32 s20, exec_lo
                                        ; implicit-def: $vgpr10
	v_cmpx_gt_u64_e64 s[10:11], v[0:1]
	s_cbranch_execz .LBB219_161
; %bb.153:                              ;   in Loop: Header=BB219_12 Depth=1
	v_mov_b64_e32 v[6:7], v[0:1]
	s_mov_b32 s21, 0
                                        ; implicit-def: $sgpr22
	s_branch .LBB219_156
.LBB219_154:                            ;   in Loop: Header=BB219_156 Depth=2
	s_or_b32 exec_lo, exec_lo, s39
	s_wait_dscnt 0x0
	s_barrier_signal -1
	s_barrier_wait -1
	ds_load_b32 v10, v3 offset:3072
	s_mov_b32 s8, -1
	s_mov_b32 s4, -1
	s_wait_dscnt 0x0
	s_barrier_signal -1
	s_barrier_wait -1
	v_and_b32_e32 v11, 0x7fff, v10
	s_delay_alu instid0(VALU_DEP_1)
	v_cmp_eq_u32_e32 vcc_lo, 0, v11
	s_cbranch_vccnz .LBB219_159
.LBB219_155:                            ;   in Loop: Header=BB219_156 Depth=2
	s_and_b32 s8, exec_lo, s8
	s_delay_alu instid0(SALU_CYCLE_1) | instskip(SKIP_2) | instid1(SALU_CYCLE_1)
	s_or_b32 s21, s8, s21
	s_and_not1_b32 s8, s22, exec_lo
	s_and_b32 s4, s4, exec_lo
	s_or_b32 s22, s8, s4
	s_and_not1_b32 exec_lo, exec_lo, s21
	s_cbranch_execz .LBB219_160
.LBB219_156:                            ;   Parent Loop BB219_12 Depth=1
                                        ; =>  This Inner Loop Header: Depth=2
	s_mov_b32 s39, exec_lo
	s_delay_alu instid0(VALU_DEP_1)
	v_cmpx_gt_u64_e64 s[28:29], v[6:7]
	s_cbranch_execz .LBB219_154
; %bb.157:                              ;   in Loop: Header=BB219_156 Depth=2
	v_mul_u64_e32 v[10:11], s[26:27], v[6:7]
	s_delay_alu instid0(VALU_DEP_1)
	v_lshl_add_u64 v[10:11], v[10:11], 1, s[24:25]
	global_load_u16 v10, v[10:11], off
	s_wait_loadcnt 0x0
	v_cmp_lt_i16_e32 vcc_lo, -1, v10
	s_wait_xcnt 0x0
	v_and_b32_e32 v11, 0xffff, v10
	v_cndmask_b32_e32 v24, 0xffff, v34, vcc_lo
	s_delay_alu instid0(VALU_DEP_1) | instskip(NEXT) | instid1(VALU_DEP_1)
	v_dual_lshlrev_b32 v25, 16, v10 :: v_dual_bitop2_b32 v11, v24, v11 bitop3:0x14
	v_cmp_o_f32_e32 vcc_lo, v25, v25
	s_delay_alu instid0(VALU_DEP_2) | instskip(NEXT) | instid1(VALU_DEP_1)
	v_cndmask_b32_e32 v11, 0xffff, v11, vcc_lo
	v_and_b32_e32 v11, v11, v9
	s_delay_alu instid0(VALU_DEP_1)
	v_cmp_eq_u32_e32 vcc_lo, v11, v8
	s_and_b32 exec_lo, exec_lo, vcc_lo
	s_cbranch_execz .LBB219_154
; %bb.158:                              ;   in Loop: Header=BB219_156 Depth=2
	v_perm_b32 v10, v10, s95, 0x5040100
	ds_store_b32 v3, v10 offset:3072
	s_branch .LBB219_154
.LBB219_159:                            ;   in Loop: Header=BB219_156 Depth=2
	v_add_nc_u64_e32 v[6:7], s[34:35], v[6:7]
	s_mov_b32 s4, 0
	s_delay_alu instid0(VALU_DEP_1)
	v_cmp_le_u64_e32 vcc_lo, s[10:11], v[6:7]
	s_or_not1_b32 s8, vcc_lo, exec_lo
	s_branch .LBB219_155
.LBB219_160:                            ;   in Loop: Header=BB219_12 Depth=1
	s_or_b32 exec_lo, exec_lo, s21
	v_lshrrev_b32_e32 v10, 16, v10
	s_and_not1_b32 s4, s38, exec_lo
	s_and_b32 s8, s22, exec_lo
	s_delay_alu instid0(SALU_CYCLE_1)
	s_or_b32 s38, s4, s8
.LBB219_161:                            ;   in Loop: Header=BB219_12 Depth=1
	s_or_b32 exec_lo, exec_lo, s20
	s_mov_b32 s77, 0
	s_mov_b32 s82, -1
.LBB219_162:                            ;   in Loop: Header=BB219_12 Depth=1
	s_or_not1_b32 s10, s38, exec_lo
.LBB219_163:                            ;   in Loop: Header=BB219_12 Depth=1
	s_or_b32 exec_lo, exec_lo, s37
	s_mov_b32 s11, 0
	s_and_saveexec_b32 s83, s10
	s_cbranch_execz .LBB219_272
; %bb.164:                              ;   in Loop: Header=BB219_12 Depth=1
	v_mov_b64_e32 v[6:7], 1
	v_mov_b32_e32 v2, 1
	s_xor_b32 s4, s36, -1
	s_delay_alu instid0(SALU_CYCLE_1)
	s_and_saveexec_b32 s10, s4
	s_cbranch_execz .LBB219_173
; %bb.165:                              ;   in Loop: Header=BB219_12 Depth=1
	s_mov_b32 s4, exec_lo
	v_cmpx_ge_u64_e64 s[14:15], v[4:5]
	s_xor_b32 s11, exec_lo, s4
	s_cbranch_execz .LBB219_170
; %bb.166:                              ;   in Loop: Header=BB219_12 Depth=1
	ds_load_b64 v[6:7], v3 offset:5120
	s_lshl_b32 s4, 1, s96
	v_or_b32_e32 v9, s57, v9
	v_and_or_b32 v8, v8, s74, s4
	s_wait_dscnt 0x0
	v_cmp_ne_u64_e32 vcc_lo, 0, v[6:7]
	s_cbranch_vccnz .LBB219_170
; %bb.167:                              ;   in Loop: Header=BB219_12 Depth=1
	s_and_saveexec_b32 s4, s5
; %bb.168:                              ;   in Loop: Header=BB219_12 Depth=1
	v_mov_b64_e32 v[6:7], s[14:15]
	ds_store_b64 v3, v[6:7] offset:5128
; %bb.169:                              ;   in Loop: Header=BB219_12 Depth=1
	s_or_b32 exec_lo, exec_lo, s4
	s_wait_dscnt 0x0
	s_barrier_signal -1
	s_barrier_wait -1
.LBB219_170:                            ;   in Loop: Header=BB219_12 Depth=1
	s_or_saveexec_b32 s11, s11
	v_mov_b32_e32 v2, 8
	s_mov_b32 s8, 0
	s_xor_b32 exec_lo, exec_lo, s11
; %bb.171:                              ;   in Loop: Header=BB219_12 Depth=1
	v_sub_nc_u64_e64 v[4:5], v[4:5], s[14:15]
	v_mov_b32_e32 v2, 0
	s_mov_b32 s8, exec_lo
; %bb.172:                              ;   in Loop: Header=BB219_12 Depth=1
	s_or_b32 exec_lo, exec_lo, s11
	s_delay_alu instid0(VALU_DEP_2)
	v_mov_b64_e32 v[6:7], v[4:5]
	s_and_b32 s11, s8, exec_lo
.LBB219_173:                            ;   in Loop: Header=BB219_12 Depth=1
	s_or_b32 exec_lo, exec_lo, s10
	s_mov_b32 s10, -1
                                        ; implicit-def: $sgpr85
                                        ; implicit-def: $sgpr36
	s_and_saveexec_b32 s84, s11
	s_cbranch_execz .LBB219_271
; %bb.174:                              ;   in Loop: Header=BB219_12 Depth=1
	s_delay_alu instid0(VALU_DEP_1) | instskip(SKIP_2) | instid1(SALU_CYCLE_1)
	v_cmp_eq_u64_e32 vcc_lo, 1, v[6:7]
	s_cmp_eq_u64 s[16:17], 1
                                        ; implicit-def: $sgpr36
                                        ; implicit-def: $sgpr85
	s_cselect_b32 s4, -1, 0
	s_and_b32 s38, s4, vcc_lo
	s_delay_alu instid0(SALU_CYCLE_1)
	s_and_saveexec_b32 s37, s38
	s_cbranch_execz .LBB219_208
; %bb.175:                              ;   in Loop: Header=BB219_12 Depth=1
	ds_load_b64 v[4:5], v3 offset:5120
	s_wait_dscnt 0x0
	s_barrier_signal -1
	s_barrier_wait -1
	v_readfirstlane_b32 s10, v4
	v_readfirstlane_b32 s11, v5
	s_and_saveexec_b32 s4, s6
; %bb.176:                              ;   in Loop: Header=BB219_12 Depth=1
	ds_store_b16 v29, v3
; %bb.177:                              ;   in Loop: Header=BB219_12 Depth=1
	s_or_b32 exec_lo, exec_lo, s4
	s_lshl_b32 s4, 2, s96
	v_or_b32_e32 v9, s57, v9
	v_and_or_b32 v8, v8, s74, s4
	s_mov_b32 s85, -1
	s_mov_b32 s36, 0
	s_cmp_eq_u64 s[10:11], 0
	s_mov_b32 s39, 0
	s_mov_b32 s22, -1
	s_wait_dscnt 0x0
	s_barrier_signal -1
	s_barrier_wait -1
                                        ; implicit-def: $vgpr10
	s_cbranch_scc1 .LBB219_193
; %bb.178:                              ;   in Loop: Header=BB219_12 Depth=1
	s_add_nc_u64 s[20:21], s[10:11], s[58:59]
	s_mov_b32 s46, s49
	s_and_b64 s[40:41], s[20:21], 0xffffffff00000000
	s_delay_alu instid0(SALU_CYCLE_1)
	s_cmp_lg_u64 s[40:41], 0
	s_cbranch_scc0 .LBB219_225
; %bb.179:                              ;   in Loop: Header=BB219_12 Depth=1
	s_cvt_f32_u32 s4, s34
	s_sub_nc_u64 s[42:43], 0, s[34:35]
	s_delay_alu instid0(SALU_CYCLE_2) | instskip(NEXT) | instid1(SALU_CYCLE_3)
	s_fmamk_f32 s4, s94, 0x0, s4
	v_s_rcp_f32 s4, s4
	s_delay_alu instid0(TRANS32_DEP_1) | instskip(NEXT) | instid1(SALU_CYCLE_3)
	s_mul_f32 s4, s4, 0x5f7ffffc
	s_mul_f32 s8, s4, 0x2f800000
	s_delay_alu instid0(SALU_CYCLE_3) | instskip(NEXT) | instid1(SALU_CYCLE_3)
	s_trunc_f32 s8, s8
	s_fmamk_f32 s4, s8, 0xcf800000, s4
	s_cvt_u32_f32 s41, s8
	s_delay_alu instid0(SALU_CYCLE_2) | instskip(NEXT) | instid1(SALU_CYCLE_3)
	s_cvt_u32_f32 s40, s4
	s_mul_u64 s[72:73], s[42:43], s[40:41]
	s_delay_alu instid0(SALU_CYCLE_1)
	s_mul_hi_u32 s49, s40, s73
	s_mul_i32 s48, s40, s73
	s_mul_hi_u32 s22, s40, s72
	s_mul_i32 s8, s41, s72
	s_add_nc_u64 s[48:49], s[22:23], s[48:49]
	s_mul_hi_u32 s4, s41, s72
	s_mul_hi_u32 s39, s41, s73
	s_add_co_u32 s8, s48, s8
	s_add_co_ci_u32 s22, s49, s4
	s_mul_i32 s72, s41, s73
	s_add_co_ci_u32 s73, s39, 0
	s_delay_alu instid0(SALU_CYCLE_1) | instskip(NEXT) | instid1(SALU_CYCLE_1)
	s_add_nc_u64 s[48:49], s[22:23], s[72:73]
	s_add_co_u32 s40, s40, s48
	s_cselect_b32 s4, -1, 0
	s_delay_alu instid0(SALU_CYCLE_1) | instskip(SKIP_1) | instid1(SALU_CYCLE_1)
	s_cmp_lg_u32 s4, 0
	s_add_co_ci_u32 s41, s41, s49
	s_mul_u64 s[42:43], s[42:43], s[40:41]
	s_delay_alu instid0(SALU_CYCLE_1)
	s_mul_hi_u32 s49, s40, s43
	s_mul_i32 s48, s40, s43
	s_mul_hi_u32 s22, s40, s42
	s_mul_i32 s8, s41, s42
	s_add_nc_u64 s[48:49], s[22:23], s[48:49]
	s_mul_hi_u32 s4, s41, s42
	s_mul_hi_u32 s39, s41, s43
	s_add_co_u32 s8, s48, s8
	s_add_co_ci_u32 s22, s49, s4
	s_mul_i32 s42, s41, s43
	s_add_co_ci_u32 s43, s39, 0
	s_delay_alu instid0(SALU_CYCLE_1) | instskip(NEXT) | instid1(SALU_CYCLE_1)
	s_add_nc_u64 s[42:43], s[22:23], s[42:43]
	s_add_co_u32 s4, s40, s42
	s_cselect_b32 s8, -1, 0
	s_mul_hi_u32 s22, s20, s4
	s_cmp_lg_u32 s8, 0
	s_mul_hi_u32 s8, s21, s4
	s_add_co_ci_u32 s39, s41, s43
	s_mul_i32 s4, s21, s4
	s_mul_hi_u32 s41, s20, s39
	s_mul_i32 s40, s20, s39
	s_mul_hi_u32 s43, s21, s39
	s_add_nc_u64 s[40:41], s[22:23], s[40:41]
	s_mul_i32 s42, s21, s39
	s_add_co_u32 s4, s40, s4
	s_add_co_ci_u32 s22, s41, s8
	s_add_co_ci_u32 s43, s43, 0
	s_delay_alu instid0(SALU_CYCLE_1) | instskip(NEXT) | instid1(SALU_CYCLE_1)
	s_add_nc_u64 s[40:41], s[22:23], s[42:43]
	s_and_b64 s[42:43], s[40:41], 0xffffffff00000000
	s_delay_alu instid0(SALU_CYCLE_1) | instskip(NEXT) | instid1(SALU_CYCLE_1)
	s_or_b32 s42, s42, s40
	s_mul_u64 s[40:41], s[34:35], s[42:43]
	s_delay_alu instid0(SALU_CYCLE_1) | instskip(SKIP_1) | instid1(SALU_CYCLE_1)
	s_sub_co_u32 s4, s20, s40
	s_cselect_b32 s8, -1, 0
	s_cmp_lg_u32 s8, 0
	s_sub_co_ci_u32 s8, s21, s41
	s_sub_co_u32 s22, s4, s34
	s_cselect_b32 s39, -1, 0
	s_delay_alu instid0(SALU_CYCLE_1) | instskip(SKIP_3) | instid1(SALU_CYCLE_1)
	s_cmp_lg_u32 s39, 0
	s_sub_co_ci_u32 s39, s8, 0
	s_sub_co_u32 s40, s22, s34
	s_cselect_b32 s41, -1, 0
	s_cmp_lg_u32 s41, 0
	s_sub_co_ci_u32 s41, s39, 0
	s_cmp_ge_u32 s22, s34
	s_cselect_b32 s42, -1, 0
	s_cmp_eq_u32 s39, 0
	s_cselect_b32 s42, s42, -1
	s_delay_alu instid0(SALU_CYCLE_1)
	s_cmp_lg_u32 s42, 0
	s_cselect_b32 s39, s41, s39
	s_cselect_b32 s22, s40, s22
	s_cmp_ge_u32 s4, s34
	s_cselect_b32 s40, -1, 0
	s_cmp_eq_u32 s8, 0
	s_cselect_b32 s40, s40, -1
	s_delay_alu instid0(SALU_CYCLE_1)
	s_cmp_lg_u32 s40, 0
	s_cselect_b32 s73, s39, s8
	s_cselect_b32 s72, s22, s4
	s_cbranch_execnz .LBB219_181
.LBB219_180:                            ;   in Loop: Header=BB219_12 Depth=1
	v_cvt_f32_u32_e32 v4, s34
	s_sub_co_i32 s8, 0, s34
	s_delay_alu instid0(VALU_DEP_1) | instskip(SKIP_1) | instid1(TRANS32_DEP_1)
	v_rcp_iflag_f32_e32 v4, v4
	v_nop
	v_mul_f32_e32 v4, 0x4f7ffffe, v4
	s_delay_alu instid0(VALU_DEP_1) | instskip(NEXT) | instid1(VALU_DEP_1)
	v_cvt_u32_f32_e32 v4, v4
	v_readfirstlane_b32 s4, v4
	s_mul_i32 s8, s8, s4
	s_delay_alu instid0(SALU_CYCLE_1) | instskip(NEXT) | instid1(SALU_CYCLE_1)
	s_mul_hi_u32 s8, s4, s8
	s_add_co_i32 s4, s4, s8
	s_delay_alu instid0(SALU_CYCLE_1) | instskip(NEXT) | instid1(SALU_CYCLE_1)
	s_mul_hi_u32 s4, s20, s4
	s_mul_i32 s4, s4, s34
	s_delay_alu instid0(SALU_CYCLE_1) | instskip(NEXT) | instid1(SALU_CYCLE_1)
	s_sub_co_i32 s4, s20, s4
	s_sub_co_i32 s8, s4, s34
	s_cmp_ge_u32 s4, s34
	s_cselect_b32 s4, s8, s4
	s_delay_alu instid0(SALU_CYCLE_1) | instskip(SKIP_2) | instid1(SALU_CYCLE_1)
	s_sub_co_i32 s8, s4, s34
	s_cmp_ge_u32 s4, s34
	s_cselect_b32 s22, s8, s4
	s_mov_b64 s[72:73], s[22:23]
.LBB219_181:                            ;   in Loop: Header=BB219_12 Depth=1
	s_delay_alu instid0(SALU_CYCLE_1)
	s_sub_nc_u64 s[20:21], s[20:21], s[72:73]
	s_mov_b32 s22, 0
	s_mov_b32 s39, 0
	s_mov_b32 s40, exec_lo
                                        ; implicit-def: $vgpr10
	v_cmpx_gt_u64_e64 s[20:21], v[0:1]
	s_mov_b32 s49, s46
	s_cbranch_execz .LBB219_192
; %bb.182:                              ;   in Loop: Header=BB219_12 Depth=1
	v_mov_b64_e32 v[4:5], v[0:1]
	v_mov_b32_e32 v10, v28
                                        ; implicit-def: $sgpr41
	s_branch .LBB219_185
.LBB219_183:                            ;   in Loop: Header=BB219_185 Depth=2
	s_or_b32 exec_lo, exec_lo, s42
	s_wait_dscnt 0x0
	s_barrier_signal -1
	s_barrier_wait -1
	ds_load_b32 v11, v3 offset:3072
	s_mov_b32 s8, -1
	s_mov_b32 s42, -1
	s_wait_dscnt 0x0
	s_barrier_signal -1
	s_barrier_wait -1
	v_and_b32_e32 v24, 0x7fff, v11
	s_delay_alu instid0(VALU_DEP_1)
	v_cmp_ne_u32_e32 vcc_lo, 0, v24
	s_cbranch_vccz .LBB219_188
.LBB219_184:                            ;   in Loop: Header=BB219_185 Depth=2
	s_and_b32 s4, exec_lo, s8
	s_delay_alu instid0(SALU_CYCLE_1) | instskip(SKIP_2) | instid1(SALU_CYCLE_1)
	s_or_b32 s39, s4, s39
	s_and_not1_b32 s4, s41, exec_lo
	s_and_b32 s8, s42, exec_lo
	s_or_b32 s41, s4, s8
	s_and_not1_b32 exec_lo, exec_lo, s39
	s_cbranch_execz .LBB219_191
.LBB219_185:                            ;   Parent Loop BB219_12 Depth=1
                                        ; =>  This Inner Loop Header: Depth=2
	s_mov_b32 s42, exec_lo
	s_delay_alu instid0(VALU_DEP_2)
	v_cmpx_gt_u64_e64 s[10:11], v[4:5]
	s_cbranch_execz .LBB219_183
; %bb.186:                              ;   in Loop: Header=BB219_185 Depth=2
	ds_load_u16 v11, v10
	s_wait_dscnt 0x0
	v_cmp_lt_i16_e32 vcc_lo, -1, v11
	v_and_b32_e32 v24, 0xffff, v11
	v_dual_cndmask_b32 v25, 0xffff, v34 :: v_dual_lshlrev_b32 v26, 16, v11
	s_delay_alu instid0(VALU_DEP_1) | instskip(NEXT) | instid1(VALU_DEP_2)
	v_cmp_o_f32_e32 vcc_lo, v26, v26
	v_xor_b32_e32 v24, v25, v24
	s_delay_alu instid0(VALU_DEP_1) | instskip(NEXT) | instid1(VALU_DEP_1)
	v_cndmask_b32_e32 v24, 0xffff, v24, vcc_lo
	v_and_b32_e32 v24, v24, v9
	s_delay_alu instid0(VALU_DEP_1)
	v_cmp_eq_u32_e32 vcc_lo, v24, v8
	s_and_b32 exec_lo, exec_lo, vcc_lo
	s_cbranch_execz .LBB219_183
; %bb.187:                              ;   in Loop: Header=BB219_185 Depth=2
	v_perm_b32 v11, v11, s95, 0x5040100
	ds_store_b32 v3, v11 offset:3072
	s_branch .LBB219_183
.LBB219_188:                            ;   in Loop: Header=BB219_185 Depth=2
	v_add_nc_u64_e32 v[4:5], s[34:35], v[4:5]
	v_add_nc_u32_e32 v10, s93, v10
	s_mov_b32 s42, 0
	s_delay_alu instid0(VALU_DEP_2)
	v_cmp_le_u64_e32 vcc_lo, s[20:21], v[4:5]
	s_or_not1_b32 s8, vcc_lo, exec_lo
	s_branch .LBB219_184
.LBB219_189:                            ;   in Loop: Header=BB219_12 Depth=1
                                        ; implicit-def: $sgpr72_sgpr73
	s_branch .LBB219_135
.LBB219_190:                            ;   in Loop: Header=BB219_12 Depth=1
                                        ; implicit-def: $sgpr10_sgpr11
	s_branch .LBB219_151
.LBB219_191:                            ;   in Loop: Header=BB219_12 Depth=1
	s_or_b32 exec_lo, exec_lo, s39
	v_lshrrev_b32_e32 v10, 16, v11
	s_and_b32 s39, s41, exec_lo
.LBB219_192:                            ;   in Loop: Header=BB219_12 Depth=1
	s_or_b32 exec_lo, exec_lo, s40
.LBB219_193:                            ;   in Loop: Header=BB219_12 Depth=1
	s_delay_alu instid0(SALU_CYCLE_1)
	s_and_b32 vcc_lo, exec_lo, s22
	s_cbranch_vccz .LBB219_207
; %bb.194:                              ;   in Loop: Header=BB219_12 Depth=1
	s_and_b64 s[10:11], s[60:61], 0xffffffff00000000
	s_delay_alu instid0(SALU_CYCLE_1)
	s_cmp_lg_u64 s[10:11], 0
	s_cbranch_scc0 .LBB219_226
; %bb.195:                              ;   in Loop: Header=BB219_12 Depth=1
	s_cvt_f32_u32 s4, s34
	s_sub_nc_u64 s[20:21], 0, s[34:35]
	s_delay_alu instid0(SALU_CYCLE_2) | instskip(NEXT) | instid1(SALU_CYCLE_3)
	s_fmamk_f32 s4, s94, 0x0, s4
	v_s_rcp_f32 s4, s4
	s_delay_alu instid0(TRANS32_DEP_1) | instskip(NEXT) | instid1(SALU_CYCLE_3)
	s_mul_f32 s4, s4, 0x5f7ffffc
	s_mul_f32 s8, s4, 0x2f800000
	s_delay_alu instid0(SALU_CYCLE_3) | instskip(NEXT) | instid1(SALU_CYCLE_3)
	s_trunc_f32 s8, s8
	s_fmamk_f32 s4, s8, 0xcf800000, s4
	s_cvt_u32_f32 s11, s8
	s_delay_alu instid0(SALU_CYCLE_2) | instskip(NEXT) | instid1(SALU_CYCLE_3)
	s_cvt_u32_f32 s10, s4
	s_mul_u64 s[40:41], s[20:21], s[10:11]
	s_delay_alu instid0(SALU_CYCLE_1)
	s_mul_hi_u32 s43, s10, s41
	s_mul_i32 s42, s10, s41
	s_mul_hi_u32 s22, s10, s40
	s_mul_i32 s8, s11, s40
	s_add_nc_u64 s[42:43], s[22:23], s[42:43]
	s_mul_hi_u32 s4, s11, s40
	s_mul_hi_u32 s36, s11, s41
	s_add_co_u32 s8, s42, s8
	s_add_co_ci_u32 s22, s43, s4
	s_mul_i32 s40, s11, s41
	s_add_co_ci_u32 s41, s36, 0
	s_delay_alu instid0(SALU_CYCLE_1) | instskip(NEXT) | instid1(SALU_CYCLE_1)
	s_add_nc_u64 s[40:41], s[22:23], s[40:41]
	s_add_co_u32 s10, s10, s40
	s_cselect_b32 s4, -1, 0
	s_delay_alu instid0(SALU_CYCLE_1) | instskip(SKIP_1) | instid1(SALU_CYCLE_1)
	s_cmp_lg_u32 s4, 0
	s_add_co_ci_u32 s11, s11, s41
	s_mul_u64 s[20:21], s[20:21], s[10:11]
	s_delay_alu instid0(SALU_CYCLE_1)
	s_mul_hi_u32 s41, s10, s21
	s_mul_i32 s40, s10, s21
	s_mul_hi_u32 s22, s10, s20
	s_mul_i32 s8, s11, s20
	s_add_nc_u64 s[40:41], s[22:23], s[40:41]
	s_mul_hi_u32 s4, s11, s20
	s_mul_hi_u32 s36, s11, s21
	s_add_co_u32 s8, s40, s8
	s_add_co_ci_u32 s22, s41, s4
	s_mul_i32 s20, s11, s21
	s_add_co_ci_u32 s21, s36, 0
	s_delay_alu instid0(SALU_CYCLE_1) | instskip(NEXT) | instid1(SALU_CYCLE_1)
	s_add_nc_u64 s[20:21], s[22:23], s[20:21]
	s_add_co_u32 s4, s10, s20
	s_cselect_b32 s8, -1, 0
	s_mul_hi_u32 s22, s60, s4
	s_cmp_lg_u32 s8, 0
	s_mul_hi_u32 s8, s61, s4
	s_add_co_ci_u32 s20, s11, s21
	s_mul_i32 s4, s61, s4
	s_mul_hi_u32 s11, s60, s20
	s_mul_i32 s10, s60, s20
	s_mul_hi_u32 s21, s61, s20
	s_add_nc_u64 s[10:11], s[22:23], s[10:11]
	s_mul_i32 s20, s61, s20
	s_add_co_u32 s4, s10, s4
	s_add_co_ci_u32 s22, s11, s8
	s_add_co_ci_u32 s21, s21, 0
	s_delay_alu instid0(SALU_CYCLE_1) | instskip(NEXT) | instid1(SALU_CYCLE_1)
	s_add_nc_u64 s[10:11], s[22:23], s[20:21]
	s_and_b64 s[20:21], s[10:11], 0xffffffff00000000
	s_delay_alu instid0(SALU_CYCLE_1) | instskip(NEXT) | instid1(SALU_CYCLE_1)
	s_or_b32 s20, s20, s10
	s_mul_u64 s[10:11], s[34:35], s[20:21]
	s_delay_alu instid0(SALU_CYCLE_1) | instskip(SKIP_1) | instid1(SALU_CYCLE_1)
	s_sub_co_u32 s4, s60, s10
	s_cselect_b32 s8, -1, 0
	s_cmp_lg_u32 s8, 0
	s_sub_co_ci_u32 s8, s61, s11
	s_sub_co_u32 s10, s4, s34
	s_cselect_b32 s11, -1, 0
	s_delay_alu instid0(SALU_CYCLE_1) | instskip(SKIP_3) | instid1(SALU_CYCLE_1)
	s_cmp_lg_u32 s11, 0
	s_sub_co_ci_u32 s11, s8, 0
	s_sub_co_u32 s20, s10, s34
	s_cselect_b32 s21, -1, 0
	s_cmp_lg_u32 s21, 0
	s_sub_co_ci_u32 s21, s11, 0
	s_cmp_ge_u32 s10, s34
	s_cselect_b32 s22, -1, 0
	s_cmp_eq_u32 s11, 0
	s_cselect_b32 s22, s22, -1
	s_delay_alu instid0(SALU_CYCLE_1)
	s_cmp_lg_u32 s22, 0
	s_cselect_b32 s11, s21, s11
	s_cselect_b32 s10, s20, s10
	s_cmp_ge_u32 s4, s34
	s_cselect_b32 s20, -1, 0
	s_cmp_eq_u32 s8, 0
	s_cselect_b32 s20, s20, -1
	s_delay_alu instid0(SALU_CYCLE_1)
	s_cmp_lg_u32 s20, 0
	s_cselect_b32 s11, s11, s8
	s_cselect_b32 s10, s10, s4
	s_cbranch_execnz .LBB219_197
.LBB219_196:                            ;   in Loop: Header=BB219_12 Depth=1
	v_cvt_f32_u32_e32 v4, s34
	s_sub_co_i32 s8, 0, s34
	s_delay_alu instid0(VALU_DEP_1) | instskip(SKIP_1) | instid1(TRANS32_DEP_1)
	v_rcp_iflag_f32_e32 v4, v4
	v_nop
	v_mul_f32_e32 v4, 0x4f7ffffe, v4
	s_delay_alu instid0(VALU_DEP_1) | instskip(NEXT) | instid1(VALU_DEP_1)
	v_cvt_u32_f32_e32 v4, v4
	v_readfirstlane_b32 s4, v4
	s_mul_i32 s8, s8, s4
	s_delay_alu instid0(SALU_CYCLE_1) | instskip(NEXT) | instid1(SALU_CYCLE_1)
	s_mul_hi_u32 s8, s4, s8
	s_add_co_i32 s4, s4, s8
	s_delay_alu instid0(SALU_CYCLE_1) | instskip(NEXT) | instid1(SALU_CYCLE_1)
	s_mul_hi_u32 s4, s60, s4
	s_mul_i32 s4, s4, s34
	s_delay_alu instid0(SALU_CYCLE_1) | instskip(NEXT) | instid1(SALU_CYCLE_1)
	s_sub_co_i32 s4, s60, s4
	s_sub_co_i32 s8, s4, s34
	s_cmp_ge_u32 s4, s34
	s_cselect_b32 s4, s8, s4
	s_delay_alu instid0(SALU_CYCLE_1) | instskip(SKIP_2) | instid1(SALU_CYCLE_1)
	s_sub_co_i32 s8, s4, s34
	s_cmp_ge_u32 s4, s34
	s_cselect_b32 s22, s8, s4
	s_mov_b64 s[10:11], s[22:23]
.LBB219_197:                            ;   in Loop: Header=BB219_12 Depth=1
	s_delay_alu instid0(SALU_CYCLE_1)
	s_sub_nc_u64 s[10:11], s[60:61], s[10:11]
	s_mov_b32 s20, exec_lo
                                        ; implicit-def: $vgpr10
	v_cmpx_gt_u64_e64 s[10:11], v[0:1]
	s_cbranch_execz .LBB219_206
; %bb.198:                              ;   in Loop: Header=BB219_12 Depth=1
	v_mov_b64_e32 v[4:5], v[0:1]
	s_mov_b32 s21, 0
                                        ; implicit-def: $sgpr22
	s_branch .LBB219_201
.LBB219_199:                            ;   in Loop: Header=BB219_201 Depth=2
	s_or_b32 exec_lo, exec_lo, s36
	s_wait_dscnt 0x0
	s_barrier_signal -1
	s_barrier_wait -1
	ds_load_b32 v10, v3 offset:3072
	s_mov_b32 s8, -1
	s_mov_b32 s4, -1
	s_wait_dscnt 0x0
	s_barrier_signal -1
	s_barrier_wait -1
	v_and_b32_e32 v11, 0x7fff, v10
	s_delay_alu instid0(VALU_DEP_1)
	v_cmp_eq_u32_e32 vcc_lo, 0, v11
	s_cbranch_vccnz .LBB219_204
.LBB219_200:                            ;   in Loop: Header=BB219_201 Depth=2
	s_and_b32 s8, exec_lo, s8
	s_delay_alu instid0(SALU_CYCLE_1) | instskip(SKIP_2) | instid1(SALU_CYCLE_1)
	s_or_b32 s21, s8, s21
	s_and_not1_b32 s8, s22, exec_lo
	s_and_b32 s4, s4, exec_lo
	s_or_b32 s22, s8, s4
	s_and_not1_b32 exec_lo, exec_lo, s21
	s_cbranch_execz .LBB219_205
.LBB219_201:                            ;   Parent Loop BB219_12 Depth=1
                                        ; =>  This Inner Loop Header: Depth=2
	s_mov_b32 s36, exec_lo
	s_delay_alu instid0(VALU_DEP_1)
	v_cmpx_gt_u64_e64 s[28:29], v[4:5]
	s_cbranch_execz .LBB219_199
; %bb.202:                              ;   in Loop: Header=BB219_201 Depth=2
	v_mul_u64_e32 v[10:11], s[26:27], v[4:5]
	s_delay_alu instid0(VALU_DEP_1)
	v_lshl_add_u64 v[10:11], v[10:11], 1, s[24:25]
	global_load_u16 v10, v[10:11], off
	s_wait_loadcnt 0x0
	v_cmp_lt_i16_e32 vcc_lo, -1, v10
	s_wait_xcnt 0x0
	v_and_b32_e32 v11, 0xffff, v10
	v_cndmask_b32_e32 v24, 0xffff, v34, vcc_lo
	s_delay_alu instid0(VALU_DEP_1) | instskip(NEXT) | instid1(VALU_DEP_1)
	v_dual_lshlrev_b32 v25, 16, v10 :: v_dual_bitop2_b32 v11, v24, v11 bitop3:0x14
	v_cmp_o_f32_e32 vcc_lo, v25, v25
	s_delay_alu instid0(VALU_DEP_2) | instskip(NEXT) | instid1(VALU_DEP_1)
	v_cndmask_b32_e32 v11, 0xffff, v11, vcc_lo
	v_and_b32_e32 v11, v11, v9
	s_delay_alu instid0(VALU_DEP_1)
	v_cmp_eq_u32_e32 vcc_lo, v11, v8
	s_and_b32 exec_lo, exec_lo, vcc_lo
	s_cbranch_execz .LBB219_199
; %bb.203:                              ;   in Loop: Header=BB219_201 Depth=2
	v_perm_b32 v10, v10, s95, 0x5040100
	ds_store_b32 v3, v10 offset:3072
	s_branch .LBB219_199
.LBB219_204:                            ;   in Loop: Header=BB219_201 Depth=2
	v_add_nc_u64_e32 v[4:5], s[34:35], v[4:5]
	s_mov_b32 s4, 0
	s_delay_alu instid0(VALU_DEP_1)
	v_cmp_le_u64_e32 vcc_lo, s[10:11], v[4:5]
	s_or_not1_b32 s8, vcc_lo, exec_lo
	s_branch .LBB219_200
.LBB219_205:                            ;   in Loop: Header=BB219_12 Depth=1
	s_or_b32 exec_lo, exec_lo, s21
	v_lshrrev_b32_e32 v10, 16, v10
	s_and_not1_b32 s4, s39, exec_lo
	s_and_b32 s8, s22, exec_lo
	s_delay_alu instid0(SALU_CYCLE_1)
	s_or_b32 s39, s4, s8
.LBB219_206:                            ;   in Loop: Header=BB219_12 Depth=1
	s_or_b32 exec_lo, exec_lo, s20
	s_mov_b32 s85, 0
	s_mov_b32 s36, -1
.LBB219_207:                            ;   in Loop: Header=BB219_12 Depth=1
	s_or_not1_b32 s10, s39, exec_lo
.LBB219_208:                            ;   in Loop: Header=BB219_12 Depth=1
	s_or_b32 exec_lo, exec_lo, s37
	s_mov_b32 s11, 0
	s_and_saveexec_b32 s37, s10
	s_cbranch_execz .LBB219_270
; %bb.209:                              ;   in Loop: Header=BB219_12 Depth=1
	v_mov_b64_e32 v[4:5], 1
	v_mov_b32_e32 v2, 1
	s_xor_b32 s4, s38, -1
	s_delay_alu instid0(SALU_CYCLE_1)
	s_and_saveexec_b32 s10, s4
	s_cbranch_execz .LBB219_218
; %bb.210:                              ;   in Loop: Header=BB219_12 Depth=1
	s_mov_b32 s4, exec_lo
	v_cmpx_ge_u64_e64 s[16:17], v[6:7]
	s_xor_b32 s11, exec_lo, s4
	s_cbranch_execz .LBB219_215
; %bb.211:                              ;   in Loop: Header=BB219_12 Depth=1
	ds_load_b64 v[4:5], v3 offset:5120
	s_lshl_b32 s4, 2, s96
	v_or_b32_e32 v9, s57, v9
	v_and_or_b32 v8, v8, s74, s4
	s_wait_dscnt 0x0
	v_cmp_ne_u64_e32 vcc_lo, 0, v[4:5]
	s_cbranch_vccnz .LBB219_215
; %bb.212:                              ;   in Loop: Header=BB219_12 Depth=1
	s_and_saveexec_b32 s4, s5
; %bb.213:                              ;   in Loop: Header=BB219_12 Depth=1
	v_mov_b64_e32 v[4:5], s[16:17]
	ds_store_b64 v3, v[4:5] offset:5128
; %bb.214:                              ;   in Loop: Header=BB219_12 Depth=1
	s_or_b32 exec_lo, exec_lo, s4
	s_wait_dscnt 0x0
	s_barrier_signal -1
	s_barrier_wait -1
.LBB219_215:                            ;   in Loop: Header=BB219_12 Depth=1
	s_or_saveexec_b32 s11, s11
	v_mov_b32_e32 v2, 8
	s_mov_b32 s8, 0
	s_xor_b32 exec_lo, exec_lo, s11
; %bb.216:                              ;   in Loop: Header=BB219_12 Depth=1
	v_sub_nc_u64_e64 v[6:7], v[6:7], s[16:17]
	v_mov_b32_e32 v2, 0
	s_mov_b32 s8, exec_lo
; %bb.217:                              ;   in Loop: Header=BB219_12 Depth=1
	s_or_b32 exec_lo, exec_lo, s11
	s_delay_alu instid0(VALU_DEP_2)
	v_mov_b64_e32 v[4:5], v[6:7]
	s_and_b32 s11, s8, exec_lo
.LBB219_218:                            ;   in Loop: Header=BB219_12 Depth=1
	s_or_b32 exec_lo, exec_lo, s10
	s_mov_b32 s10, -1
                                        ; implicit-def: $sgpr42
                                        ; implicit-def: $sgpr41
	s_and_saveexec_b32 s38, s11
	s_cbranch_execz .LBB219_269
; %bb.219:                              ;   in Loop: Header=BB219_12 Depth=1
	s_delay_alu instid0(VALU_DEP_1) | instskip(SKIP_3) | instid1(SALU_CYCLE_1)
	v_cmp_eq_u64_e32 vcc_lo, 1, v[4:5]
	s_cmp_eq_u64 s[18:19], 1
	s_mov_b32 s11, -1
	s_cselect_b32 s4, -1, 0
                                        ; implicit-def: $sgpr42
                                        ; implicit-def: $sgpr41
	s_and_b32 s39, s4, vcc_lo
	s_delay_alu instid0(SALU_CYCLE_1)
	s_and_saveexec_b32 s40, s39
	s_cbranch_execz .LBB219_257
; %bb.220:                              ;   in Loop: Header=BB219_12 Depth=1
	ds_load_b64 v[6:7], v3 offset:5120
	s_wait_dscnt 0x0
	s_barrier_signal -1
	s_barrier_wait -1
	v_readfirstlane_b32 s10, v6
	v_readfirstlane_b32 s11, v7
	s_and_saveexec_b32 s4, s6
; %bb.221:                              ;   in Loop: Header=BB219_12 Depth=1
	ds_store_b16 v29, v3
; %bb.222:                              ;   in Loop: Header=BB219_12 Depth=1
	s_or_b32 exec_lo, exec_lo, s4
	v_or_b32_e32 v8, s57, v8
	v_or_b32_e32 v9, s57, v9
	s_mov_b32 s41, -1
	s_mov_b32 s42, 0
	s_cmp_eq_u64 s[10:11], 0
	s_mov_b32 s43, 0
	s_mov_b32 s22, -1
	s_wait_dscnt 0x0
	s_barrier_signal -1
	s_barrier_wait -1
                                        ; implicit-def: $vgpr10
	s_cbranch_scc1 .LBB219_240
; %bb.223:                              ;   in Loop: Header=BB219_12 Depth=1
	s_add_nc_u64 s[20:21], s[10:11], s[58:59]
	v_writelane_b32 v46, s3, 17
	s_mov_b32 s3, s7
	s_mov_b32 s7, s49
	s_and_b64 s[48:49], s[20:21], 0xffffffff00000000
	s_wait_kmcnt 0x0
	s_mov_b64 s[50:51], s[52:53]
	s_cmp_lg_u64 s[48:49], 0
	s_cbranch_scc0 .LBB219_227
; %bb.224:                              ;   in Loop: Header=BB219_12 Depth=1
	s_cvt_f32_u32 s4, s34
	s_sub_nc_u64 s[72:73], 0, s[34:35]
	s_delay_alu instid0(SALU_CYCLE_2) | instskip(NEXT) | instid1(SALU_CYCLE_3)
	s_fmamk_f32 s4, s94, 0x0, s4
	v_s_rcp_f32 s4, s4
	s_delay_alu instid0(TRANS32_DEP_1) | instskip(NEXT) | instid1(SALU_CYCLE_3)
	s_mul_f32 s4, s4, 0x5f7ffffc
	s_mul_f32 s8, s4, 0x2f800000
	s_delay_alu instid0(SALU_CYCLE_3) | instskip(NEXT) | instid1(SALU_CYCLE_3)
	s_trunc_f32 s8, s8
	s_fmamk_f32 s4, s8, 0xcf800000, s4
	s_cvt_u32_f32 s49, s8
	s_delay_alu instid0(SALU_CYCLE_2) | instskip(NEXT) | instid1(SALU_CYCLE_3)
	s_cvt_u32_f32 s48, s4
	s_mul_u64 s[46:47], s[72:73], s[48:49]
	s_delay_alu instid0(SALU_CYCLE_1)
	s_mul_hi_u32 s53, s48, s47
	s_mul_i32 s52, s48, s47
	s_mul_hi_u32 s22, s48, s46
	s_mul_i32 s8, s49, s46
	s_add_nc_u64 s[52:53], s[22:23], s[52:53]
	s_mul_hi_u32 s4, s49, s46
	s_mul_hi_u32 s43, s49, s47
	s_add_co_u32 s8, s52, s8
	s_add_co_ci_u32 s22, s53, s4
	s_mul_i32 s46, s49, s47
	s_add_co_ci_u32 s47, s43, 0
	s_delay_alu instid0(SALU_CYCLE_1) | instskip(NEXT) | instid1(SALU_CYCLE_1)
	s_add_nc_u64 s[46:47], s[22:23], s[46:47]
	s_add_co_u32 s46, s48, s46
	s_cselect_b32 s4, -1, 0
	s_delay_alu instid0(SALU_CYCLE_1) | instskip(SKIP_1) | instid1(SALU_CYCLE_1)
	s_cmp_lg_u32 s4, 0
	s_add_co_ci_u32 s47, s49, s47
	s_mul_u64 s[48:49], s[72:73], s[46:47]
	s_delay_alu instid0(SALU_CYCLE_1)
	s_mul_hi_u32 s53, s46, s49
	s_mul_i32 s52, s46, s49
	s_mul_hi_u32 s22, s46, s48
	s_mul_i32 s8, s47, s48
	s_add_nc_u64 s[52:53], s[22:23], s[52:53]
	s_mul_hi_u32 s4, s47, s48
	s_mul_hi_u32 s43, s47, s49
	s_add_co_u32 s8, s52, s8
	s_add_co_ci_u32 s22, s53, s4
	s_mul_i32 s48, s47, s49
	s_add_co_ci_u32 s49, s43, 0
	s_delay_alu instid0(SALU_CYCLE_1) | instskip(NEXT) | instid1(SALU_CYCLE_1)
	s_add_nc_u64 s[48:49], s[22:23], s[48:49]
	s_add_co_u32 s4, s46, s48
	s_cselect_b32 s8, -1, 0
	s_mul_hi_u32 s22, s20, s4
	s_cmp_lg_u32 s8, 0
	s_mul_hi_u32 s8, s21, s4
	s_add_co_ci_u32 s43, s47, s49
	s_mul_i32 s4, s21, s4
	s_mul_hi_u32 s47, s20, s43
	s_mul_i32 s46, s20, s43
	s_mul_hi_u32 s49, s21, s43
	s_add_nc_u64 s[46:47], s[22:23], s[46:47]
	s_mul_i32 s48, s21, s43
	s_add_co_u32 s4, s46, s4
	s_add_co_ci_u32 s22, s47, s8
	s_add_co_ci_u32 s49, s49, 0
	s_delay_alu instid0(SALU_CYCLE_1) | instskip(NEXT) | instid1(SALU_CYCLE_1)
	s_add_nc_u64 s[46:47], s[22:23], s[48:49]
	s_and_b64 s[48:49], s[46:47], 0xffffffff00000000
	s_delay_alu instid0(SALU_CYCLE_1) | instskip(NEXT) | instid1(SALU_CYCLE_1)
	s_or_b32 s48, s48, s46
	s_mul_u64 s[46:47], s[34:35], s[48:49]
	s_delay_alu instid0(SALU_CYCLE_1) | instskip(SKIP_1) | instid1(SALU_CYCLE_1)
	s_sub_co_u32 s4, s20, s46
	s_cselect_b32 s8, -1, 0
	s_cmp_lg_u32 s8, 0
	s_sub_co_ci_u32 s8, s21, s47
	s_sub_co_u32 s22, s4, s34
	s_cselect_b32 s43, -1, 0
	s_delay_alu instid0(SALU_CYCLE_1) | instskip(SKIP_3) | instid1(SALU_CYCLE_1)
	s_cmp_lg_u32 s43, 0
	s_sub_co_ci_u32 s43, s8, 0
	s_sub_co_u32 s46, s22, s34
	s_cselect_b32 s47, -1, 0
	s_cmp_lg_u32 s47, 0
	s_sub_co_ci_u32 s47, s43, 0
	s_cmp_ge_u32 s22, s34
	s_cselect_b32 s48, -1, 0
	s_cmp_eq_u32 s43, 0
	s_cselect_b32 s48, s48, -1
	s_delay_alu instid0(SALU_CYCLE_1)
	s_cmp_lg_u32 s48, 0
	s_cselect_b32 s43, s47, s43
	s_cselect_b32 s22, s46, s22
	s_cmp_ge_u32 s4, s34
	s_cselect_b32 s46, -1, 0
	s_cmp_eq_u32 s8, 0
	s_cselect_b32 s46, s46, -1
	s_delay_alu instid0(SALU_CYCLE_1)
	s_cmp_lg_u32 s46, 0
	s_cselect_b32 s73, s43, s8
	s_cselect_b32 s72, s22, s4
	s_mov_b32 s4, 0
	s_branch .LBB219_228
.LBB219_225:                            ;   in Loop: Header=BB219_12 Depth=1
                                        ; implicit-def: $sgpr72_sgpr73
	s_branch .LBB219_180
.LBB219_226:                            ;   in Loop: Header=BB219_12 Depth=1
                                        ; implicit-def: $sgpr10_sgpr11
	s_branch .LBB219_196
.LBB219_227:                            ;   in Loop: Header=BB219_12 Depth=1
	s_mov_b32 s4, -1
                                        ; implicit-def: $sgpr72_sgpr73
.LBB219_228:                            ;   in Loop: Header=BB219_12 Depth=1
	s_delay_alu instid0(SALU_CYCLE_1)
	s_and_not1_b32 vcc_lo, exec_lo, s4
	s_mov_b32 s49, s7
	s_cbranch_vccnz .LBB219_230
; %bb.229:                              ;   in Loop: Header=BB219_12 Depth=1
	v_cvt_f32_u32_e32 v6, s34
	s_sub_co_i32 s8, 0, s34
	s_delay_alu instid0(VALU_DEP_1) | instskip(SKIP_1) | instid1(TRANS32_DEP_1)
	v_rcp_iflag_f32_e32 v6, v6
	v_nop
	v_mul_f32_e32 v6, 0x4f7ffffe, v6
	s_delay_alu instid0(VALU_DEP_1) | instskip(NEXT) | instid1(VALU_DEP_1)
	v_cvt_u32_f32_e32 v6, v6
	v_readfirstlane_b32 s4, v6
	s_mul_i32 s8, s8, s4
	s_delay_alu instid0(SALU_CYCLE_1) | instskip(NEXT) | instid1(SALU_CYCLE_1)
	s_mul_hi_u32 s8, s4, s8
	s_add_co_i32 s4, s4, s8
	s_delay_alu instid0(SALU_CYCLE_1) | instskip(NEXT) | instid1(SALU_CYCLE_1)
	s_mul_hi_u32 s4, s20, s4
	s_mul_i32 s4, s4, s34
	s_delay_alu instid0(SALU_CYCLE_1) | instskip(NEXT) | instid1(SALU_CYCLE_1)
	s_sub_co_i32 s4, s20, s4
	s_sub_co_i32 s8, s4, s34
	s_cmp_ge_u32 s4, s34
	s_cselect_b32 s4, s8, s4
	s_delay_alu instid0(SALU_CYCLE_1) | instskip(SKIP_2) | instid1(SALU_CYCLE_1)
	s_sub_co_i32 s8, s4, s34
	s_cmp_ge_u32 s4, s34
	s_cselect_b32 s22, s8, s4
	s_mov_b64 s[72:73], s[22:23]
.LBB219_230:                            ;   in Loop: Header=BB219_12 Depth=1
	s_delay_alu instid0(SALU_CYCLE_1)
	s_sub_nc_u64 s[20:21], s[20:21], s[72:73]
	s_mov_b32 s22, 0
	s_mov_b32 s43, 0
	s_mov_b32 s72, exec_lo
                                        ; implicit-def: $vgpr10
	v_cmpx_gt_u64_e64 s[20:21], v[0:1]
	s_mov_b64 s[52:53], s[50:51]
	s_load_b64 s[50:51], s[0:1], 0x1d8
	s_mov_b32 s7, s3
	v_readlane_b32 s3, v46, 17
	s_cbranch_execz .LBB219_239
; %bb.231:                              ;   in Loop: Header=BB219_12 Depth=1
	v_mov_b64_e32 v[6:7], v[0:1]
	v_mov_b32_e32 v10, v28
                                        ; implicit-def: $sgpr73
	s_branch .LBB219_234
.LBB219_232:                            ;   in Loop: Header=BB219_234 Depth=2
	s_or_b32 exec_lo, exec_lo, s8
	s_wait_dscnt 0x0
	s_barrier_signal -1
	s_barrier_wait -1
	ds_load_b32 v11, v3 offset:3072
	s_mov_b32 s8, -1
	s_mov_b32 s4, -1
	s_wait_dscnt 0x0
	s_barrier_signal -1
	s_barrier_wait -1
	v_and_b32_e32 v24, 0x7fff, v11
	s_delay_alu instid0(VALU_DEP_1)
	v_cmp_ne_u32_e32 vcc_lo, 0, v24
	s_cbranch_vccz .LBB219_237
.LBB219_233:                            ;   in Loop: Header=BB219_234 Depth=2
	s_and_b32 s8, exec_lo, s8
	s_delay_alu instid0(SALU_CYCLE_1) | instskip(SKIP_2) | instid1(SALU_CYCLE_1)
	s_or_b32 s43, s8, s43
	s_and_not1_b32 s8, s73, exec_lo
	s_and_b32 s4, s4, exec_lo
	s_or_b32 s73, s8, s4
	s_and_not1_b32 exec_lo, exec_lo, s43
	s_cbranch_execz .LBB219_238
.LBB219_234:                            ;   Parent Loop BB219_12 Depth=1
                                        ; =>  This Inner Loop Header: Depth=2
	s_mov_b32 s8, exec_lo
	s_delay_alu instid0(VALU_DEP_2)
	v_cmpx_gt_u64_e64 s[10:11], v[6:7]
	s_cbranch_execz .LBB219_232
; %bb.235:                              ;   in Loop: Header=BB219_234 Depth=2
	ds_load_u16 v11, v10
	s_wait_dscnt 0x0
	v_cmp_lt_i16_e32 vcc_lo, -1, v11
	v_and_b32_e32 v24, 0xffff, v11
	v_dual_cndmask_b32 v25, 0xffff, v34 :: v_dual_lshlrev_b32 v26, 16, v11
	s_delay_alu instid0(VALU_DEP_1) | instskip(NEXT) | instid1(VALU_DEP_2)
	v_cmp_o_f32_e32 vcc_lo, v26, v26
	v_xor_b32_e32 v24, v25, v24
	s_delay_alu instid0(VALU_DEP_1) | instskip(NEXT) | instid1(VALU_DEP_1)
	v_cndmask_b32_e32 v24, 0xffff, v24, vcc_lo
	v_and_b32_e32 v24, v24, v9
	s_delay_alu instid0(VALU_DEP_1)
	v_cmp_eq_u32_e32 vcc_lo, v24, v8
	s_and_b32 exec_lo, exec_lo, vcc_lo
	s_cbranch_execz .LBB219_232
; %bb.236:                              ;   in Loop: Header=BB219_234 Depth=2
	v_perm_b32 v11, v11, s95, 0x5040100
	ds_store_b32 v3, v11 offset:3072
	s_branch .LBB219_232
.LBB219_237:                            ;   in Loop: Header=BB219_234 Depth=2
	v_add_nc_u64_e32 v[6:7], s[34:35], v[6:7]
	v_add_nc_u32_e32 v10, s93, v10
	s_mov_b32 s4, 0
	s_delay_alu instid0(VALU_DEP_2)
	v_cmp_le_u64_e32 vcc_lo, s[20:21], v[6:7]
	s_or_not1_b32 s8, vcc_lo, exec_lo
	s_branch .LBB219_233
.LBB219_238:                            ;   in Loop: Header=BB219_12 Depth=1
	s_or_b32 exec_lo, exec_lo, s43
	v_lshrrev_b32_e32 v10, 16, v11
	s_and_b32 s43, s73, exec_lo
.LBB219_239:                            ;   in Loop: Header=BB219_12 Depth=1
	s_or_b32 exec_lo, exec_lo, s72
.LBB219_240:                            ;   in Loop: Header=BB219_12 Depth=1
	s_delay_alu instid0(SALU_CYCLE_1)
	s_and_b32 vcc_lo, exec_lo, s22
	s_cbranch_vccz .LBB219_256
; %bb.241:                              ;   in Loop: Header=BB219_12 Depth=1
	s_and_b64 s[10:11], s[60:61], 0xffffffff00000000
	s_delay_alu instid0(SALU_CYCLE_1)
	s_cmp_lg_u64 s[10:11], 0
	s_cbranch_scc0 .LBB219_243
; %bb.242:                              ;   in Loop: Header=BB219_12 Depth=1
	s_cvt_f32_u32 s4, s34
	s_sub_nc_u64 s[20:21], 0, s[34:35]
	s_mov_b32 s42, s3
	s_mov_b32 s3, s7
	s_fmamk_f32 s4, s94, 0x0, s4
	s_mov_b32 s7, s49
	s_delay_alu instid0(SALU_CYCLE_2) | instskip(NEXT) | instid1(TRANS32_DEP_1)
	v_s_rcp_f32 s4, s4
	s_mul_f32 s4, s4, 0x5f7ffffc
	s_delay_alu instid0(SALU_CYCLE_3) | instskip(NEXT) | instid1(SALU_CYCLE_3)
	s_mul_f32 s8, s4, 0x2f800000
	s_trunc_f32 s8, s8
	s_delay_alu instid0(SALU_CYCLE_3) | instskip(SKIP_1) | instid1(SALU_CYCLE_2)
	s_fmamk_f32 s4, s8, 0xcf800000, s4
	s_cvt_u32_f32 s11, s8
	s_cvt_u32_f32 s10, s4
	s_delay_alu instid0(SALU_CYCLE_3) | instskip(NEXT) | instid1(SALU_CYCLE_1)
	s_mul_u64 s[46:47], s[20:21], s[10:11]
	s_mul_hi_u32 s49, s10, s47
	s_mul_i32 s48, s10, s47
	s_mul_hi_u32 s22, s10, s46
	s_mul_i32 s8, s11, s46
	s_add_nc_u64 s[48:49], s[22:23], s[48:49]
	s_mul_hi_u32 s4, s11, s46
	s_mul_hi_u32 s41, s11, s47
	s_add_co_u32 s8, s48, s8
	s_add_co_ci_u32 s22, s49, s4
	s_mul_i32 s46, s11, s47
	s_add_co_ci_u32 s47, s41, 0
	s_mov_b32 s49, s7
	s_add_nc_u64 s[46:47], s[22:23], s[46:47]
	s_mov_b32 s7, s3
	s_add_co_u32 s10, s10, s46
	s_cselect_b32 s4, -1, 0
	s_mov_b32 s3, s42
	s_cmp_lg_u32 s4, 0
	s_add_co_ci_u32 s11, s11, s47
	s_delay_alu instid0(SALU_CYCLE_1) | instskip(NEXT) | instid1(SALU_CYCLE_1)
	s_mul_u64 s[20:21], s[20:21], s[10:11]
	s_mul_hi_u32 s47, s10, s21
	s_mul_i32 s46, s10, s21
	s_mul_hi_u32 s22, s10, s20
	s_mul_i32 s8, s11, s20
	s_add_nc_u64 s[46:47], s[22:23], s[46:47]
	s_mul_hi_u32 s4, s11, s20
	s_mul_hi_u32 s41, s11, s21
	s_add_co_u32 s8, s46, s8
	s_add_co_ci_u32 s22, s47, s4
	s_mul_i32 s20, s11, s21
	s_add_co_ci_u32 s21, s41, 0
	s_delay_alu instid0(SALU_CYCLE_1) | instskip(NEXT) | instid1(SALU_CYCLE_1)
	s_add_nc_u64 s[20:21], s[22:23], s[20:21]
	s_add_co_u32 s4, s10, s20
	s_cselect_b32 s8, -1, 0
	s_mul_hi_u32 s22, s60, s4
	s_cmp_lg_u32 s8, 0
	s_mul_hi_u32 s8, s61, s4
	s_add_co_ci_u32 s20, s11, s21
	s_mul_i32 s4, s61, s4
	s_mul_hi_u32 s11, s60, s20
	s_mul_i32 s10, s60, s20
	s_mul_hi_u32 s21, s61, s20
	s_add_nc_u64 s[10:11], s[22:23], s[10:11]
	s_mul_i32 s20, s61, s20
	s_add_co_u32 s4, s10, s4
	s_add_co_ci_u32 s22, s11, s8
	s_add_co_ci_u32 s21, s21, 0
	s_delay_alu instid0(SALU_CYCLE_1) | instskip(NEXT) | instid1(SALU_CYCLE_1)
	s_add_nc_u64 s[10:11], s[22:23], s[20:21]
	s_and_b64 s[20:21], s[10:11], 0xffffffff00000000
	s_delay_alu instid0(SALU_CYCLE_1) | instskip(NEXT) | instid1(SALU_CYCLE_1)
	s_or_b32 s20, s20, s10
	s_mul_u64 s[10:11], s[34:35], s[20:21]
	s_delay_alu instid0(SALU_CYCLE_1) | instskip(SKIP_1) | instid1(SALU_CYCLE_1)
	s_sub_co_u32 s4, s60, s10
	s_cselect_b32 s8, -1, 0
	s_cmp_lg_u32 s8, 0
	s_sub_co_ci_u32 s8, s61, s11
	s_sub_co_u32 s10, s4, s34
	s_cselect_b32 s11, -1, 0
	s_delay_alu instid0(SALU_CYCLE_1) | instskip(SKIP_3) | instid1(SALU_CYCLE_1)
	s_cmp_lg_u32 s11, 0
	s_sub_co_ci_u32 s11, s8, 0
	s_sub_co_u32 s20, s10, s34
	s_cselect_b32 s21, -1, 0
	s_cmp_lg_u32 s21, 0
	s_sub_co_ci_u32 s21, s11, 0
	s_cmp_ge_u32 s10, s34
	s_cselect_b32 s22, -1, 0
	s_cmp_eq_u32 s11, 0
	s_cselect_b32 s22, s22, -1
	s_delay_alu instid0(SALU_CYCLE_1)
	s_cmp_lg_u32 s22, 0
	s_cselect_b32 s11, s21, s11
	s_cselect_b32 s10, s20, s10
	s_cmp_ge_u32 s4, s34
	s_cselect_b32 s20, -1, 0
	s_cmp_eq_u32 s8, 0
	s_cselect_b32 s20, s20, -1
	s_delay_alu instid0(SALU_CYCLE_1)
	s_cmp_lg_u32 s20, 0
	s_cselect_b32 s11, s11, s8
	s_cselect_b32 s10, s10, s4
	s_mov_b32 s4, 0
	s_branch .LBB219_244
.LBB219_243:                            ;   in Loop: Header=BB219_12 Depth=1
	s_mov_b32 s4, -1
                                        ; implicit-def: $sgpr10_sgpr11
.LBB219_244:                            ;   in Loop: Header=BB219_12 Depth=1
	s_delay_alu instid0(SALU_CYCLE_1)
	s_and_not1_b32 vcc_lo, exec_lo, s4
	s_cbranch_vccnz .LBB219_246
; %bb.245:                              ;   in Loop: Header=BB219_12 Depth=1
	v_cvt_f32_u32_e32 v6, s34
	s_sub_co_i32 s8, 0, s34
	s_delay_alu instid0(VALU_DEP_1) | instskip(SKIP_1) | instid1(TRANS32_DEP_1)
	v_rcp_iflag_f32_e32 v6, v6
	v_nop
	v_mul_f32_e32 v6, 0x4f7ffffe, v6
	s_delay_alu instid0(VALU_DEP_1) | instskip(NEXT) | instid1(VALU_DEP_1)
	v_cvt_u32_f32_e32 v6, v6
	v_readfirstlane_b32 s4, v6
	s_mul_i32 s8, s8, s4
	s_delay_alu instid0(SALU_CYCLE_1) | instskip(NEXT) | instid1(SALU_CYCLE_1)
	s_mul_hi_u32 s8, s4, s8
	s_add_co_i32 s4, s4, s8
	s_delay_alu instid0(SALU_CYCLE_1) | instskip(NEXT) | instid1(SALU_CYCLE_1)
	s_mul_hi_u32 s4, s60, s4
	s_mul_i32 s4, s4, s34
	s_delay_alu instid0(SALU_CYCLE_1) | instskip(NEXT) | instid1(SALU_CYCLE_1)
	s_sub_co_i32 s4, s60, s4
	s_sub_co_i32 s8, s4, s34
	s_cmp_ge_u32 s4, s34
	s_cselect_b32 s4, s8, s4
	s_delay_alu instid0(SALU_CYCLE_1) | instskip(SKIP_2) | instid1(SALU_CYCLE_1)
	s_sub_co_i32 s8, s4, s34
	s_cmp_ge_u32 s4, s34
	s_cselect_b32 s22, s8, s4
	s_mov_b64 s[10:11], s[22:23]
.LBB219_246:                            ;   in Loop: Header=BB219_12 Depth=1
	s_delay_alu instid0(SALU_CYCLE_1)
	s_sub_nc_u64 s[10:11], s[60:61], s[10:11]
	s_mov_b32 s20, exec_lo
                                        ; implicit-def: $vgpr10
	v_cmpx_gt_u64_e64 s[10:11], v[0:1]
	s_cbranch_execz .LBB219_255
; %bb.247:                              ;   in Loop: Header=BB219_12 Depth=1
	v_mov_b64_e32 v[6:7], v[0:1]
	s_mov_b32 s21, 0
                                        ; implicit-def: $sgpr22
	s_branch .LBB219_250
.LBB219_248:                            ;   in Loop: Header=BB219_250 Depth=2
	s_or_b32 exec_lo, exec_lo, s41
	s_wait_dscnt 0x0
	s_barrier_signal -1
	s_barrier_wait -1
	ds_load_b32 v10, v3 offset:3072
	s_mov_b32 s8, -1
	s_mov_b32 s4, -1
	s_wait_dscnt 0x0
	s_barrier_signal -1
	s_barrier_wait -1
	v_and_b32_e32 v11, 0x7fff, v10
	s_delay_alu instid0(VALU_DEP_1)
	v_cmp_eq_u32_e32 vcc_lo, 0, v11
	s_cbranch_vccnz .LBB219_253
.LBB219_249:                            ;   in Loop: Header=BB219_250 Depth=2
	s_and_b32 s8, exec_lo, s8
	s_delay_alu instid0(SALU_CYCLE_1) | instskip(SKIP_2) | instid1(SALU_CYCLE_1)
	s_or_b32 s21, s8, s21
	s_and_not1_b32 s8, s22, exec_lo
	s_and_b32 s4, s4, exec_lo
	s_or_b32 s22, s8, s4
	s_and_not1_b32 exec_lo, exec_lo, s21
	s_cbranch_execz .LBB219_254
.LBB219_250:                            ;   Parent Loop BB219_12 Depth=1
                                        ; =>  This Inner Loop Header: Depth=2
	s_mov_b32 s41, exec_lo
	s_delay_alu instid0(VALU_DEP_1)
	v_cmpx_gt_u64_e64 s[28:29], v[6:7]
	s_cbranch_execz .LBB219_248
; %bb.251:                              ;   in Loop: Header=BB219_250 Depth=2
	v_mul_u64_e32 v[10:11], s[26:27], v[6:7]
	s_delay_alu instid0(VALU_DEP_1)
	v_lshl_add_u64 v[10:11], v[10:11], 1, s[24:25]
	global_load_u16 v10, v[10:11], off
	s_wait_loadcnt 0x0
	v_cmp_lt_i16_e32 vcc_lo, -1, v10
	v_and_b32_e32 v11, 0xffff, v10
	v_cndmask_b32_e32 v24, 0xffff, v34, vcc_lo
	s_delay_alu instid0(VALU_DEP_1) | instskip(NEXT) | instid1(VALU_DEP_1)
	v_dual_lshlrev_b32 v25, 16, v10 :: v_dual_bitop2_b32 v11, v24, v11 bitop3:0x14
	v_cmp_o_f32_e32 vcc_lo, v25, v25
	s_delay_alu instid0(VALU_DEP_2) | instskip(NEXT) | instid1(VALU_DEP_1)
	v_cndmask_b32_e32 v11, 0xffff, v11, vcc_lo
	v_and_b32_e32 v11, v11, v9
	s_delay_alu instid0(VALU_DEP_1)
	v_cmp_eq_u32_e32 vcc_lo, v11, v8
	s_and_b32 exec_lo, exec_lo, vcc_lo
	s_cbranch_execz .LBB219_248
; %bb.252:                              ;   in Loop: Header=BB219_250 Depth=2
	v_perm_b32 v10, v10, s95, 0x5040100
	ds_store_b32 v3, v10 offset:3072
	s_branch .LBB219_248
.LBB219_253:                            ;   in Loop: Header=BB219_250 Depth=2
	v_add_nc_u64_e32 v[6:7], s[34:35], v[6:7]
	s_mov_b32 s4, 0
	s_delay_alu instid0(VALU_DEP_1)
	v_cmp_le_u64_e32 vcc_lo, s[10:11], v[6:7]
	s_or_not1_b32 s8, vcc_lo, exec_lo
	s_branch .LBB219_249
.LBB219_254:                            ;   in Loop: Header=BB219_12 Depth=1
	s_or_b32 exec_lo, exec_lo, s21
	v_lshrrev_b32_e32 v10, 16, v10
	s_and_not1_b32 s4, s43, exec_lo
	s_and_b32 s8, s22, exec_lo
	s_delay_alu instid0(SALU_CYCLE_1)
	s_or_b32 s43, s4, s8
.LBB219_255:                            ;   in Loop: Header=BB219_12 Depth=1
	s_or_b32 exec_lo, exec_lo, s20
	s_mov_b32 s41, 0
	s_mov_b32 s42, -1
.LBB219_256:                            ;   in Loop: Header=BB219_12 Depth=1
	s_or_not1_b32 s11, s43, exec_lo
.LBB219_257:                            ;   in Loop: Header=BB219_12 Depth=1
	s_or_b32 exec_lo, exec_lo, s40
	s_mov_b32 s8, 0
	s_and_saveexec_b32 s10, s11
	s_cbranch_execz .LBB219_268
; %bb.258:                              ;   in Loop: Header=BB219_12 Depth=1
	v_mov_b64_e32 v[6:7], 1
	v_mov_b32_e32 v2, 1
	s_xor_b32 s4, s39, -1
	s_delay_alu instid0(SALU_CYCLE_1)
	s_and_saveexec_b32 s11, s4
	s_cbranch_execz .LBB219_267
; %bb.259:                              ;   in Loop: Header=BB219_12 Depth=1
	s_mov_b32 s4, exec_lo
	v_cmpx_ge_u64_e64 s[18:19], v[4:5]
	s_xor_b32 s20, exec_lo, s4
	s_cbranch_execz .LBB219_264
; %bb.260:                              ;   in Loop: Header=BB219_12 Depth=1
	ds_load_b64 v[6:7], v3 offset:5120
	v_or_b32_e32 v8, s57, v8
	v_or_b32_e32 v9, s57, v9
	s_wait_dscnt 0x0
	v_cmp_ne_u64_e32 vcc_lo, 0, v[6:7]
	s_cbranch_vccnz .LBB219_264
; %bb.261:                              ;   in Loop: Header=BB219_12 Depth=1
	s_and_saveexec_b32 s4, s5
; %bb.262:                              ;   in Loop: Header=BB219_12 Depth=1
	v_mov_b64_e32 v[6:7], s[18:19]
	ds_store_b64 v3, v[6:7] offset:5128
; %bb.263:                              ;   in Loop: Header=BB219_12 Depth=1
	s_or_b32 exec_lo, exec_lo, s4
	s_wait_dscnt 0x0
	s_barrier_signal -1
	s_barrier_wait -1
.LBB219_264:                            ;   in Loop: Header=BB219_12 Depth=1
	s_and_not1_saveexec_b32 s8, s20
; %bb.265:                              ;   in Loop: Header=BB219_12 Depth=1
	v_sub_nc_u64_e64 v[4:5], v[4:5], s[18:19]
; %bb.266:                              ;   in Loop: Header=BB219_12 Depth=1
	s_or_b32 exec_lo, exec_lo, s8
	s_delay_alu instid0(VALU_DEP_1)
	v_mov_b64_e32 v[6:7], v[4:5]
	v_mov_b32_e32 v2, 8
.LBB219_267:                            ;   in Loop: Header=BB219_12 Depth=1
	s_or_b32 exec_lo, exec_lo, s11
	s_delay_alu instid0(VALU_DEP_2)
	v_mov_b64_e32 v[4:5], v[6:7]
	s_mov_b32 s8, exec_lo
.LBB219_268:                            ;   in Loop: Header=BB219_12 Depth=1
	s_or_b32 exec_lo, exec_lo, s10
	s_delay_alu instid0(SALU_CYCLE_1)
	s_or_not1_b32 s10, s8, exec_lo
.LBB219_269:                            ;   in Loop: Header=BB219_12 Depth=1
	s_or_b32 exec_lo, exec_lo, s38
	s_delay_alu instid0(VALU_DEP_1)
	v_mov_b64_e32 v[6:7], v[4:5]
	s_and_not1_b32 s4, s36, exec_lo
	s_and_b32 s8, s42, exec_lo
	s_and_not1_b32 s11, s85, exec_lo
	s_and_b32 s20, s41, exec_lo
	s_or_b32 s36, s4, s8
	s_or_b32 s85, s11, s20
	s_and_b32 s11, s10, exec_lo
.LBB219_270:                            ;   in Loop: Header=BB219_12 Depth=1
	s_or_b32 exec_lo, exec_lo, s37
	s_delay_alu instid0(SALU_CYCLE_1)
	s_or_not1_b32 s10, s11, exec_lo
.LBB219_271:                            ;   in Loop: Header=BB219_12 Depth=1
	s_or_b32 exec_lo, exec_lo, s84
	v_mov_b64_e32 v[4:5], v[6:7]
	s_and_not1_b32 s4, s82, exec_lo
	s_and_b32 s8, s36, exec_lo
	s_and_not1_b32 s11, s77, exec_lo
	s_and_b32 s20, s85, exec_lo
	s_or_b32 s82, s4, s8
	s_or_b32 s77, s11, s20
	s_and_b32 s11, s10, exec_lo
.LBB219_272:                            ;   in Loop: Header=BB219_12 Depth=1
	s_or_b32 exec_lo, exec_lo, s83
	s_delay_alu instid0(SALU_CYCLE_1)
	s_or_not1_b32 s10, s11, exec_lo
.LBB219_273:                            ;   in Loop: Header=BB219_12 Depth=1
	s_or_b32 exec_lo, exec_lo, s76
	s_mov_b32 s8, 0
	s_mov_b32 s11, 0
	s_and_saveexec_b32 s4, s10
	s_delay_alu instid0(SALU_CYCLE_1)
	s_xor_b32 s4, exec_lo, s4
; %bb.274:                              ;   in Loop: Header=BB219_12 Depth=1
	v_cmp_ne_u32_e32 vcc_lo, 8, v2
	v_cmp_eq_u32_e64 s10, 8, v2
	s_and_b32 s11, vcc_lo, exec_lo
	s_and_b32 s8, s10, exec_lo
; %bb.275:                              ;   in Loop: Header=BB219_12 Depth=1
	s_or_b32 exec_lo, exec_lo, s4
	s_delay_alu instid0(SALU_CYCLE_1)
	s_and_not1_b32 s4, s79, exec_lo
	s_and_b32 s10, s82, exec_lo
	s_and_not1_b32 s20, s78, exec_lo
	s_and_b32 s21, s77, exec_lo
	s_or_b32 s79, s4, s10
	s_or_b32 s78, s20, s21
	s_and_b32 s76, s11, exec_lo
	s_and_b32 s77, s8, exec_lo
.LBB219_276:                            ;   in Loop: Header=BB219_12 Depth=1
	s_or_b32 exec_lo, exec_lo, s81
.LBB219_277:                            ;   in Loop: Header=BB219_12 Depth=1
	s_delay_alu instid0(SALU_CYCLE_1)
	s_and_b32 vcc_lo, exec_lo, s80
	s_cbranch_vccz .LBB219_293
; %bb.278:                              ;   in Loop: Header=BB219_12 Depth=1
	s_cmp_eq_u64 s[18:19], 1
	s_mov_b32 s10, -1
	s_cselect_b32 s4, -1, 0
                                        ; implicit-def: $sgpr80
                                        ; implicit-def: $sgpr75
	s_delay_alu instid0(SALU_CYCLE_1) | instskip(NEXT) | instid1(SALU_CYCLE_1)
	s_and_b32 s9, s4, s9
	s_and_saveexec_b32 s36, s9
	s_cbranch_execz .LBB219_311
; %bb.279:                              ;   in Loop: Header=BB219_12 Depth=1
	ds_load_b64 v[4:5], v3 offset:5120
	s_wait_dscnt 0x0
	s_barrier_signal -1
	s_barrier_wait -1
	v_readfirstlane_b32 s10, v4
	v_readfirstlane_b32 s11, v5
	s_and_saveexec_b32 s4, s6
; %bb.280:                              ;   in Loop: Header=BB219_12 Depth=1
	ds_store_b16 v29, v3
; %bb.281:                              ;   in Loop: Header=BB219_12 Depth=1
	s_or_b32 exec_lo, exec_lo, s4
	v_or_b32_e32 v31, s57, v31
	v_or_b32_e32 v35, s57, v35
	s_mov_b32 s75, -1
	s_mov_b32 s80, 0
	s_cmp_eq_u64 s[10:11], 0
	s_mov_b32 s37, 0
	s_mov_b32 s22, -1
	s_wait_dscnt 0x0
	s_barrier_signal -1
	s_barrier_wait -1
                                        ; implicit-def: $vgpr36
	s_cbranch_scc1 .LBB219_296
; %bb.282:                              ;   in Loop: Header=BB219_12 Depth=1
	s_add_nc_u64 s[20:21], s[10:11], s[58:59]
	s_delay_alu instid0(SALU_CYCLE_1) | instskip(NEXT) | instid1(SALU_CYCLE_1)
	s_and_b64 s[38:39], s[20:21], 0xffffffff00000000
	s_cmp_lg_u64 s[38:39], 0
	s_cbranch_scc0 .LBB219_337
; %bb.283:                              ;   in Loop: Header=BB219_12 Depth=1
	s_cvt_f32_u32 s4, s34
	s_sub_nc_u64 s[40:41], 0, s[34:35]
	s_delay_alu instid0(SALU_CYCLE_2) | instskip(NEXT) | instid1(SALU_CYCLE_3)
	s_fmamk_f32 s4, s94, 0x0, s4
	v_s_rcp_f32 s4, s4
	s_delay_alu instid0(TRANS32_DEP_1) | instskip(NEXT) | instid1(SALU_CYCLE_3)
	s_mul_f32 s4, s4, 0x5f7ffffc
	s_mul_f32 s8, s4, 0x2f800000
	s_delay_alu instid0(SALU_CYCLE_3) | instskip(NEXT) | instid1(SALU_CYCLE_3)
	s_trunc_f32 s8, s8
	s_fmamk_f32 s4, s8, 0xcf800000, s4
	s_cvt_u32_f32 s39, s8
	s_delay_alu instid0(SALU_CYCLE_2) | instskip(NEXT) | instid1(SALU_CYCLE_3)
	s_cvt_u32_f32 s38, s4
	s_mul_u64 s[42:43], s[40:41], s[38:39]
	s_delay_alu instid0(SALU_CYCLE_1)
	s_mul_hi_u32 s73, s38, s43
	s_mul_i32 s72, s38, s43
	s_mul_hi_u32 s22, s38, s42
	s_mul_i32 s8, s39, s42
	s_add_nc_u64 s[72:73], s[22:23], s[72:73]
	s_mul_hi_u32 s4, s39, s42
	s_mul_hi_u32 s37, s39, s43
	s_add_co_u32 s8, s72, s8
	s_add_co_ci_u32 s22, s73, s4
	s_mul_i32 s42, s39, s43
	s_add_co_ci_u32 s43, s37, 0
	s_delay_alu instid0(SALU_CYCLE_1) | instskip(NEXT) | instid1(SALU_CYCLE_1)
	s_add_nc_u64 s[42:43], s[22:23], s[42:43]
	s_add_co_u32 s38, s38, s42
	s_cselect_b32 s4, -1, 0
	s_delay_alu instid0(SALU_CYCLE_1) | instskip(SKIP_1) | instid1(SALU_CYCLE_1)
	s_cmp_lg_u32 s4, 0
	s_add_co_ci_u32 s39, s39, s43
	s_mul_u64 s[40:41], s[40:41], s[38:39]
	s_delay_alu instid0(SALU_CYCLE_1)
	s_mul_hi_u32 s43, s38, s41
	s_mul_i32 s42, s38, s41
	s_mul_hi_u32 s22, s38, s40
	s_mul_i32 s8, s39, s40
	s_add_nc_u64 s[42:43], s[22:23], s[42:43]
	s_mul_hi_u32 s4, s39, s40
	s_mul_hi_u32 s37, s39, s41
	s_add_co_u32 s8, s42, s8
	s_add_co_ci_u32 s22, s43, s4
	s_mul_i32 s40, s39, s41
	s_add_co_ci_u32 s41, s37, 0
	s_delay_alu instid0(SALU_CYCLE_1) | instskip(NEXT) | instid1(SALU_CYCLE_1)
	s_add_nc_u64 s[40:41], s[22:23], s[40:41]
	s_add_co_u32 s4, s38, s40
	s_cselect_b32 s8, -1, 0
	s_mul_hi_u32 s22, s20, s4
	s_cmp_lg_u32 s8, 0
	s_mul_hi_u32 s8, s21, s4
	s_add_co_ci_u32 s37, s39, s41
	s_mul_i32 s4, s21, s4
	s_mul_hi_u32 s39, s20, s37
	s_mul_i32 s38, s20, s37
	s_mul_hi_u32 s41, s21, s37
	s_add_nc_u64 s[38:39], s[22:23], s[38:39]
	s_mul_i32 s40, s21, s37
	s_add_co_u32 s4, s38, s4
	s_add_co_ci_u32 s22, s39, s8
	s_add_co_ci_u32 s41, s41, 0
	s_delay_alu instid0(SALU_CYCLE_1) | instskip(NEXT) | instid1(SALU_CYCLE_1)
	s_add_nc_u64 s[38:39], s[22:23], s[40:41]
	s_and_b64 s[40:41], s[38:39], 0xffffffff00000000
	s_delay_alu instid0(SALU_CYCLE_1) | instskip(NEXT) | instid1(SALU_CYCLE_1)
	s_or_b32 s40, s40, s38
	s_mul_u64 s[38:39], s[34:35], s[40:41]
	s_delay_alu instid0(SALU_CYCLE_1) | instskip(SKIP_1) | instid1(SALU_CYCLE_1)
	s_sub_co_u32 s4, s20, s38
	s_cselect_b32 s8, -1, 0
	s_cmp_lg_u32 s8, 0
	s_sub_co_ci_u32 s8, s21, s39
	s_sub_co_u32 s22, s4, s34
	s_cselect_b32 s37, -1, 0
	s_delay_alu instid0(SALU_CYCLE_1) | instskip(SKIP_3) | instid1(SALU_CYCLE_1)
	s_cmp_lg_u32 s37, 0
	s_sub_co_ci_u32 s37, s8, 0
	s_sub_co_u32 s38, s22, s34
	s_cselect_b32 s39, -1, 0
	s_cmp_lg_u32 s39, 0
	s_sub_co_ci_u32 s39, s37, 0
	s_cmp_ge_u32 s22, s34
	s_cselect_b32 s40, -1, 0
	s_cmp_eq_u32 s37, 0
	s_cselect_b32 s40, s40, -1
	s_delay_alu instid0(SALU_CYCLE_1)
	s_cmp_lg_u32 s40, 0
	s_cselect_b32 s37, s39, s37
	s_cselect_b32 s22, s38, s22
	s_cmp_ge_u32 s4, s34
	s_cselect_b32 s38, -1, 0
	s_cmp_eq_u32 s8, 0
	s_cselect_b32 s38, s38, -1
	s_delay_alu instid0(SALU_CYCLE_1)
	s_cmp_lg_u32 s38, 0
	s_cselect_b32 s73, s37, s8
	s_cselect_b32 s72, s22, s4
	s_cbranch_execnz .LBB219_285
.LBB219_284:                            ;   in Loop: Header=BB219_12 Depth=1
	v_cvt_f32_u32_e32 v2, s34
	s_sub_co_i32 s8, 0, s34
	s_delay_alu instid0(VALU_DEP_1) | instskip(SKIP_1) | instid1(TRANS32_DEP_1)
	v_rcp_iflag_f32_e32 v2, v2
	v_nop
	v_mul_f32_e32 v2, 0x4f7ffffe, v2
	s_delay_alu instid0(VALU_DEP_1) | instskip(NEXT) | instid1(VALU_DEP_1)
	v_cvt_u32_f32_e32 v2, v2
	v_readfirstlane_b32 s4, v2
	s_mul_i32 s8, s8, s4
	s_delay_alu instid0(SALU_CYCLE_1) | instskip(NEXT) | instid1(SALU_CYCLE_1)
	s_mul_hi_u32 s8, s4, s8
	s_add_co_i32 s4, s4, s8
	s_delay_alu instid0(SALU_CYCLE_1) | instskip(NEXT) | instid1(SALU_CYCLE_1)
	s_mul_hi_u32 s4, s20, s4
	s_mul_i32 s4, s4, s34
	s_delay_alu instid0(SALU_CYCLE_1) | instskip(NEXT) | instid1(SALU_CYCLE_1)
	s_sub_co_i32 s4, s20, s4
	s_sub_co_i32 s8, s4, s34
	s_cmp_ge_u32 s4, s34
	s_cselect_b32 s4, s8, s4
	s_delay_alu instid0(SALU_CYCLE_1) | instskip(SKIP_2) | instid1(SALU_CYCLE_1)
	s_sub_co_i32 s8, s4, s34
	s_cmp_ge_u32 s4, s34
	s_cselect_b32 s22, s8, s4
	s_mov_b64 s[72:73], s[22:23]
.LBB219_285:                            ;   in Loop: Header=BB219_12 Depth=1
	s_delay_alu instid0(SALU_CYCLE_1)
	s_sub_nc_u64 s[20:21], s[20:21], s[72:73]
	s_mov_b32 s22, 0
	s_mov_b32 s37, 0
	s_mov_b32 s38, exec_lo
                                        ; implicit-def: $vgpr36
	v_cmpx_gt_u64_e64 s[20:21], v[0:1]
	s_cbranch_execz .LBB219_295
; %bb.286:                              ;   in Loop: Header=BB219_12 Depth=1
	v_mov_b64_e32 v[4:5], v[0:1]
	v_mov_b32_e32 v2, v28
                                        ; implicit-def: $sgpr39
	s_branch .LBB219_289
.LBB219_287:                            ;   in Loop: Header=BB219_289 Depth=2
	s_or_b32 exec_lo, exec_lo, s8
	s_wait_dscnt 0x0
	s_barrier_signal -1
	s_barrier_wait -1
	ds_load_b32 v6, v3 offset:3072
	s_mov_b32 s4, -1
	s_mov_b32 s8, -1
	s_wait_dscnt 0x0
	s_barrier_signal -1
	s_barrier_wait -1
	v_and_b32_e32 v7, 0x7fff, v6
	s_delay_alu instid0(VALU_DEP_1)
	v_cmp_ne_u32_e32 vcc_lo, 0, v7
	s_cbranch_vccz .LBB219_292
.LBB219_288:                            ;   in Loop: Header=BB219_289 Depth=2
	s_and_b32 s4, exec_lo, s4
	s_delay_alu instid0(SALU_CYCLE_1) | instskip(SKIP_2) | instid1(SALU_CYCLE_1)
	s_or_b32 s37, s4, s37
	s_and_not1_b32 s4, s39, exec_lo
	s_and_b32 s8, s8, exec_lo
	s_or_b32 s39, s4, s8
	s_and_not1_b32 exec_lo, exec_lo, s37
	s_cbranch_execz .LBB219_294
.LBB219_289:                            ;   Parent Loop BB219_12 Depth=1
                                        ; =>  This Inner Loop Header: Depth=2
	s_mov_b32 s8, exec_lo
	s_delay_alu instid0(VALU_DEP_2)
	v_cmpx_gt_u64_e64 s[10:11], v[4:5]
	s_cbranch_execz .LBB219_287
; %bb.290:                              ;   in Loop: Header=BB219_289 Depth=2
	ds_load_u16 v6, v2
	s_wait_dscnt 0x0
	v_cmp_lt_i16_e32 vcc_lo, -1, v6
	v_and_b32_e32 v7, 0xffff, v6
	v_cndmask_b32_e32 v8, 0xffff, v34, vcc_lo
	s_delay_alu instid0(VALU_DEP_1) | instskip(NEXT) | instid1(VALU_DEP_1)
	v_dual_lshlrev_b32 v9, 16, v6 :: v_dual_bitop2_b32 v7, v8, v7 bitop3:0x14
	v_cmp_o_f32_e32 vcc_lo, v9, v9
	s_delay_alu instid0(VALU_DEP_2) | instskip(NEXT) | instid1(VALU_DEP_1)
	v_cndmask_b32_e32 v7, 0xffff, v7, vcc_lo
	v_and_b32_e32 v7, v7, v35
	s_delay_alu instid0(VALU_DEP_1)
	v_cmp_eq_u32_e32 vcc_lo, v7, v31
	s_and_b32 exec_lo, exec_lo, vcc_lo
	s_cbranch_execz .LBB219_287
; %bb.291:                              ;   in Loop: Header=BB219_289 Depth=2
	v_perm_b32 v6, v6, s95, 0x5040100
	ds_store_b32 v3, v6 offset:3072
	s_branch .LBB219_287
.LBB219_292:                            ;   in Loop: Header=BB219_289 Depth=2
	v_add_nc_u64_e32 v[4:5], s[34:35], v[4:5]
	v_add_nc_u32_e32 v2, s93, v2
	s_mov_b32 s8, 0
	s_delay_alu instid0(VALU_DEP_2)
	v_cmp_le_u64_e32 vcc_lo, s[20:21], v[4:5]
	s_or_not1_b32 s4, vcc_lo, exec_lo
	s_branch .LBB219_288
.LBB219_293:                            ;   in Loop: Header=BB219_12 Depth=1
	v_dual_mov_b32 v31, v8 :: v_dual_mov_b32 v35, v9
	v_mov_b32_e32 v36, v10
	s_mov_b32 s80, 0
	s_and_saveexec_b32 s4, s77
	s_cbranch_execnz .LBB219_470
	s_branch .LBB219_471
.LBB219_294:                            ;   in Loop: Header=BB219_12 Depth=1
	s_or_b32 exec_lo, exec_lo, s37
	v_lshrrev_b32_e32 v36, 16, v6
	s_and_b32 s37, s39, exec_lo
.LBB219_295:                            ;   in Loop: Header=BB219_12 Depth=1
	s_or_b32 exec_lo, exec_lo, s38
.LBB219_296:                            ;   in Loop: Header=BB219_12 Depth=1
	s_delay_alu instid0(SALU_CYCLE_1)
	s_and_b32 vcc_lo, exec_lo, s22
	s_cbranch_vccz .LBB219_310
; %bb.297:                              ;   in Loop: Header=BB219_12 Depth=1
	s_and_b64 s[10:11], s[60:61], 0xffffffff00000000
	s_delay_alu instid0(SALU_CYCLE_1)
	s_cmp_lg_u64 s[10:11], 0
	s_cbranch_scc0 .LBB219_338
; %bb.298:                              ;   in Loop: Header=BB219_12 Depth=1
	s_cvt_f32_u32 s4, s34
	s_sub_nc_u64 s[20:21], 0, s[34:35]
	s_delay_alu instid0(SALU_CYCLE_2) | instskip(NEXT) | instid1(SALU_CYCLE_3)
	s_fmamk_f32 s4, s94, 0x0, s4
	v_s_rcp_f32 s4, s4
	s_delay_alu instid0(TRANS32_DEP_1) | instskip(NEXT) | instid1(SALU_CYCLE_3)
	s_mul_f32 s4, s4, 0x5f7ffffc
	s_mul_f32 s8, s4, 0x2f800000
	s_delay_alu instid0(SALU_CYCLE_3) | instskip(NEXT) | instid1(SALU_CYCLE_3)
	s_trunc_f32 s8, s8
	s_fmamk_f32 s4, s8, 0xcf800000, s4
	s_cvt_u32_f32 s11, s8
	s_delay_alu instid0(SALU_CYCLE_2) | instskip(NEXT) | instid1(SALU_CYCLE_3)
	s_cvt_u32_f32 s10, s4
	s_mul_u64 s[38:39], s[20:21], s[10:11]
	s_delay_alu instid0(SALU_CYCLE_1)
	s_mul_hi_u32 s41, s10, s39
	s_mul_i32 s40, s10, s39
	s_mul_hi_u32 s22, s10, s38
	s_mul_i32 s8, s11, s38
	s_add_nc_u64 s[40:41], s[22:23], s[40:41]
	s_mul_hi_u32 s4, s11, s38
	s_mul_hi_u32 s42, s11, s39
	s_add_co_u32 s8, s40, s8
	s_add_co_ci_u32 s22, s41, s4
	s_mul_i32 s38, s11, s39
	s_add_co_ci_u32 s39, s42, 0
	s_delay_alu instid0(SALU_CYCLE_1) | instskip(NEXT) | instid1(SALU_CYCLE_1)
	s_add_nc_u64 s[38:39], s[22:23], s[38:39]
	s_add_co_u32 s10, s10, s38
	s_cselect_b32 s4, -1, 0
	s_delay_alu instid0(SALU_CYCLE_1) | instskip(SKIP_1) | instid1(SALU_CYCLE_1)
	s_cmp_lg_u32 s4, 0
	s_add_co_ci_u32 s11, s11, s39
	s_mul_u64 s[20:21], s[20:21], s[10:11]
	s_delay_alu instid0(SALU_CYCLE_1)
	s_mul_hi_u32 s39, s10, s21
	s_mul_i32 s38, s10, s21
	s_mul_hi_u32 s22, s10, s20
	s_mul_i32 s8, s11, s20
	s_add_nc_u64 s[38:39], s[22:23], s[38:39]
	s_mul_hi_u32 s4, s11, s20
	s_mul_hi_u32 s40, s11, s21
	s_add_co_u32 s8, s38, s8
	s_add_co_ci_u32 s22, s39, s4
	s_mul_i32 s20, s11, s21
	s_add_co_ci_u32 s21, s40, 0
	s_delay_alu instid0(SALU_CYCLE_1) | instskip(NEXT) | instid1(SALU_CYCLE_1)
	s_add_nc_u64 s[20:21], s[22:23], s[20:21]
	s_add_co_u32 s4, s10, s20
	s_cselect_b32 s8, -1, 0
	s_mul_hi_u32 s22, s60, s4
	s_cmp_lg_u32 s8, 0
	s_mul_hi_u32 s8, s61, s4
	s_add_co_ci_u32 s20, s11, s21
	s_mul_i32 s4, s61, s4
	s_mul_hi_u32 s11, s60, s20
	s_mul_i32 s10, s60, s20
	s_mul_hi_u32 s21, s61, s20
	s_add_nc_u64 s[10:11], s[22:23], s[10:11]
	s_mul_i32 s20, s61, s20
	s_add_co_u32 s4, s10, s4
	s_add_co_ci_u32 s22, s11, s8
	s_add_co_ci_u32 s21, s21, 0
	s_delay_alu instid0(SALU_CYCLE_1) | instskip(NEXT) | instid1(SALU_CYCLE_1)
	s_add_nc_u64 s[10:11], s[22:23], s[20:21]
	s_and_b64 s[20:21], s[10:11], 0xffffffff00000000
	s_delay_alu instid0(SALU_CYCLE_1) | instskip(NEXT) | instid1(SALU_CYCLE_1)
	s_or_b32 s20, s20, s10
	s_mul_u64 s[10:11], s[34:35], s[20:21]
	s_delay_alu instid0(SALU_CYCLE_1) | instskip(SKIP_1) | instid1(SALU_CYCLE_1)
	s_sub_co_u32 s4, s60, s10
	s_cselect_b32 s8, -1, 0
	s_cmp_lg_u32 s8, 0
	s_sub_co_ci_u32 s8, s61, s11
	s_sub_co_u32 s10, s4, s34
	s_cselect_b32 s11, -1, 0
	s_delay_alu instid0(SALU_CYCLE_1) | instskip(SKIP_3) | instid1(SALU_CYCLE_1)
	s_cmp_lg_u32 s11, 0
	s_sub_co_ci_u32 s11, s8, 0
	s_sub_co_u32 s20, s10, s34
	s_cselect_b32 s21, -1, 0
	s_cmp_lg_u32 s21, 0
	s_sub_co_ci_u32 s21, s11, 0
	s_cmp_ge_u32 s10, s34
	s_cselect_b32 s22, -1, 0
	s_cmp_eq_u32 s11, 0
	s_cselect_b32 s22, s22, -1
	s_delay_alu instid0(SALU_CYCLE_1)
	s_cmp_lg_u32 s22, 0
	s_cselect_b32 s11, s21, s11
	s_cselect_b32 s10, s20, s10
	s_cmp_ge_u32 s4, s34
	s_cselect_b32 s20, -1, 0
	s_cmp_eq_u32 s8, 0
	s_cselect_b32 s20, s20, -1
	s_delay_alu instid0(SALU_CYCLE_1)
	s_cmp_lg_u32 s20, 0
	s_cselect_b32 s11, s11, s8
	s_cselect_b32 s10, s10, s4
	s_cbranch_execnz .LBB219_300
.LBB219_299:                            ;   in Loop: Header=BB219_12 Depth=1
	v_cvt_f32_u32_e32 v2, s34
	s_sub_co_i32 s8, 0, s34
	s_delay_alu instid0(VALU_DEP_1) | instskip(SKIP_1) | instid1(TRANS32_DEP_1)
	v_rcp_iflag_f32_e32 v2, v2
	v_nop
	v_mul_f32_e32 v2, 0x4f7ffffe, v2
	s_delay_alu instid0(VALU_DEP_1) | instskip(NEXT) | instid1(VALU_DEP_1)
	v_cvt_u32_f32_e32 v2, v2
	v_readfirstlane_b32 s4, v2
	s_mul_i32 s8, s8, s4
	s_delay_alu instid0(SALU_CYCLE_1) | instskip(NEXT) | instid1(SALU_CYCLE_1)
	s_mul_hi_u32 s8, s4, s8
	s_add_co_i32 s4, s4, s8
	s_delay_alu instid0(SALU_CYCLE_1) | instskip(NEXT) | instid1(SALU_CYCLE_1)
	s_mul_hi_u32 s4, s60, s4
	s_mul_i32 s4, s4, s34
	s_delay_alu instid0(SALU_CYCLE_1) | instskip(NEXT) | instid1(SALU_CYCLE_1)
	s_sub_co_i32 s4, s60, s4
	s_sub_co_i32 s8, s4, s34
	s_cmp_ge_u32 s4, s34
	s_cselect_b32 s4, s8, s4
	s_delay_alu instid0(SALU_CYCLE_1) | instskip(SKIP_2) | instid1(SALU_CYCLE_1)
	s_sub_co_i32 s8, s4, s34
	s_cmp_ge_u32 s4, s34
	s_cselect_b32 s22, s8, s4
	s_mov_b64 s[10:11], s[22:23]
.LBB219_300:                            ;   in Loop: Header=BB219_12 Depth=1
	s_delay_alu instid0(SALU_CYCLE_1)
	s_sub_nc_u64 s[10:11], s[60:61], s[10:11]
	s_mov_b32 s20, exec_lo
                                        ; implicit-def: $vgpr36
	v_cmpx_gt_u64_e64 s[10:11], v[0:1]
	s_cbranch_execz .LBB219_309
; %bb.301:                              ;   in Loop: Header=BB219_12 Depth=1
	v_mov_b64_e32 v[4:5], v[0:1]
	s_mov_b32 s21, 0
                                        ; implicit-def: $sgpr22
	s_branch .LBB219_304
.LBB219_302:                            ;   in Loop: Header=BB219_304 Depth=2
	s_or_b32 exec_lo, exec_lo, s38
	s_wait_dscnt 0x0
	s_barrier_signal -1
	s_barrier_wait -1
	ds_load_b32 v2, v3 offset:3072
	s_mov_b32 s8, -1
	s_mov_b32 s4, -1
	s_wait_dscnt 0x0
	s_barrier_signal -1
	s_barrier_wait -1
	v_and_b32_e32 v6, 0x7fff, v2
	s_delay_alu instid0(VALU_DEP_1)
	v_cmp_ne_u32_e32 vcc_lo, 0, v6
	s_cbranch_vccz .LBB219_307
.LBB219_303:                            ;   in Loop: Header=BB219_304 Depth=2
	s_and_b32 s8, exec_lo, s8
	s_delay_alu instid0(SALU_CYCLE_1) | instskip(SKIP_2) | instid1(SALU_CYCLE_1)
	s_or_b32 s21, s8, s21
	s_and_not1_b32 s8, s22, exec_lo
	s_and_b32 s4, s4, exec_lo
	s_or_b32 s22, s8, s4
	s_and_not1_b32 exec_lo, exec_lo, s21
	s_cbranch_execz .LBB219_308
.LBB219_304:                            ;   Parent Loop BB219_12 Depth=1
                                        ; =>  This Inner Loop Header: Depth=2
	s_mov_b32 s38, exec_lo
	s_delay_alu instid0(VALU_DEP_1)
	v_cmpx_gt_u64_e64 s[28:29], v[4:5]
	s_cbranch_execz .LBB219_302
; %bb.305:                              ;   in Loop: Header=BB219_304 Depth=2
	v_mul_u64_e32 v[6:7], s[26:27], v[4:5]
	s_delay_alu instid0(VALU_DEP_1)
	v_lshl_add_u64 v[6:7], v[6:7], 1, s[24:25]
	global_load_u16 v2, v[6:7], off
	s_wait_loadcnt 0x0
	v_cmp_lt_i16_e32 vcc_lo, -1, v2
	v_and_b32_e32 v6, 0xffff, v2
	v_lshlrev_b32_e32 v8, 16, v2
	v_cndmask_b32_e32 v7, 0xffff, v34, vcc_lo
	s_delay_alu instid0(VALU_DEP_2) | instskip(NEXT) | instid1(VALU_DEP_2)
	v_cmp_o_f32_e32 vcc_lo, v8, v8
	v_xor_b32_e32 v6, v7, v6
	s_delay_alu instid0(VALU_DEP_1) | instskip(NEXT) | instid1(VALU_DEP_1)
	v_cndmask_b32_e32 v6, 0xffff, v6, vcc_lo
	v_and_b32_e32 v6, v6, v35
	s_delay_alu instid0(VALU_DEP_1)
	v_cmp_eq_u32_e32 vcc_lo, v6, v31
	s_and_b32 exec_lo, exec_lo, vcc_lo
	s_cbranch_execz .LBB219_302
; %bb.306:                              ;   in Loop: Header=BB219_304 Depth=2
	v_perm_b32 v2, v2, s95, 0x5040100
	ds_store_b32 v3, v2 offset:3072
	s_branch .LBB219_302
.LBB219_307:                            ;   in Loop: Header=BB219_304 Depth=2
	v_add_nc_u64_e32 v[4:5], s[34:35], v[4:5]
	s_mov_b32 s4, 0
	s_delay_alu instid0(VALU_DEP_1)
	v_cmp_le_u64_e32 vcc_lo, s[10:11], v[4:5]
	s_or_not1_b32 s8, vcc_lo, exec_lo
	s_branch .LBB219_303
.LBB219_308:                            ;   in Loop: Header=BB219_12 Depth=1
	s_or_b32 exec_lo, exec_lo, s21
	v_lshrrev_b32_e32 v36, 16, v2
	s_and_not1_b32 s4, s37, exec_lo
	s_and_b32 s8, s22, exec_lo
	s_delay_alu instid0(SALU_CYCLE_1)
	s_or_b32 s37, s4, s8
.LBB219_309:                            ;   in Loop: Header=BB219_12 Depth=1
	s_or_b32 exec_lo, exec_lo, s20
	s_mov_b32 s75, 0
	s_mov_b32 s80, -1
.LBB219_310:                            ;   in Loop: Header=BB219_12 Depth=1
	s_or_not1_b32 s10, s37, exec_lo
.LBB219_311:                            ;   in Loop: Header=BB219_12 Depth=1
	s_or_b32 exec_lo, exec_lo, s36
                                        ; implicit-def: $vgpr4_vgpr5
                                        ; implicit-def: $vgpr2
	s_and_saveexec_b32 s72, s10
	s_cbranch_execz .LBB219_469
; %bb.312:                              ;   in Loop: Header=BB219_12 Depth=1
	v_mov_b64_e32 v[4:5], 1
	v_mov_b32_e32 v2, 1
	s_xor_b32 s4, s9, -1
	s_mov_b32 s11, 0
	s_and_saveexec_b32 s9, s4
	s_cbranch_execz .LBB219_321
; %bb.313:                              ;   in Loop: Header=BB219_12 Depth=1
	s_mov_b32 s4, exec_lo
	v_cmpx_ge_u64_e64 s[18:19], v[22:23]
	s_xor_b32 s10, exec_lo, s4
	s_cbranch_execz .LBB219_318
; %bb.314:                              ;   in Loop: Header=BB219_12 Depth=1
	ds_load_b64 v[4:5], v3 offset:5120
	v_or_b32_e32 v31, s57, v31
	v_or_b32_e32 v35, s57, v35
	s_wait_dscnt 0x0
	v_cmp_ne_u64_e32 vcc_lo, 0, v[4:5]
	s_cbranch_vccnz .LBB219_318
; %bb.315:                              ;   in Loop: Header=BB219_12 Depth=1
	s_and_saveexec_b32 s4, s5
; %bb.316:                              ;   in Loop: Header=BB219_12 Depth=1
	v_mov_b64_e32 v[4:5], s[18:19]
	ds_store_b64 v3, v[4:5] offset:5128
; %bb.317:                              ;   in Loop: Header=BB219_12 Depth=1
	s_or_b32 exec_lo, exec_lo, s4
	s_wait_dscnt 0x0
	s_barrier_signal -1
	s_barrier_wait -1
.LBB219_318:                            ;   in Loop: Header=BB219_12 Depth=1
	s_or_saveexec_b32 s10, s10
	v_mov_b32_e32 v2, 5
	s_mov_b32 s8, 0
	s_xor_b32 exec_lo, exec_lo, s10
; %bb.319:                              ;   in Loop: Header=BB219_12 Depth=1
	v_sub_nc_u64_e64 v[22:23], v[22:23], s[18:19]
	v_mov_b32_e32 v2, 0
	s_mov_b32 s8, exec_lo
; %bb.320:                              ;   in Loop: Header=BB219_12 Depth=1
	s_or_b32 exec_lo, exec_lo, s10
	s_delay_alu instid0(VALU_DEP_2)
	v_mov_b64_e32 v[4:5], v[22:23]
	s_and_b32 s11, s8, exec_lo
.LBB219_321:                            ;   in Loop: Header=BB219_12 Depth=1
	s_or_b32 exec_lo, exec_lo, s9
	s_mov_b32 s10, -1
                                        ; implicit-def: $sgpr73
                                        ; implicit-def: $sgpr78
	s_and_saveexec_b32 s4, s11
	s_delay_alu instid0(SALU_CYCLE_1)
	s_xor_b32 s9, exec_lo, s4
	s_cbranch_execz .LBB219_466
; %bb.322:                              ;   in Loop: Header=BB219_12 Depth=1
	v_cmp_eq_u64_e32 vcc_lo, 1, v[4:5]
	s_cmp_eq_u64 s[16:17], 1
                                        ; implicit-def: $sgpr78
                                        ; implicit-def: $sgpr73
	s_cselect_b32 s4, -1, 0
	s_delay_alu instid0(SALU_CYCLE_1) | instskip(NEXT) | instid1(SALU_CYCLE_1)
	s_and_b32 s36, s4, vcc_lo
	s_and_saveexec_b32 s37, s36
	s_cbranch_execz .LBB219_356
; %bb.323:                              ;   in Loop: Header=BB219_12 Depth=1
	ds_load_b64 v[6:7], v3 offset:5120
	s_wait_dscnt 0x0
	s_barrier_signal -1
	s_barrier_wait -1
	v_readfirstlane_b32 s10, v6
	v_readfirstlane_b32 s11, v7
	s_and_saveexec_b32 s4, s6
; %bb.324:                              ;   in Loop: Header=BB219_12 Depth=1
	ds_store_b16 v29, v3
; %bb.325:                              ;   in Loop: Header=BB219_12 Depth=1
	s_or_b32 exec_lo, exec_lo, s4
	s_lshl_b32 s4, 2, s96
	v_or_b32_e32 v35, s57, v35
	v_and_or_b32 v31, v31, s74, s4
	s_mov_b32 s73, -1
	s_mov_b32 s78, 0
	s_cmp_eq_u64 s[10:11], 0
	s_mov_b32 s20, 0
	s_mov_b32 s21, -1
	s_wait_dscnt 0x0
	s_barrier_signal -1
	s_barrier_wait -1
                                        ; implicit-def: $vgpr36
	s_cbranch_scc1 .LBB219_341
; %bb.326:                              ;   in Loop: Header=BB219_12 Depth=1
	s_add_nc_u64 s[18:19], s[10:11], s[58:59]
	s_delay_alu instid0(SALU_CYCLE_1) | instskip(NEXT) | instid1(SALU_CYCLE_1)
	s_and_b64 s[20:21], s[18:19], 0xffffffff00000000
	s_cmp_lg_u64 s[20:21], 0
	s_cbranch_scc0 .LBB219_382
; %bb.327:                              ;   in Loop: Header=BB219_12 Depth=1
	s_cvt_f32_u32 s4, s34
	s_sub_nc_u64 s[38:39], 0, s[34:35]
	s_delay_alu instid0(SALU_CYCLE_2) | instskip(NEXT) | instid1(SALU_CYCLE_3)
	s_fmamk_f32 s4, s94, 0x0, s4
	v_s_rcp_f32 s4, s4
	s_delay_alu instid0(TRANS32_DEP_1) | instskip(NEXT) | instid1(SALU_CYCLE_3)
	s_mul_f32 s4, s4, 0x5f7ffffc
	s_mul_f32 s8, s4, 0x2f800000
	s_delay_alu instid0(SALU_CYCLE_3) | instskip(NEXT) | instid1(SALU_CYCLE_3)
	s_trunc_f32 s8, s8
	s_fmamk_f32 s4, s8, 0xcf800000, s4
	s_cvt_u32_f32 s21, s8
	s_delay_alu instid0(SALU_CYCLE_2) | instskip(NEXT) | instid1(SALU_CYCLE_3)
	s_cvt_u32_f32 s20, s4
	s_mul_u64 s[40:41], s[38:39], s[20:21]
	s_delay_alu instid0(SALU_CYCLE_1)
	s_mul_hi_u32 s43, s20, s41
	s_mul_i32 s42, s20, s41
	s_mul_hi_u32 s22, s20, s40
	s_mul_i32 s8, s21, s40
	s_add_nc_u64 s[42:43], s[22:23], s[42:43]
	s_mul_hi_u32 s4, s21, s40
	s_mul_hi_u32 s46, s21, s41
	s_add_co_u32 s8, s42, s8
	s_add_co_ci_u32 s22, s43, s4
	s_mul_i32 s40, s21, s41
	s_add_co_ci_u32 s41, s46, 0
	s_delay_alu instid0(SALU_CYCLE_1) | instskip(NEXT) | instid1(SALU_CYCLE_1)
	s_add_nc_u64 s[40:41], s[22:23], s[40:41]
	s_add_co_u32 s20, s20, s40
	s_cselect_b32 s4, -1, 0
	s_delay_alu instid0(SALU_CYCLE_1) | instskip(SKIP_1) | instid1(SALU_CYCLE_1)
	s_cmp_lg_u32 s4, 0
	s_add_co_ci_u32 s21, s21, s41
	s_mul_u64 s[38:39], s[38:39], s[20:21]
	s_delay_alu instid0(SALU_CYCLE_1)
	s_mul_hi_u32 s41, s20, s39
	s_mul_i32 s40, s20, s39
	s_mul_hi_u32 s22, s20, s38
	s_mul_i32 s8, s21, s38
	s_add_nc_u64 s[40:41], s[22:23], s[40:41]
	s_mul_hi_u32 s4, s21, s38
	s_mul_hi_u32 s42, s21, s39
	s_add_co_u32 s8, s40, s8
	s_add_co_ci_u32 s22, s41, s4
	s_mul_i32 s38, s21, s39
	s_add_co_ci_u32 s39, s42, 0
	s_delay_alu instid0(SALU_CYCLE_1) | instskip(NEXT) | instid1(SALU_CYCLE_1)
	s_add_nc_u64 s[38:39], s[22:23], s[38:39]
	s_add_co_u32 s4, s20, s38
	s_cselect_b32 s8, -1, 0
	s_mul_hi_u32 s22, s18, s4
	s_cmp_lg_u32 s8, 0
	s_mul_hi_u32 s8, s19, s4
	s_add_co_ci_u32 s38, s21, s39
	s_mul_i32 s4, s19, s4
	s_mul_hi_u32 s21, s18, s38
	s_mul_i32 s20, s18, s38
	s_mul_hi_u32 s39, s19, s38
	s_add_nc_u64 s[20:21], s[22:23], s[20:21]
	s_mul_i32 s38, s19, s38
	s_add_co_u32 s4, s20, s4
	s_add_co_ci_u32 s22, s21, s8
	s_add_co_ci_u32 s39, s39, 0
	s_delay_alu instid0(SALU_CYCLE_1) | instskip(NEXT) | instid1(SALU_CYCLE_1)
	s_add_nc_u64 s[20:21], s[22:23], s[38:39]
	s_and_b64 s[38:39], s[20:21], 0xffffffff00000000
	s_delay_alu instid0(SALU_CYCLE_1) | instskip(NEXT) | instid1(SALU_CYCLE_1)
	s_or_b32 s38, s38, s20
	s_mul_u64 s[20:21], s[34:35], s[38:39]
	s_delay_alu instid0(SALU_CYCLE_1) | instskip(SKIP_1) | instid1(SALU_CYCLE_1)
	s_sub_co_u32 s4, s18, s20
	s_cselect_b32 s8, -1, 0
	s_cmp_lg_u32 s8, 0
	s_sub_co_ci_u32 s8, s19, s21
	s_sub_co_u32 s20, s4, s34
	s_cselect_b32 s21, -1, 0
	s_delay_alu instid0(SALU_CYCLE_1) | instskip(SKIP_3) | instid1(SALU_CYCLE_1)
	s_cmp_lg_u32 s21, 0
	s_sub_co_ci_u32 s21, s8, 0
	s_sub_co_u32 s22, s20, s34
	s_cselect_b32 s38, -1, 0
	s_cmp_lg_u32 s38, 0
	s_sub_co_ci_u32 s38, s21, 0
	s_cmp_ge_u32 s20, s34
	s_cselect_b32 s39, -1, 0
	s_cmp_eq_u32 s21, 0
	s_cselect_b32 s39, s39, -1
	s_delay_alu instid0(SALU_CYCLE_1)
	s_cmp_lg_u32 s39, 0
	s_cselect_b32 s21, s38, s21
	s_cselect_b32 s20, s22, s20
	s_cmp_ge_u32 s4, s34
	s_cselect_b32 s22, -1, 0
	s_cmp_eq_u32 s8, 0
	s_cselect_b32 s22, s22, -1
	s_delay_alu instid0(SALU_CYCLE_1)
	s_cmp_lg_u32 s22, 0
	s_cselect_b32 s21, s21, s8
	s_cselect_b32 s20, s20, s4
	s_cbranch_execnz .LBB219_329
.LBB219_328:                            ;   in Loop: Header=BB219_12 Depth=1
	v_cvt_f32_u32_e32 v6, s34
	s_sub_co_i32 s8, 0, s34
	s_delay_alu instid0(VALU_DEP_1) | instskip(SKIP_1) | instid1(TRANS32_DEP_1)
	v_rcp_iflag_f32_e32 v6, v6
	v_nop
	v_mul_f32_e32 v6, 0x4f7ffffe, v6
	s_delay_alu instid0(VALU_DEP_1) | instskip(NEXT) | instid1(VALU_DEP_1)
	v_cvt_u32_f32_e32 v6, v6
	v_readfirstlane_b32 s4, v6
	s_mul_i32 s8, s8, s4
	s_delay_alu instid0(SALU_CYCLE_1) | instskip(NEXT) | instid1(SALU_CYCLE_1)
	s_mul_hi_u32 s8, s4, s8
	s_add_co_i32 s4, s4, s8
	s_delay_alu instid0(SALU_CYCLE_1) | instskip(NEXT) | instid1(SALU_CYCLE_1)
	s_mul_hi_u32 s4, s18, s4
	s_mul_i32 s4, s4, s34
	s_delay_alu instid0(SALU_CYCLE_1) | instskip(NEXT) | instid1(SALU_CYCLE_1)
	s_sub_co_i32 s4, s18, s4
	s_sub_co_i32 s8, s4, s34
	s_cmp_ge_u32 s4, s34
	s_cselect_b32 s4, s8, s4
	s_delay_alu instid0(SALU_CYCLE_1) | instskip(SKIP_2) | instid1(SALU_CYCLE_1)
	s_sub_co_i32 s8, s4, s34
	s_cmp_ge_u32 s4, s34
	s_cselect_b32 s22, s8, s4
	s_mov_b64 s[20:21], s[22:23]
.LBB219_329:                            ;   in Loop: Header=BB219_12 Depth=1
	s_delay_alu instid0(SALU_CYCLE_1)
	s_sub_nc_u64 s[18:19], s[18:19], s[20:21]
	s_mov_b32 s21, 0
	s_mov_b32 s20, 0
	s_mov_b32 s22, exec_lo
                                        ; implicit-def: $vgpr36
	v_cmpx_gt_u64_e64 s[18:19], v[0:1]
	s_cbranch_execz .LBB219_340
; %bb.330:                              ;   in Loop: Header=BB219_12 Depth=1
	v_mov_b64_e32 v[6:7], v[0:1]
	v_mov_b32_e32 v8, v28
                                        ; implicit-def: $sgpr38
	s_branch .LBB219_333
.LBB219_331:                            ;   in Loop: Header=BB219_333 Depth=2
	s_or_b32 exec_lo, exec_lo, s39
	s_wait_dscnt 0x0
	s_barrier_signal -1
	s_barrier_wait -1
	ds_load_b32 v9, v3 offset:3072
	s_mov_b32 s4, -1
	s_mov_b32 s8, -1
	s_wait_dscnt 0x0
	s_barrier_signal -1
	s_barrier_wait -1
	v_and_b32_e32 v10, 0x7fff, v9
	s_delay_alu instid0(VALU_DEP_1)
	v_cmp_ne_u32_e32 vcc_lo, 0, v10
	s_cbranch_vccz .LBB219_336
.LBB219_332:                            ;   in Loop: Header=BB219_333 Depth=2
	s_and_b32 s4, exec_lo, s4
	s_delay_alu instid0(SALU_CYCLE_1) | instskip(SKIP_2) | instid1(SALU_CYCLE_1)
	s_or_b32 s20, s4, s20
	s_and_not1_b32 s4, s38, exec_lo
	s_and_b32 s8, s8, exec_lo
	s_or_b32 s38, s4, s8
	s_and_not1_b32 exec_lo, exec_lo, s20
	s_cbranch_execz .LBB219_339
.LBB219_333:                            ;   Parent Loop BB219_12 Depth=1
                                        ; =>  This Inner Loop Header: Depth=2
	s_mov_b32 s39, exec_lo
	s_delay_alu instid0(VALU_DEP_2)
	v_cmpx_gt_u64_e64 s[10:11], v[6:7]
	s_cbranch_execz .LBB219_331
; %bb.334:                              ;   in Loop: Header=BB219_333 Depth=2
	ds_load_u16 v9, v8
	s_wait_dscnt 0x0
	v_cmp_lt_i16_e32 vcc_lo, -1, v9
	v_and_b32_e32 v10, 0xffff, v9
	v_dual_cndmask_b32 v11, 0xffff, v34 :: v_dual_lshlrev_b32 v22, 16, v9
	s_delay_alu instid0(VALU_DEP_1) | instskip(NEXT) | instid1(VALU_DEP_2)
	v_cmp_o_f32_e32 vcc_lo, v22, v22
	v_xor_b32_e32 v10, v11, v10
	s_delay_alu instid0(VALU_DEP_1) | instskip(NEXT) | instid1(VALU_DEP_1)
	v_cndmask_b32_e32 v10, 0xffff, v10, vcc_lo
	v_and_b32_e32 v10, v10, v35
	s_delay_alu instid0(VALU_DEP_1)
	v_cmp_eq_u32_e32 vcc_lo, v10, v31
	s_and_b32 exec_lo, exec_lo, vcc_lo
	s_cbranch_execz .LBB219_331
; %bb.335:                              ;   in Loop: Header=BB219_333 Depth=2
	v_perm_b32 v9, v9, s95, 0x5040100
	ds_store_b32 v3, v9 offset:3072
	s_branch .LBB219_331
.LBB219_336:                            ;   in Loop: Header=BB219_333 Depth=2
	v_add_nc_u64_e32 v[6:7], s[34:35], v[6:7]
	v_add_nc_u32_e32 v8, s93, v8
	s_mov_b32 s8, 0
	s_delay_alu instid0(VALU_DEP_2)
	v_cmp_le_u64_e32 vcc_lo, s[18:19], v[6:7]
	s_or_not1_b32 s4, vcc_lo, exec_lo
	s_branch .LBB219_332
.LBB219_337:                            ;   in Loop: Header=BB219_12 Depth=1
                                        ; implicit-def: $sgpr72_sgpr73
	s_branch .LBB219_284
.LBB219_338:                            ;   in Loop: Header=BB219_12 Depth=1
                                        ; implicit-def: $sgpr10_sgpr11
	s_branch .LBB219_299
.LBB219_339:                            ;   in Loop: Header=BB219_12 Depth=1
	s_or_b32 exec_lo, exec_lo, s20
	v_lshrrev_b32_e32 v36, 16, v9
	s_and_b32 s20, s38, exec_lo
.LBB219_340:                            ;   in Loop: Header=BB219_12 Depth=1
	s_or_b32 exec_lo, exec_lo, s22
.LBB219_341:                            ;   in Loop: Header=BB219_12 Depth=1
	s_delay_alu instid0(SALU_CYCLE_1)
	s_and_b32 vcc_lo, exec_lo, s21
	s_cbranch_vccz .LBB219_355
; %bb.342:                              ;   in Loop: Header=BB219_12 Depth=1
	s_and_b64 s[10:11], s[60:61], 0xffffffff00000000
	s_delay_alu instid0(SALU_CYCLE_1)
	s_cmp_lg_u64 s[10:11], 0
	s_cbranch_scc0 .LBB219_383
; %bb.343:                              ;   in Loop: Header=BB219_12 Depth=1
	s_cvt_f32_u32 s4, s34
	s_sub_nc_u64 s[18:19], 0, s[34:35]
	s_delay_alu instid0(SALU_CYCLE_2) | instskip(NEXT) | instid1(SALU_CYCLE_3)
	s_fmamk_f32 s4, s94, 0x0, s4
	v_s_rcp_f32 s4, s4
	s_delay_alu instid0(TRANS32_DEP_1) | instskip(NEXT) | instid1(SALU_CYCLE_3)
	s_mul_f32 s4, s4, 0x5f7ffffc
	s_mul_f32 s8, s4, 0x2f800000
	s_delay_alu instid0(SALU_CYCLE_3) | instskip(NEXT) | instid1(SALU_CYCLE_3)
	s_trunc_f32 s8, s8
	s_fmamk_f32 s4, s8, 0xcf800000, s4
	s_cvt_u32_f32 s11, s8
	s_delay_alu instid0(SALU_CYCLE_2) | instskip(NEXT) | instid1(SALU_CYCLE_3)
	s_cvt_u32_f32 s10, s4
	s_mul_u64 s[38:39], s[18:19], s[10:11]
	s_delay_alu instid0(SALU_CYCLE_1)
	s_mul_hi_u32 s41, s10, s39
	s_mul_i32 s40, s10, s39
	s_mul_hi_u32 s22, s10, s38
	s_mul_i32 s8, s11, s38
	s_add_nc_u64 s[40:41], s[22:23], s[40:41]
	s_mul_hi_u32 s4, s11, s38
	s_mul_hi_u32 s21, s11, s39
	s_add_co_u32 s8, s40, s8
	s_add_co_ci_u32 s22, s41, s4
	s_mul_i32 s38, s11, s39
	s_add_co_ci_u32 s39, s21, 0
	s_delay_alu instid0(SALU_CYCLE_1) | instskip(NEXT) | instid1(SALU_CYCLE_1)
	s_add_nc_u64 s[38:39], s[22:23], s[38:39]
	s_add_co_u32 s10, s10, s38
	s_cselect_b32 s4, -1, 0
	s_delay_alu instid0(SALU_CYCLE_1) | instskip(SKIP_1) | instid1(SALU_CYCLE_1)
	s_cmp_lg_u32 s4, 0
	s_add_co_ci_u32 s11, s11, s39
	s_mul_u64 s[18:19], s[18:19], s[10:11]
	s_delay_alu instid0(SALU_CYCLE_1)
	s_mul_hi_u32 s39, s10, s19
	s_mul_i32 s38, s10, s19
	s_mul_hi_u32 s22, s10, s18
	s_mul_i32 s8, s11, s18
	s_add_nc_u64 s[38:39], s[22:23], s[38:39]
	s_mul_hi_u32 s4, s11, s18
	s_mul_hi_u32 s21, s11, s19
	s_add_co_u32 s8, s38, s8
	s_add_co_ci_u32 s22, s39, s4
	s_mul_i32 s18, s11, s19
	s_add_co_ci_u32 s19, s21, 0
	s_delay_alu instid0(SALU_CYCLE_1) | instskip(NEXT) | instid1(SALU_CYCLE_1)
	s_add_nc_u64 s[18:19], s[22:23], s[18:19]
	s_add_co_u32 s4, s10, s18
	s_cselect_b32 s8, -1, 0
	s_mul_hi_u32 s22, s60, s4
	s_cmp_lg_u32 s8, 0
	s_mul_hi_u32 s8, s61, s4
	s_add_co_ci_u32 s18, s11, s19
	s_mul_i32 s4, s61, s4
	s_mul_hi_u32 s11, s60, s18
	s_mul_i32 s10, s60, s18
	s_mul_hi_u32 s19, s61, s18
	s_add_nc_u64 s[10:11], s[22:23], s[10:11]
	s_mul_i32 s18, s61, s18
	s_add_co_u32 s4, s10, s4
	s_add_co_ci_u32 s22, s11, s8
	s_add_co_ci_u32 s19, s19, 0
	s_delay_alu instid0(SALU_CYCLE_1) | instskip(NEXT) | instid1(SALU_CYCLE_1)
	s_add_nc_u64 s[10:11], s[22:23], s[18:19]
	s_and_b64 s[18:19], s[10:11], 0xffffffff00000000
	s_delay_alu instid0(SALU_CYCLE_1) | instskip(NEXT) | instid1(SALU_CYCLE_1)
	s_or_b32 s18, s18, s10
	s_mul_u64 s[10:11], s[34:35], s[18:19]
	s_delay_alu instid0(SALU_CYCLE_1) | instskip(SKIP_1) | instid1(SALU_CYCLE_1)
	s_sub_co_u32 s4, s60, s10
	s_cselect_b32 s8, -1, 0
	s_cmp_lg_u32 s8, 0
	s_sub_co_ci_u32 s8, s61, s11
	s_sub_co_u32 s10, s4, s34
	s_cselect_b32 s11, -1, 0
	s_delay_alu instid0(SALU_CYCLE_1) | instskip(SKIP_3) | instid1(SALU_CYCLE_1)
	s_cmp_lg_u32 s11, 0
	s_sub_co_ci_u32 s11, s8, 0
	s_sub_co_u32 s18, s10, s34
	s_cselect_b32 s19, -1, 0
	s_cmp_lg_u32 s19, 0
	s_sub_co_ci_u32 s19, s11, 0
	s_cmp_ge_u32 s10, s34
	s_cselect_b32 s21, -1, 0
	s_cmp_eq_u32 s11, 0
	s_cselect_b32 s21, s21, -1
	s_delay_alu instid0(SALU_CYCLE_1)
	s_cmp_lg_u32 s21, 0
	s_cselect_b32 s11, s19, s11
	s_cselect_b32 s10, s18, s10
	s_cmp_ge_u32 s4, s34
	s_cselect_b32 s18, -1, 0
	s_cmp_eq_u32 s8, 0
	s_cselect_b32 s18, s18, -1
	s_delay_alu instid0(SALU_CYCLE_1)
	s_cmp_lg_u32 s18, 0
	s_cselect_b32 s11, s11, s8
	s_cselect_b32 s10, s10, s4
	s_cbranch_execnz .LBB219_345
.LBB219_344:                            ;   in Loop: Header=BB219_12 Depth=1
	v_cvt_f32_u32_e32 v6, s34
	s_sub_co_i32 s8, 0, s34
	s_delay_alu instid0(VALU_DEP_1) | instskip(SKIP_1) | instid1(TRANS32_DEP_1)
	v_rcp_iflag_f32_e32 v6, v6
	v_nop
	v_mul_f32_e32 v6, 0x4f7ffffe, v6
	s_delay_alu instid0(VALU_DEP_1) | instskip(NEXT) | instid1(VALU_DEP_1)
	v_cvt_u32_f32_e32 v6, v6
	v_readfirstlane_b32 s4, v6
	s_mul_i32 s8, s8, s4
	s_delay_alu instid0(SALU_CYCLE_1) | instskip(NEXT) | instid1(SALU_CYCLE_1)
	s_mul_hi_u32 s8, s4, s8
	s_add_co_i32 s4, s4, s8
	s_delay_alu instid0(SALU_CYCLE_1) | instskip(NEXT) | instid1(SALU_CYCLE_1)
	s_mul_hi_u32 s4, s60, s4
	s_mul_i32 s4, s4, s34
	s_delay_alu instid0(SALU_CYCLE_1) | instskip(NEXT) | instid1(SALU_CYCLE_1)
	s_sub_co_i32 s4, s60, s4
	s_sub_co_i32 s8, s4, s34
	s_cmp_ge_u32 s4, s34
	s_cselect_b32 s4, s8, s4
	s_delay_alu instid0(SALU_CYCLE_1) | instskip(SKIP_2) | instid1(SALU_CYCLE_1)
	s_sub_co_i32 s8, s4, s34
	s_cmp_ge_u32 s4, s34
	s_cselect_b32 s22, s8, s4
	s_mov_b64 s[10:11], s[22:23]
.LBB219_345:                            ;   in Loop: Header=BB219_12 Depth=1
	s_delay_alu instid0(SALU_CYCLE_1)
	s_sub_nc_u64 s[10:11], s[60:61], s[10:11]
	s_mov_b32 s18, exec_lo
                                        ; implicit-def: $vgpr36
	v_cmpx_gt_u64_e64 s[10:11], v[0:1]
	s_cbranch_execz .LBB219_354
; %bb.346:                              ;   in Loop: Header=BB219_12 Depth=1
	v_mov_b64_e32 v[6:7], v[0:1]
	s_mov_b32 s19, 0
                                        ; implicit-def: $sgpr21
	s_branch .LBB219_349
.LBB219_347:                            ;   in Loop: Header=BB219_349 Depth=2
	s_or_b32 exec_lo, exec_lo, s22
	s_wait_dscnt 0x0
	s_barrier_signal -1
	s_barrier_wait -1
	ds_load_b32 v8, v3 offset:3072
	s_mov_b32 s8, -1
	s_mov_b32 s4, -1
	s_wait_dscnt 0x0
	s_barrier_signal -1
	s_barrier_wait -1
	v_and_b32_e32 v9, 0x7fff, v8
	s_delay_alu instid0(VALU_DEP_1)
	v_cmp_eq_u32_e32 vcc_lo, 0, v9
	s_cbranch_vccnz .LBB219_352
.LBB219_348:                            ;   in Loop: Header=BB219_349 Depth=2
	s_and_b32 s8, exec_lo, s8
	s_delay_alu instid0(SALU_CYCLE_1) | instskip(SKIP_2) | instid1(SALU_CYCLE_1)
	s_or_b32 s19, s8, s19
	s_and_not1_b32 s8, s21, exec_lo
	s_and_b32 s4, s4, exec_lo
	s_or_b32 s21, s8, s4
	s_and_not1_b32 exec_lo, exec_lo, s19
	s_cbranch_execz .LBB219_353
.LBB219_349:                            ;   Parent Loop BB219_12 Depth=1
                                        ; =>  This Inner Loop Header: Depth=2
	s_mov_b32 s22, exec_lo
	s_delay_alu instid0(VALU_DEP_1)
	v_cmpx_gt_u64_e64 s[28:29], v[6:7]
	s_cbranch_execz .LBB219_347
; %bb.350:                              ;   in Loop: Header=BB219_349 Depth=2
	v_mul_u64_e32 v[8:9], s[26:27], v[6:7]
	s_delay_alu instid0(VALU_DEP_1)
	v_lshl_add_u64 v[8:9], v[8:9], 1, s[24:25]
	global_load_u16 v8, v[8:9], off
	s_wait_loadcnt 0x0
	v_cmp_lt_i16_e32 vcc_lo, -1, v8
	v_and_b32_e32 v9, 0xffff, v8
	v_dual_cndmask_b32 v10, 0xffff, v34 :: v_dual_lshlrev_b32 v11, 16, v8
	s_delay_alu instid0(VALU_DEP_1) | instskip(NEXT) | instid1(VALU_DEP_2)
	v_cmp_o_f32_e32 vcc_lo, v11, v11
	v_xor_b32_e32 v9, v10, v9
	s_delay_alu instid0(VALU_DEP_1) | instskip(NEXT) | instid1(VALU_DEP_1)
	v_cndmask_b32_e32 v9, 0xffff, v9, vcc_lo
	v_and_b32_e32 v9, v9, v35
	s_delay_alu instid0(VALU_DEP_1)
	v_cmp_eq_u32_e32 vcc_lo, v9, v31
	s_and_b32 exec_lo, exec_lo, vcc_lo
	s_cbranch_execz .LBB219_347
; %bb.351:                              ;   in Loop: Header=BB219_349 Depth=2
	v_perm_b32 v8, v8, s95, 0x5040100
	ds_store_b32 v3, v8 offset:3072
	s_branch .LBB219_347
.LBB219_352:                            ;   in Loop: Header=BB219_349 Depth=2
	v_add_nc_u64_e32 v[6:7], s[34:35], v[6:7]
	s_mov_b32 s4, 0
	s_delay_alu instid0(VALU_DEP_1)
	v_cmp_le_u64_e32 vcc_lo, s[10:11], v[6:7]
	s_or_not1_b32 s8, vcc_lo, exec_lo
	s_branch .LBB219_348
.LBB219_353:                            ;   in Loop: Header=BB219_12 Depth=1
	s_or_b32 exec_lo, exec_lo, s19
	v_lshrrev_b32_e32 v36, 16, v8
	s_and_not1_b32 s4, s20, exec_lo
	s_and_b32 s8, s21, exec_lo
	s_delay_alu instid0(SALU_CYCLE_1)
	s_or_b32 s20, s4, s8
.LBB219_354:                            ;   in Loop: Header=BB219_12 Depth=1
	s_or_b32 exec_lo, exec_lo, s18
	s_mov_b32 s73, 0
	s_mov_b32 s78, -1
.LBB219_355:                            ;   in Loop: Header=BB219_12 Depth=1
	s_or_not1_b32 s10, s20, exec_lo
.LBB219_356:                            ;   in Loop: Header=BB219_12 Depth=1
	s_or_b32 exec_lo, exec_lo, s37
	s_mov_b32 s11, 0
	s_and_saveexec_b32 s20, s10
	s_cbranch_execz .LBB219_465
; %bb.357:                              ;   in Loop: Header=BB219_12 Depth=1
	v_mov_b64_e32 v[6:7], 1
	v_mov_b32_e32 v2, 1
	s_xor_b32 s4, s36, -1
	s_delay_alu instid0(SALU_CYCLE_1)
	s_and_saveexec_b32 s10, s4
	s_cbranch_execz .LBB219_366
; %bb.358:                              ;   in Loop: Header=BB219_12 Depth=1
	s_mov_b32 s4, exec_lo
	v_cmpx_ge_u64_e64 s[16:17], v[4:5]
	s_xor_b32 s11, exec_lo, s4
	s_cbranch_execz .LBB219_363
; %bb.359:                              ;   in Loop: Header=BB219_12 Depth=1
	ds_load_b64 v[6:7], v3 offset:5120
	s_lshl_b32 s4, 2, s96
	v_or_b32_e32 v35, s57, v35
	v_and_or_b32 v31, v31, s74, s4
	s_wait_dscnt 0x0
	v_cmp_ne_u64_e32 vcc_lo, 0, v[6:7]
	s_cbranch_vccnz .LBB219_363
; %bb.360:                              ;   in Loop: Header=BB219_12 Depth=1
	s_and_saveexec_b32 s4, s5
; %bb.361:                              ;   in Loop: Header=BB219_12 Depth=1
	v_mov_b64_e32 v[6:7], s[16:17]
	ds_store_b64 v3, v[6:7] offset:5128
; %bb.362:                              ;   in Loop: Header=BB219_12 Depth=1
	s_or_b32 exec_lo, exec_lo, s4
	s_wait_dscnt 0x0
	s_barrier_signal -1
	s_barrier_wait -1
.LBB219_363:                            ;   in Loop: Header=BB219_12 Depth=1
	s_or_saveexec_b32 s11, s11
	v_mov_b32_e32 v2, 5
	s_mov_b32 s8, 0
	s_xor_b32 exec_lo, exec_lo, s11
; %bb.364:                              ;   in Loop: Header=BB219_12 Depth=1
	v_sub_nc_u64_e64 v[4:5], v[4:5], s[16:17]
	v_mov_b32_e32 v2, 0
	s_mov_b32 s8, exec_lo
; %bb.365:                              ;   in Loop: Header=BB219_12 Depth=1
	s_or_b32 exec_lo, exec_lo, s11
	s_delay_alu instid0(VALU_DEP_2)
	v_mov_b64_e32 v[6:7], v[4:5]
	s_and_b32 s11, s8, exec_lo
.LBB219_366:                            ;   in Loop: Header=BB219_12 Depth=1
	s_or_b32 exec_lo, exec_lo, s10
	s_mov_b32 s10, -1
                                        ; implicit-def: $sgpr79
                                        ; implicit-def: $sgpr81
	s_and_saveexec_b32 s21, s11
	s_cbranch_execz .LBB219_464
; %bb.367:                              ;   in Loop: Header=BB219_12 Depth=1
	s_delay_alu instid0(VALU_DEP_1) | instskip(SKIP_2) | instid1(SALU_CYCLE_1)
	v_cmp_eq_u64_e32 vcc_lo, 1, v[6:7]
	s_cmp_eq_u64 s[14:15], 1
                                        ; implicit-def: $sgpr81
                                        ; implicit-def: $sgpr79
	s_cselect_b32 s4, -1, 0
	s_and_b32 s36, s4, vcc_lo
	s_delay_alu instid0(SALU_CYCLE_1)
	s_and_saveexec_b32 s37, s36
	s_cbranch_execz .LBB219_401
; %bb.368:                              ;   in Loop: Header=BB219_12 Depth=1
	ds_load_b64 v[4:5], v3 offset:5120
	s_wait_dscnt 0x0
	s_barrier_signal -1
	s_barrier_wait -1
	v_readfirstlane_b32 s10, v4
	v_readfirstlane_b32 s11, v5
	s_and_saveexec_b32 s4, s6
; %bb.369:                              ;   in Loop: Header=BB219_12 Depth=1
	ds_store_b16 v29, v3
; %bb.370:                              ;   in Loop: Header=BB219_12 Depth=1
	s_or_b32 exec_lo, exec_lo, s4
	s_lshl_b32 s4, 1, s96
	v_or_b32_e32 v35, s57, v35
	v_and_or_b32 v31, v31, s74, s4
	s_mov_b32 s79, -1
	s_mov_b32 s81, 0
	s_cmp_eq_u64 s[10:11], 0
	s_mov_b32 s18, 0
	s_mov_b32 s19, -1
	s_wait_dscnt 0x0
	s_barrier_signal -1
	s_barrier_wait -1
                                        ; implicit-def: $vgpr36
	s_cbranch_scc1 .LBB219_386
; %bb.371:                              ;   in Loop: Header=BB219_12 Depth=1
	s_add_nc_u64 s[16:17], s[10:11], s[58:59]
	s_delay_alu instid0(SALU_CYCLE_1) | instskip(NEXT) | instid1(SALU_CYCLE_1)
	s_and_b64 s[18:19], s[16:17], 0xffffffff00000000
	s_cmp_lg_u64 s[18:19], 0
	s_cbranch_scc0 .LBB219_418
; %bb.372:                              ;   in Loop: Header=BB219_12 Depth=1
	s_cvt_f32_u32 s4, s34
	s_sub_nc_u64 s[38:39], 0, s[34:35]
	s_delay_alu instid0(SALU_CYCLE_2) | instskip(NEXT) | instid1(SALU_CYCLE_3)
	s_fmamk_f32 s4, s94, 0x0, s4
	v_s_rcp_f32 s4, s4
	s_delay_alu instid0(TRANS32_DEP_1) | instskip(NEXT) | instid1(SALU_CYCLE_3)
	s_mul_f32 s4, s4, 0x5f7ffffc
	s_mul_f32 s8, s4, 0x2f800000
	s_delay_alu instid0(SALU_CYCLE_3) | instskip(NEXT) | instid1(SALU_CYCLE_3)
	s_trunc_f32 s8, s8
	s_fmamk_f32 s4, s8, 0xcf800000, s4
	s_cvt_u32_f32 s19, s8
	s_delay_alu instid0(SALU_CYCLE_2) | instskip(NEXT) | instid1(SALU_CYCLE_3)
	s_cvt_u32_f32 s18, s4
	s_mul_u64 s[40:41], s[38:39], s[18:19]
	s_delay_alu instid0(SALU_CYCLE_1)
	s_mul_hi_u32 s43, s18, s41
	s_mul_i32 s42, s18, s41
	s_mul_hi_u32 s22, s18, s40
	s_mul_i32 s8, s19, s40
	s_add_nc_u64 s[42:43], s[22:23], s[42:43]
	s_mul_hi_u32 s4, s19, s40
	s_mul_hi_u32 s46, s19, s41
	s_add_co_u32 s8, s42, s8
	s_add_co_ci_u32 s22, s43, s4
	s_mul_i32 s40, s19, s41
	s_add_co_ci_u32 s41, s46, 0
	s_delay_alu instid0(SALU_CYCLE_1) | instskip(NEXT) | instid1(SALU_CYCLE_1)
	s_add_nc_u64 s[40:41], s[22:23], s[40:41]
	s_add_co_u32 s18, s18, s40
	s_cselect_b32 s4, -1, 0
	s_delay_alu instid0(SALU_CYCLE_1) | instskip(SKIP_1) | instid1(SALU_CYCLE_1)
	s_cmp_lg_u32 s4, 0
	s_add_co_ci_u32 s19, s19, s41
	s_mul_u64 s[38:39], s[38:39], s[18:19]
	s_delay_alu instid0(SALU_CYCLE_1)
	s_mul_hi_u32 s41, s18, s39
	s_mul_i32 s40, s18, s39
	s_mul_hi_u32 s22, s18, s38
	s_mul_i32 s8, s19, s38
	s_add_nc_u64 s[40:41], s[22:23], s[40:41]
	s_mul_hi_u32 s4, s19, s38
	s_mul_hi_u32 s42, s19, s39
	s_add_co_u32 s8, s40, s8
	s_add_co_ci_u32 s22, s41, s4
	s_mul_i32 s38, s19, s39
	s_add_co_ci_u32 s39, s42, 0
	s_delay_alu instid0(SALU_CYCLE_1) | instskip(NEXT) | instid1(SALU_CYCLE_1)
	s_add_nc_u64 s[38:39], s[22:23], s[38:39]
	s_add_co_u32 s4, s18, s38
	s_cselect_b32 s8, -1, 0
	s_mul_hi_u32 s22, s16, s4
	s_cmp_lg_u32 s8, 0
	s_mul_hi_u32 s8, s17, s4
	s_add_co_ci_u32 s38, s19, s39
	s_mul_i32 s4, s17, s4
	s_mul_hi_u32 s19, s16, s38
	s_mul_i32 s18, s16, s38
	s_mul_hi_u32 s39, s17, s38
	s_add_nc_u64 s[18:19], s[22:23], s[18:19]
	s_mul_i32 s38, s17, s38
	s_add_co_u32 s4, s18, s4
	s_add_co_ci_u32 s22, s19, s8
	s_add_co_ci_u32 s39, s39, 0
	s_delay_alu instid0(SALU_CYCLE_1) | instskip(NEXT) | instid1(SALU_CYCLE_1)
	s_add_nc_u64 s[18:19], s[22:23], s[38:39]
	s_and_b64 s[38:39], s[18:19], 0xffffffff00000000
	s_delay_alu instid0(SALU_CYCLE_1) | instskip(NEXT) | instid1(SALU_CYCLE_1)
	s_or_b32 s38, s38, s18
	s_mul_u64 s[18:19], s[34:35], s[38:39]
	s_delay_alu instid0(SALU_CYCLE_1) | instskip(SKIP_1) | instid1(SALU_CYCLE_1)
	s_sub_co_u32 s4, s16, s18
	s_cselect_b32 s8, -1, 0
	s_cmp_lg_u32 s8, 0
	s_sub_co_ci_u32 s8, s17, s19
	s_sub_co_u32 s18, s4, s34
	s_cselect_b32 s19, -1, 0
	s_delay_alu instid0(SALU_CYCLE_1) | instskip(SKIP_3) | instid1(SALU_CYCLE_1)
	s_cmp_lg_u32 s19, 0
	s_sub_co_ci_u32 s19, s8, 0
	s_sub_co_u32 s22, s18, s34
	s_cselect_b32 s38, -1, 0
	s_cmp_lg_u32 s38, 0
	s_sub_co_ci_u32 s38, s19, 0
	s_cmp_ge_u32 s18, s34
	s_cselect_b32 s39, -1, 0
	s_cmp_eq_u32 s19, 0
	s_cselect_b32 s39, s39, -1
	s_delay_alu instid0(SALU_CYCLE_1)
	s_cmp_lg_u32 s39, 0
	s_cselect_b32 s19, s38, s19
	s_cselect_b32 s18, s22, s18
	s_cmp_ge_u32 s4, s34
	s_cselect_b32 s22, -1, 0
	s_cmp_eq_u32 s8, 0
	s_cselect_b32 s22, s22, -1
	s_delay_alu instid0(SALU_CYCLE_1)
	s_cmp_lg_u32 s22, 0
	s_cselect_b32 s19, s19, s8
	s_cselect_b32 s18, s18, s4
	s_cbranch_execnz .LBB219_374
.LBB219_373:                            ;   in Loop: Header=BB219_12 Depth=1
	v_cvt_f32_u32_e32 v4, s34
	s_sub_co_i32 s8, 0, s34
	s_delay_alu instid0(VALU_DEP_1) | instskip(SKIP_1) | instid1(TRANS32_DEP_1)
	v_rcp_iflag_f32_e32 v4, v4
	v_nop
	v_mul_f32_e32 v4, 0x4f7ffffe, v4
	s_delay_alu instid0(VALU_DEP_1) | instskip(NEXT) | instid1(VALU_DEP_1)
	v_cvt_u32_f32_e32 v4, v4
	v_readfirstlane_b32 s4, v4
	s_mul_i32 s8, s8, s4
	s_delay_alu instid0(SALU_CYCLE_1) | instskip(NEXT) | instid1(SALU_CYCLE_1)
	s_mul_hi_u32 s8, s4, s8
	s_add_co_i32 s4, s4, s8
	s_delay_alu instid0(SALU_CYCLE_1) | instskip(NEXT) | instid1(SALU_CYCLE_1)
	s_mul_hi_u32 s4, s16, s4
	s_mul_i32 s4, s4, s34
	s_delay_alu instid0(SALU_CYCLE_1) | instskip(NEXT) | instid1(SALU_CYCLE_1)
	s_sub_co_i32 s4, s16, s4
	s_sub_co_i32 s8, s4, s34
	s_cmp_ge_u32 s4, s34
	s_cselect_b32 s4, s8, s4
	s_delay_alu instid0(SALU_CYCLE_1) | instskip(SKIP_2) | instid1(SALU_CYCLE_1)
	s_sub_co_i32 s8, s4, s34
	s_cmp_ge_u32 s4, s34
	s_cselect_b32 s22, s8, s4
	s_mov_b64 s[18:19], s[22:23]
.LBB219_374:                            ;   in Loop: Header=BB219_12 Depth=1
	s_delay_alu instid0(SALU_CYCLE_1)
	s_sub_nc_u64 s[16:17], s[16:17], s[18:19]
	s_mov_b32 s19, 0
	s_mov_b32 s18, 0
	s_mov_b32 s22, exec_lo
                                        ; implicit-def: $vgpr36
	v_cmpx_gt_u64_e64 s[16:17], v[0:1]
	s_cbranch_execz .LBB219_385
; %bb.375:                              ;   in Loop: Header=BB219_12 Depth=1
	v_mov_b64_e32 v[4:5], v[0:1]
	v_mov_b32_e32 v8, v28
                                        ; implicit-def: $sgpr38
	s_branch .LBB219_378
.LBB219_376:                            ;   in Loop: Header=BB219_378 Depth=2
	s_or_b32 exec_lo, exec_lo, s39
	s_wait_dscnt 0x0
	s_barrier_signal -1
	s_barrier_wait -1
	ds_load_b32 v9, v3 offset:3072
	s_mov_b32 s4, -1
	s_mov_b32 s8, -1
	s_wait_dscnt 0x0
	s_barrier_signal -1
	s_barrier_wait -1
	v_and_b32_e32 v10, 0x7fff, v9
	s_delay_alu instid0(VALU_DEP_1)
	v_cmp_ne_u32_e32 vcc_lo, 0, v10
	s_cbranch_vccz .LBB219_381
.LBB219_377:                            ;   in Loop: Header=BB219_378 Depth=2
	s_and_b32 s4, exec_lo, s4
	s_delay_alu instid0(SALU_CYCLE_1) | instskip(SKIP_2) | instid1(SALU_CYCLE_1)
	s_or_b32 s18, s4, s18
	s_and_not1_b32 s4, s38, exec_lo
	s_and_b32 s8, s8, exec_lo
	s_or_b32 s38, s4, s8
	s_and_not1_b32 exec_lo, exec_lo, s18
	s_cbranch_execz .LBB219_384
.LBB219_378:                            ;   Parent Loop BB219_12 Depth=1
                                        ; =>  This Inner Loop Header: Depth=2
	s_mov_b32 s39, exec_lo
	s_delay_alu instid0(VALU_DEP_2)
	v_cmpx_gt_u64_e64 s[10:11], v[4:5]
	s_cbranch_execz .LBB219_376
; %bb.379:                              ;   in Loop: Header=BB219_378 Depth=2
	ds_load_u16 v9, v8
	s_wait_dscnt 0x0
	v_cmp_lt_i16_e32 vcc_lo, -1, v9
	v_and_b32_e32 v10, 0xffff, v9
	v_dual_cndmask_b32 v11, 0xffff, v34 :: v_dual_lshlrev_b32 v22, 16, v9
	s_delay_alu instid0(VALU_DEP_1) | instskip(NEXT) | instid1(VALU_DEP_2)
	v_cmp_o_f32_e32 vcc_lo, v22, v22
	v_xor_b32_e32 v10, v11, v10
	s_delay_alu instid0(VALU_DEP_1) | instskip(NEXT) | instid1(VALU_DEP_1)
	v_cndmask_b32_e32 v10, 0xffff, v10, vcc_lo
	v_and_b32_e32 v10, v10, v35
	s_delay_alu instid0(VALU_DEP_1)
	v_cmp_eq_u32_e32 vcc_lo, v10, v31
	s_and_b32 exec_lo, exec_lo, vcc_lo
	s_cbranch_execz .LBB219_376
; %bb.380:                              ;   in Loop: Header=BB219_378 Depth=2
	v_perm_b32 v9, v9, s95, 0x5040100
	ds_store_b32 v3, v9 offset:3072
	s_branch .LBB219_376
.LBB219_381:                            ;   in Loop: Header=BB219_378 Depth=2
	v_add_nc_u64_e32 v[4:5], s[34:35], v[4:5]
	v_add_nc_u32_e32 v8, s93, v8
	s_mov_b32 s8, 0
	s_delay_alu instid0(VALU_DEP_2)
	v_cmp_le_u64_e32 vcc_lo, s[16:17], v[4:5]
	s_or_not1_b32 s4, vcc_lo, exec_lo
	s_branch .LBB219_377
.LBB219_382:                            ;   in Loop: Header=BB219_12 Depth=1
                                        ; implicit-def: $sgpr20_sgpr21
	s_branch .LBB219_328
.LBB219_383:                            ;   in Loop: Header=BB219_12 Depth=1
                                        ; implicit-def: $sgpr10_sgpr11
	s_branch .LBB219_344
.LBB219_384:                            ;   in Loop: Header=BB219_12 Depth=1
	s_or_b32 exec_lo, exec_lo, s18
	v_lshrrev_b32_e32 v36, 16, v9
	s_and_b32 s18, s38, exec_lo
.LBB219_385:                            ;   in Loop: Header=BB219_12 Depth=1
	s_or_b32 exec_lo, exec_lo, s22
.LBB219_386:                            ;   in Loop: Header=BB219_12 Depth=1
	s_delay_alu instid0(SALU_CYCLE_1)
	s_and_b32 vcc_lo, exec_lo, s19
	s_cbranch_vccz .LBB219_400
; %bb.387:                              ;   in Loop: Header=BB219_12 Depth=1
	s_and_b64 s[10:11], s[60:61], 0xffffffff00000000
	s_delay_alu instid0(SALU_CYCLE_1)
	s_cmp_lg_u64 s[10:11], 0
	s_cbranch_scc0 .LBB219_419
; %bb.388:                              ;   in Loop: Header=BB219_12 Depth=1
	s_cvt_f32_u32 s4, s34
	s_sub_nc_u64 s[16:17], 0, s[34:35]
	s_delay_alu instid0(SALU_CYCLE_2) | instskip(NEXT) | instid1(SALU_CYCLE_3)
	s_fmamk_f32 s4, s94, 0x0, s4
	v_s_rcp_f32 s4, s4
	s_delay_alu instid0(TRANS32_DEP_1) | instskip(NEXT) | instid1(SALU_CYCLE_3)
	s_mul_f32 s4, s4, 0x5f7ffffc
	s_mul_f32 s8, s4, 0x2f800000
	s_delay_alu instid0(SALU_CYCLE_3) | instskip(NEXT) | instid1(SALU_CYCLE_3)
	s_trunc_f32 s8, s8
	s_fmamk_f32 s4, s8, 0xcf800000, s4
	s_cvt_u32_f32 s11, s8
	s_delay_alu instid0(SALU_CYCLE_2) | instskip(NEXT) | instid1(SALU_CYCLE_3)
	s_cvt_u32_f32 s10, s4
	s_mul_u64 s[38:39], s[16:17], s[10:11]
	s_delay_alu instid0(SALU_CYCLE_1)
	s_mul_hi_u32 s41, s10, s39
	s_mul_i32 s40, s10, s39
	s_mul_hi_u32 s22, s10, s38
	s_mul_i32 s8, s11, s38
	s_add_nc_u64 s[40:41], s[22:23], s[40:41]
	s_mul_hi_u32 s4, s11, s38
	s_mul_hi_u32 s19, s11, s39
	s_add_co_u32 s8, s40, s8
	s_add_co_ci_u32 s22, s41, s4
	s_mul_i32 s38, s11, s39
	s_add_co_ci_u32 s39, s19, 0
	s_delay_alu instid0(SALU_CYCLE_1) | instskip(NEXT) | instid1(SALU_CYCLE_1)
	s_add_nc_u64 s[38:39], s[22:23], s[38:39]
	s_add_co_u32 s10, s10, s38
	s_cselect_b32 s4, -1, 0
	s_delay_alu instid0(SALU_CYCLE_1) | instskip(SKIP_1) | instid1(SALU_CYCLE_1)
	s_cmp_lg_u32 s4, 0
	s_add_co_ci_u32 s11, s11, s39
	s_mul_u64 s[16:17], s[16:17], s[10:11]
	s_delay_alu instid0(SALU_CYCLE_1)
	s_mul_hi_u32 s39, s10, s17
	s_mul_i32 s38, s10, s17
	s_mul_hi_u32 s22, s10, s16
	s_mul_i32 s8, s11, s16
	s_add_nc_u64 s[38:39], s[22:23], s[38:39]
	s_mul_hi_u32 s4, s11, s16
	s_mul_hi_u32 s19, s11, s17
	s_add_co_u32 s8, s38, s8
	s_add_co_ci_u32 s22, s39, s4
	s_mul_i32 s16, s11, s17
	s_add_co_ci_u32 s17, s19, 0
	s_delay_alu instid0(SALU_CYCLE_1) | instskip(NEXT) | instid1(SALU_CYCLE_1)
	s_add_nc_u64 s[16:17], s[22:23], s[16:17]
	s_add_co_u32 s4, s10, s16
	s_cselect_b32 s8, -1, 0
	s_mul_hi_u32 s22, s60, s4
	s_cmp_lg_u32 s8, 0
	s_mul_hi_u32 s8, s61, s4
	s_add_co_ci_u32 s16, s11, s17
	s_mul_i32 s4, s61, s4
	s_mul_hi_u32 s11, s60, s16
	s_mul_i32 s10, s60, s16
	s_mul_hi_u32 s17, s61, s16
	s_add_nc_u64 s[10:11], s[22:23], s[10:11]
	s_mul_i32 s16, s61, s16
	s_add_co_u32 s4, s10, s4
	s_add_co_ci_u32 s22, s11, s8
	s_add_co_ci_u32 s17, s17, 0
	s_delay_alu instid0(SALU_CYCLE_1) | instskip(NEXT) | instid1(SALU_CYCLE_1)
	s_add_nc_u64 s[10:11], s[22:23], s[16:17]
	s_and_b64 s[16:17], s[10:11], 0xffffffff00000000
	s_delay_alu instid0(SALU_CYCLE_1) | instskip(NEXT) | instid1(SALU_CYCLE_1)
	s_or_b32 s16, s16, s10
	s_mul_u64 s[10:11], s[34:35], s[16:17]
	s_delay_alu instid0(SALU_CYCLE_1) | instskip(SKIP_1) | instid1(SALU_CYCLE_1)
	s_sub_co_u32 s4, s60, s10
	s_cselect_b32 s8, -1, 0
	s_cmp_lg_u32 s8, 0
	s_sub_co_ci_u32 s8, s61, s11
	s_sub_co_u32 s10, s4, s34
	s_cselect_b32 s11, -1, 0
	s_delay_alu instid0(SALU_CYCLE_1) | instskip(SKIP_3) | instid1(SALU_CYCLE_1)
	s_cmp_lg_u32 s11, 0
	s_sub_co_ci_u32 s11, s8, 0
	s_sub_co_u32 s16, s10, s34
	s_cselect_b32 s17, -1, 0
	s_cmp_lg_u32 s17, 0
	s_sub_co_ci_u32 s17, s11, 0
	s_cmp_ge_u32 s10, s34
	s_cselect_b32 s19, -1, 0
	s_cmp_eq_u32 s11, 0
	s_cselect_b32 s19, s19, -1
	s_delay_alu instid0(SALU_CYCLE_1)
	s_cmp_lg_u32 s19, 0
	s_cselect_b32 s11, s17, s11
	s_cselect_b32 s10, s16, s10
	s_cmp_ge_u32 s4, s34
	s_cselect_b32 s16, -1, 0
	s_cmp_eq_u32 s8, 0
	s_cselect_b32 s16, s16, -1
	s_delay_alu instid0(SALU_CYCLE_1)
	s_cmp_lg_u32 s16, 0
	s_cselect_b32 s11, s11, s8
	s_cselect_b32 s10, s10, s4
	s_cbranch_execnz .LBB219_390
.LBB219_389:                            ;   in Loop: Header=BB219_12 Depth=1
	v_cvt_f32_u32_e32 v4, s34
	s_sub_co_i32 s8, 0, s34
	s_delay_alu instid0(VALU_DEP_1) | instskip(SKIP_1) | instid1(TRANS32_DEP_1)
	v_rcp_iflag_f32_e32 v4, v4
	v_nop
	v_mul_f32_e32 v4, 0x4f7ffffe, v4
	s_delay_alu instid0(VALU_DEP_1) | instskip(NEXT) | instid1(VALU_DEP_1)
	v_cvt_u32_f32_e32 v4, v4
	v_readfirstlane_b32 s4, v4
	s_mul_i32 s8, s8, s4
	s_delay_alu instid0(SALU_CYCLE_1) | instskip(NEXT) | instid1(SALU_CYCLE_1)
	s_mul_hi_u32 s8, s4, s8
	s_add_co_i32 s4, s4, s8
	s_delay_alu instid0(SALU_CYCLE_1) | instskip(NEXT) | instid1(SALU_CYCLE_1)
	s_mul_hi_u32 s4, s60, s4
	s_mul_i32 s4, s4, s34
	s_delay_alu instid0(SALU_CYCLE_1) | instskip(NEXT) | instid1(SALU_CYCLE_1)
	s_sub_co_i32 s4, s60, s4
	s_sub_co_i32 s8, s4, s34
	s_cmp_ge_u32 s4, s34
	s_cselect_b32 s4, s8, s4
	s_delay_alu instid0(SALU_CYCLE_1) | instskip(SKIP_2) | instid1(SALU_CYCLE_1)
	s_sub_co_i32 s8, s4, s34
	s_cmp_ge_u32 s4, s34
	s_cselect_b32 s22, s8, s4
	s_mov_b64 s[10:11], s[22:23]
.LBB219_390:                            ;   in Loop: Header=BB219_12 Depth=1
	s_delay_alu instid0(SALU_CYCLE_1)
	s_sub_nc_u64 s[10:11], s[60:61], s[10:11]
	s_mov_b32 s16, exec_lo
                                        ; implicit-def: $vgpr36
	v_cmpx_gt_u64_e64 s[10:11], v[0:1]
	s_cbranch_execz .LBB219_399
; %bb.391:                              ;   in Loop: Header=BB219_12 Depth=1
	v_mov_b64_e32 v[4:5], v[0:1]
	s_mov_b32 s17, 0
                                        ; implicit-def: $sgpr19
	s_branch .LBB219_394
.LBB219_392:                            ;   in Loop: Header=BB219_394 Depth=2
	s_or_b32 exec_lo, exec_lo, s22
	s_wait_dscnt 0x0
	s_barrier_signal -1
	s_barrier_wait -1
	ds_load_b32 v8, v3 offset:3072
	s_mov_b32 s8, -1
	s_mov_b32 s4, -1
	s_wait_dscnt 0x0
	s_barrier_signal -1
	s_barrier_wait -1
	v_and_b32_e32 v9, 0x7fff, v8
	s_delay_alu instid0(VALU_DEP_1)
	v_cmp_eq_u32_e32 vcc_lo, 0, v9
	s_cbranch_vccnz .LBB219_397
.LBB219_393:                            ;   in Loop: Header=BB219_394 Depth=2
	s_and_b32 s8, exec_lo, s8
	s_delay_alu instid0(SALU_CYCLE_1) | instskip(SKIP_2) | instid1(SALU_CYCLE_1)
	s_or_b32 s17, s8, s17
	s_and_not1_b32 s8, s19, exec_lo
	s_and_b32 s4, s4, exec_lo
	s_or_b32 s19, s8, s4
	s_and_not1_b32 exec_lo, exec_lo, s17
	s_cbranch_execz .LBB219_398
.LBB219_394:                            ;   Parent Loop BB219_12 Depth=1
                                        ; =>  This Inner Loop Header: Depth=2
	s_mov_b32 s22, exec_lo
	s_delay_alu instid0(VALU_DEP_1)
	v_cmpx_gt_u64_e64 s[28:29], v[4:5]
	s_cbranch_execz .LBB219_392
; %bb.395:                              ;   in Loop: Header=BB219_394 Depth=2
	v_mul_u64_e32 v[8:9], s[26:27], v[4:5]
	s_delay_alu instid0(VALU_DEP_1)
	v_lshl_add_u64 v[8:9], v[8:9], 1, s[24:25]
	global_load_u16 v8, v[8:9], off
	s_wait_loadcnt 0x0
	v_cmp_lt_i16_e32 vcc_lo, -1, v8
	v_and_b32_e32 v9, 0xffff, v8
	v_dual_cndmask_b32 v10, 0xffff, v34 :: v_dual_lshlrev_b32 v11, 16, v8
	s_delay_alu instid0(VALU_DEP_1) | instskip(NEXT) | instid1(VALU_DEP_2)
	v_cmp_o_f32_e32 vcc_lo, v11, v11
	v_xor_b32_e32 v9, v10, v9
	s_delay_alu instid0(VALU_DEP_1) | instskip(NEXT) | instid1(VALU_DEP_1)
	v_cndmask_b32_e32 v9, 0xffff, v9, vcc_lo
	v_and_b32_e32 v9, v9, v35
	s_delay_alu instid0(VALU_DEP_1)
	v_cmp_eq_u32_e32 vcc_lo, v9, v31
	s_and_b32 exec_lo, exec_lo, vcc_lo
	s_cbranch_execz .LBB219_392
; %bb.396:                              ;   in Loop: Header=BB219_394 Depth=2
	v_perm_b32 v8, v8, s95, 0x5040100
	ds_store_b32 v3, v8 offset:3072
	s_branch .LBB219_392
.LBB219_397:                            ;   in Loop: Header=BB219_394 Depth=2
	v_add_nc_u64_e32 v[4:5], s[34:35], v[4:5]
	s_mov_b32 s4, 0
	s_delay_alu instid0(VALU_DEP_1)
	v_cmp_le_u64_e32 vcc_lo, s[10:11], v[4:5]
	s_or_not1_b32 s8, vcc_lo, exec_lo
	s_branch .LBB219_393
.LBB219_398:                            ;   in Loop: Header=BB219_12 Depth=1
	s_or_b32 exec_lo, exec_lo, s17
	v_lshrrev_b32_e32 v36, 16, v8
	s_and_not1_b32 s4, s18, exec_lo
	s_and_b32 s8, s19, exec_lo
	s_delay_alu instid0(SALU_CYCLE_1)
	s_or_b32 s18, s4, s8
.LBB219_399:                            ;   in Loop: Header=BB219_12 Depth=1
	s_or_b32 exec_lo, exec_lo, s16
	s_mov_b32 s79, 0
	s_mov_b32 s81, -1
.LBB219_400:                            ;   in Loop: Header=BB219_12 Depth=1
	s_or_not1_b32 s10, s18, exec_lo
.LBB219_401:                            ;   in Loop: Header=BB219_12 Depth=1
	s_or_b32 exec_lo, exec_lo, s37
	s_mov_b32 s11, 0
	s_and_saveexec_b32 s18, s10
	s_cbranch_execz .LBB219_463
; %bb.402:                              ;   in Loop: Header=BB219_12 Depth=1
	v_mov_b64_e32 v[4:5], 1
	v_mov_b32_e32 v2, 1
	s_xor_b32 s4, s36, -1
	s_delay_alu instid0(SALU_CYCLE_1)
	s_and_saveexec_b32 s10, s4
	s_cbranch_execz .LBB219_411
; %bb.403:                              ;   in Loop: Header=BB219_12 Depth=1
	s_mov_b32 s4, exec_lo
	v_cmpx_ge_u64_e64 s[14:15], v[6:7]
	s_xor_b32 s11, exec_lo, s4
	s_cbranch_execz .LBB219_408
; %bb.404:                              ;   in Loop: Header=BB219_12 Depth=1
	ds_load_b64 v[4:5], v3 offset:5120
	s_lshl_b32 s4, 1, s96
	v_or_b32_e32 v35, s57, v35
	v_and_or_b32 v31, v31, s74, s4
	s_wait_dscnt 0x0
	v_cmp_ne_u64_e32 vcc_lo, 0, v[4:5]
	s_cbranch_vccnz .LBB219_408
; %bb.405:                              ;   in Loop: Header=BB219_12 Depth=1
	s_and_saveexec_b32 s4, s5
; %bb.406:                              ;   in Loop: Header=BB219_12 Depth=1
	v_mov_b64_e32 v[4:5], s[14:15]
	ds_store_b64 v3, v[4:5] offset:5128
; %bb.407:                              ;   in Loop: Header=BB219_12 Depth=1
	s_or_b32 exec_lo, exec_lo, s4
	s_wait_dscnt 0x0
	s_barrier_signal -1
	s_barrier_wait -1
.LBB219_408:                            ;   in Loop: Header=BB219_12 Depth=1
	s_or_saveexec_b32 s11, s11
	v_mov_b32_e32 v2, 5
	s_mov_b32 s8, 0
	s_xor_b32 exec_lo, exec_lo, s11
; %bb.409:                              ;   in Loop: Header=BB219_12 Depth=1
	v_sub_nc_u64_e64 v[6:7], v[6:7], s[14:15]
	v_mov_b32_e32 v2, 0
	s_mov_b32 s8, exec_lo
; %bb.410:                              ;   in Loop: Header=BB219_12 Depth=1
	s_or_b32 exec_lo, exec_lo, s11
	s_delay_alu instid0(VALU_DEP_2)
	v_mov_b64_e32 v[4:5], v[6:7]
	s_and_b32 s11, s8, exec_lo
.LBB219_411:                            ;   in Loop: Header=BB219_12 Depth=1
	s_or_b32 exec_lo, exec_lo, s10
	s_mov_b32 s10, -1
                                        ; implicit-def: $sgpr39
                                        ; implicit-def: $sgpr38
	s_and_saveexec_b32 s19, s11
	s_cbranch_execz .LBB219_462
; %bb.412:                              ;   in Loop: Header=BB219_12 Depth=1
	s_delay_alu instid0(VALU_DEP_1) | instskip(SKIP_3) | instid1(SALU_CYCLE_1)
	v_cmp_eq_u64_e32 vcc_lo, 1, v[4:5]
	s_cmp_eq_u64 s[12:13], 1
	s_mov_b32 s11, -1
	s_cselect_b32 s4, -1, 0
                                        ; implicit-def: $sgpr39
                                        ; implicit-def: $sgpr38
	s_and_b32 s36, s4, vcc_lo
	s_delay_alu instid0(SALU_CYCLE_1)
	s_and_saveexec_b32 s37, s36
	s_cbranch_execz .LBB219_450
; %bb.413:                              ;   in Loop: Header=BB219_12 Depth=1
	ds_load_b64 v[6:7], v3 offset:5120
	s_wait_dscnt 0x0
	s_barrier_signal -1
	s_barrier_wait -1
	v_readfirstlane_b32 s10, v6
	v_readfirstlane_b32 s11, v7
	s_and_saveexec_b32 s4, s6
; %bb.414:                              ;   in Loop: Header=BB219_12 Depth=1
	ds_store_b16 v29, v3
; %bb.415:                              ;   in Loop: Header=BB219_12 Depth=1
	s_or_b32 exec_lo, exec_lo, s4
	v_and_b32_e32 v31, s74, v31
	v_or_b32_e32 v35, s57, v35
	s_mov_b32 s38, -1
	s_mov_b32 s39, 0
	s_cmp_eq_u64 s[10:11], 0
	s_mov_b32 s16, 0
	s_mov_b32 s17, -1
	s_wait_dscnt 0x0
	s_barrier_signal -1
	s_barrier_wait -1
                                        ; implicit-def: $vgpr36
	s_cbranch_scc1 .LBB219_433
; %bb.416:                              ;   in Loop: Header=BB219_12 Depth=1
	s_add_nc_u64 s[14:15], s[10:11], s[58:59]
	s_delay_alu instid0(SALU_CYCLE_1) | instskip(NEXT) | instid1(SALU_CYCLE_1)
	s_and_b64 s[16:17], s[14:15], 0xffffffff00000000
	s_cmp_lg_u64 s[16:17], 0
	s_cbranch_scc0 .LBB219_420
; %bb.417:                              ;   in Loop: Header=BB219_12 Depth=1
	s_cvt_f32_u32 s4, s34
	s_sub_nc_u64 s[40:41], 0, s[34:35]
	s_delay_alu instid0(SALU_CYCLE_2) | instskip(NEXT) | instid1(SALU_CYCLE_3)
	s_fmamk_f32 s4, s94, 0x0, s4
	v_s_rcp_f32 s4, s4
	s_delay_alu instid0(TRANS32_DEP_1) | instskip(NEXT) | instid1(SALU_CYCLE_3)
	s_mul_f32 s4, s4, 0x5f7ffffc
	s_mul_f32 s8, s4, 0x2f800000
	s_delay_alu instid0(SALU_CYCLE_3) | instskip(NEXT) | instid1(SALU_CYCLE_3)
	s_trunc_f32 s8, s8
	s_fmamk_f32 s4, s8, 0xcf800000, s4
	s_cvt_u32_f32 s17, s8
	s_delay_alu instid0(SALU_CYCLE_2) | instskip(NEXT) | instid1(SALU_CYCLE_3)
	s_cvt_u32_f32 s16, s4
	s_mul_u64 s[42:43], s[40:41], s[16:17]
	s_delay_alu instid0(SALU_CYCLE_1)
	s_mul_hi_u32 s83, s16, s43
	s_mul_i32 s82, s16, s43
	s_mul_hi_u32 s22, s16, s42
	s_mul_i32 s8, s17, s42
	s_add_nc_u64 s[82:83], s[22:23], s[82:83]
	s_mul_hi_u32 s4, s17, s42
	s_mul_hi_u32 s46, s17, s43
	s_add_co_u32 s8, s82, s8
	s_add_co_ci_u32 s22, s83, s4
	s_mul_i32 s42, s17, s43
	s_add_co_ci_u32 s43, s46, 0
	s_delay_alu instid0(SALU_CYCLE_1) | instskip(NEXT) | instid1(SALU_CYCLE_1)
	s_add_nc_u64 s[42:43], s[22:23], s[42:43]
	s_add_co_u32 s16, s16, s42
	s_cselect_b32 s4, -1, 0
	s_delay_alu instid0(SALU_CYCLE_1) | instskip(SKIP_1) | instid1(SALU_CYCLE_1)
	s_cmp_lg_u32 s4, 0
	s_add_co_ci_u32 s17, s17, s43
	s_mul_u64 s[40:41], s[40:41], s[16:17]
	s_delay_alu instid0(SALU_CYCLE_1)
	s_mul_hi_u32 s43, s16, s41
	s_mul_i32 s42, s16, s41
	s_mul_hi_u32 s22, s16, s40
	s_mul_i32 s8, s17, s40
	s_add_nc_u64 s[42:43], s[22:23], s[42:43]
	s_mul_hi_u32 s4, s17, s40
	s_mul_hi_u32 s46, s17, s41
	s_add_co_u32 s8, s42, s8
	s_add_co_ci_u32 s22, s43, s4
	s_mul_i32 s40, s17, s41
	s_add_co_ci_u32 s41, s46, 0
	s_delay_alu instid0(SALU_CYCLE_1) | instskip(NEXT) | instid1(SALU_CYCLE_1)
	s_add_nc_u64 s[40:41], s[22:23], s[40:41]
	s_add_co_u32 s4, s16, s40
	s_cselect_b32 s8, -1, 0
	s_mul_hi_u32 s22, s14, s4
	s_cmp_lg_u32 s8, 0
	s_mul_hi_u32 s8, s15, s4
	s_add_co_ci_u32 s40, s17, s41
	s_mul_i32 s4, s15, s4
	s_mul_hi_u32 s17, s14, s40
	s_mul_i32 s16, s14, s40
	s_mul_hi_u32 s41, s15, s40
	s_add_nc_u64 s[16:17], s[22:23], s[16:17]
	s_mul_i32 s40, s15, s40
	s_add_co_u32 s4, s16, s4
	s_add_co_ci_u32 s22, s17, s8
	s_add_co_ci_u32 s41, s41, 0
	s_delay_alu instid0(SALU_CYCLE_1) | instskip(NEXT) | instid1(SALU_CYCLE_1)
	s_add_nc_u64 s[16:17], s[22:23], s[40:41]
	s_and_b64 s[40:41], s[16:17], 0xffffffff00000000
	s_delay_alu instid0(SALU_CYCLE_1) | instskip(NEXT) | instid1(SALU_CYCLE_1)
	s_or_b32 s40, s40, s16
	s_mul_u64 s[16:17], s[34:35], s[40:41]
	s_delay_alu instid0(SALU_CYCLE_1) | instskip(SKIP_1) | instid1(SALU_CYCLE_1)
	s_sub_co_u32 s4, s14, s16
	s_cselect_b32 s8, -1, 0
	s_cmp_lg_u32 s8, 0
	s_sub_co_ci_u32 s8, s15, s17
	s_sub_co_u32 s16, s4, s34
	s_cselect_b32 s17, -1, 0
	s_delay_alu instid0(SALU_CYCLE_1) | instskip(SKIP_3) | instid1(SALU_CYCLE_1)
	s_cmp_lg_u32 s17, 0
	s_sub_co_ci_u32 s17, s8, 0
	s_sub_co_u32 s22, s16, s34
	s_cselect_b32 s40, -1, 0
	s_cmp_lg_u32 s40, 0
	s_sub_co_ci_u32 s40, s17, 0
	s_cmp_ge_u32 s16, s34
	s_cselect_b32 s41, -1, 0
	s_cmp_eq_u32 s17, 0
	s_cselect_b32 s41, s41, -1
	s_delay_alu instid0(SALU_CYCLE_1)
	s_cmp_lg_u32 s41, 0
	s_cselect_b32 s17, s40, s17
	s_cselect_b32 s16, s22, s16
	s_cmp_ge_u32 s4, s34
	s_cselect_b32 s22, -1, 0
	s_cmp_eq_u32 s8, 0
	s_cselect_b32 s22, s22, -1
	s_delay_alu instid0(SALU_CYCLE_1)
	s_cmp_lg_u32 s22, 0
	s_cselect_b32 s17, s17, s8
	s_cselect_b32 s16, s16, s4
	s_mov_b32 s4, 0
	s_branch .LBB219_421
.LBB219_418:                            ;   in Loop: Header=BB219_12 Depth=1
                                        ; implicit-def: $sgpr18_sgpr19
	s_branch .LBB219_373
.LBB219_419:                            ;   in Loop: Header=BB219_12 Depth=1
                                        ; implicit-def: $sgpr10_sgpr11
	s_branch .LBB219_389
.LBB219_420:                            ;   in Loop: Header=BB219_12 Depth=1
	s_mov_b32 s4, -1
                                        ; implicit-def: $sgpr16_sgpr17
.LBB219_421:                            ;   in Loop: Header=BB219_12 Depth=1
	s_delay_alu instid0(SALU_CYCLE_1)
	s_and_not1_b32 vcc_lo, exec_lo, s4
	s_cbranch_vccnz .LBB219_423
; %bb.422:                              ;   in Loop: Header=BB219_12 Depth=1
	v_cvt_f32_u32_e32 v6, s34
	s_sub_co_i32 s8, 0, s34
	s_delay_alu instid0(VALU_DEP_1) | instskip(SKIP_1) | instid1(TRANS32_DEP_1)
	v_rcp_iflag_f32_e32 v6, v6
	v_nop
	v_mul_f32_e32 v6, 0x4f7ffffe, v6
	s_delay_alu instid0(VALU_DEP_1) | instskip(NEXT) | instid1(VALU_DEP_1)
	v_cvt_u32_f32_e32 v6, v6
	v_readfirstlane_b32 s4, v6
	s_mul_i32 s8, s8, s4
	s_delay_alu instid0(SALU_CYCLE_1) | instskip(NEXT) | instid1(SALU_CYCLE_1)
	s_mul_hi_u32 s8, s4, s8
	s_add_co_i32 s4, s4, s8
	s_delay_alu instid0(SALU_CYCLE_1) | instskip(NEXT) | instid1(SALU_CYCLE_1)
	s_mul_hi_u32 s4, s14, s4
	s_mul_i32 s4, s4, s34
	s_delay_alu instid0(SALU_CYCLE_1) | instskip(NEXT) | instid1(SALU_CYCLE_1)
	s_sub_co_i32 s4, s14, s4
	s_sub_co_i32 s8, s4, s34
	s_cmp_ge_u32 s4, s34
	s_cselect_b32 s4, s8, s4
	s_delay_alu instid0(SALU_CYCLE_1) | instskip(SKIP_2) | instid1(SALU_CYCLE_1)
	s_sub_co_i32 s8, s4, s34
	s_cmp_ge_u32 s4, s34
	s_cselect_b32 s22, s8, s4
	s_mov_b64 s[16:17], s[22:23]
.LBB219_423:                            ;   in Loop: Header=BB219_12 Depth=1
	s_delay_alu instid0(SALU_CYCLE_1)
	s_sub_nc_u64 s[14:15], s[14:15], s[16:17]
	s_mov_b32 s17, 0
	s_mov_b32 s16, 0
	s_mov_b32 s22, exec_lo
                                        ; implicit-def: $vgpr36
	v_cmpx_gt_u64_e64 s[14:15], v[0:1]
	s_cbranch_execz .LBB219_432
; %bb.424:                              ;   in Loop: Header=BB219_12 Depth=1
	v_mov_b64_e32 v[6:7], v[0:1]
	v_mov_b32_e32 v8, v28
                                        ; implicit-def: $sgpr40
	s_branch .LBB219_427
.LBB219_425:                            ;   in Loop: Header=BB219_427 Depth=2
	s_or_b32 exec_lo, exec_lo, s41
	s_wait_dscnt 0x0
	s_barrier_signal -1
	s_barrier_wait -1
	ds_load_b32 v9, v3 offset:3072
	s_mov_b32 s4, -1
	s_mov_b32 s8, -1
	s_wait_dscnt 0x0
	s_barrier_signal -1
	s_barrier_wait -1
	v_and_b32_e32 v10, 0x7fff, v9
	s_delay_alu instid0(VALU_DEP_1)
	v_cmp_ne_u32_e32 vcc_lo, 0, v10
	s_cbranch_vccz .LBB219_430
.LBB219_426:                            ;   in Loop: Header=BB219_427 Depth=2
	s_and_b32 s4, exec_lo, s4
	s_delay_alu instid0(SALU_CYCLE_1) | instskip(SKIP_2) | instid1(SALU_CYCLE_1)
	s_or_b32 s16, s4, s16
	s_and_not1_b32 s4, s40, exec_lo
	s_and_b32 s8, s8, exec_lo
	s_or_b32 s40, s4, s8
	s_and_not1_b32 exec_lo, exec_lo, s16
	s_cbranch_execz .LBB219_431
.LBB219_427:                            ;   Parent Loop BB219_12 Depth=1
                                        ; =>  This Inner Loop Header: Depth=2
	s_mov_b32 s41, exec_lo
	s_delay_alu instid0(VALU_DEP_2)
	v_cmpx_gt_u64_e64 s[10:11], v[6:7]
	s_cbranch_execz .LBB219_425
; %bb.428:                              ;   in Loop: Header=BB219_427 Depth=2
	ds_load_u16 v9, v8
	s_wait_dscnt 0x0
	v_cmp_lt_i16_e32 vcc_lo, -1, v9
	v_and_b32_e32 v10, 0xffff, v9
	v_dual_cndmask_b32 v11, 0xffff, v34 :: v_dual_lshlrev_b32 v22, 16, v9
	s_delay_alu instid0(VALU_DEP_1) | instskip(NEXT) | instid1(VALU_DEP_2)
	v_cmp_o_f32_e32 vcc_lo, v22, v22
	v_xor_b32_e32 v10, v11, v10
	s_delay_alu instid0(VALU_DEP_1) | instskip(NEXT) | instid1(VALU_DEP_1)
	v_cndmask_b32_e32 v10, 0xffff, v10, vcc_lo
	v_and_b32_e32 v10, v10, v35
	s_delay_alu instid0(VALU_DEP_1)
	v_cmp_eq_u32_e32 vcc_lo, v10, v31
	s_and_b32 exec_lo, exec_lo, vcc_lo
	s_cbranch_execz .LBB219_425
; %bb.429:                              ;   in Loop: Header=BB219_427 Depth=2
	v_perm_b32 v9, v9, s95, 0x5040100
	ds_store_b32 v3, v9 offset:3072
	s_branch .LBB219_425
.LBB219_430:                            ;   in Loop: Header=BB219_427 Depth=2
	v_add_nc_u64_e32 v[6:7], s[34:35], v[6:7]
	v_add_nc_u32_e32 v8, s93, v8
	s_mov_b32 s8, 0
	s_delay_alu instid0(VALU_DEP_2)
	v_cmp_le_u64_e32 vcc_lo, s[14:15], v[6:7]
	s_or_not1_b32 s4, vcc_lo, exec_lo
	s_branch .LBB219_426
.LBB219_431:                            ;   in Loop: Header=BB219_12 Depth=1
	s_or_b32 exec_lo, exec_lo, s16
	v_lshrrev_b32_e32 v36, 16, v9
	s_and_b32 s16, s40, exec_lo
.LBB219_432:                            ;   in Loop: Header=BB219_12 Depth=1
	s_or_b32 exec_lo, exec_lo, s22
.LBB219_433:                            ;   in Loop: Header=BB219_12 Depth=1
	s_delay_alu instid0(SALU_CYCLE_1)
	s_and_b32 vcc_lo, exec_lo, s17
	s_cbranch_vccz .LBB219_449
; %bb.434:                              ;   in Loop: Header=BB219_12 Depth=1
	s_and_b64 s[10:11], s[60:61], 0xffffffff00000000
	s_delay_alu instid0(SALU_CYCLE_1)
	s_cmp_lg_u64 s[10:11], 0
	s_cbranch_scc0 .LBB219_436
; %bb.435:                              ;   in Loop: Header=BB219_12 Depth=1
	s_cvt_f32_u32 s4, s34
	s_sub_nc_u64 s[14:15], 0, s[34:35]
	s_delay_alu instid0(SALU_CYCLE_2) | instskip(NEXT) | instid1(SALU_CYCLE_3)
	s_fmamk_f32 s4, s94, 0x0, s4
	v_s_rcp_f32 s4, s4
	s_delay_alu instid0(TRANS32_DEP_1) | instskip(NEXT) | instid1(SALU_CYCLE_3)
	s_mul_f32 s4, s4, 0x5f7ffffc
	s_mul_f32 s8, s4, 0x2f800000
	s_delay_alu instid0(SALU_CYCLE_3) | instskip(NEXT) | instid1(SALU_CYCLE_3)
	s_trunc_f32 s8, s8
	s_fmamk_f32 s4, s8, 0xcf800000, s4
	s_cvt_u32_f32 s11, s8
	s_delay_alu instid0(SALU_CYCLE_2) | instskip(NEXT) | instid1(SALU_CYCLE_3)
	s_cvt_u32_f32 s10, s4
	s_mul_u64 s[38:39], s[14:15], s[10:11]
	s_delay_alu instid0(SALU_CYCLE_1)
	s_mul_hi_u32 s41, s10, s39
	s_mul_i32 s40, s10, s39
	s_mul_hi_u32 s22, s10, s38
	s_mul_i32 s8, s11, s38
	s_add_nc_u64 s[40:41], s[22:23], s[40:41]
	s_mul_hi_u32 s4, s11, s38
	s_mul_hi_u32 s17, s11, s39
	s_add_co_u32 s8, s40, s8
	s_add_co_ci_u32 s22, s41, s4
	s_mul_i32 s38, s11, s39
	s_add_co_ci_u32 s39, s17, 0
	s_delay_alu instid0(SALU_CYCLE_1) | instskip(NEXT) | instid1(SALU_CYCLE_1)
	s_add_nc_u64 s[38:39], s[22:23], s[38:39]
	s_add_co_u32 s10, s10, s38
	s_cselect_b32 s4, -1, 0
	s_delay_alu instid0(SALU_CYCLE_1) | instskip(SKIP_1) | instid1(SALU_CYCLE_1)
	s_cmp_lg_u32 s4, 0
	s_add_co_ci_u32 s11, s11, s39
	s_mul_u64 s[14:15], s[14:15], s[10:11]
	s_delay_alu instid0(SALU_CYCLE_1)
	s_mul_hi_u32 s39, s10, s15
	s_mul_i32 s38, s10, s15
	s_mul_hi_u32 s22, s10, s14
	s_mul_i32 s8, s11, s14
	s_add_nc_u64 s[38:39], s[22:23], s[38:39]
	s_mul_hi_u32 s4, s11, s14
	s_mul_hi_u32 s17, s11, s15
	s_add_co_u32 s8, s38, s8
	s_add_co_ci_u32 s22, s39, s4
	s_mul_i32 s14, s11, s15
	s_add_co_ci_u32 s15, s17, 0
	s_delay_alu instid0(SALU_CYCLE_1) | instskip(NEXT) | instid1(SALU_CYCLE_1)
	s_add_nc_u64 s[14:15], s[22:23], s[14:15]
	s_add_co_u32 s4, s10, s14
	s_cselect_b32 s8, -1, 0
	s_mul_hi_u32 s22, s60, s4
	s_cmp_lg_u32 s8, 0
	s_mul_hi_u32 s8, s61, s4
	s_add_co_ci_u32 s14, s11, s15
	s_mul_i32 s4, s61, s4
	s_mul_hi_u32 s11, s60, s14
	s_mul_i32 s10, s60, s14
	s_mul_hi_u32 s15, s61, s14
	s_add_nc_u64 s[10:11], s[22:23], s[10:11]
	s_mul_i32 s14, s61, s14
	s_add_co_u32 s4, s10, s4
	s_add_co_ci_u32 s22, s11, s8
	s_add_co_ci_u32 s15, s15, 0
	s_delay_alu instid0(SALU_CYCLE_1) | instskip(NEXT) | instid1(SALU_CYCLE_1)
	s_add_nc_u64 s[10:11], s[22:23], s[14:15]
	s_and_b64 s[14:15], s[10:11], 0xffffffff00000000
	s_delay_alu instid0(SALU_CYCLE_1) | instskip(NEXT) | instid1(SALU_CYCLE_1)
	s_or_b32 s14, s14, s10
	s_mul_u64 s[10:11], s[34:35], s[14:15]
	s_delay_alu instid0(SALU_CYCLE_1) | instskip(SKIP_1) | instid1(SALU_CYCLE_1)
	s_sub_co_u32 s4, s60, s10
	s_cselect_b32 s8, -1, 0
	s_cmp_lg_u32 s8, 0
	s_sub_co_ci_u32 s8, s61, s11
	s_sub_co_u32 s10, s4, s34
	s_cselect_b32 s11, -1, 0
	s_delay_alu instid0(SALU_CYCLE_1) | instskip(SKIP_3) | instid1(SALU_CYCLE_1)
	s_cmp_lg_u32 s11, 0
	s_sub_co_ci_u32 s11, s8, 0
	s_sub_co_u32 s14, s10, s34
	s_cselect_b32 s15, -1, 0
	s_cmp_lg_u32 s15, 0
	s_sub_co_ci_u32 s15, s11, 0
	s_cmp_ge_u32 s10, s34
	s_cselect_b32 s17, -1, 0
	s_cmp_eq_u32 s11, 0
	s_cselect_b32 s17, s17, -1
	s_delay_alu instid0(SALU_CYCLE_1)
	s_cmp_lg_u32 s17, 0
	s_cselect_b32 s11, s15, s11
	s_cselect_b32 s10, s14, s10
	s_cmp_ge_u32 s4, s34
	s_cselect_b32 s14, -1, 0
	s_cmp_eq_u32 s8, 0
	s_cselect_b32 s14, s14, -1
	s_delay_alu instid0(SALU_CYCLE_1)
	s_cmp_lg_u32 s14, 0
	s_cselect_b32 s11, s11, s8
	s_cselect_b32 s10, s10, s4
	s_mov_b32 s4, 0
	s_branch .LBB219_437
.LBB219_436:                            ;   in Loop: Header=BB219_12 Depth=1
	s_mov_b32 s4, -1
                                        ; implicit-def: $sgpr10_sgpr11
.LBB219_437:                            ;   in Loop: Header=BB219_12 Depth=1
	s_delay_alu instid0(SALU_CYCLE_1)
	s_and_not1_b32 vcc_lo, exec_lo, s4
	s_cbranch_vccnz .LBB219_439
; %bb.438:                              ;   in Loop: Header=BB219_12 Depth=1
	v_cvt_f32_u32_e32 v6, s34
	s_sub_co_i32 s8, 0, s34
	s_delay_alu instid0(VALU_DEP_1) | instskip(SKIP_1) | instid1(TRANS32_DEP_1)
	v_rcp_iflag_f32_e32 v6, v6
	v_nop
	v_mul_f32_e32 v6, 0x4f7ffffe, v6
	s_delay_alu instid0(VALU_DEP_1) | instskip(NEXT) | instid1(VALU_DEP_1)
	v_cvt_u32_f32_e32 v6, v6
	v_readfirstlane_b32 s4, v6
	s_mul_i32 s8, s8, s4
	s_delay_alu instid0(SALU_CYCLE_1) | instskip(NEXT) | instid1(SALU_CYCLE_1)
	s_mul_hi_u32 s8, s4, s8
	s_add_co_i32 s4, s4, s8
	s_delay_alu instid0(SALU_CYCLE_1) | instskip(NEXT) | instid1(SALU_CYCLE_1)
	s_mul_hi_u32 s4, s60, s4
	s_mul_i32 s4, s4, s34
	s_delay_alu instid0(SALU_CYCLE_1) | instskip(NEXT) | instid1(SALU_CYCLE_1)
	s_sub_co_i32 s4, s60, s4
	s_sub_co_i32 s8, s4, s34
	s_cmp_ge_u32 s4, s34
	s_cselect_b32 s4, s8, s4
	s_delay_alu instid0(SALU_CYCLE_1) | instskip(SKIP_2) | instid1(SALU_CYCLE_1)
	s_sub_co_i32 s8, s4, s34
	s_cmp_ge_u32 s4, s34
	s_cselect_b32 s22, s8, s4
	s_mov_b64 s[10:11], s[22:23]
.LBB219_439:                            ;   in Loop: Header=BB219_12 Depth=1
	s_delay_alu instid0(SALU_CYCLE_1)
	s_sub_nc_u64 s[10:11], s[60:61], s[10:11]
	s_mov_b32 s14, exec_lo
                                        ; implicit-def: $vgpr36
	v_cmpx_gt_u64_e64 s[10:11], v[0:1]
	s_cbranch_execz .LBB219_448
; %bb.440:                              ;   in Loop: Header=BB219_12 Depth=1
	v_mov_b64_e32 v[6:7], v[0:1]
	s_mov_b32 s15, 0
                                        ; implicit-def: $sgpr17
	s_branch .LBB219_443
.LBB219_441:                            ;   in Loop: Header=BB219_443 Depth=2
	s_or_b32 exec_lo, exec_lo, s22
	s_wait_dscnt 0x0
	s_barrier_signal -1
	s_barrier_wait -1
	ds_load_b32 v8, v3 offset:3072
	s_mov_b32 s8, -1
	s_mov_b32 s4, -1
	s_wait_dscnt 0x0
	s_barrier_signal -1
	s_barrier_wait -1
	v_and_b32_e32 v9, 0x7fff, v8
	s_delay_alu instid0(VALU_DEP_1)
	v_cmp_eq_u32_e32 vcc_lo, 0, v9
	s_cbranch_vccnz .LBB219_446
.LBB219_442:                            ;   in Loop: Header=BB219_443 Depth=2
	s_and_b32 s8, exec_lo, s8
	s_delay_alu instid0(SALU_CYCLE_1) | instskip(SKIP_2) | instid1(SALU_CYCLE_1)
	s_or_b32 s15, s8, s15
	s_and_not1_b32 s8, s17, exec_lo
	s_and_b32 s4, s4, exec_lo
	s_or_b32 s17, s8, s4
	s_and_not1_b32 exec_lo, exec_lo, s15
	s_cbranch_execz .LBB219_447
.LBB219_443:                            ;   Parent Loop BB219_12 Depth=1
                                        ; =>  This Inner Loop Header: Depth=2
	s_mov_b32 s22, exec_lo
	s_delay_alu instid0(VALU_DEP_1)
	v_cmpx_gt_u64_e64 s[28:29], v[6:7]
	s_cbranch_execz .LBB219_441
; %bb.444:                              ;   in Loop: Header=BB219_443 Depth=2
	v_mul_u64_e32 v[8:9], s[26:27], v[6:7]
	s_delay_alu instid0(VALU_DEP_1)
	v_lshl_add_u64 v[8:9], v[8:9], 1, s[24:25]
	global_load_u16 v8, v[8:9], off
	s_wait_loadcnt 0x0
	v_cmp_lt_i16_e32 vcc_lo, -1, v8
	v_and_b32_e32 v9, 0xffff, v8
	v_dual_cndmask_b32 v10, 0xffff, v34 :: v_dual_lshlrev_b32 v11, 16, v8
	s_delay_alu instid0(VALU_DEP_1) | instskip(NEXT) | instid1(VALU_DEP_2)
	v_cmp_o_f32_e32 vcc_lo, v11, v11
	v_xor_b32_e32 v9, v10, v9
	s_delay_alu instid0(VALU_DEP_1) | instskip(NEXT) | instid1(VALU_DEP_1)
	v_cndmask_b32_e32 v9, 0xffff, v9, vcc_lo
	v_and_b32_e32 v9, v9, v35
	s_delay_alu instid0(VALU_DEP_1)
	v_cmp_eq_u32_e32 vcc_lo, v9, v31
	s_and_b32 exec_lo, exec_lo, vcc_lo
	s_cbranch_execz .LBB219_441
; %bb.445:                              ;   in Loop: Header=BB219_443 Depth=2
	v_perm_b32 v8, v8, s95, 0x5040100
	ds_store_b32 v3, v8 offset:3072
	s_branch .LBB219_441
.LBB219_446:                            ;   in Loop: Header=BB219_443 Depth=2
	v_add_nc_u64_e32 v[6:7], s[34:35], v[6:7]
	s_mov_b32 s4, 0
	s_delay_alu instid0(VALU_DEP_1)
	v_cmp_le_u64_e32 vcc_lo, s[10:11], v[6:7]
	s_or_not1_b32 s8, vcc_lo, exec_lo
	s_branch .LBB219_442
.LBB219_447:                            ;   in Loop: Header=BB219_12 Depth=1
	s_or_b32 exec_lo, exec_lo, s15
	v_lshrrev_b32_e32 v36, 16, v8
	s_and_not1_b32 s4, s16, exec_lo
	s_and_b32 s8, s17, exec_lo
	s_delay_alu instid0(SALU_CYCLE_1)
	s_or_b32 s16, s4, s8
.LBB219_448:                            ;   in Loop: Header=BB219_12 Depth=1
	s_or_b32 exec_lo, exec_lo, s14
	s_mov_b32 s38, 0
	s_mov_b32 s39, -1
.LBB219_449:                            ;   in Loop: Header=BB219_12 Depth=1
	s_or_not1_b32 s11, s16, exec_lo
.LBB219_450:                            ;   in Loop: Header=BB219_12 Depth=1
	s_or_b32 exec_lo, exec_lo, s37
	s_mov_b32 s8, 0
	s_and_saveexec_b32 s10, s11
	s_cbranch_execz .LBB219_461
; %bb.451:                              ;   in Loop: Header=BB219_12 Depth=1
	v_mov_b64_e32 v[6:7], 1
	v_mov_b32_e32 v2, 1
	s_xor_b32 s4, s36, -1
	s_delay_alu instid0(SALU_CYCLE_1)
	s_and_saveexec_b32 s11, s4
	s_cbranch_execz .LBB219_460
; %bb.452:                              ;   in Loop: Header=BB219_12 Depth=1
	s_mov_b32 s4, exec_lo
	v_cmpx_ge_u64_e64 s[12:13], v[4:5]
	s_xor_b32 s14, exec_lo, s4
	s_cbranch_execz .LBB219_457
; %bb.453:                              ;   in Loop: Header=BB219_12 Depth=1
	ds_load_b64 v[6:7], v3 offset:5120
	v_and_b32_e32 v31, s74, v31
	v_or_b32_e32 v35, s57, v35
	s_wait_dscnt 0x0
	v_cmp_ne_u64_e32 vcc_lo, 0, v[6:7]
	s_cbranch_vccnz .LBB219_457
; %bb.454:                              ;   in Loop: Header=BB219_12 Depth=1
	s_and_saveexec_b32 s4, s5
; %bb.455:                              ;   in Loop: Header=BB219_12 Depth=1
	v_mov_b64_e32 v[6:7], s[12:13]
	ds_store_b64 v3, v[6:7] offset:5128
; %bb.456:                              ;   in Loop: Header=BB219_12 Depth=1
	s_or_b32 exec_lo, exec_lo, s4
	s_wait_dscnt 0x0
	s_barrier_signal -1
	s_barrier_wait -1
.LBB219_457:                            ;   in Loop: Header=BB219_12 Depth=1
	s_and_not1_saveexec_b32 s8, s14
; %bb.458:                              ;   in Loop: Header=BB219_12 Depth=1
	v_sub_nc_u64_e64 v[4:5], v[4:5], s[12:13]
; %bb.459:                              ;   in Loop: Header=BB219_12 Depth=1
	s_or_b32 exec_lo, exec_lo, s8
	s_delay_alu instid0(VALU_DEP_1)
	v_mov_b64_e32 v[6:7], v[4:5]
	v_mov_b32_e32 v2, 5
.LBB219_460:                            ;   in Loop: Header=BB219_12 Depth=1
	s_or_b32 exec_lo, exec_lo, s11
	s_delay_alu instid0(VALU_DEP_2)
	v_mov_b64_e32 v[4:5], v[6:7]
	s_mov_b32 s8, exec_lo
.LBB219_461:                            ;   in Loop: Header=BB219_12 Depth=1
	s_or_b32 exec_lo, exec_lo, s10
	s_delay_alu instid0(SALU_CYCLE_1)
	s_or_not1_b32 s10, s8, exec_lo
.LBB219_462:                            ;   in Loop: Header=BB219_12 Depth=1
	s_or_b32 exec_lo, exec_lo, s19
	s_delay_alu instid0(VALU_DEP_1)
	v_mov_b64_e32 v[6:7], v[4:5]
	s_and_not1_b32 s4, s81, exec_lo
	s_and_b32 s8, s39, exec_lo
	s_and_not1_b32 s11, s79, exec_lo
	s_and_b32 s12, s38, exec_lo
	s_or_b32 s81, s4, s8
	s_or_b32 s79, s11, s12
	s_and_b32 s11, s10, exec_lo
.LBB219_463:                            ;   in Loop: Header=BB219_12 Depth=1
	s_or_b32 exec_lo, exec_lo, s18
	s_delay_alu instid0(SALU_CYCLE_1)
	s_or_not1_b32 s10, s11, exec_lo
.LBB219_464:                            ;   in Loop: Header=BB219_12 Depth=1
	s_or_b32 exec_lo, exec_lo, s21
	v_mov_b64_e32 v[4:5], v[6:7]
	s_and_not1_b32 s4, s78, exec_lo
	s_and_b32 s8, s81, exec_lo
	s_and_not1_b32 s11, s73, exec_lo
	s_and_b32 s12, s79, exec_lo
	s_or_b32 s78, s4, s8
	s_or_b32 s73, s11, s12
	s_and_b32 s11, s10, exec_lo
.LBB219_465:                            ;   in Loop: Header=BB219_12 Depth=1
	s_or_b32 exec_lo, exec_lo, s20
	s_delay_alu instid0(SALU_CYCLE_1)
	s_or_not1_b32 s10, s11, exec_lo
.LBB219_466:                            ;   in Loop: Header=BB219_12 Depth=1
	s_or_b32 exec_lo, exec_lo, s9
	s_mov_b32 s8, s77
	s_mov_b32 s9, s76
	s_and_saveexec_b32 s11, s10
; %bb.467:                              ;   in Loop: Header=BB219_12 Depth=1
	v_cmp_ne_u32_e32 vcc_lo, 5, v2
	v_cmp_eq_u32_e64 s9, 5, v2
	s_and_not1_b32 s4, s76, exec_lo
	s_and_not1_b32 s8, s77, exec_lo
	s_and_b32 s10, vcc_lo, exec_lo
	s_and_b32 s12, s9, exec_lo
	s_or_b32 s9, s4, s10
	s_or_b32 s8, s8, s12
; %bb.468:                              ;   in Loop: Header=BB219_12 Depth=1
	s_or_b32 exec_lo, exec_lo, s11
	s_delay_alu instid0(SALU_CYCLE_1)
	s_and_not1_b32 s4, s80, exec_lo
	s_and_b32 s10, s78, exec_lo
	s_and_not1_b32 s11, s75, exec_lo
	s_and_b32 s12, s73, exec_lo
	s_or_b32 s80, s4, s10
	s_and_not1_b32 s4, s76, exec_lo
	s_and_b32 s9, s9, exec_lo
	s_and_not1_b32 s10, s77, exec_lo
	s_and_b32 s8, s8, exec_lo
	s_or_b32 s75, s11, s12
	s_or_b32 s76, s4, s9
	;; [unrolled: 1-line block ×3, first 2 shown]
.LBB219_469:                            ;   in Loop: Header=BB219_12 Depth=1
	s_or_b32 exec_lo, exec_lo, s72
	s_mov_b32 s78, 0
	s_mov_b32 s79, 0
	s_and_saveexec_b32 s4, s77
.LBB219_470:                            ;   in Loop: Header=BB219_12 Depth=1
	v_mov_b32_e32 v2, 0
	s_or_b32 s76, s76, exec_lo
.LBB219_471:                            ;   in Loop: Header=BB219_12 Depth=1
	s_or_b32 exec_lo, exec_lo, s4
	v_mov_b64_e32 v[22:23], v[4:5]
	s_and_not1_b32 s4, s54, exec_lo
	s_and_b32 s8, s80, exec_lo
	s_and_not1_b32 s9, s104, exec_lo
	s_and_b32 s11, s75, exec_lo
	s_or_b32 s54, s4, s8
	s_or_b32 s104, s9, s11
	s_and_not1_b32 s4, s56, exec_lo
	s_and_b32 s8, s79, exec_lo
	s_and_not1_b32 s9, s55, exec_lo
	s_and_b32 s11, s78, exec_lo
	s_mov_b32 s10, -1
	s_and_not1_b32 vcc_hi, vcc_hi, exec_lo
	s_or_b32 s56, s4, s8
	s_or_b32 s55, s9, s11
	s_and_saveexec_b32 s4, s76
	s_delay_alu instid0(SALU_CYCLE_1)
	s_xor_b32 s9, exec_lo, s4
	s_cbranch_execz .LBB219_11
; %bb.472:                              ;   in Loop: Header=BB219_12 Depth=1
	s_mov_b32 s8, -1
	s_mov_b32 s4, exec_lo
	v_cmpx_eq_u32_e32 0, v2
	s_cbranch_execz .LBB219_10
; %bb.473:                              ;   in Loop: Header=BB219_12 Depth=1
	s_xor_b32 s99, s99, 1
	s_add_co_i32 s11, s96, -2
	s_cmp_eq_u32 s96, 0
	s_mov_b32 s96, s11
	s_cselect_b32 s10, -1, 0
	s_xor_b32 s8, exec_lo, -1
	s_or_not1_b32 s10, s10, exec_lo
	s_branch .LBB219_10
.LBB219_474:
	s_or_b32 exec_lo, exec_lo, s97
	s_xor_b32 s7, s103, -1
	s_xor_b32 s9, s101, -1
	;; [unrolled: 1-line block ×5, first 2 shown]
	s_mov_b32 s8, 0
	s_and_saveexec_b32 s11, s10
	s_delay_alu instid0(SALU_CYCLE_1)
	s_xor_b32 s16, exec_lo, s11
	s_cbranch_execnz .LBB219_479
; %bb.475:
	s_wait_xcnt 0x0
	s_and_not1_saveexec_b32 s0, s16
	s_cbranch_execnz .LBB219_498
.LBB219_476:
	s_or_b32 exec_lo, exec_lo, s0
	s_and_saveexec_b32 s0, s8
.LBB219_477:
	; divergent unreachable
.LBB219_478:
	s_endpgm
.LBB219_479:
	s_and_saveexec_b32 s10, s4
	s_delay_alu instid0(SALU_CYCLE_1)
	s_xor_b32 s17, exec_lo, s10
	s_cbranch_execz .LBB219_496
; %bb.480:
	s_and_saveexec_b32 s4, s9
	s_delay_alu instid0(SALU_CYCLE_1)
	s_xor_b32 s18, exec_lo, s4
	s_cbranch_execz .LBB219_494
; %bb.481:
	;; [unrolled: 5-line block ×3, first 2 shown]
	s_and_saveexec_b32 s4, s6
	s_delay_alu instid0(SALU_CYCLE_1)
	s_xor_b32 s4, exec_lo, s4
; %bb.483:
	v_and_b32_e32 v2, 0x8000, v31
	v_mov_b32_e32 v3, 0xffff
	s_delay_alu instid0(VALU_DEP_2) | instskip(NEXT) | instid1(VALU_DEP_2)
	v_cmp_eq_u32_e32 vcc_lo, 0, v2
	v_cndmask_b32_e32 v2, 0x8000, v3, vcc_lo
	s_delay_alu instid0(VALU_DEP_1)
	v_xor_b32_e32 v36, v2, v31
; %bb.484:
	s_or_b32 exec_lo, exec_lo, s4
	s_and_saveexec_b32 s4, s5
; %bb.485:
	v_mov_b64_e32 v[2:3], 0
	v_mov_b32_e32 v4, 0
	ds_store_b64 v4, v[2:3] offset:5136
; %bb.486:
	s_or_b32 exec_lo, exec_lo, s4
	v_mov_b32_e32 v17, 0
	s_wait_dscnt 0x0
	s_barrier_signal -1
	s_barrier_wait -1
	s_and_saveexec_b32 s4, s3
	s_cbranch_execz .LBB219_488
; %bb.487:
	global_load_u16 v17, v[14:15], off
.LBB219_488:
	s_wait_xcnt 0x0
	s_or_b32 exec_lo, exec_lo, s4
	v_mov_b32_e32 v16, 0x8000
	v_cmp_lt_i16_e32 vcc_lo, -1, v36
	s_clause 0x1
	s_load_b64 s[6:7], s[0:1], 0x368
	s_load_b64 s[8:9], s[0:1], 0x510
	v_readlane_b32 s36, v46, 10
	v_readlane_b32 s37, v46, 11
	;; [unrolled: 1-line block ×4, first 2 shown]
	s_add_nc_u64 s[4:5], s[28:29], 31
	s_mov_b64 s[10:11], 0xffffffffffffffe0
	s_wait_kmcnt 0x0
	s_mul_u64 s[12:13], s[52:53], s[50:51]
	v_and_b32_e32 v2, 0xffff, v36
	v_cndmask_b32_e32 v3, 0xffff, v16, vcc_lo
	v_lshlrev_b32_e32 v4, 16, v36
	s_and_b64 s[10:11], s[4:5], s[10:11]
	s_sub_nc_u64 s[0:1], s[44:45], s[12:13]
	v_readlane_b32 s4, v46, 2
	v_readlane_b32 s14, v46, 0
	;; [unrolled: 1-line block ×6, first 2 shown]
	s_mul_u64 s[0:1], s[0:1], s[38:39]
	s_mul_u64 s[12:13], s[52:53], s[36:37]
	v_readlane_b32 s36, v46, 4
	v_readlane_b32 s37, v46, 5
	v_xor_b32_e32 v2, v3, v2
	v_cmp_o_f32_e32 vcc_lo, v4, v4
	s_lshl_b64 s[12:13], s[12:13], 1
	v_readlane_b32 s38, v46, 6
	v_readlane_b32 s39, v46, 7
	s_mul_u64 s[4:5], s[14:15], s[4:5]
	s_add_nc_u64 s[12:13], s[22:23], s[12:13]
	v_readlane_b32 s22, v46, 8
	v_readlane_b32 s23, v46, 9
	s_sub_nc_u64 s[4:5], s[44:45], s[4:5]
	s_mul_u64 s[14:15], s[14:15], s[36:37]
	v_cndmask_b32_e32 v13, 0xffff, v2, vcc_lo
	v_cmp_gt_u64_e32 vcc_lo, s[10:11], v[0:1]
	s_mul_u64 s[4:5], s[4:5], s[38:39]
	s_lshl_b64 s[14:15], s[14:15], 3
	s_lshl_b64 s[0:1], s[0:1], 1
	s_add_nc_u64 s[14:15], s[22:23], s[14:15]
	s_lshl_b64 s[4:5], s[4:5], 3
	s_mov_b32 s21, -1
	s_add_nc_u64 s[12:13], s[12:13], s[0:1]
	s_add_nc_u64 s[14:15], s[14:15], s[4:5]
	s_mov_b32 s5, 0
	s_mov_b32 s1, 0
	s_and_saveexec_b32 s20, vcc_lo
	s_cbranch_execnz .LBB219_499
; %bb.489:
	s_or_b32 exec_lo, exec_lo, s20
	s_and_saveexec_b32 s4, s21
	s_cbranch_execnz .LBB219_516
.LBB219_490:
	s_or_b32 exec_lo, exec_lo, s4
	s_and_saveexec_b32 s0, s1
	s_delay_alu instid0(SALU_CYCLE_1)
	s_xor_b32 s0, exec_lo, s0
	s_cbranch_execnz .LBB219_541
.LBB219_491:
	s_or_b32 exec_lo, exec_lo, s0
	s_delay_alu instid0(SALU_CYCLE_1)
	s_and_b32 s8, s5, exec_lo
.LBB219_492:
	s_wait_xcnt 0x0
	s_and_not1_saveexec_b32 s0, s19
	s_cbranch_execnz .LBB219_543
.LBB219_493:
	s_or_b32 exec_lo, exec_lo, s0
	s_delay_alu instid0(SALU_CYCLE_1)
	s_and_b32 s8, s8, exec_lo
.LBB219_494:
	s_wait_xcnt 0x0
	s_and_not1_saveexec_b32 s0, s18
	s_cbranch_execnz .LBB219_542
.LBB219_495:
	s_or_b32 exec_lo, exec_lo, s0
	s_delay_alu instid0(SALU_CYCLE_1)
	s_and_b32 s8, s8, exec_lo
.LBB219_496:
	s_wait_xcnt 0x0
	s_and_not1_saveexec_b32 s0, s17
	s_cbranch_execnz .LBB219_537
.LBB219_497:
	s_or_b32 exec_lo, exec_lo, s0
	s_delay_alu instid0(SALU_CYCLE_1)
	s_and_b32 s8, s8, exec_lo
	s_and_not1_saveexec_b32 s0, s16
	s_cbranch_execz .LBB219_476
.LBB219_498:
	s_or_b32 s8, s8, exec_lo
	s_trap 2
	s_or_b32 exec_lo, exec_lo, s0
	s_and_saveexec_b32 s0, s8
	s_cbranch_execnz .LBB219_477
	s_branch .LBB219_478
.LBB219_499:
	v_mov_b64_e32 v[8:9], v[0:1]
	v_mov_b32_e32 v3, 0
	s_mov_b32 s21, 0
                                        ; implicit-def: $sgpr22
                                        ; implicit-def: $vgpr6_vgpr7
	s_branch .LBB219_501
.LBB219_500:                            ;   in Loop: Header=BB219_501 Depth=1
	s_or_b32 exec_lo, exec_lo, s23
	s_xor_b32 s0, s4, -1
	s_and_b32 s1, exec_lo, s1
	v_mov_b64_e32 v[8:9], v[4:5]
	s_or_b32 s21, s1, s21
	s_wait_loadcnt 0x0
	v_mov_b32_e32 v17, v18
	s_and_not1_b32 s1, s22, exec_lo
	s_and_b32 s0, s0, exec_lo
	s_delay_alu instid0(SALU_CYCLE_1)
	s_or_b32 s22, s1, s0
	s_and_not1_b32 exec_lo, exec_lo, s21
	s_cbranch_execz .LBB219_515
.LBB219_501:                            ; =>This Inner Loop Header: Depth=1
	s_delay_alu instid0(VALU_DEP_2) | instskip(SKIP_2) | instid1(VALU_DEP_2)
	v_add_nc_u64_e32 v[4:5], s[34:35], v[8:9]
	v_mov_b32_e32 v18, 0
	s_mov_b32 s1, exec_lo
	v_cmpx_gt_u64_e64 s[28:29], v[4:5]
	s_cbranch_execz .LBB219_503
; %bb.502:                              ;   in Loop: Header=BB219_501 Depth=1
	v_mul_u64_e32 v[10:11], s[26:27], v[4:5]
	s_delay_alu instid0(VALU_DEP_1)
	v_lshl_add_u64 v[10:11], v[10:11], 1, s[24:25]
	global_load_u16 v18, v[10:11], off
.LBB219_503:                            ;   in Loop: Header=BB219_501 Depth=1
	s_wait_xcnt 0x0
	s_or_b32 exec_lo, exec_lo, s1
	s_mov_b32 s23, 0
	s_mov_b32 s1, exec_lo
	v_cmpx_gt_u64_e64 s[28:29], v[8:9]
	s_cbranch_execz .LBB219_505
; %bb.504:                              ;   in Loop: Header=BB219_501 Depth=1
	s_wait_loadcnt 0x0
	v_cmp_lt_i16_e64 s0, -1, v17
	v_and_b32_e32 v2, 0xffff, v17
	s_delay_alu instid0(VALU_DEP_2) | instskip(NEXT) | instid1(VALU_DEP_1)
	v_cndmask_b32_e64 v10, 0xffff, v16, s0
	v_dual_lshlrev_b32 v11, 16, v17 :: v_dual_bitop2_b32 v2, v10, v2 bitop3:0x14
	s_delay_alu instid0(VALU_DEP_1) | instskip(NEXT) | instid1(VALU_DEP_1)
	v_cmp_o_f32_e64 s0, v11, v11
	v_cndmask_b32_e64 v2, 0xffff, v2, s0
	s_delay_alu instid0(VALU_DEP_1) | instskip(NEXT) | instid1(VALU_DEP_1)
	v_cmp_gt_u32_e64 s0, v2, v13
	v_cndmask_b32_e64 v10, 0, 1, s0
	v_cmp_lt_u32_e64 s0, v2, v13
	s_delay_alu instid0(VALU_DEP_1) | instskip(NEXT) | instid1(VALU_DEP_1)
	v_cndmask_b32_e64 v2, 0, 1, s0
	v_cndmask_b32_e64 v2, v2, v10, s49
	s_delay_alu instid0(VALU_DEP_1) | instskip(NEXT) | instid1(VALU_DEP_1)
	v_and_b32_e32 v2, 1, v2
	v_cmp_eq_u32_e64 s0, 1, v2
	s_and_b32 s23, s0, exec_lo
.LBB219_505:                            ;   in Loop: Header=BB219_501 Depth=1
	s_or_b32 exec_lo, exec_lo, s1
	v_cndmask_b32_e64 v2, 0, 1, s23
	s_delay_alu instid0(VALU_DEP_1) | instskip(SKIP_2) | instid1(SALU_CYCLE_1)
	v_cmp_ne_u32_e64 s0, 0, v2
	s_cmp_lg_u32 s0, 0
	s_cselect_b32 s1, -1, 0
	s_and_b32 s1, s2, s1
	s_delay_alu instid0(SALU_CYCLE_1)
	s_and_saveexec_b32 s33, s1
	s_cbranch_execz .LBB219_509
; %bb.506:                              ;   in Loop: Header=BB219_501 Depth=1
	s_mov_b32 s37, exec_lo
	s_bcnt1_i32_b32 s36, s0
	v_mbcnt_lo_u32_b32 v10, s37, 0
	s_mov_b32 s4, exec_lo
                                        ; implicit-def: $vgpr6_vgpr7
	s_delay_alu instid0(VALU_DEP_1)
	v_cmpx_eq_u32_e32 0, v10
	s_cbranch_execz .LBB219_508
; %bb.507:                              ;   in Loop: Header=BB219_501 Depth=1
	s_bcnt1_i32_b32 s1, s37
	s_delay_alu instid0(SALU_CYCLE_1) | instskip(NEXT) | instid1(SALU_CYCLE_1)
	s_mul_i32 s1, s36, s1
	v_mov_b32_e32 v2, s1
	s_wait_dscnt 0x0
	ds_add_rtn_u64 v[6:7], v3, v[2:3] offset:5136
.LBB219_508:                            ;   in Loop: Header=BB219_501 Depth=1
	s_or_b32 exec_lo, exec_lo, s4
	s_wait_dscnt 0x0
	v_readfirstlane_b32 s39, v7
	v_readfirstlane_b32 s38, v6
	s_delay_alu instid0(VALU_DEP_1)
	v_mad_nc_u64_u32 v[6:7], s36, v10, s[38:39]
.LBB219_509:                            ;   in Loop: Header=BB219_501 Depth=1
	s_or_b32 exec_lo, exec_lo, s33
	s_wait_dscnt 0x1
	ds_bpermute_b32 v6, v3, v6
	s_wait_dscnt 0x1
	ds_bpermute_b32 v7, v3, v7
	s_mov_b32 s1, -1
	s_mov_b32 s36, -1
	s_and_saveexec_b32 s33, s23
	s_cbranch_execz .LBB219_513
; %bb.510:                              ;   in Loop: Header=BB219_501 Depth=1
	v_and_b32_e32 v2, s0, v12
	s_mov_b32 s23, 0
	s_mov_b32 s4, exec_lo
	s_delay_alu instid0(VALU_DEP_1) | instskip(SKIP_1) | instid1(VALU_DEP_1)
	v_bcnt_u32_b32 v2, v2, 0
	s_wait_dscnt 0x0
	v_add_nc_u64_e32 v[10:11], v[6:7], v[2:3]
	s_delay_alu instid0(VALU_DEP_1)
	v_cmpx_gt_u64_e64 s[30:31], v[10:11]
	s_cbranch_execz .LBB219_512
; %bb.511:                              ;   in Loop: Header=BB219_501 Depth=1
	v_mul_u64_e32 v[20:21], s[6:7], v[10:11]
	v_mul_u64_e32 v[10:11], s[8:9], v[10:11]
	s_mov_b32 s23, exec_lo
	s_delay_alu instid0(VALU_DEP_2) | instskip(NEXT) | instid1(VALU_DEP_2)
	v_lshl_add_u64 v[20:21], v[20:21], 1, s[12:13]
	v_lshl_add_u64 v[10:11], v[10:11], 3, s[14:15]
	s_wait_loadcnt 0x0
	global_store_b16 v[20:21], v17, off
	global_store_b64 v[10:11], v[8:9], off
.LBB219_512:                            ;   in Loop: Header=BB219_501 Depth=1
	s_wait_xcnt 0x0
	s_or_b32 exec_lo, exec_lo, s4
	s_delay_alu instid0(SALU_CYCLE_1)
	s_or_not1_b32 s36, s23, exec_lo
.LBB219_513:                            ;   in Loop: Header=BB219_501 Depth=1
	s_or_b32 exec_lo, exec_lo, s33
	s_mov_b32 s4, -1
	s_and_saveexec_b32 s23, s36
	s_cbranch_execz .LBB219_500
; %bb.514:                              ;   in Loop: Header=BB219_501 Depth=1
	v_cmp_le_u64_e64 s0, s[10:11], v[4:5]
	s_xor_b32 s4, exec_lo, -1
	s_or_not1_b32 s1, s0, exec_lo
	s_branch .LBB219_500
.LBB219_515:
	s_or_b32 exec_lo, exec_lo, s21
	s_delay_alu instid0(SALU_CYCLE_1)
	s_mov_b32 s1, exec_lo
	s_or_not1_b32 s21, s22, exec_lo
	s_or_b32 exec_lo, exec_lo, s20
	s_and_saveexec_b32 s4, s21
	s_cbranch_execz .LBB219_490
.LBB219_516:
	v_mov_b32_e32 v16, 0
	s_wait_storecnt 0x0
	s_wait_loadcnt_dscnt 0x0
	s_barrier_signal -1
	s_barrier_wait -1
	s_and_saveexec_b32 s0, s3
	s_cbranch_execz .LBB219_518
; %bb.517:
	global_load_u16 v16, v[14:15], off
.LBB219_518:
	s_wait_xcnt 0x0
	s_or_b32 exec_lo, exec_lo, s0
	s_mov_b32 s0, 0
	s_and_saveexec_b32 s3, vcc_lo
	s_cbranch_execz .LBB219_540
; %bb.519:
	v_dual_mov_b32 v3, 0 :: v_dual_mov_b32 v10, 0x8000
	s_mov_b32 s5, 0
                                        ; implicit-def: $sgpr20
                                        ; implicit-def: $vgpr6_vgpr7
	s_branch .LBB219_522
.LBB219_520:                            ;   in Loop: Header=BB219_522 Depth=1
	s_or_b32 exec_lo, exec_lo, s21
	s_delay_alu instid0(SALU_CYCLE_1)
	s_or_not1_b32 s23, s23, exec_lo
	s_or_not1_b32 s22, s22, exec_lo
.LBB219_521:                            ;   in Loop: Header=BB219_522 Depth=1
	s_or_b32 exec_lo, exec_lo, s0
	s_xor_b32 s0, s23, -1
	s_and_b32 s21, exec_lo, s22
	v_mov_b64_e32 v[0:1], v[4:5]
	s_or_b32 s5, s21, s5
	s_wait_loadcnt 0x0
	v_mov_b32_e32 v16, v11
	s_and_not1_b32 s20, s20, exec_lo
	s_and_b32 s0, s0, exec_lo
	s_delay_alu instid0(SALU_CYCLE_1)
	s_or_b32 s20, s20, s0
	s_and_not1_b32 exec_lo, exec_lo, s5
	s_cbranch_execz .LBB219_538
.LBB219_522:                            ; =>This Inner Loop Header: Depth=1
	v_add_nc_u64_e32 v[4:5], s[34:35], v[0:1]
	v_mov_b32_e32 v11, 0
	s_mov_b32 s0, exec_lo
	s_delay_alu instid0(VALU_DEP_2)
	v_cmpx_gt_u64_e64 s[28:29], v[4:5]
	s_cbranch_execz .LBB219_524
; %bb.523:                              ;   in Loop: Header=BB219_522 Depth=1
	v_mul_u64_e32 v[8:9], s[26:27], v[4:5]
	s_delay_alu instid0(VALU_DEP_1)
	v_lshl_add_u64 v[8:9], v[8:9], 1, s[24:25]
	global_load_u16 v11, v[8:9], off
.LBB219_524:                            ;   in Loop: Header=BB219_522 Depth=1
	s_wait_xcnt 0x0
	s_or_b32 exec_lo, exec_lo, s0
	s_mov_b32 s21, 0
	s_mov_b32 s0, exec_lo
	v_cmpx_gt_u64_e64 s[28:29], v[0:1]
	s_cbranch_execz .LBB219_526
; %bb.525:                              ;   in Loop: Header=BB219_522 Depth=1
	s_wait_loadcnt 0x0
	v_cmp_lt_i16_e32 vcc_lo, -1, v16
	v_and_b32_e32 v2, 0xffff, v16
	v_dual_cndmask_b32 v8, 0xffff, v10 :: v_dual_lshlrev_b32 v9, 16, v16
	s_delay_alu instid0(VALU_DEP_1) | instskip(NEXT) | instid1(VALU_DEP_2)
	v_cmp_o_f32_e32 vcc_lo, v9, v9
	v_xor_b32_e32 v2, v8, v2
	s_delay_alu instid0(VALU_DEP_1) | instskip(NEXT) | instid1(VALU_DEP_1)
	v_cndmask_b32_e32 v2, 0xffff, v2, vcc_lo
	v_cmp_eq_u32_e32 vcc_lo, v2, v13
	s_and_b32 s21, vcc_lo, exec_lo
.LBB219_526:                            ;   in Loop: Header=BB219_522 Depth=1
	s_or_b32 exec_lo, exec_lo, s0
	v_cndmask_b32_e64 v2, 0, 1, s21
	s_delay_alu instid0(VALU_DEP_1) | instskip(SKIP_2) | instid1(SALU_CYCLE_1)
	v_cmp_ne_u32_e32 vcc_lo, 0, v2
	s_cmp_lg_u32 vcc_lo, 0
	s_cselect_b32 s0, -1, 0
	s_and_b32 s0, s2, s0
	s_delay_alu instid0(SALU_CYCLE_1)
	s_and_saveexec_b32 s22, s0
	s_cbranch_execz .LBB219_530
; %bb.527:                              ;   in Loop: Header=BB219_522 Depth=1
	s_mov_b32 s36, exec_lo
	s_bcnt1_i32_b32 s23, vcc_lo
	v_mbcnt_lo_u32_b32 v8, s36, 0
	s_mov_b32 s33, exec_lo
                                        ; implicit-def: $vgpr6_vgpr7
	s_delay_alu instid0(VALU_DEP_1)
	v_cmpx_eq_u32_e32 0, v8
; %bb.528:                              ;   in Loop: Header=BB219_522 Depth=1
	s_bcnt1_i32_b32 s0, s36
	s_delay_alu instid0(SALU_CYCLE_1) | instskip(NEXT) | instid1(SALU_CYCLE_1)
	s_mul_i32 s0, s23, s0
	v_mov_b32_e32 v2, s0
	ds_add_rtn_u64 v[6:7], v3, v[2:3] offset:5136
; %bb.529:                              ;   in Loop: Header=BB219_522 Depth=1
	s_or_b32 exec_lo, exec_lo, s33
	s_wait_dscnt 0x0
	v_readfirstlane_b32 s37, v7
	v_readfirstlane_b32 s36, v6
	s_delay_alu instid0(VALU_DEP_1)
	v_mad_nc_u64_u32 v[6:7], s23, v8, s[36:37]
.LBB219_530:                            ;   in Loop: Header=BB219_522 Depth=1
	s_or_b32 exec_lo, exec_lo, s22
	ds_bpermute_b32 v6, v3, v6
	ds_bpermute_b32 v7, v3, v7
	s_cmp_eq_u32 vcc_lo, 0
	s_mov_b32 s22, -1
	s_cselect_b32 s23, -1, 0
	s_wait_dscnt 0x0
	v_cmp_gt_u64_e64 s0, s[30:31], v[6:7]
	s_or_b32 s33, s23, s0
	s_mov_b32 s23, -1
	s_and_saveexec_b32 s0, s33
	s_cbranch_execz .LBB219_521
; %bb.531:                              ;   in Loop: Header=BB219_522 Depth=1
	v_and_b32_e32 v2, vcc_lo, v12
	v_sub_nc_u64_e32 v[8:9], s[30:31], v[6:7]
	s_mov_b32 s33, -1
	s_delay_alu instid0(VALU_DEP_2) | instskip(NEXT) | instid1(VALU_DEP_1)
	v_bcnt_u32_b32 v2, v2, 0
	v_bcnt_u32_b32 v2, 0, v2
	s_delay_alu instid0(VALU_DEP_1) | instskip(SKIP_1) | instid1(SALU_CYCLE_1)
	v_cmp_gt_u64_e32 vcc_lo, v[8:9], v[2:3]
	s_and_b32 s36, s21, vcc_lo
	s_and_saveexec_b32 s21, s36
	s_cbranch_execz .LBB219_535
; %bb.532:                              ;   in Loop: Header=BB219_522 Depth=1
	v_add_nc_u64_e32 v[8:9], v[6:7], v[2:3]
	s_mov_b32 s33, 0
	s_mov_b32 s23, exec_lo
	s_delay_alu instid0(VALU_DEP_1)
	v_cmpx_gt_u64_e64 s[30:31], v[8:9]
	s_cbranch_execz .LBB219_534
; %bb.533:                              ;   in Loop: Header=BB219_522 Depth=1
	v_mul_u64_e32 v[14:15], s[6:7], v[8:9]
	v_mul_u64_e32 v[8:9], s[8:9], v[8:9]
	s_mov_b32 s33, exec_lo
	s_delay_alu instid0(VALU_DEP_2) | instskip(NEXT) | instid1(VALU_DEP_2)
	v_lshl_add_u64 v[14:15], v[14:15], 1, s[12:13]
	v_lshl_add_u64 v[8:9], v[8:9], 3, s[14:15]
	s_wait_loadcnt 0x0
	global_store_b16 v[14:15], v16, off
	global_store_b64 v[8:9], v[0:1], off
.LBB219_534:                            ;   in Loop: Header=BB219_522 Depth=1
	s_wait_xcnt 0x0
	s_or_b32 exec_lo, exec_lo, s23
	s_delay_alu instid0(SALU_CYCLE_1)
	s_xor_b32 s23, exec_lo, -1
	s_or_not1_b32 s33, s33, exec_lo
.LBB219_535:                            ;   in Loop: Header=BB219_522 Depth=1
	s_or_b32 exec_lo, exec_lo, s21
	s_and_saveexec_b32 s21, s33
	s_cbranch_execz .LBB219_520
; %bb.536:                              ;   in Loop: Header=BB219_522 Depth=1
	v_cmp_le_u64_e32 vcc_lo, s[10:11], v[4:5]
	s_or_b32 s23, s23, exec_lo
	s_or_not1_b32 s22, vcc_lo, exec_lo
	s_branch .LBB219_520
.LBB219_537:
	s_or_b32 s8, s8, exec_lo
	s_trap 2
	s_branch .LBB219_497
.LBB219_538:
	s_or_b32 exec_lo, exec_lo, s5
	s_mov_b32 s0, 0
	s_and_saveexec_b32 s2, s20
	s_delay_alu instid0(SALU_CYCLE_1)
	s_xor_b32 s2, exec_lo, s2
	s_cbranch_execnz .LBB219_544
.LBB219_539:
	s_or_b32 exec_lo, exec_lo, s2
	s_delay_alu instid0(SALU_CYCLE_1)
	s_and_b32 s0, s0, exec_lo
.LBB219_540:
	s_or_b32 exec_lo, exec_lo, s3
	s_delay_alu instid0(SALU_CYCLE_1) | instskip(SKIP_3) | instid1(SALU_CYCLE_1)
	s_and_b32 s5, s0, exec_lo
	s_and_not1_b32 s1, s1, exec_lo
	s_or_b32 exec_lo, exec_lo, s4
	s_and_saveexec_b32 s0, s1
	s_xor_b32 s0, exec_lo, s0
	s_cbranch_execz .LBB219_491
.LBB219_541:
	s_or_b32 s5, s5, exec_lo
	s_trap 2
	s_branch .LBB219_491
.LBB219_542:
	s_or_b32 s8, s8, exec_lo
	s_trap 2
	s_branch .LBB219_495
.LBB219_543:
	s_or_b32 s8, s8, exec_lo
	s_trap 2
	s_branch .LBB219_493
.LBB219_544:
	s_mov_b32 s0, exec_lo
	s_trap 2
	s_branch .LBB219_539
	.section	.rodata,"a",@progbits
	.p2align	6, 0x0
	.amdhsa_kernel _ZN2at6native6sbtopk10gatherTopKIN3c108BFloat16EmLi2ELb0EEEvNS_4cuda6detail10TensorInfoIKT_T0_EESA_SA_bSA_SA_NS7_IS8_SA_EESA_NS7_IlSA_EESA_PS8_
		.amdhsa_group_segment_fixed_size 5152
		.amdhsa_private_segment_fixed_size 0
		.amdhsa_kernarg_size 1568
		.amdhsa_user_sgpr_count 2
		.amdhsa_user_sgpr_dispatch_ptr 0
		.amdhsa_user_sgpr_queue_ptr 0
		.amdhsa_user_sgpr_kernarg_segment_ptr 1
		.amdhsa_user_sgpr_dispatch_id 0
		.amdhsa_user_sgpr_kernarg_preload_length 0
		.amdhsa_user_sgpr_kernarg_preload_offset 0
		.amdhsa_user_sgpr_private_segment_size 0
		.amdhsa_wavefront_size32 1
		.amdhsa_uses_dynamic_stack 0
		.amdhsa_enable_private_segment 0
		.amdhsa_system_sgpr_workgroup_id_x 1
		.amdhsa_system_sgpr_workgroup_id_y 1
		.amdhsa_system_sgpr_workgroup_id_z 1
		.amdhsa_system_sgpr_workgroup_info 0
		.amdhsa_system_vgpr_workitem_id 0
		.amdhsa_next_free_vgpr 47
		.amdhsa_next_free_sgpr 105
		.amdhsa_named_barrier_count 0
		.amdhsa_reserve_vcc 1
		.amdhsa_float_round_mode_32 0
		.amdhsa_float_round_mode_16_64 0
		.amdhsa_float_denorm_mode_32 3
		.amdhsa_float_denorm_mode_16_64 3
		.amdhsa_fp16_overflow 0
		.amdhsa_memory_ordered 1
		.amdhsa_forward_progress 1
		.amdhsa_inst_pref_size 209
		.amdhsa_round_robin_scheduling 0
		.amdhsa_exception_fp_ieee_invalid_op 0
		.amdhsa_exception_fp_denorm_src 0
		.amdhsa_exception_fp_ieee_div_zero 0
		.amdhsa_exception_fp_ieee_overflow 0
		.amdhsa_exception_fp_ieee_underflow 0
		.amdhsa_exception_fp_ieee_inexact 0
		.amdhsa_exception_int_div_zero 0
	.end_amdhsa_kernel
	.section	.text._ZN2at6native6sbtopk10gatherTopKIN3c108BFloat16EmLi2ELb0EEEvNS_4cuda6detail10TensorInfoIKT_T0_EESA_SA_bSA_SA_NS7_IS8_SA_EESA_NS7_IlSA_EESA_PS8_,"axG",@progbits,_ZN2at6native6sbtopk10gatherTopKIN3c108BFloat16EmLi2ELb0EEEvNS_4cuda6detail10TensorInfoIKT_T0_EESA_SA_bSA_SA_NS7_IS8_SA_EESA_NS7_IlSA_EESA_PS8_,comdat
.Lfunc_end219:
	.size	_ZN2at6native6sbtopk10gatherTopKIN3c108BFloat16EmLi2ELb0EEEvNS_4cuda6detail10TensorInfoIKT_T0_EESA_SA_bSA_SA_NS7_IS8_SA_EESA_NS7_IlSA_EESA_PS8_, .Lfunc_end219-_ZN2at6native6sbtopk10gatherTopKIN3c108BFloat16EmLi2ELb0EEEvNS_4cuda6detail10TensorInfoIKT_T0_EESA_SA_bSA_SA_NS7_IS8_SA_EESA_NS7_IlSA_EESA_PS8_
                                        ; -- End function
	.set _ZN2at6native6sbtopk10gatherTopKIN3c108BFloat16EmLi2ELb0EEEvNS_4cuda6detail10TensorInfoIKT_T0_EESA_SA_bSA_SA_NS7_IS8_SA_EESA_NS7_IlSA_EESA_PS8_.num_vgpr, 47
	.set _ZN2at6native6sbtopk10gatherTopKIN3c108BFloat16EmLi2ELb0EEEvNS_4cuda6detail10TensorInfoIKT_T0_EESA_SA_bSA_SA_NS7_IS8_SA_EESA_NS7_IlSA_EESA_PS8_.num_agpr, 0
	.set _ZN2at6native6sbtopk10gatherTopKIN3c108BFloat16EmLi2ELb0EEEvNS_4cuda6detail10TensorInfoIKT_T0_EESA_SA_bSA_SA_NS7_IS8_SA_EESA_NS7_IlSA_EESA_PS8_.numbered_sgpr, 105
	.set _ZN2at6native6sbtopk10gatherTopKIN3c108BFloat16EmLi2ELb0EEEvNS_4cuda6detail10TensorInfoIKT_T0_EESA_SA_bSA_SA_NS7_IS8_SA_EESA_NS7_IlSA_EESA_PS8_.num_named_barrier, 0
	.set _ZN2at6native6sbtopk10gatherTopKIN3c108BFloat16EmLi2ELb0EEEvNS_4cuda6detail10TensorInfoIKT_T0_EESA_SA_bSA_SA_NS7_IS8_SA_EESA_NS7_IlSA_EESA_PS8_.private_seg_size, 0
	.set _ZN2at6native6sbtopk10gatherTopKIN3c108BFloat16EmLi2ELb0EEEvNS_4cuda6detail10TensorInfoIKT_T0_EESA_SA_bSA_SA_NS7_IS8_SA_EESA_NS7_IlSA_EESA_PS8_.uses_vcc, 1
	.set _ZN2at6native6sbtopk10gatherTopKIN3c108BFloat16EmLi2ELb0EEEvNS_4cuda6detail10TensorInfoIKT_T0_EESA_SA_bSA_SA_NS7_IS8_SA_EESA_NS7_IlSA_EESA_PS8_.uses_flat_scratch, 0
	.set _ZN2at6native6sbtopk10gatherTopKIN3c108BFloat16EmLi2ELb0EEEvNS_4cuda6detail10TensorInfoIKT_T0_EESA_SA_bSA_SA_NS7_IS8_SA_EESA_NS7_IlSA_EESA_PS8_.has_dyn_sized_stack, 0
	.set _ZN2at6native6sbtopk10gatherTopKIN3c108BFloat16EmLi2ELb0EEEvNS_4cuda6detail10TensorInfoIKT_T0_EESA_SA_bSA_SA_NS7_IS8_SA_EESA_NS7_IlSA_EESA_PS8_.has_recursion, 0
	.set _ZN2at6native6sbtopk10gatherTopKIN3c108BFloat16EmLi2ELb0EEEvNS_4cuda6detail10TensorInfoIKT_T0_EESA_SA_bSA_SA_NS7_IS8_SA_EESA_NS7_IlSA_EESA_PS8_.has_indirect_call, 0
	.section	.AMDGPU.csdata,"",@progbits
; Kernel info:
; codeLenInByte = 26672
; TotalNumSgprs: 107
; NumVgprs: 47
; ScratchSize: 0
; MemoryBound: 0
; FloatMode: 240
; IeeeMode: 1
; LDSByteSize: 5152 bytes/workgroup (compile time only)
; SGPRBlocks: 0
; VGPRBlocks: 2
; NumSGPRsForWavesPerEU: 107
; NumVGPRsForWavesPerEU: 47
; NamedBarCnt: 0
; Occupancy: 16
; WaveLimiterHint : 1
; COMPUTE_PGM_RSRC2:SCRATCH_EN: 0
; COMPUTE_PGM_RSRC2:USER_SGPR: 2
; COMPUTE_PGM_RSRC2:TRAP_HANDLER: 0
; COMPUTE_PGM_RSRC2:TGID_X_EN: 1
; COMPUTE_PGM_RSRC2:TGID_Y_EN: 1
; COMPUTE_PGM_RSRC2:TGID_Z_EN: 1
; COMPUTE_PGM_RSRC2:TIDIG_COMP_CNT: 0
	.section	.text._ZN2at6native6mbtopk23computeBlockDigitCountsIN3c108BFloat16EmjLi3EEEvNS_4cuda6detail10TensorInfoIKT_T0_EEjPjjSA_iijT1_PSD_Ps,"axG",@progbits,_ZN2at6native6mbtopk23computeBlockDigitCountsIN3c108BFloat16EmjLi3EEEvNS_4cuda6detail10TensorInfoIKT_T0_EEjPjjSA_iijT1_PSD_Ps,comdat
	.protected	_ZN2at6native6mbtopk23computeBlockDigitCountsIN3c108BFloat16EmjLi3EEEvNS_4cuda6detail10TensorInfoIKT_T0_EEjPjjSA_iijT1_PSD_Ps ; -- Begin function _ZN2at6native6mbtopk23computeBlockDigitCountsIN3c108BFloat16EmjLi3EEEvNS_4cuda6detail10TensorInfoIKT_T0_EEjPjjSA_iijT1_PSD_Ps
	.globl	_ZN2at6native6mbtopk23computeBlockDigitCountsIN3c108BFloat16EmjLi3EEEvNS_4cuda6detail10TensorInfoIKT_T0_EEjPjjSA_iijT1_PSD_Ps
	.p2align	8
	.type	_ZN2at6native6mbtopk23computeBlockDigitCountsIN3c108BFloat16EmjLi3EEEvNS_4cuda6detail10TensorInfoIKT_T0_EEjPjjSA_iijT1_PSD_Ps,@function
_ZN2at6native6mbtopk23computeBlockDigitCountsIN3c108BFloat16EmjLi3EEEvNS_4cuda6detail10TensorInfoIKT_T0_EEjPjjSA_iijT1_PSD_Ps: ; @_ZN2at6native6mbtopk23computeBlockDigitCountsIN3c108BFloat16EmjLi3EEEvNS_4cuda6detail10TensorInfoIKT_T0_EEjPjjSA_iijT1_PSD_Ps
; %bb.0:
	s_load_b128 s[4:7], s[0:1], 0x1c0
	s_bfe_u32 s2, ttmp6, 0x40010
	s_and_b32 s8, ttmp7, 0xffff
	s_add_co_i32 s9, s2, 1
	s_bfe_u32 s10, ttmp6, 0x40004
	s_mul_i32 s9, s8, s9
	s_load_b64 s[2:3], s[0:1], 0x1e0
	s_add_co_i32 s10, s10, s9
	s_bfe_u32 s11, ttmp6, 0x4000c
	s_bfe_u32 s13, ttmp6, 0x40014
	s_add_co_i32 s11, s11, 1
	s_and_b32 s12, ttmp6, 15
	s_mul_i32 s11, ttmp9, s11
	s_add_co_i32 s13, s13, 1
	s_add_co_i32 s12, s12, s11
	s_getreg_b32 s14, hwreg(HW_REG_IB_STS2, 6, 4)
	s_wait_kmcnt 0x0
	s_cvt_f32_u32 s9, s6
	s_delay_alu instid0(SALU_CYCLE_3) | instskip(SKIP_1) | instid1(SALU_CYCLE_1)
	v_rcp_iflag_f32_e32 v1, s9
	s_lshr_b32 s9, ttmp7, 16
	s_mul_i32 s11, s9, s13
	s_bfe_u32 s13, ttmp6, 0x40008
	s_delay_alu instid0(SALU_CYCLE_1) | instskip(SKIP_1) | instid1(TRANS32_DEP_1)
	s_add_co_i32 s13, s13, s11
	v_nop
	v_readfirstlane_b32 s15, v1
	s_cmp_eq_u32 s14, 0
	s_cselect_b32 s9, s9, s13
	s_load_b32 s13, s[0:1], 0x1b0
	s_mul_f32 s11, s15, 0x4f7ffffe
	s_mul_i32 s3, s3, s9
	s_cselect_b32 s9, ttmp9, s12
	s_cselect_b32 s8, s8, s10
	s_cvt_u32_f32 s11, s11
	s_sub_co_i32 s10, 0, s6
	s_add_co_i32 s3, s3, s8
	s_delay_alu instid0(SALU_CYCLE_1) | instskip(SKIP_3) | instid1(SALU_CYCLE_1)
	s_mul_i32 s24, s3, s2
	s_mul_i32 s10, s10, s11
	s_add_co_i32 s24, s24, s9
	s_mul_hi_u32 s2, s11, s10
	s_add_co_i32 s11, s11, s2
	s_delay_alu instid0(SALU_CYCLE_1) | instskip(NEXT) | instid1(SALU_CYCLE_1)
	s_mul_hi_u32 s2, s24, s11
	s_mul_i32 s3, s2, s6
	s_add_co_i32 s8, s2, 1
	s_sub_co_i32 s3, s24, s3
	s_delay_alu instid0(SALU_CYCLE_1)
	s_sub_co_i32 s9, s3, s6
	s_cmp_ge_u32 s3, s6
	s_cselect_b32 s2, s8, s2
	s_cselect_b32 s3, s9, s3
	s_add_co_i32 s8, s2, 1
	s_cmp_ge_u32 s3, s6
	s_mov_b32 s3, 0
	s_cselect_b32 s2, s8, s2
	s_wait_kmcnt 0x0
	s_cmp_ge_u32 s2, s13
	s_cbranch_scc1 .LBB220_25
; %bb.1:
	s_load_b128 s[12:15], s[0:1], 0x10
	s_mov_b64 s[18:19], 0
	s_mov_b64 s[20:21], 0
	s_wait_kmcnt 0x0
	v_cmp_lt_u64_e64 s8, s[2:3], s[14:15]
	s_and_b32 vcc_lo, exec_lo, s8
	s_cbranch_vccz .LBB220_15
; %bb.2:
	v_cmp_lt_u64_e64 s8, s[20:21], s[12:13]
	s_and_b32 vcc_lo, exec_lo, s8
	s_cbranch_vccz .LBB220_16
.LBB220_3:
	v_cmp_gt_u32_e32 vcc_lo, 0x100, v0
	v_lshlrev_b32_e32 v1, 2, v0
	s_and_saveexec_b32 s8, vcc_lo
.LBB220_4:
	v_mov_b32_e32 v2, 0
	ds_store_b32 v1, v2
.LBB220_5:
	s_or_b32 exec_lo, exec_lo, s8
	s_clause 0x1
	s_load_b32 s25, s[0:1], 0x1a0
	s_load_b128 s[8:11], s[0:1], 0x1d0
	s_mul_i32 s16, s2, s6
	s_mov_b32 s23, 0
	s_sub_co_i32 s27, s24, s16
	s_wait_dscnt 0x0
	s_mul_i32 s16, s5, s27
	s_add_co_i32 s27, s27, 1
	s_lshl_b32 s26, s16, 8
	s_barrier_signal -1
	s_barrier_wait -1
	s_wait_kmcnt 0x0
	s_sub_co_i32 s22, s25, s26
	s_delay_alu instid0(SALU_CYCLE_1) | instskip(NEXT) | instid1(SALU_CYCLE_1)
	s_add_nc_u64 s[16:17], s[22:23], 0xff
	s_lshr_b64 s[16:17], s[16:17], 8
	s_cmp_lt_u32 s27, s6
	s_cselect_b32 s6, s5, s16
	s_delay_alu instid0(SALU_CYCLE_1)
	s_cmp_lt_i32 s6, 1
	s_cbranch_scc1 .LBB220_23
; %bb.6:
	s_clause 0x2
	s_load_b64 s[34:35], s[0:1], 0xe0
	s_load_b128 s[28:31], s[0:1], 0xd0
	s_load_b64 s[36:37], s[0:1], 0x0
	s_load_b32 s5, s[8:9], s2 offset:0x0 scale_offset
	s_load_b64 s[16:17], s[0:1], 0x1b8
	s_wait_xcnt 0x0
	s_mul_u64 s[0:1], s[20:21], s[14:15]
	s_mul_u64 s[8:9], s[18:19], s[12:13]
	s_sub_nc_u64 s[0:1], s[2:3], s[0:1]
	s_sub_nc_u64 s[2:3], s[20:21], s[8:9]
	v_add_nc_u32_e32 v6, s26, v0
	s_wait_kmcnt 0x0
	s_mul_u64 s[0:1], s[0:1], s[34:35]
	s_mul_u64 s[8:9], s[18:19], s[28:29]
	;; [unrolled: 1-line block ×3, first 2 shown]
	s_lshl_b64 s[8:9], s[8:9], 1
	s_lshl_b64 s[2:3], s[2:3], 1
	s_add_nc_u64 s[8:9], s[36:37], s[8:9]
	s_lshl_b64 s[12:13], s[0:1], 1
	s_add_nc_u64 s[2:3], s[8:9], s[2:3]
	s_and_b32 s1, s4, 0xff
	s_cmp_eq_u32 s6, 1
	s_add_nc_u64 s[2:3], s[2:3], s[12:13]
	s_cbranch_scc1 .LBB220_18
; %bb.7:
	v_dual_mov_b32 v3, 0 :: v_dual_mov_b32 v7, 1
	v_mov_b32_e32 v8, 0x8000
	v_mov_b32_e32 v2, v6
	s_and_b32 s4, s6, 0x7ffffffe
	s_mov_b32 s8, 0
	s_branch .LBB220_9
.LBB220_8:                              ;   in Loop: Header=BB220_9 Depth=1
	s_or_b32 exec_lo, exec_lo, s9
	v_add_nc_u32_e32 v2, 0x200, v2
	s_add_co_i32 s8, s8, 2
	s_delay_alu instid0(SALU_CYCLE_1)
	s_cmp_eq_u32 s4, s8
	s_cbranch_scc1 .LBB220_17
.LBB220_9:                              ; =>This Inner Loop Header: Depth=1
	s_mov_b32 s9, exec_lo
	v_cmpx_gt_u32_e64 s25, v2
	s_cbranch_execz .LBB220_12
; %bb.10:                               ;   in Loop: Header=BB220_9 Depth=1
	v_mul_u64_e32 v[4:5], s[16:17], v[2:3]
	s_delay_alu instid0(VALU_DEP_1)
	v_lshl_add_u64 v[4:5], v[4:5], 1, s[2:3]
	global_load_u16 v4, v[4:5], off
	s_wait_loadcnt 0x0
	v_cmp_lt_i16_e64 s0, -1, v4
	s_wait_xcnt 0x0
	v_and_b32_e32 v5, 0xffff, v4
	s_delay_alu instid0(VALU_DEP_2) | instskip(NEXT) | instid1(VALU_DEP_1)
	v_cndmask_b32_e64 v9, 0xffff, v8, s0
	v_dual_lshlrev_b32 v4, 16, v4 :: v_dual_bitop2_b32 v5, v9, v5 bitop3:0x14
	s_delay_alu instid0(VALU_DEP_1) | instskip(NEXT) | instid1(VALU_DEP_1)
	v_cmp_o_f32_e64 s0, v4, v4
	v_cndmask_b32_e64 v4, 0xffff, v5, s0
	s_delay_alu instid0(VALU_DEP_1) | instskip(NEXT) | instid1(VALU_DEP_1)
	v_bitop3_b32 v5, v4, s7, s5 bitop3:0x48
	v_cmp_eq_u32_e64 s0, 0, v5
	s_and_b32 exec_lo, exec_lo, s0
; %bb.11:                               ;   in Loop: Header=BB220_9 Depth=1
	v_bfe_u32 v4, v4, s1, 8
	s_delay_alu instid0(VALU_DEP_1)
	v_lshlrev_b32_e32 v4, 2, v4
	ds_add_u32 v4, v7
.LBB220_12:                             ;   in Loop: Header=BB220_9 Depth=1
	s_or_b32 exec_lo, exec_lo, s9
	v_add_nc_u32_e32 v4, 0x100, v2
	s_mov_b32 s9, exec_lo
	s_delay_alu instid0(VALU_DEP_1)
	v_cmpx_gt_u32_e64 s25, v4
	s_cbranch_execz .LBB220_8
; %bb.13:                               ;   in Loop: Header=BB220_9 Depth=1
	v_mov_b32_e32 v5, v3
	s_delay_alu instid0(VALU_DEP_1) | instskip(NEXT) | instid1(VALU_DEP_1)
	v_mul_u64_e32 v[4:5], s[16:17], v[4:5]
	v_lshl_add_u64 v[4:5], v[4:5], 1, s[2:3]
	global_load_u16 v4, v[4:5], off
	s_wait_loadcnt 0x0
	v_cmp_lt_i16_e64 s0, -1, v4
	v_and_b32_e32 v5, 0xffff, v4
	v_lshlrev_b32_e32 v4, 16, v4
	s_delay_alu instid0(VALU_DEP_3) | instskip(NEXT) | instid1(VALU_DEP_2)
	v_cndmask_b32_e64 v9, 0xffff, v8, s0
	v_cmp_o_f32_e64 s0, v4, v4
	s_delay_alu instid0(VALU_DEP_2) | instskip(NEXT) | instid1(VALU_DEP_1)
	v_xor_b32_e32 v5, v9, v5
	v_cndmask_b32_e64 v4, 0xffff, v5, s0
	s_delay_alu instid0(VALU_DEP_1) | instskip(NEXT) | instid1(VALU_DEP_1)
	v_bitop3_b32 v5, v4, s7, s5 bitop3:0x48
	v_cmp_eq_u32_e64 s0, 0, v5
	s_and_b32 exec_lo, exec_lo, s0
	s_cbranch_execz .LBB220_8
; %bb.14:                               ;   in Loop: Header=BB220_9 Depth=1
	v_bfe_u32 v4, v4, s1, 8
	s_delay_alu instid0(VALU_DEP_1)
	v_lshlrev_b32_e32 v4, 2, v4
	ds_add_u32 v4, v7
	s_branch .LBB220_8
.LBB220_15:
	v_cvt_f32_u32_e32 v1, s14
	s_sub_co_i32 s9, 0, s14
	s_mov_b32 s21, 0
	s_delay_alu instid0(VALU_DEP_1) | instskip(SKIP_1) | instid1(TRANS32_DEP_1)
	v_rcp_iflag_f32_e32 v1, v1
	v_nop
	v_mul_f32_e32 v1, 0x4f7ffffe, v1
	s_delay_alu instid0(VALU_DEP_1) | instskip(NEXT) | instid1(VALU_DEP_1)
	v_cvt_u32_f32_e32 v1, v1
	v_readfirstlane_b32 s8, v1
	s_mul_i32 s9, s9, s8
	s_delay_alu instid0(SALU_CYCLE_1) | instskip(NEXT) | instid1(SALU_CYCLE_1)
	s_mul_hi_u32 s9, s8, s9
	s_add_co_i32 s8, s8, s9
	s_delay_alu instid0(SALU_CYCLE_1) | instskip(NEXT) | instid1(SALU_CYCLE_1)
	s_mul_hi_u32 s8, s2, s8
	s_mul_i32 s9, s8, s14
	s_add_co_i32 s10, s8, 1
	s_sub_co_i32 s9, s2, s9
	s_delay_alu instid0(SALU_CYCLE_1)
	s_sub_co_i32 s11, s9, s14
	s_cmp_ge_u32 s9, s14
	s_cselect_b32 s8, s10, s8
	s_cselect_b32 s9, s11, s9
	s_add_co_i32 s10, s8, 1
	s_cmp_ge_u32 s9, s14
	s_cselect_b32 s20, s10, s8
	s_delay_alu instid0(SALU_CYCLE_1)
	v_cmp_lt_u64_e64 s8, s[20:21], s[12:13]
	s_and_b32 vcc_lo, exec_lo, s8
	s_cbranch_vccnz .LBB220_3
.LBB220_16:
	v_cvt_f32_u32_e32 v1, s12
	s_sub_co_i32 s9, 0, s12
	s_mov_b32 s19, 0
	s_delay_alu instid0(VALU_DEP_1) | instskip(SKIP_1) | instid1(TRANS32_DEP_1)
	v_rcp_iflag_f32_e32 v1, v1
	v_nop
	v_mul_f32_e32 v1, 0x4f7ffffe, v1
	s_delay_alu instid0(VALU_DEP_1) | instskip(NEXT) | instid1(VALU_DEP_1)
	v_cvt_u32_f32_e32 v1, v1
	v_readfirstlane_b32 s8, v1
	s_mul_i32 s9, s9, s8
	s_delay_alu instid0(SALU_CYCLE_1) | instskip(NEXT) | instid1(SALU_CYCLE_1)
	s_mul_hi_u32 s9, s8, s9
	s_add_co_i32 s8, s8, s9
	s_delay_alu instid0(SALU_CYCLE_1) | instskip(NEXT) | instid1(SALU_CYCLE_1)
	s_mul_hi_u32 s8, s20, s8
	s_mul_i32 s9, s8, s12
	s_add_co_i32 s10, s8, 1
	s_sub_co_i32 s9, s20, s9
	s_delay_alu instid0(SALU_CYCLE_1)
	s_sub_co_i32 s11, s9, s12
	s_cmp_ge_u32 s9, s12
	s_cselect_b32 s8, s10, s8
	s_cselect_b32 s9, s11, s9
	s_add_co_i32 s10, s8, 1
	s_cmp_ge_u32 s9, s12
	s_cselect_b32 s18, s10, s8
	v_cmp_gt_u32_e32 vcc_lo, 0x100, v0
	v_lshlrev_b32_e32 v1, 2, v0
	s_and_saveexec_b32 s8, vcc_lo
	s_cbranch_execnz .LBB220_4
	s_branch .LBB220_5
.LBB220_17:
	s_lshl_b32 s23, s4, 8
.LBB220_18:
	s_bitcmp0_b32 s6, 0
	s_cbranch_scc1 .LBB220_23
; %bb.19:
	v_add_nc_u32_e32 v2, s23, v6
	s_mov_b32 s4, exec_lo
	s_delay_alu instid0(VALU_DEP_1)
	v_cmpx_gt_u32_e64 s25, v2
	s_cbranch_execz .LBB220_22
; %bb.20:
	v_mov_b32_e32 v3, 0
	s_delay_alu instid0(VALU_DEP_1) | instskip(NEXT) | instid1(VALU_DEP_1)
	v_mul_u64_e32 v[2:3], s[16:17], v[2:3]
	v_lshl_add_u64 v[2:3], v[2:3], 1, s[2:3]
	global_load_u16 v2, v[2:3], off
	s_wait_xcnt 0x0
	v_mov_b32_e32 v3, 0x8000
	s_wait_loadcnt 0x0
	v_cmp_lt_i16_e64 s0, -1, v2
	v_and_b32_e32 v4, 0xffff, v2
	v_lshlrev_b32_e32 v2, 16, v2
	s_delay_alu instid0(VALU_DEP_3) | instskip(NEXT) | instid1(VALU_DEP_2)
	v_cndmask_b32_e64 v3, 0xffff, v3, s0
	v_cmp_o_f32_e64 s0, v2, v2
	s_delay_alu instid0(VALU_DEP_2) | instskip(NEXT) | instid1(VALU_DEP_1)
	v_xor_b32_e32 v3, v3, v4
	v_cndmask_b32_e64 v2, 0xffff, v3, s0
	s_delay_alu instid0(VALU_DEP_1) | instskip(NEXT) | instid1(VALU_DEP_1)
	v_bitop3_b32 v3, v2, s7, s5 bitop3:0x48
	v_cmp_eq_u32_e64 s0, 0, v3
	s_and_b32 exec_lo, exec_lo, s0
; %bb.21:
	v_bfe_u32 v2, v2, s1, 8
	s_delay_alu instid0(VALU_DEP_1)
	v_dual_mov_b32 v3, 1 :: v_dual_lshlrev_b32 v2, 2, v2
	ds_add_u32 v2, v3
.LBB220_22:
	s_or_b32 exec_lo, exec_lo, s4
.LBB220_23:
	s_wait_dscnt 0x0
	s_barrier_signal -1
	s_barrier_wait -1
	s_and_saveexec_b32 s0, vcc_lo
	s_cbranch_execz .LBB220_25
; %bb.24:
	ds_load_b32 v1, v1
	v_lshl_or_b32 v0, s24, 8, v0
	s_wait_dscnt 0x0
	global_store_b16 v0, v1, s[10:11] scale_offset
.LBB220_25:
	s_endpgm
	.section	.rodata,"a",@progbits
	.p2align	6, 0x0
	.amdhsa_kernel _ZN2at6native6mbtopk23computeBlockDigitCountsIN3c108BFloat16EmjLi3EEEvNS_4cuda6detail10TensorInfoIKT_T0_EEjPjjSA_iijT1_PSD_Ps
		.amdhsa_group_segment_fixed_size 1024
		.amdhsa_private_segment_fixed_size 0
		.amdhsa_kernarg_size 736
		.amdhsa_user_sgpr_count 2
		.amdhsa_user_sgpr_dispatch_ptr 0
		.amdhsa_user_sgpr_queue_ptr 0
		.amdhsa_user_sgpr_kernarg_segment_ptr 1
		.amdhsa_user_sgpr_dispatch_id 0
		.amdhsa_user_sgpr_kernarg_preload_length 0
		.amdhsa_user_sgpr_kernarg_preload_offset 0
		.amdhsa_user_sgpr_private_segment_size 0
		.amdhsa_wavefront_size32 1
		.amdhsa_uses_dynamic_stack 0
		.amdhsa_enable_private_segment 0
		.amdhsa_system_sgpr_workgroup_id_x 1
		.amdhsa_system_sgpr_workgroup_id_y 1
		.amdhsa_system_sgpr_workgroup_id_z 1
		.amdhsa_system_sgpr_workgroup_info 0
		.amdhsa_system_vgpr_workitem_id 0
		.amdhsa_next_free_vgpr 10
		.amdhsa_next_free_sgpr 38
		.amdhsa_named_barrier_count 0
		.amdhsa_reserve_vcc 1
		.amdhsa_float_round_mode_32 0
		.amdhsa_float_round_mode_16_64 0
		.amdhsa_float_denorm_mode_32 3
		.amdhsa_float_denorm_mode_16_64 3
		.amdhsa_fp16_overflow 0
		.amdhsa_memory_ordered 1
		.amdhsa_forward_progress 1
		.amdhsa_inst_pref_size 13
		.amdhsa_round_robin_scheduling 0
		.amdhsa_exception_fp_ieee_invalid_op 0
		.amdhsa_exception_fp_denorm_src 0
		.amdhsa_exception_fp_ieee_div_zero 0
		.amdhsa_exception_fp_ieee_overflow 0
		.amdhsa_exception_fp_ieee_underflow 0
		.amdhsa_exception_fp_ieee_inexact 0
		.amdhsa_exception_int_div_zero 0
	.end_amdhsa_kernel
	.section	.text._ZN2at6native6mbtopk23computeBlockDigitCountsIN3c108BFloat16EmjLi3EEEvNS_4cuda6detail10TensorInfoIKT_T0_EEjPjjSA_iijT1_PSD_Ps,"axG",@progbits,_ZN2at6native6mbtopk23computeBlockDigitCountsIN3c108BFloat16EmjLi3EEEvNS_4cuda6detail10TensorInfoIKT_T0_EEjPjjSA_iijT1_PSD_Ps,comdat
.Lfunc_end220:
	.size	_ZN2at6native6mbtopk23computeBlockDigitCountsIN3c108BFloat16EmjLi3EEEvNS_4cuda6detail10TensorInfoIKT_T0_EEjPjjSA_iijT1_PSD_Ps, .Lfunc_end220-_ZN2at6native6mbtopk23computeBlockDigitCountsIN3c108BFloat16EmjLi3EEEvNS_4cuda6detail10TensorInfoIKT_T0_EEjPjjSA_iijT1_PSD_Ps
                                        ; -- End function
	.set _ZN2at6native6mbtopk23computeBlockDigitCountsIN3c108BFloat16EmjLi3EEEvNS_4cuda6detail10TensorInfoIKT_T0_EEjPjjSA_iijT1_PSD_Ps.num_vgpr, 10
	.set _ZN2at6native6mbtopk23computeBlockDigitCountsIN3c108BFloat16EmjLi3EEEvNS_4cuda6detail10TensorInfoIKT_T0_EEjPjjSA_iijT1_PSD_Ps.num_agpr, 0
	.set _ZN2at6native6mbtopk23computeBlockDigitCountsIN3c108BFloat16EmjLi3EEEvNS_4cuda6detail10TensorInfoIKT_T0_EEjPjjSA_iijT1_PSD_Ps.numbered_sgpr, 38
	.set _ZN2at6native6mbtopk23computeBlockDigitCountsIN3c108BFloat16EmjLi3EEEvNS_4cuda6detail10TensorInfoIKT_T0_EEjPjjSA_iijT1_PSD_Ps.num_named_barrier, 0
	.set _ZN2at6native6mbtopk23computeBlockDigitCountsIN3c108BFloat16EmjLi3EEEvNS_4cuda6detail10TensorInfoIKT_T0_EEjPjjSA_iijT1_PSD_Ps.private_seg_size, 0
	.set _ZN2at6native6mbtopk23computeBlockDigitCountsIN3c108BFloat16EmjLi3EEEvNS_4cuda6detail10TensorInfoIKT_T0_EEjPjjSA_iijT1_PSD_Ps.uses_vcc, 1
	.set _ZN2at6native6mbtopk23computeBlockDigitCountsIN3c108BFloat16EmjLi3EEEvNS_4cuda6detail10TensorInfoIKT_T0_EEjPjjSA_iijT1_PSD_Ps.uses_flat_scratch, 0
	.set _ZN2at6native6mbtopk23computeBlockDigitCountsIN3c108BFloat16EmjLi3EEEvNS_4cuda6detail10TensorInfoIKT_T0_EEjPjjSA_iijT1_PSD_Ps.has_dyn_sized_stack, 0
	.set _ZN2at6native6mbtopk23computeBlockDigitCountsIN3c108BFloat16EmjLi3EEEvNS_4cuda6detail10TensorInfoIKT_T0_EEjPjjSA_iijT1_PSD_Ps.has_recursion, 0
	.set _ZN2at6native6mbtopk23computeBlockDigitCountsIN3c108BFloat16EmjLi3EEEvNS_4cuda6detail10TensorInfoIKT_T0_EEjPjjSA_iijT1_PSD_Ps.has_indirect_call, 0
	.section	.AMDGPU.csdata,"",@progbits
; Kernel info:
; codeLenInByte = 1540
; TotalNumSgprs: 40
; NumVgprs: 10
; ScratchSize: 0
; MemoryBound: 0
; FloatMode: 240
; IeeeMode: 1
; LDSByteSize: 1024 bytes/workgroup (compile time only)
; SGPRBlocks: 0
; VGPRBlocks: 0
; NumSGPRsForWavesPerEU: 40
; NumVGPRsForWavesPerEU: 10
; NamedBarCnt: 0
; Occupancy: 16
; WaveLimiterHint : 1
; COMPUTE_PGM_RSRC2:SCRATCH_EN: 0
; COMPUTE_PGM_RSRC2:USER_SGPR: 2
; COMPUTE_PGM_RSRC2:TRAP_HANDLER: 0
; COMPUTE_PGM_RSRC2:TGID_X_EN: 1
; COMPUTE_PGM_RSRC2:TGID_Y_EN: 1
; COMPUTE_PGM_RSRC2:TGID_Z_EN: 1
; COMPUTE_PGM_RSRC2:TIDIG_COMP_CNT: 0
	.section	.text._ZN2at6native6mbtopk10gatherTopKIN3c108BFloat16EmLi3EEEvNS_4cuda6detail10TensorInfoIKT_T0_EESA_SA_bjSA_NS7_IS8_SA_EESA_NS7_IlSA_EESA_jjPS8_PjSF_j,"axG",@progbits,_ZN2at6native6mbtopk10gatherTopKIN3c108BFloat16EmLi3EEEvNS_4cuda6detail10TensorInfoIKT_T0_EESA_SA_bjSA_NS7_IS8_SA_EESA_NS7_IlSA_EESA_jjPS8_PjSF_j,comdat
	.protected	_ZN2at6native6mbtopk10gatherTopKIN3c108BFloat16EmLi3EEEvNS_4cuda6detail10TensorInfoIKT_T0_EESA_SA_bjSA_NS7_IS8_SA_EESA_NS7_IlSA_EESA_jjPS8_PjSF_j ; -- Begin function _ZN2at6native6mbtopk10gatherTopKIN3c108BFloat16EmLi3EEEvNS_4cuda6detail10TensorInfoIKT_T0_EESA_SA_bjSA_NS7_IS8_SA_EESA_NS7_IlSA_EESA_jjPS8_PjSF_j
	.globl	_ZN2at6native6mbtopk10gatherTopKIN3c108BFloat16EmLi3EEEvNS_4cuda6detail10TensorInfoIKT_T0_EESA_SA_bjSA_NS7_IS8_SA_EESA_NS7_IlSA_EESA_jjPS8_PjSF_j
	.p2align	8
	.type	_ZN2at6native6mbtopk10gatherTopKIN3c108BFloat16EmLi3EEEvNS_4cuda6detail10TensorInfoIKT_T0_EESA_SA_bjSA_NS7_IS8_SA_EESA_NS7_IlSA_EESA_jjPS8_PjSF_j,@function
_ZN2at6native6mbtopk10gatherTopKIN3c108BFloat16EmLi3EEEvNS_4cuda6detail10TensorInfoIKT_T0_EESA_SA_bjSA_NS7_IS8_SA_EESA_NS7_IlSA_EESA_jjPS8_PjSF_j: ; @_ZN2at6native6mbtopk10gatherTopKIN3c108BFloat16EmLi3EEEvNS_4cuda6detail10TensorInfoIKT_T0_EESA_SA_bjSA_NS7_IS8_SA_EESA_NS7_IlSA_EESA_jjPS8_PjSF_j
; %bb.0:
	s_bfe_u32 s2, ttmp6, 0x40010
	s_and_b32 s4, ttmp7, 0xffff
	s_add_co_i32 s5, s2, 1
	s_clause 0x1
	s_load_b32 s6, s[0:1], 0x530
	s_load_b64 s[2:3], s[0:1], 0x538
	s_bfe_u32 s8, ttmp6, 0x4000c
	s_mul_i32 s5, s4, s5
	s_bfe_u32 s7, ttmp6, 0x40004
	s_add_co_i32 s8, s8, 1
	s_bfe_u32 s9, ttmp6, 0x40014
	s_add_co_i32 s7, s7, s5
	s_and_b32 s5, ttmp6, 15
	s_mul_i32 s8, ttmp9, s8
	s_lshr_b32 s10, ttmp7, 16
	s_add_co_i32 s9, s9, 1
	s_add_co_i32 s5, s5, s8
	s_mul_i32 s8, s10, s9
	s_bfe_u32 s9, ttmp6, 0x40008
	s_getreg_b32 s11, hwreg(HW_REG_IB_STS2, 6, 4)
	s_add_co_i32 s9, s9, s8
	s_cmp_eq_u32 s11, 0
	s_cselect_b32 s8, s10, s9
	s_cselect_b32 s4, s4, s7
	s_wait_kmcnt 0x0
	s_mul_i32 s3, s3, s8
	s_cselect_b32 s5, ttmp9, s5
	s_add_co_i32 s3, s3, s4
	s_delay_alu instid0(SALU_CYCLE_1) | instskip(NEXT) | instid1(SALU_CYCLE_1)
	s_mul_i32 s2, s3, s2
	s_add_co_i32 s2, s2, s5
	s_delay_alu instid0(SALU_CYCLE_1)
	s_cmp_ge_u32 s2, s6
	s_cbranch_scc1 .LBB221_54
; %bb.1:
	s_load_b64 s[34:35], s[0:1], 0x510
	s_wait_kmcnt 0x0
	s_cvt_f32_u32 s3, s35
	s_sub_co_i32 s4, 0, s35
	s_lshl_b32 s33, s34, 8
	s_delay_alu instid0(SALU_CYCLE_1) | instskip(SKIP_1) | instid1(TRANS32_DEP_1)
	v_rcp_iflag_f32_e32 v1, s3
	v_nop
	v_readfirstlane_b32 s3, v1
	s_mul_f32 s3, s3, 0x4f7ffffe
	s_delay_alu instid0(SALU_CYCLE_3) | instskip(NEXT) | instid1(SALU_CYCLE_3)
	s_cvt_u32_f32 s3, s3
	s_mul_i32 s4, s4, s3
	s_delay_alu instid0(SALU_CYCLE_1) | instskip(NEXT) | instid1(SALU_CYCLE_1)
	s_mul_hi_u32 s4, s3, s4
	s_add_co_i32 s3, s3, s4
	s_clause 0x1
	s_load_b128 s[4:7], s[0:1], 0x1a0
	s_load_b128 s[8:11], s[0:1], 0x10
	s_mul_hi_u32 s3, s2, s3
	s_delay_alu instid0(SALU_CYCLE_1) | instskip(SKIP_2) | instid1(SALU_CYCLE_1)
	s_mul_i32 s12, s3, s35
	s_add_co_i32 s13, s3, 1
	s_sub_co_i32 s12, s2, s12
	s_sub_co_i32 s14, s12, s35
	s_cmp_ge_u32 s12, s35
	s_cselect_b32 s3, s13, s3
	s_cselect_b32 s12, s14, s12
	s_add_co_i32 s13, s3, 1
	s_cmp_ge_u32 s12, s35
	s_cselect_b32 s44, s13, s3
	s_delay_alu instid0(SALU_CYCLE_1) | instskip(NEXT) | instid1(SALU_CYCLE_1)
	s_mul_i32 s50, s44, s35
	s_sub_co_i32 s72, s2, s50
	s_delay_alu instid0(SALU_CYCLE_1) | instskip(NEXT) | instid1(SALU_CYCLE_1)
	s_add_co_i32 s2, s72, 1
	s_cmp_lt_u32 s2, s35
	s_cbranch_scc1 .LBB221_3
; %bb.2:
	s_mul_i32 s2, s72, s33
	s_mov_b32 s3, 0
	s_wait_kmcnt 0x0
	s_sub_nc_u64 s[12:13], s[4:5], s[2:3]
	s_delay_alu instid0(SALU_CYCLE_1) | instskip(NEXT) | instid1(SALU_CYCLE_1)
	s_add_nc_u64 s[12:13], s[12:13], 0xff
	s_ashr_i32 s2, s13, 31
	s_delay_alu instid0(SALU_CYCLE_1) | instskip(NEXT) | instid1(SALU_CYCLE_1)
	s_lshr_b32 s2, s2, 24
	s_add_nc_u64 s[2:3], s[12:13], s[2:3]
	s_delay_alu instid0(SALU_CYCLE_1) | instskip(NEXT) | instid1(SALU_CYCLE_1)
	s_lshr_b64 s[2:3], s[2:3], 8
	s_mov_b32 s34, s2
.LBB221_3:
	s_mov_b32 s45, 0
	s_mov_b64 s[48:49], 0
	s_wait_kmcnt 0x0
	v_cmp_lt_u64_e64 s2, s[44:45], s[10:11]
	s_mov_b64 s[46:47], 0
	s_and_b32 vcc_lo, exec_lo, s2
	s_cbranch_vccnz .LBB221_5
; %bb.4:
	v_cvt_f32_u32_e32 v1, s10
	s_sub_co_i32 s3, 0, s10
	s_mov_b32 s47, s45
	s_delay_alu instid0(VALU_DEP_1) | instskip(SKIP_1) | instid1(TRANS32_DEP_1)
	v_rcp_iflag_f32_e32 v1, v1
	v_nop
	v_mul_f32_e32 v1, 0x4f7ffffe, v1
	s_delay_alu instid0(VALU_DEP_1) | instskip(NEXT) | instid1(VALU_DEP_1)
	v_cvt_u32_f32_e32 v1, v1
	v_readfirstlane_b32 s2, v1
	s_mul_i32 s3, s3, s2
	s_delay_alu instid0(SALU_CYCLE_1) | instskip(NEXT) | instid1(SALU_CYCLE_1)
	s_mul_hi_u32 s3, s2, s3
	s_add_co_i32 s2, s2, s3
	s_delay_alu instid0(SALU_CYCLE_1) | instskip(NEXT) | instid1(SALU_CYCLE_1)
	s_mul_hi_u32 s2, s44, s2
	s_mul_i32 s3, s2, s10
	s_add_co_i32 s12, s2, 1
	s_sub_co_i32 s3, s44, s3
	s_delay_alu instid0(SALU_CYCLE_1)
	s_sub_co_i32 s13, s3, s10
	s_cmp_ge_u32 s3, s10
	s_cselect_b32 s2, s12, s2
	s_cselect_b32 s3, s13, s3
	s_add_co_i32 s12, s2, 1
	s_cmp_ge_u32 s3, s10
	s_cselect_b32 s46, s12, s2
.LBB221_5:
	s_load_b128 s[20:23], s[0:1], 0x1d0
	v_cmp_lt_u64_e64 s2, s[46:47], s[8:9]
	s_and_b32 vcc_lo, exec_lo, s2
	s_cbranch_vccnz .LBB221_7
; %bb.6:
	v_cvt_f32_u32_e32 v1, s8
	s_sub_co_i32 s3, 0, s8
	s_mov_b32 s49, 0
	s_delay_alu instid0(VALU_DEP_1) | instskip(SKIP_1) | instid1(TRANS32_DEP_1)
	v_rcp_iflag_f32_e32 v1, v1
	v_nop
	v_mul_f32_e32 v1, 0x4f7ffffe, v1
	s_delay_alu instid0(VALU_DEP_1) | instskip(NEXT) | instid1(VALU_DEP_1)
	v_cvt_u32_f32_e32 v1, v1
	v_readfirstlane_b32 s2, v1
	s_mul_i32 s3, s3, s2
	s_delay_alu instid0(SALU_CYCLE_1) | instskip(NEXT) | instid1(SALU_CYCLE_1)
	s_mul_hi_u32 s3, s2, s3
	s_add_co_i32 s2, s2, s3
	s_delay_alu instid0(SALU_CYCLE_1) | instskip(NEXT) | instid1(SALU_CYCLE_1)
	s_mul_hi_u32 s2, s46, s2
	s_mul_i32 s3, s2, s8
	s_add_co_i32 s12, s2, 1
	s_sub_co_i32 s3, s46, s3
	s_delay_alu instid0(SALU_CYCLE_1)
	s_sub_co_i32 s13, s3, s8
	s_cmp_ge_u32 s3, s8
	s_cselect_b32 s2, s12, s2
	s_cselect_b32 s3, s13, s3
	s_add_co_i32 s12, s2, 1
	s_cmp_ge_u32 s3, s8
	s_cselect_b32 s48, s12, s2
.LBB221_7:
	s_wait_kmcnt 0x0
	v_cmp_lt_u64_e64 s2, s[44:45], s[22:23]
	s_mov_b64 s[54:55], 0
	s_mov_b64 s[52:53], 0
	s_and_b32 vcc_lo, exec_lo, s2
	s_cbranch_vccnz .LBB221_9
; %bb.8:
	v_cvt_f32_u32_e32 v1, s22
	s_sub_co_i32 s3, 0, s22
	s_mov_b32 s53, 0
	s_delay_alu instid0(VALU_DEP_1) | instskip(SKIP_1) | instid1(TRANS32_DEP_1)
	v_rcp_iflag_f32_e32 v1, v1
	v_nop
	v_mul_f32_e32 v1, 0x4f7ffffe, v1
	s_delay_alu instid0(VALU_DEP_1) | instskip(NEXT) | instid1(VALU_DEP_1)
	v_cvt_u32_f32_e32 v1, v1
	v_readfirstlane_b32 s2, v1
	s_mul_i32 s3, s3, s2
	s_delay_alu instid0(SALU_CYCLE_1) | instskip(NEXT) | instid1(SALU_CYCLE_1)
	s_mul_hi_u32 s3, s2, s3
	s_add_co_i32 s2, s2, s3
	s_delay_alu instid0(SALU_CYCLE_1) | instskip(NEXT) | instid1(SALU_CYCLE_1)
	s_mul_hi_u32 s2, s44, s2
	s_mul_i32 s3, s2, s22
	s_add_co_i32 s12, s2, 1
	s_sub_co_i32 s3, s44, s3
	s_delay_alu instid0(SALU_CYCLE_1)
	s_sub_co_i32 s13, s3, s22
	s_cmp_ge_u32 s3, s22
	s_cselect_b32 s2, s12, s2
	s_cselect_b32 s3, s13, s3
	s_add_co_i32 s12, s2, 1
	s_cmp_ge_u32 s3, s22
	s_cselect_b32 s52, s12, s2
.LBB221_9:
	s_load_b128 s[24:27], s[0:1], 0x378
	v_cmp_lt_u64_e64 s2, s[52:53], s[20:21]
	s_and_b32 vcc_lo, exec_lo, s2
	s_cbranch_vccnz .LBB221_11
; %bb.10:
	v_cvt_f32_u32_e32 v1, s20
	s_sub_co_i32 s3, 0, s20
	s_mov_b32 s55, 0
	s_delay_alu instid0(VALU_DEP_1) | instskip(SKIP_1) | instid1(TRANS32_DEP_1)
	v_rcp_iflag_f32_e32 v1, v1
	v_nop
	v_mul_f32_e32 v1, 0x4f7ffffe, v1
	s_delay_alu instid0(VALU_DEP_1) | instskip(NEXT) | instid1(VALU_DEP_1)
	v_cvt_u32_f32_e32 v1, v1
	v_readfirstlane_b32 s2, v1
	s_mul_i32 s3, s3, s2
	s_delay_alu instid0(SALU_CYCLE_1) | instskip(NEXT) | instid1(SALU_CYCLE_1)
	s_mul_hi_u32 s3, s2, s3
	s_add_co_i32 s2, s2, s3
	s_delay_alu instid0(SALU_CYCLE_1) | instskip(NEXT) | instid1(SALU_CYCLE_1)
	s_mul_hi_u32 s2, s52, s2
	s_mul_i32 s3, s2, s20
	s_add_co_i32 s12, s2, 1
	s_sub_co_i32 s3, s52, s3
	s_delay_alu instid0(SALU_CYCLE_1)
	s_sub_co_i32 s13, s3, s20
	s_cmp_ge_u32 s3, s20
	s_cselect_b32 s2, s12, s2
	s_cselect_b32 s3, s13, s3
	s_add_co_i32 s12, s2, 1
	s_cmp_ge_u32 s3, s20
	s_cselect_b32 s54, s12, s2
.LBB221_11:
	s_wait_kmcnt 0x0
	v_cmp_lt_u64_e64 s2, s[44:45], s[26:27]
	s_mov_b64 s[56:57], 0
	s_mov_b64 s[58:59], 0
	s_and_b32 vcc_lo, exec_lo, s2
	s_cbranch_vccnz .LBB221_13
; %bb.12:
	v_cvt_f32_u32_e32 v1, s26
	s_sub_co_i32 s3, 0, s26
	s_mov_b32 s59, 0
	s_delay_alu instid0(VALU_DEP_1) | instskip(SKIP_1) | instid1(TRANS32_DEP_1)
	v_rcp_iflag_f32_e32 v1, v1
	v_nop
	v_mul_f32_e32 v1, 0x4f7ffffe, v1
	s_delay_alu instid0(VALU_DEP_1) | instskip(NEXT) | instid1(VALU_DEP_1)
	v_cvt_u32_f32_e32 v1, v1
	v_readfirstlane_b32 s2, v1
	s_mul_i32 s3, s3, s2
	s_delay_alu instid0(SALU_CYCLE_1) | instskip(NEXT) | instid1(SALU_CYCLE_1)
	s_mul_hi_u32 s3, s2, s3
	s_add_co_i32 s2, s2, s3
	s_delay_alu instid0(SALU_CYCLE_1) | instskip(NEXT) | instid1(SALU_CYCLE_1)
	s_mul_hi_u32 s2, s44, s2
	s_mul_i32 s3, s2, s26
	s_add_co_i32 s12, s2, 1
	s_sub_co_i32 s3, s44, s3
	s_delay_alu instid0(SALU_CYCLE_1)
	s_sub_co_i32 s13, s3, s26
	s_cmp_ge_u32 s3, s26
	s_cselect_b32 s2, s12, s2
	s_cselect_b32 s3, s13, s3
	s_add_co_i32 s12, s2, 1
	s_cmp_ge_u32 s3, s26
	s_cselect_b32 s58, s12, s2
.LBB221_13:
	s_clause 0x5
	s_load_b64 s[60:61], s[0:1], 0xe0
	s_load_b128 s[36:39], s[0:1], 0xd0
	s_load_b64 s[62:63], s[0:1], 0x2a0
	s_load_b128 s[40:43], s[0:1], 0x290
	;; [unrolled: 2-line block ×3, first 2 shown]
	v_cmp_lt_u64_e64 s2, s[58:59], s[24:25]
	s_and_b32 vcc_lo, exec_lo, s2
	s_cbranch_vccnz .LBB221_15
; %bb.14:
	v_cvt_f32_u32_e32 v1, s24
	s_sub_co_i32 s3, 0, s24
	s_mov_b32 s57, 0
	s_delay_alu instid0(VALU_DEP_1) | instskip(SKIP_1) | instid1(TRANS32_DEP_1)
	v_rcp_iflag_f32_e32 v1, v1
	v_nop
	v_mul_f32_e32 v1, 0x4f7ffffe, v1
	s_delay_alu instid0(VALU_DEP_1) | instskip(NEXT) | instid1(VALU_DEP_1)
	v_cvt_u32_f32_e32 v1, v1
	v_readfirstlane_b32 s2, v1
	s_mul_i32 s3, s3, s2
	s_delay_alu instid0(SALU_CYCLE_1) | instskip(NEXT) | instid1(SALU_CYCLE_1)
	s_mul_hi_u32 s3, s2, s3
	s_add_co_i32 s2, s2, s3
	s_delay_alu instid0(SALU_CYCLE_1) | instskip(NEXT) | instid1(SALU_CYCLE_1)
	s_mul_hi_u32 s2, s58, s2
	s_mul_i32 s3, s2, s24
	s_add_co_i32 s12, s2, 1
	s_sub_co_i32 s3, s58, s3
	s_delay_alu instid0(SALU_CYCLE_1)
	s_sub_co_i32 s13, s3, s24
	s_cmp_ge_u32 s3, s24
	s_cselect_b32 s2, s12, s2
	s_cselect_b32 s3, s13, s3
	s_add_co_i32 s12, s2, 1
	s_cmp_ge_u32 s3, s24
	s_cselect_b32 s56, s12, s2
.LBB221_15:
	s_load_b128 s[12:15], s[0:1], 0x518
	v_mov_b32_e32 v1, 0
	s_lshl_b64 s[2:3], s[44:45], 1
	s_mov_b32 s51, 0
	s_wait_kmcnt 0x0
	s_add_nc_u64 s[2:3], s[12:13], s[2:3]
	global_load_u16 v1, v1, s[2:3]
	s_wait_xcnt 0x0
	v_cmp_ne_u32_e64 s2, 0, v0
	v_cmp_eq_u32_e64 s3, 0, v0
	s_wait_loadcnt 0x0
	v_readfirstlane_b32 s73, v1
	s_and_saveexec_b32 s74, s3
	s_cbranch_execz .LBB221_31
; %bb.16:
	s_load_b64 s[66:67], s[0:1], 0x528
	s_lshl_b64 s[68:69], s[50:51], 2
	s_cmp_lt_u32 s35, 4
	s_cbranch_scc1 .LBB221_28
; %bb.17:
	s_mov_b64 s[12:13], 0
	s_mov_b32 s50, 0
.LBB221_18:                             ; =>This Inner Loop Header: Depth=1
	s_add_nc_u64 s[70:71], s[14:15], s[68:69]
	s_cmp_ge_u32 s50, s72
	s_load_b128 s[16:19], s[70:71], 0x0
	s_wait_kmcnt 0x0
	s_add_nc_u64 s[70:71], s[66:67], s[68:69]
	s_cbranch_scc0 .LBB221_25
; %bb.19:                               ;   in Loop: Header=BB221_18 Depth=1
	s_add_co_i32 s75, s50, 1
	s_delay_alu instid0(SALU_CYCLE_1)
	s_cmp_ge_u32 s75, s72
	s_cbranch_scc0 .LBB221_26
.LBB221_20:                             ;   in Loop: Header=BB221_18 Depth=1
	s_add_co_i32 s75, s75, 1
	s_delay_alu instid0(SALU_CYCLE_1)
	s_cmp_ge_u32 s75, s72
	s_cbranch_scc0 .LBB221_27
.LBB221_21:                             ;   in Loop: Header=BB221_18 Depth=1
	s_add_co_i32 s75, s75, 1
	s_delay_alu instid0(SALU_CYCLE_1)
	s_cmp_ge_u32 s75, s72
	s_cbranch_scc1 .LBB221_23
.LBB221_22:                             ;   in Loop: Header=BB221_18 Depth=1
	s_load_b32 s70, s[70:71], 0xc
	s_add_co_i32 s13, s19, s13
	s_wait_kmcnt 0x0
	s_add_co_i32 s12, s70, s12
.LBB221_23:                             ;   in Loop: Header=BB221_18 Depth=1
	s_add_co_i32 s16, s16, s51
	s_add_nc_u64 s[14:15], s[14:15], 16
	s_add_co_i32 s16, s16, s17
	s_add_co_i32 s17, s75, 4
	;; [unrolled: 1-line block ×3, first 2 shown]
	s_add_nc_u64 s[66:67], s[66:67], 16
	s_add_co_i32 s51, s16, s19
	s_add_co_i32 s16, s75, 1
	s_cmp_ge_u32 s17, s35
	s_cbranch_scc1 .LBB221_29
; %bb.24:                               ;   in Loop: Header=BB221_18 Depth=1
	s_mov_b32 s50, s16
	s_branch .LBB221_18
.LBB221_25:                             ;   in Loop: Header=BB221_18 Depth=1
	s_load_b32 s75, s[70:71], 0x0
	s_add_co_i32 s13, s16, s13
	s_wait_kmcnt 0x0
	s_add_co_i32 s12, s75, s12
	s_add_co_i32 s75, s50, 1
	s_delay_alu instid0(SALU_CYCLE_1)
	s_cmp_ge_u32 s75, s72
	s_cbranch_scc1 .LBB221_20
.LBB221_26:                             ;   in Loop: Header=BB221_18 Depth=1
	s_load_b32 s76, s[70:71], 0x4
	s_add_co_i32 s13, s17, s13
	s_wait_kmcnt 0x0
	s_add_co_i32 s12, s76, s12
	s_add_co_i32 s75, s75, 1
	s_delay_alu instid0(SALU_CYCLE_1)
	s_cmp_ge_u32 s75, s72
	s_cbranch_scc1 .LBB221_21
.LBB221_27:                             ;   in Loop: Header=BB221_18 Depth=1
	s_load_b32 s76, s[70:71], 0x8
	s_add_co_i32 s13, s18, s13
	s_wait_kmcnt 0x0
	s_add_co_i32 s12, s76, s12
	s_add_co_i32 s75, s75, 1
	s_delay_alu instid0(SALU_CYCLE_1)
	s_cmp_ge_u32 s75, s72
	s_cbranch_scc0 .LBB221_22
	s_branch .LBB221_23
.LBB221_28:
	s_mov_b64 s[12:13], 0
	s_add_nc_u64 s[14:15], s[14:15], s[68:69]
	s_wait_kmcnt 0x0
	s_add_nc_u64 s[16:17], s[66:67], s[68:69]
	s_mov_b32 s18, 0
	s_delay_alu instid0(SALU_CYCLE_1)
	s_cmp_ge_u32 s18, s35
	s_cbranch_scc0 .LBB221_52
	s_branch .LBB221_30
.LBB221_29:
	s_add_co_i32 s18, s50, 4
	s_add_nc_u64 s[16:17], s[66:67], s[68:69]
	s_add_nc_u64 s[14:15], s[14:15], s[68:69]
	s_cmp_ge_u32 s18, s35
	s_cbranch_scc0 .LBB221_52
.LBB221_30:
	v_dual_mov_b32 v2, s12 :: v_dual_mov_b32 v3, s51
	v_dual_mov_b32 v4, s13 :: v_dual_mov_b32 v1, 0
	ds_store_b96 v1, v[2:4] offset:1056
.LBB221_31:
	s_or_b32 exec_lo, exec_lo, s74
	s_clause 0x2
	s_load_b128 s[12:15], s[0:1], 0x360
	s_load_b128 s[16:19], s[0:1], 0x1b8
	s_load_b64 s[50:51], s[0:1], 0x0
	s_cmp_eq_u32 s34, 0
	s_wait_dscnt 0x0
	s_barrier_signal -1
	s_barrier_wait -1
	s_cbranch_scc1 .LBB221_54
; %bb.32:
	s_mul_u64 s[20:21], s[54:55], s[20:21]
	s_mul_u64 s[8:9], s[48:49], s[8:9]
	;; [unrolled: 1-line block ×3, first 2 shown]
	s_sub_nc_u64 s[20:21], s[52:53], s[20:21]
	s_mul_u64 s[40:41], s[54:55], s[40:41]
	s_mul_u64 s[22:23], s[52:53], s[22:23]
	s_sub_nc_u64 s[8:9], s[46:47], s[8:9]
	s_mul_u64 s[36:37], s[48:49], s[36:37]
	s_mul_u64 s[10:11], s[46:47], s[10:11]
	s_sub_nc_u64 s[24:25], s[58:59], s[24:25]
	s_mul_u64 s[20:21], s[20:21], s[42:43]
	s_sub_nc_u64 s[22:23], s[44:45], s[22:23]
	;; [unrolled: 2-line block ×3, first 2 shown]
	s_mul_u64 s[24:25], s[24:25], s[30:31]
	s_lshl_b64 s[30:31], s[36:37], 1
	s_lshl_b64 s[36:37], s[40:41], 1
	v_dual_mov_b32 v1, 0 :: v_dual_lshrrev_b32 v5, 3, v0
	s_mul_u64 s[26:27], s[58:59], s[26:27]
	s_mul_u64 s[22:23], s[22:23], s[62:63]
	;; [unrolled: 1-line block ×3, first 2 shown]
	s_wait_kmcnt 0x0
	s_add_nc_u64 s[30:31], s[50:51], s[30:31]
	s_lshl_b64 s[8:9], s[8:9], 1
	s_add_nc_u64 s[18:19], s[18:19], s[36:37]
	s_lshl_b64 s[20:21], s[20:21], 1
	s_sub_nc_u64 s[26:27], s[44:45], s[26:27]
	s_mul_u64 s[28:29], s[56:57], s[28:29]
	s_add_nc_u64 s[8:9], s[30:31], s[8:9]
	s_lshl_b64 s[10:11], s[10:11], 1
	s_add_nc_u64 s[18:19], s[18:19], s[20:21]
	s_lshl_b64 s[20:21], s[22:23], 1
	s_mul_u64 s[26:27], s[26:27], s[64:65]
	s_add_nc_u64 s[8:9], s[8:9], s[10:11]
	s_add_nc_u64 s[10:11], s[18:19], s[20:21]
	s_lshl_b64 s[18:19], s[28:29], 3
	ds_load_b96 v[2:4], v1 offset:1056
	s_sext_i32_i16 s20, s73
	s_add_nc_u64 s[14:15], s[14:15], s[18:19]
	s_lshl_b64 s[18:19], s[24:25], 3
	s_lshl_b64 s[22:23], s[26:27], 3
	s_and_b32 s21, 0xffff, s73
	s_cmp_gt_i32 s20, -1
	s_mov_b32 s20, 0x8000
	s_add_nc_u64 s[18:19], s[14:15], s[18:19]
	s_cselect_b32 s14, s20, 0xffff
	s_lshl_b32 s15, s73, 16
	s_xor_b32 s20, s14, s21
	s_load_b32 s21, s[0:1], 0x1b0
	v_dual_add_nc_u32 v6, -1, v0 :: v_dual_bitop2_b32 v5, 28, v5 bitop3:0x40
	s_cmp_o_f32 s15, s15
	s_load_b64 s[14:15], s[0:1], 0x508
	s_delay_alu instid0(VALU_DEP_1) | instskip(NEXT) | instid1(VALU_DEP_2)
	v_dual_lshlrev_b32 v10, 5, v0 :: v_dual_lshrrev_b32 v7, 3, v6
	v_lshl_add_u32 v5, v0, 2, v5
	s_wait_dscnt 0x0
	v_add_nc_u32_e32 v2, v2, v3
	v_and_b32_e32 v3, 0xfc, v0
	s_wait_xcnt 0x0
	v_cmp_gt_u32_e64 s0, 32, v0
	v_mad_u32 v0, s72, s33, v0
	v_and_b32_e32 v7, 0x1ffffffc, v7
	v_mbcnt_lo_u32_b32 v8, -1, 0
	v_add_nc_u32_e32 v10, v3, v10
	v_mov_b32_e32 v14, 0x8000
	s_cselect_b32 s20, s20, 0xffff
	v_lshl_add_u32 v9, v6, 2, v7
	v_and_b32_e32 v11, 15, v8
	v_bfe_i32 v12, v8, 4, 1
	v_add_nc_u32_e32 v13, -1, v8
	s_wait_kmcnt 0x0
	s_bitcmp1_b32 s21, 0
	s_add_nc_u64 s[18:19], s[18:19], s[22:23]
	s_cselect_b32 s1, -1, 0
                                        ; implicit-def: $vgpr15
	s_branch .LBB221_35
.LBB221_33:                             ;   in Loop: Header=BB221_35 Depth=1
	s_wait_xcnt 0x0
	s_or_b32 exec_lo, exec_lo, s21
	v_add_nc_u32_e32 v2, v3, v2
.LBB221_34:                             ;   in Loop: Header=BB221_35 Depth=1
	v_add_nc_u32_e32 v4, v16, v4
	v_add_nc_u32_e32 v0, 0x100, v0
	s_add_co_i32 s34, s34, -1
	s_delay_alu instid0(SALU_CYCLE_1)
	s_cmp_lg_u32 s34, 0
	s_cbranch_scc0 .LBB221_54
.LBB221_35:                             ; =>This Inner Loop Header: Depth=1
	v_dual_mov_b32 v3, v1 :: v_dual_mov_b32 v6, v1
	s_mov_b32 s21, exec_lo
	v_cmpx_gt_u64_e64 s[4:5], v[0:1]
	s_cbranch_execz .LBB221_37
; %bb.36:                               ;   in Loop: Header=BB221_35 Depth=1
	v_mul_u64_e32 v[6:7], s[16:17], v[0:1]
	s_delay_alu instid0(VALU_DEP_1)
	v_lshl_add_u64 v[6:7], v[6:7], 1, s[8:9]
	global_load_u16 v15, v[6:7], off
	s_wait_loadcnt 0x0
	v_cmp_lt_i16_e32 vcc_lo, -1, v15
	v_and_b32_e32 v3, 0xffff, v15
	s_wait_xcnt 0x0
	v_dual_cndmask_b32 v6, 0xffff, v14 :: v_dual_lshlrev_b32 v7, 16, v15
	s_delay_alu instid0(VALU_DEP_1) | instskip(NEXT) | instid1(VALU_DEP_2)
	v_cmp_o_f32_e32 vcc_lo, v7, v7
	v_xor_b32_e32 v3, v6, v3
	s_delay_alu instid0(VALU_DEP_1) | instskip(NEXT) | instid1(VALU_DEP_1)
	v_cndmask_b32_e32 v6, 0xffff, v3, vcc_lo
	v_cmp_lt_u32_e32 vcc_lo, s20, v6
	v_cndmask_b32_e64 v3, 0, 1, vcc_lo
	v_cmp_gt_u32_e32 vcc_lo, s20, v6
	v_cndmask_b32_e64 v7, 0, 1, vcc_lo
	v_cmp_eq_u32_e32 vcc_lo, s20, v6
	s_delay_alu instid0(VALU_DEP_2) | instskip(SKIP_1) | instid1(VALU_DEP_2)
	v_cndmask_b32_e64 v3, v7, v3, s1
	v_cndmask_b32_e64 v6, 0, 1, vcc_lo
	v_and_b32_e32 v3, 1, v3
.LBB221_37:                             ;   in Loop: Header=BB221_35 Depth=1
	s_or_b32 exec_lo, exec_lo, s21
	ds_store_b32 v5, v3
	s_wait_dscnt 0x0
	s_barrier_signal -1
	s_barrier_wait -1
	s_and_saveexec_b32 s21, s0
	s_cbranch_execz .LBB221_39
; %bb.38:                               ;   in Loop: Header=BB221_35 Depth=1
	ds_load_2addr_b32 v[16:17], v10 offset1:1
	ds_load_2addr_b32 v[18:19], v10 offset0:2 offset1:3
	ds_load_2addr_b32 v[20:21], v10 offset0:4 offset1:5
	;; [unrolled: 1-line block ×3, first 2 shown]
	v_cmp_ne_u32_e32 vcc_lo, 0, v11
	; wave barrier
	s_wait_dscnt 0x3
	v_add_nc_u32_e32 v7, v17, v16
	s_wait_dscnt 0x2
	s_delay_alu instid0(VALU_DEP_1) | instskip(SKIP_1) | instid1(VALU_DEP_1)
	v_add3_u32 v7, v7, v18, v19
	s_wait_dscnt 0x1
	v_add3_u32 v7, v7, v20, v21
	s_wait_dscnt 0x0
	s_delay_alu instid0(VALU_DEP_1) | instskip(NEXT) | instid1(VALU_DEP_1)
	v_add3_u32 v7, v7, v22, v23
	v_mov_b32_dpp v17, v7 row_shr:1 row_mask:0xf bank_mask:0xf
	s_delay_alu instid0(VALU_DEP_1) | instskip(SKIP_1) | instid1(VALU_DEP_2)
	v_cndmask_b32_e32 v17, 0, v17, vcc_lo
	v_cmp_lt_u32_e32 vcc_lo, 1, v11
	v_add_nc_u32_e32 v7, v17, v7
	s_delay_alu instid0(VALU_DEP_1) | instskip(NEXT) | instid1(VALU_DEP_1)
	v_mov_b32_dpp v17, v7 row_shr:2 row_mask:0xf bank_mask:0xf
	v_cndmask_b32_e32 v17, 0, v17, vcc_lo
	v_cmp_lt_u32_e32 vcc_lo, 3, v11
	s_delay_alu instid0(VALU_DEP_2) | instskip(NEXT) | instid1(VALU_DEP_1)
	v_add_nc_u32_e32 v7, v7, v17
	v_mov_b32_dpp v17, v7 row_shr:4 row_mask:0xf bank_mask:0xf
	s_delay_alu instid0(VALU_DEP_1) | instskip(SKIP_1) | instid1(VALU_DEP_2)
	v_cndmask_b32_e32 v17, 0, v17, vcc_lo
	v_cmp_lt_u32_e32 vcc_lo, 7, v11
	v_add_nc_u32_e32 v7, v7, v17
	s_delay_alu instid0(VALU_DEP_1) | instskip(NEXT) | instid1(VALU_DEP_1)
	v_mov_b32_dpp v17, v7 row_shr:8 row_mask:0xf bank_mask:0xf
	v_cndmask_b32_e32 v17, 0, v17, vcc_lo
	v_cmp_gt_i32_e32 vcc_lo, 0, v13
	s_delay_alu instid0(VALU_DEP_2) | instskip(SKIP_3) | instid1(VALU_DEP_1)
	v_dual_cndmask_b32 v18, v13, v8 :: v_dual_add_nc_u32 v7, v7, v17
	ds_swizzle_b32 v17, v7 offset:swizzle(BROADCAST,32,15)
	s_wait_dscnt 0x0
	v_dual_lshlrev_b32 v18, 2, v18 :: v_dual_bitop2_b32 v17, v12, v17 bitop3:0x40
	v_add_nc_u32_e32 v7, v7, v17
	ds_bpermute_b32 v7, v18, v7
	s_wait_dscnt 0x0
	v_add_nc_u32_e32 v7, v7, v16
	s_delay_alu instid0(VALU_DEP_1)
	v_cndmask_b32_e64 v7, v7, v3, s3
	ds_store_b32 v10, v7
	; wave barrier
	ds_load_2addr_b32 v[16:17], v10 offset0:1 offset1:2
	ds_load_2addr_b32 v[18:19], v10 offset0:3 offset1:4
	;; [unrolled: 1-line block ×3, first 2 shown]
	ds_load_b32 v22, v10 offset:28
	s_wait_dscnt 0x3
	v_add_nc_u32_e32 v7, v16, v7
	s_delay_alu instid0(VALU_DEP_1) | instskip(SKIP_1) | instid1(VALU_DEP_1)
	v_add_nc_u32_e32 v16, v17, v7
	s_wait_dscnt 0x2
	v_add_nc_u32_e32 v17, v18, v16
	s_delay_alu instid0(VALU_DEP_1) | instskip(SKIP_1) | instid1(VALU_DEP_1)
	v_add_nc_u32_e32 v18, v19, v17
	;; [unrolled: 4-line block ×3, first 2 shown]
	s_wait_dscnt 0x0
	v_add_nc_u32_e32 v21, v22, v20
	ds_store_2addr_b32 v10, v7, v16 offset0:1 offset1:2
	ds_store_2addr_b32 v10, v17, v18 offset0:3 offset1:4
	;; [unrolled: 1-line block ×3, first 2 shown]
	ds_store_b32 v10, v21 offset:28
.LBB221_39:                             ;   in Loop: Header=BB221_35 Depth=1
	s_or_b32 exec_lo, exec_lo, s21
	v_mov_b32_e32 v7, 0
	s_wait_dscnt 0x0
	s_barrier_signal -1
	s_barrier_wait -1
	s_and_saveexec_b32 s21, s2
; %bb.40:                               ;   in Loop: Header=BB221_35 Depth=1
	ds_load_b32 v7, v9
; %bb.41:                               ;   in Loop: Header=BB221_35 Depth=1
	s_or_b32 exec_lo, exec_lo, s21
	ds_load_b32 v16, v1 offset:1048
	s_mov_b32 s21, exec_lo
	s_wait_dscnt 0x0
	s_barrier_signal -1
	s_barrier_wait -1
	v_cmpx_ne_u32_e32 0, v3
	s_cbranch_execz .LBB221_43
; %bb.42:                               ;   in Loop: Header=BB221_35 Depth=1
	v_dual_mov_b32 v19, v1 :: v_dual_add_nc_u32 v18, v7, v4
	s_delay_alu instid0(VALU_DEP_1) | instskip(SKIP_1) | instid1(VALU_DEP_2)
	v_mul_u64_e32 v[20:21], s[12:13], v[18:19]
	v_mul_u64_e32 v[18:19], s[14:15], v[18:19]
	v_lshl_add_u64 v[20:21], v[20:21], 1, s[10:11]
	s_delay_alu instid0(VALU_DEP_2)
	v_lshl_add_u64 v[18:19], v[18:19], 3, s[18:19]
	global_store_b16 v[20:21], v15, off
	global_store_b64 v[18:19], v[0:1], off
.LBB221_43:                             ;   in Loop: Header=BB221_35 Depth=1
	s_wait_xcnt 0x0
	s_or_b32 exec_lo, exec_lo, s21
	v_mov_b32_e32 v3, v1
	s_delay_alu instid0(VALU_DEP_1)
	v_cmp_le_u64_e32 vcc_lo, s[6:7], v[2:3]
	s_cbranch_vccnz .LBB221_34
; %bb.44:                               ;   in Loop: Header=BB221_35 Depth=1
	ds_store_b32 v5, v6
	s_wait_storecnt_dscnt 0x0
	s_barrier_signal -1
	s_barrier_wait -1
	s_and_saveexec_b32 s21, s0
	s_cbranch_execz .LBB221_46
; %bb.45:                               ;   in Loop: Header=BB221_35 Depth=1
	ds_load_2addr_b32 v[18:19], v10 offset1:1
	ds_load_2addr_b32 v[20:21], v10 offset0:2 offset1:3
	ds_load_2addr_b32 v[22:23], v10 offset0:4 offset1:5
	;; [unrolled: 1-line block ×3, first 2 shown]
	v_cmp_ne_u32_e32 vcc_lo, 0, v11
	; wave barrier
	s_wait_dscnt 0x3
	v_add_nc_u32_e32 v3, v19, v18
	s_wait_dscnt 0x2
	s_delay_alu instid0(VALU_DEP_1) | instskip(SKIP_1) | instid1(VALU_DEP_1)
	v_add3_u32 v3, v3, v20, v21
	s_wait_dscnt 0x1
	v_add3_u32 v3, v3, v22, v23
	s_wait_dscnt 0x0
	s_delay_alu instid0(VALU_DEP_1) | instskip(NEXT) | instid1(VALU_DEP_1)
	v_add3_u32 v3, v3, v24, v25
	v_mov_b32_dpp v7, v3 row_shr:1 row_mask:0xf bank_mask:0xf
	s_delay_alu instid0(VALU_DEP_1) | instskip(SKIP_1) | instid1(VALU_DEP_2)
	v_cndmask_b32_e32 v7, 0, v7, vcc_lo
	v_cmp_lt_u32_e32 vcc_lo, 1, v11
	v_add_nc_u32_e32 v3, v7, v3
	s_delay_alu instid0(VALU_DEP_1) | instskip(NEXT) | instid1(VALU_DEP_1)
	v_mov_b32_dpp v7, v3 row_shr:2 row_mask:0xf bank_mask:0xf
	v_cndmask_b32_e32 v7, 0, v7, vcc_lo
	v_cmp_lt_u32_e32 vcc_lo, 3, v11
	s_delay_alu instid0(VALU_DEP_2) | instskip(NEXT) | instid1(VALU_DEP_1)
	v_add_nc_u32_e32 v3, v3, v7
	v_mov_b32_dpp v7, v3 row_shr:4 row_mask:0xf bank_mask:0xf
	s_delay_alu instid0(VALU_DEP_1) | instskip(SKIP_1) | instid1(VALU_DEP_2)
	v_cndmask_b32_e32 v7, 0, v7, vcc_lo
	v_cmp_lt_u32_e32 vcc_lo, 7, v11
	v_add_nc_u32_e32 v3, v3, v7
	s_delay_alu instid0(VALU_DEP_1) | instskip(NEXT) | instid1(VALU_DEP_1)
	v_mov_b32_dpp v7, v3 row_shr:8 row_mask:0xf bank_mask:0xf
	v_cndmask_b32_e32 v7, 0, v7, vcc_lo
	v_cmp_gt_i32_e32 vcc_lo, 0, v13
	s_delay_alu instid0(VALU_DEP_2) | instskip(SKIP_3) | instid1(VALU_DEP_1)
	v_dual_add_nc_u32 v3, v3, v7 :: v_dual_cndmask_b32 v17, v13, v8, vcc_lo
	ds_swizzle_b32 v7, v3 offset:swizzle(BROADCAST,32,15)
	s_wait_dscnt 0x0
	v_dual_lshlrev_b32 v17, 2, v17 :: v_dual_bitop2_b32 v7, v12, v7 bitop3:0x40
	v_add_nc_u32_e32 v3, v3, v7
	ds_bpermute_b32 v3, v17, v3
	s_wait_dscnt 0x0
	v_add_nc_u32_e32 v3, v3, v18
	s_delay_alu instid0(VALU_DEP_1)
	v_cndmask_b32_e64 v3, v3, v6, s3
	ds_store_b32 v10, v3
	; wave barrier
	ds_load_2addr_b32 v[18:19], v10 offset0:1 offset1:2
	ds_load_2addr_b32 v[20:21], v10 offset0:3 offset1:4
	;; [unrolled: 1-line block ×3, first 2 shown]
	ds_load_b32 v7, v10 offset:28
	s_wait_dscnt 0x3
	v_add_nc_u32_e32 v3, v18, v3
	s_delay_alu instid0(VALU_DEP_1) | instskip(SKIP_1) | instid1(VALU_DEP_1)
	v_add_nc_u32_e32 v17, v19, v3
	s_wait_dscnt 0x2
	v_add_nc_u32_e32 v18, v20, v17
	s_delay_alu instid0(VALU_DEP_1) | instskip(SKIP_1) | instid1(VALU_DEP_1)
	v_add_nc_u32_e32 v19, v21, v18
	;; [unrolled: 4-line block ×3, first 2 shown]
	s_wait_dscnt 0x0
	v_add_nc_u32_e32 v7, v7, v21
	ds_store_2addr_b32 v10, v3, v17 offset0:1 offset1:2
	ds_store_2addr_b32 v10, v18, v19 offset0:3 offset1:4
	ds_store_2addr_b32 v10, v20, v21 offset0:5 offset1:6
	ds_store_b32 v10, v7 offset:28
.LBB221_46:                             ;   in Loop: Header=BB221_35 Depth=1
	s_or_b32 exec_lo, exec_lo, s21
	v_mov_b32_e32 v7, 0
	s_wait_dscnt 0x0
	s_barrier_signal -1
	s_barrier_wait -1
	s_and_saveexec_b32 s21, s2
; %bb.47:                               ;   in Loop: Header=BB221_35 Depth=1
	ds_load_b32 v7, v9
; %bb.48:                               ;   in Loop: Header=BB221_35 Depth=1
	s_or_b32 exec_lo, exec_lo, s21
	ds_load_b32 v3, v1 offset:1048
	s_mov_b32 s21, exec_lo
	s_wait_dscnt 0x0
	s_barrier_signal -1
	s_barrier_wait -1
	v_cmpx_ne_u32_e32 0, v6
	s_cbranch_execz .LBB221_33
; %bb.49:                               ;   in Loop: Header=BB221_35 Depth=1
	v_dual_mov_b32 v7, v1 :: v_dual_add_nc_u32 v6, v7, v2
	s_delay_alu instid0(VALU_DEP_1)
	v_cmp_gt_u64_e32 vcc_lo, s[6:7], v[6:7]
	s_and_b32 exec_lo, exec_lo, vcc_lo
	s_cbranch_execz .LBB221_33
; %bb.50:                               ;   in Loop: Header=BB221_35 Depth=1
	v_mul_u64_e32 v[18:19], s[12:13], v[6:7]
	v_mul_u64_e32 v[6:7], s[14:15], v[6:7]
	s_delay_alu instid0(VALU_DEP_2) | instskip(NEXT) | instid1(VALU_DEP_2)
	v_lshl_add_u64 v[18:19], v[18:19], 1, s[10:11]
	v_lshl_add_u64 v[6:7], v[6:7], 3, s[18:19]
	global_store_b16 v[18:19], v15, off
	global_store_b64 v[6:7], v[0:1], off
	s_branch .LBB221_33
.LBB221_51:                             ;   in Loop: Header=BB221_52 Depth=1
	s_add_co_i32 s18, s18, 1
	s_wait_kmcnt 0x0
	s_add_co_i32 s51, s19, s51
	s_add_nc_u64 s[14:15], s[14:15], 4
	s_cmp_lt_u32 s18, s35
	s_add_nc_u64 s[16:17], s[16:17], 4
	s_cbranch_scc0 .LBB221_30
.LBB221_52:                             ; =>This Inner Loop Header: Depth=1
	s_load_b32 s19, s[14:15], 0x0
	s_cmp_ge_u32 s18, s72
	s_cbranch_scc1 .LBB221_51
; %bb.53:                               ;   in Loop: Header=BB221_52 Depth=1
	s_load_b32 s50, s[16:17], 0x0
	s_wait_kmcnt 0x0
	s_add_co_i32 s13, s19, s13
	s_add_co_i32 s12, s50, s12
	s_branch .LBB221_51
.LBB221_54:
	s_endpgm
	.section	.rodata,"a",@progbits
	.p2align	6, 0x0
	.amdhsa_kernel _ZN2at6native6mbtopk10gatherTopKIN3c108BFloat16EmLi3EEEvNS_4cuda6detail10TensorInfoIKT_T0_EESA_SA_bjSA_NS7_IS8_SA_EESA_NS7_IlSA_EESA_jjPS8_PjSF_j
		.amdhsa_group_segment_fixed_size 1068
		.amdhsa_private_segment_fixed_size 0
		.amdhsa_kernarg_size 1592
		.amdhsa_user_sgpr_count 2
		.amdhsa_user_sgpr_dispatch_ptr 0
		.amdhsa_user_sgpr_queue_ptr 0
		.amdhsa_user_sgpr_kernarg_segment_ptr 1
		.amdhsa_user_sgpr_dispatch_id 0
		.amdhsa_user_sgpr_kernarg_preload_length 0
		.amdhsa_user_sgpr_kernarg_preload_offset 0
		.amdhsa_user_sgpr_private_segment_size 0
		.amdhsa_wavefront_size32 1
		.amdhsa_uses_dynamic_stack 0
		.amdhsa_enable_private_segment 0
		.amdhsa_system_sgpr_workgroup_id_x 1
		.amdhsa_system_sgpr_workgroup_id_y 1
		.amdhsa_system_sgpr_workgroup_id_z 1
		.amdhsa_system_sgpr_workgroup_info 0
		.amdhsa_system_vgpr_workitem_id 0
		.amdhsa_next_free_vgpr 26
		.amdhsa_next_free_sgpr 77
		.amdhsa_named_barrier_count 0
		.amdhsa_reserve_vcc 1
		.amdhsa_float_round_mode_32 0
		.amdhsa_float_round_mode_16_64 0
		.amdhsa_float_denorm_mode_32 3
		.amdhsa_float_denorm_mode_16_64 3
		.amdhsa_fp16_overflow 0
		.amdhsa_memory_ordered 1
		.amdhsa_forward_progress 1
		.amdhsa_inst_pref_size 28
		.amdhsa_round_robin_scheduling 0
		.amdhsa_exception_fp_ieee_invalid_op 0
		.amdhsa_exception_fp_denorm_src 0
		.amdhsa_exception_fp_ieee_div_zero 0
		.amdhsa_exception_fp_ieee_overflow 0
		.amdhsa_exception_fp_ieee_underflow 0
		.amdhsa_exception_fp_ieee_inexact 0
		.amdhsa_exception_int_div_zero 0
	.end_amdhsa_kernel
	.section	.text._ZN2at6native6mbtopk10gatherTopKIN3c108BFloat16EmLi3EEEvNS_4cuda6detail10TensorInfoIKT_T0_EESA_SA_bjSA_NS7_IS8_SA_EESA_NS7_IlSA_EESA_jjPS8_PjSF_j,"axG",@progbits,_ZN2at6native6mbtopk10gatherTopKIN3c108BFloat16EmLi3EEEvNS_4cuda6detail10TensorInfoIKT_T0_EESA_SA_bjSA_NS7_IS8_SA_EESA_NS7_IlSA_EESA_jjPS8_PjSF_j,comdat
.Lfunc_end221:
	.size	_ZN2at6native6mbtopk10gatherTopKIN3c108BFloat16EmLi3EEEvNS_4cuda6detail10TensorInfoIKT_T0_EESA_SA_bjSA_NS7_IS8_SA_EESA_NS7_IlSA_EESA_jjPS8_PjSF_j, .Lfunc_end221-_ZN2at6native6mbtopk10gatherTopKIN3c108BFloat16EmLi3EEEvNS_4cuda6detail10TensorInfoIKT_T0_EESA_SA_bjSA_NS7_IS8_SA_EESA_NS7_IlSA_EESA_jjPS8_PjSF_j
                                        ; -- End function
	.set _ZN2at6native6mbtopk10gatherTopKIN3c108BFloat16EmLi3EEEvNS_4cuda6detail10TensorInfoIKT_T0_EESA_SA_bjSA_NS7_IS8_SA_EESA_NS7_IlSA_EESA_jjPS8_PjSF_j.num_vgpr, 26
	.set _ZN2at6native6mbtopk10gatherTopKIN3c108BFloat16EmLi3EEEvNS_4cuda6detail10TensorInfoIKT_T0_EESA_SA_bjSA_NS7_IS8_SA_EESA_NS7_IlSA_EESA_jjPS8_PjSF_j.num_agpr, 0
	.set _ZN2at6native6mbtopk10gatherTopKIN3c108BFloat16EmLi3EEEvNS_4cuda6detail10TensorInfoIKT_T0_EESA_SA_bjSA_NS7_IS8_SA_EESA_NS7_IlSA_EESA_jjPS8_PjSF_j.numbered_sgpr, 77
	.set _ZN2at6native6mbtopk10gatherTopKIN3c108BFloat16EmLi3EEEvNS_4cuda6detail10TensorInfoIKT_T0_EESA_SA_bjSA_NS7_IS8_SA_EESA_NS7_IlSA_EESA_jjPS8_PjSF_j.num_named_barrier, 0
	.set _ZN2at6native6mbtopk10gatherTopKIN3c108BFloat16EmLi3EEEvNS_4cuda6detail10TensorInfoIKT_T0_EESA_SA_bjSA_NS7_IS8_SA_EESA_NS7_IlSA_EESA_jjPS8_PjSF_j.private_seg_size, 0
	.set _ZN2at6native6mbtopk10gatherTopKIN3c108BFloat16EmLi3EEEvNS_4cuda6detail10TensorInfoIKT_T0_EESA_SA_bjSA_NS7_IS8_SA_EESA_NS7_IlSA_EESA_jjPS8_PjSF_j.uses_vcc, 1
	.set _ZN2at6native6mbtopk10gatherTopKIN3c108BFloat16EmLi3EEEvNS_4cuda6detail10TensorInfoIKT_T0_EESA_SA_bjSA_NS7_IS8_SA_EESA_NS7_IlSA_EESA_jjPS8_PjSF_j.uses_flat_scratch, 0
	.set _ZN2at6native6mbtopk10gatherTopKIN3c108BFloat16EmLi3EEEvNS_4cuda6detail10TensorInfoIKT_T0_EESA_SA_bjSA_NS7_IS8_SA_EESA_NS7_IlSA_EESA_jjPS8_PjSF_j.has_dyn_sized_stack, 0
	.set _ZN2at6native6mbtopk10gatherTopKIN3c108BFloat16EmLi3EEEvNS_4cuda6detail10TensorInfoIKT_T0_EESA_SA_bjSA_NS7_IS8_SA_EESA_NS7_IlSA_EESA_jjPS8_PjSF_j.has_recursion, 0
	.set _ZN2at6native6mbtopk10gatherTopKIN3c108BFloat16EmLi3EEEvNS_4cuda6detail10TensorInfoIKT_T0_EESA_SA_bjSA_NS7_IS8_SA_EESA_NS7_IlSA_EESA_jjPS8_PjSF_j.has_indirect_call, 0
	.section	.AMDGPU.csdata,"",@progbits
; Kernel info:
; codeLenInByte = 3548
; TotalNumSgprs: 79
; NumVgprs: 26
; ScratchSize: 0
; MemoryBound: 0
; FloatMode: 240
; IeeeMode: 1
; LDSByteSize: 1068 bytes/workgroup (compile time only)
; SGPRBlocks: 0
; VGPRBlocks: 1
; NumSGPRsForWavesPerEU: 79
; NumVGPRsForWavesPerEU: 26
; NamedBarCnt: 0
; Occupancy: 16
; WaveLimiterHint : 1
; COMPUTE_PGM_RSRC2:SCRATCH_EN: 0
; COMPUTE_PGM_RSRC2:USER_SGPR: 2
; COMPUTE_PGM_RSRC2:TRAP_HANDLER: 0
; COMPUTE_PGM_RSRC2:TGID_X_EN: 1
; COMPUTE_PGM_RSRC2:TGID_Y_EN: 1
; COMPUTE_PGM_RSRC2:TGID_Z_EN: 1
; COMPUTE_PGM_RSRC2:TIDIG_COMP_CNT: 0
	.section	.text._ZN2at6native6sbtopk10gatherTopKIN3c108BFloat16EmLi3ELb0EEEvNS_4cuda6detail10TensorInfoIKT_T0_EESA_SA_bSA_SA_NS7_IS8_SA_EESA_NS7_IlSA_EESA_PS8_,"axG",@progbits,_ZN2at6native6sbtopk10gatherTopKIN3c108BFloat16EmLi3ELb0EEEvNS_4cuda6detail10TensorInfoIKT_T0_EESA_SA_bSA_SA_NS7_IS8_SA_EESA_NS7_IlSA_EESA_PS8_,comdat
	.protected	_ZN2at6native6sbtopk10gatherTopKIN3c108BFloat16EmLi3ELb0EEEvNS_4cuda6detail10TensorInfoIKT_T0_EESA_SA_bSA_SA_NS7_IS8_SA_EESA_NS7_IlSA_EESA_PS8_ ; -- Begin function _ZN2at6native6sbtopk10gatherTopKIN3c108BFloat16EmLi3ELb0EEEvNS_4cuda6detail10TensorInfoIKT_T0_EESA_SA_bSA_SA_NS7_IS8_SA_EESA_NS7_IlSA_EESA_PS8_
	.globl	_ZN2at6native6sbtopk10gatherTopKIN3c108BFloat16EmLi3ELb0EEEvNS_4cuda6detail10TensorInfoIKT_T0_EESA_SA_bSA_SA_NS7_IS8_SA_EESA_NS7_IlSA_EESA_PS8_
	.p2align	8
	.type	_ZN2at6native6sbtopk10gatherTopKIN3c108BFloat16EmLi3ELb0EEEvNS_4cuda6detail10TensorInfoIKT_T0_EESA_SA_bSA_SA_NS7_IS8_SA_EESA_NS7_IlSA_EESA_PS8_,@function
_ZN2at6native6sbtopk10gatherTopKIN3c108BFloat16EmLi3ELb0EEEvNS_4cuda6detail10TensorInfoIKT_T0_EESA_SA_bSA_SA_NS7_IS8_SA_EESA_NS7_IlSA_EESA_PS8_: ; @_ZN2at6native6sbtopk10gatherTopKIN3c108BFloat16EmLi3ELb0EEEvNS_4cuda6detail10TensorInfoIKT_T0_EESA_SA_bSA_SA_NS7_IS8_SA_EESA_NS7_IlSA_EESA_PS8_
; %bb.0:
	s_clause 0x1
	s_load_b128 s[28:31], s[0:1], 0x1b8
	s_load_b64 s[16:17], s[0:1], 0x520
	s_bfe_u32 s2, ttmp6, 0x40010
	s_and_b32 s3, ttmp7, 0xffff
	s_add_co_i32 s2, s2, 1
	s_bfe_u32 s5, ttmp6, 0x4000c
	s_mul_i32 s2, s3, s2
	s_bfe_u32 s4, ttmp6, 0x40004
	s_add_co_i32 s5, s5, 1
	s_bfe_u32 s6, ttmp6, 0x40014
	s_add_co_i32 s4, s4, s2
	s_and_b32 s2, ttmp6, 15
	s_mul_i32 s5, ttmp9, s5
	s_lshr_b32 s7, ttmp7, 16
	s_add_co_i32 s6, s6, 1
	s_add_co_i32 s2, s2, s5
	s_mul_i32 s5, s7, s6
	s_bfe_u32 s6, ttmp6, 0x40008
	s_getreg_b32 s8, hwreg(HW_REG_IB_STS2, 6, 4)
	s_add_co_i32 s6, s6, s5
	s_cmp_eq_u32 s8, 0
	s_mov_b32 s59, 0
	s_cselect_b32 s5, s7, s6
	s_cselect_b32 s3, s3, s4
	s_wait_kmcnt 0x0
	s_mul_i32 s5, s17, s5
	s_cselect_b32 s4, ttmp9, s2
	s_add_co_i32 s2, s5, s3
	s_delay_alu instid0(SALU_CYCLE_1) | instskip(NEXT) | instid1(SALU_CYCLE_1)
	s_mul_i32 s2, s2, s16
	s_add_co_i32 s58, s2, s4
	s_delay_alu instid0(SALU_CYCLE_1)
	v_cmp_le_u64_e64 s2, s[28:29], s[58:59]
	s_and_b32 vcc_lo, exec_lo, s2
	s_cbranch_vccnz .LBB222_484
; %bb.1:
	s_load_b128 s[8:11], s[0:1], 0x10
	s_mov_b64 s[6:7], 0
	s_wait_kmcnt 0x0
	v_cmp_lt_u64_e64 s2, s[58:59], s[10:11]
	s_and_b32 vcc_lo, exec_lo, s2
	s_mov_b64 s[2:3], 0
	s_cbranch_vccnz .LBB222_3
; %bb.2:
	v_cvt_f32_u32_e32 v1, s10
	s_sub_co_i32 s3, 0, s10
	s_delay_alu instid0(VALU_DEP_1) | instskip(SKIP_1) | instid1(TRANS32_DEP_1)
	v_rcp_iflag_f32_e32 v1, v1
	v_nop
	v_mul_f32_e32 v1, 0x4f7ffffe, v1
	s_delay_alu instid0(VALU_DEP_1) | instskip(NEXT) | instid1(VALU_DEP_1)
	v_cvt_u32_f32_e32 v1, v1
	v_readfirstlane_b32 s2, v1
	s_mul_i32 s3, s3, s2
	s_delay_alu instid0(SALU_CYCLE_1) | instskip(NEXT) | instid1(SALU_CYCLE_1)
	s_mul_hi_u32 s3, s2, s3
	s_add_co_i32 s2, s2, s3
	s_delay_alu instid0(SALU_CYCLE_1) | instskip(NEXT) | instid1(SALU_CYCLE_1)
	s_mul_hi_u32 s2, s58, s2
	s_mul_i32 s3, s2, s10
	s_add_co_i32 s5, s2, 1
	s_sub_co_i32 s3, s58, s3
	s_delay_alu instid0(SALU_CYCLE_1)
	s_sub_co_i32 s12, s3, s10
	s_cmp_ge_u32 s3, s10
	s_cselect_b32 s2, s5, s2
	s_cselect_b32 s3, s12, s3
	s_add_co_i32 s5, s2, 1
	s_cmp_ge_u32 s3, s10
	s_mov_b32 s3, 0
	s_cselect_b32 s2, s5, s2
.LBB222_3:
	s_load_b128 s[20:23], s[0:1], 0x1d8
	v_cmp_lt_u64_e64 s5, s[2:3], s[8:9]
	s_and_b32 vcc_lo, exec_lo, s5
	s_cbranch_vccnz .LBB222_5
; %bb.4:
	v_cvt_f32_u32_e32 v1, s8
	s_sub_co_i32 s6, 0, s8
	s_delay_alu instid0(VALU_DEP_1) | instskip(SKIP_1) | instid1(TRANS32_DEP_1)
	v_rcp_iflag_f32_e32 v1, v1
	v_nop
	v_mul_f32_e32 v1, 0x4f7ffffe, v1
	s_delay_alu instid0(VALU_DEP_1) | instskip(NEXT) | instid1(VALU_DEP_1)
	v_cvt_u32_f32_e32 v1, v1
	v_readfirstlane_b32 s5, v1
	s_mul_i32 s6, s6, s5
	s_delay_alu instid0(SALU_CYCLE_1) | instskip(NEXT) | instid1(SALU_CYCLE_1)
	s_mul_hi_u32 s6, s5, s6
	s_add_co_i32 s5, s5, s6
	s_delay_alu instid0(SALU_CYCLE_1) | instskip(NEXT) | instid1(SALU_CYCLE_1)
	s_mul_hi_u32 s5, s2, s5
	s_mul_i32 s6, s5, s8
	s_add_co_i32 s7, s5, 1
	s_sub_co_i32 s6, s2, s6
	s_delay_alu instid0(SALU_CYCLE_1)
	s_sub_co_i32 s12, s6, s8
	s_cmp_ge_u32 s6, s8
	s_cselect_b32 s5, s7, s5
	s_cselect_b32 s6, s12, s6
	s_add_co_i32 s12, s5, 1
	s_cmp_ge_u32 s6, s8
	s_mov_b32 s7, 0
	s_cselect_b32 s6, s12, s5
.LBB222_5:
	s_wait_kmcnt 0x0
	v_cmp_lt_u64_e64 s5, s[58:59], s[22:23]
	s_mov_b64 s[18:19], 0
	s_mov_b64 s[24:25], 0
	s_and_b32 vcc_lo, exec_lo, s5
	s_cbranch_vccnz .LBB222_7
; %bb.6:
	v_cvt_f32_u32_e32 v1, s22
	s_sub_co_i32 s12, 0, s22
	s_mov_b32 s25, 0
	s_delay_alu instid0(VALU_DEP_1) | instskip(SKIP_1) | instid1(TRANS32_DEP_1)
	v_rcp_iflag_f32_e32 v1, v1
	v_nop
	v_mul_f32_e32 v1, 0x4f7ffffe, v1
	s_delay_alu instid0(VALU_DEP_1) | instskip(NEXT) | instid1(VALU_DEP_1)
	v_cvt_u32_f32_e32 v1, v1
	v_readfirstlane_b32 s5, v1
	s_mul_i32 s12, s12, s5
	s_delay_alu instid0(SALU_CYCLE_1) | instskip(NEXT) | instid1(SALU_CYCLE_1)
	s_mul_hi_u32 s12, s5, s12
	s_add_co_i32 s5, s5, s12
	s_delay_alu instid0(SALU_CYCLE_1) | instskip(NEXT) | instid1(SALU_CYCLE_1)
	s_mul_hi_u32 s5, s58, s5
	s_mul_i32 s12, s5, s22
	s_add_co_i32 s13, s5, 1
	s_sub_co_i32 s12, s58, s12
	s_delay_alu instid0(SALU_CYCLE_1)
	s_sub_co_i32 s14, s12, s22
	s_cmp_ge_u32 s12, s22
	s_cselect_b32 s5, s13, s5
	s_cselect_b32 s12, s14, s12
	s_add_co_i32 s13, s5, 1
	s_cmp_ge_u32 s12, s22
	s_cselect_b32 s24, s13, s5
.LBB222_7:
	s_load_b128 s[44:47], s[0:1], 0x380
	v_cmp_lt_u64_e64 s5, s[24:25], s[20:21]
	s_and_b32 vcc_lo, exec_lo, s5
	s_cbranch_vccnz .LBB222_9
; %bb.8:
	v_cvt_f32_u32_e32 v1, s20
	s_sub_co_i32 s12, 0, s20
	s_mov_b32 s19, 0
	s_delay_alu instid0(VALU_DEP_1) | instskip(SKIP_1) | instid1(TRANS32_DEP_1)
	v_rcp_iflag_f32_e32 v1, v1
	v_nop
	v_mul_f32_e32 v1, 0x4f7ffffe, v1
	s_delay_alu instid0(VALU_DEP_1) | instskip(NEXT) | instid1(VALU_DEP_1)
	v_cvt_u32_f32_e32 v1, v1
	v_readfirstlane_b32 s5, v1
	s_mul_i32 s12, s12, s5
	s_delay_alu instid0(SALU_CYCLE_1) | instskip(NEXT) | instid1(SALU_CYCLE_1)
	s_mul_hi_u32 s12, s5, s12
	s_add_co_i32 s5, s5, s12
	s_delay_alu instid0(SALU_CYCLE_1) | instskip(NEXT) | instid1(SALU_CYCLE_1)
	s_mul_hi_u32 s5, s24, s5
	s_mul_i32 s12, s5, s20
	s_add_co_i32 s13, s5, 1
	s_sub_co_i32 s12, s24, s12
	s_delay_alu instid0(SALU_CYCLE_1)
	s_sub_co_i32 s14, s12, s20
	s_cmp_ge_u32 s12, s20
	s_cselect_b32 s5, s13, s5
	s_cselect_b32 s12, s14, s12
	s_add_co_i32 s13, s5, 1
	s_cmp_ge_u32 s12, s20
	s_cselect_b32 s18, s13, s5
.LBB222_9:
                                        ; implicit-def: $vgpr46 : SGPR spill to VGPR lane
	s_wait_kmcnt 0x0
	v_cmp_lt_u64_e64 s5, s[58:59], s[46:47]
	v_writelane_b32 v46, s18, 0
	s_mov_b64 s[22:23], 0
	s_mov_b64 s[20:21], 0
	v_writelane_b32 v46, s19, 1
	s_clause 0x1
	s_load_b64 s[18:19], s[0:1], 0xe0
	s_load_b128 s[12:15], s[0:1], 0xd0
	s_and_b32 vcc_lo, exec_lo, s5
	s_cbranch_vccnz .LBB222_11
; %bb.10:
	v_cvt_f32_u32_e32 v1, s46
	s_sub_co_i32 s17, 0, s46
	s_delay_alu instid0(VALU_DEP_1) | instskip(SKIP_1) | instid1(TRANS32_DEP_1)
	v_rcp_iflag_f32_e32 v1, v1
	v_nop
	v_mul_f32_e32 v1, 0x4f7ffffe, v1
	s_delay_alu instid0(VALU_DEP_1) | instskip(NEXT) | instid1(VALU_DEP_1)
	v_cvt_u32_f32_e32 v1, v1
	v_readfirstlane_b32 s5, v1
	s_mul_i32 s17, s17, s5
	s_delay_alu instid0(SALU_CYCLE_1) | instskip(NEXT) | instid1(SALU_CYCLE_1)
	s_mul_hi_u32 s17, s5, s17
	s_add_co_i32 s5, s5, s17
	s_delay_alu instid0(SALU_CYCLE_1) | instskip(NEXT) | instid1(SALU_CYCLE_1)
	s_mul_hi_u32 s5, s58, s5
	s_mul_i32 s17, s5, s46
	s_add_co_i32 s20, s5, 1
	s_sub_co_i32 s17, s58, s17
	s_delay_alu instid0(SALU_CYCLE_1)
	s_sub_co_i32 s21, s17, s46
	s_cmp_ge_u32 s17, s46
	s_cselect_b32 s5, s20, s5
	s_cselect_b32 s17, s21, s17
	s_add_co_i32 s20, s5, 1
	s_cmp_ge_u32 s17, s46
	s_mov_b32 s21, 0
	s_cselect_b32 s20, s20, s5
.LBB222_11:
	v_writelane_b32 v46, s24, 2
	v_writelane_b32 v46, s25, 3
	s_load_b128 s[24:27], s[0:1], 0x440
	s_wait_kmcnt 0x0
	v_writelane_b32 v46, s24, 4
	v_writelane_b32 v46, s25, 5
	;; [unrolled: 1-line block ×4, first 2 shown]
	s_load_b64 s[24:25], s[0:1], 0x2a8
	s_wait_kmcnt 0x0
	v_writelane_b32 v46, s24, 8
	v_writelane_b32 v46, s25, 9
	s_load_b128 s[24:27], s[0:1], 0x298
	s_wait_kmcnt 0x0
	v_writelane_b32 v46, s24, 10
	v_writelane_b32 v46, s25, 11
	;; [unrolled: 1-line block ×5, first 2 shown]
	v_cmp_lt_u64_e64 s5, s[20:21], s[44:45]
	v_writelane_b32 v46, s21, 15
	s_and_b32 vcc_lo, exec_lo, s5
	s_cbranch_vccnz .LBB222_13
; %bb.12:
	v_cvt_f32_u32_e32 v1, s44
	s_sub_co_i32 s17, 0, s44
	v_readlane_b32 s20, v46, 14
	v_readlane_b32 s21, v46, 15
	s_mov_b32 s23, 0
	v_rcp_iflag_f32_e32 v1, v1
	v_nop
	s_delay_alu instid0(TRANS32_DEP_1) | instskip(NEXT) | instid1(VALU_DEP_1)
	v_mul_f32_e32 v1, 0x4f7ffffe, v1
	v_cvt_u32_f32_e32 v1, v1
	s_delay_alu instid0(VALU_DEP_1) | instskip(SKIP_1) | instid1(SALU_CYCLE_1)
	v_readfirstlane_b32 s5, v1
	s_mul_i32 s17, s17, s5
	s_mul_hi_u32 s17, s5, s17
	s_delay_alu instid0(SALU_CYCLE_1) | instskip(NEXT) | instid1(SALU_CYCLE_1)
	s_add_co_i32 s5, s5, s17
	s_mul_hi_u32 s5, s20, s5
	s_delay_alu instid0(SALU_CYCLE_1) | instskip(NEXT) | instid1(SALU_CYCLE_1)
	s_mul_i32 s17, s5, s44
	s_sub_co_i32 s17, s20, s17
	s_add_co_i32 s20, s5, 1
	s_sub_co_i32 s21, s17, s44
	s_cmp_ge_u32 s17, s44
	s_cselect_b32 s5, s20, s5
	s_cselect_b32 s17, s21, s17
	s_add_co_i32 s20, s5, 1
	s_cmp_ge_u32 s17, s44
	s_cselect_b32 s22, s20, s5
.LBB222_13:
	s_delay_alu instid0(SALU_CYCLE_1)
	v_writelane_b32 v46, s22, 16
	v_cmp_eq_u32_e64 s5, 0, v0
	s_add_nc_u64 s[20:21], s[0:1], 0x520
	s_mov_b32 s29, 0
	v_writelane_b32 v46, s23, 17
	s_clause 0x1
	s_load_b64 s[22:23], s[0:1], 0x0
	s_load_b128 s[36:39], s[0:1], 0x1a0
	s_and_saveexec_b32 s17, s5
	s_cbranch_execz .LBB222_15
; %bb.14:
	s_wait_kmcnt 0x0
	v_dual_mov_b32 v2, 0 :: v_dual_mov_b32 v4, s36
	s_delay_alu instid0(VALU_DEP_1)
	v_dual_mov_b32 v5, s37 :: v_dual_mov_b32 v3, v2
	ds_store_b32 v2, v2 offset:5144
	ds_store_b128 v2, v[2:5] offset:5120
.LBB222_15:
	s_or_b32 exec_lo, exec_lo, s17
	s_mul_u64 s[8:9], s[6:7], s[8:9]
	s_mul_u64 s[12:13], s[6:7], s[12:13]
	s_load_b64 s[6:7], s[0:1], 0x370
	v_dual_mov_b32 v3, 0 :: v_dual_add_nc_u32 v2, 2, v0
	v_lshlrev_b32_e32 v16, 2, v0
	s_wait_dscnt 0x0
	s_barrier_signal -1
	s_delay_alu instid0(VALU_DEP_2)
	v_mov_b32_e32 v1, v3
	s_wait_kmcnt 0x0
	v_max_u64 v[6:7], s[36:37], v[2:3]
	s_barrier_wait -1
	s_load_b32 s24, s[20:21], 0xc
	v_mul_u64_e32 v[4:5], s[30:31], v[0:1]
	s_mul_u64 s[10:11], s[2:3], s[10:11]
	s_sub_nc_u64 s[2:3], s[2:3], s[8:9]
	s_sub_nc_u64 s[8:9], s[58:59], s[10:11]
	s_lshl_b64 s[10:11], s[12:13], 1
	s_mul_u64 s[12:13], s[2:3], s[14:15]
	s_mul_u64 s[8:9], s[8:9], s[18:19]
	s_add_nc_u64 s[10:11], s[22:23], s[10:11]
	s_lshl_b64 s[12:13], s[12:13], 1
	v_writelane_b32 v46, s6, 18
	v_dual_mov_b32 v9, -1 :: v_dual_lshlrev_b32 v28, 1, v0
	s_load_b32 s17, s[0:1], 0x1b0
	v_not_b32_e32 v8, v0
	v_writelane_b32 v46, s7, 19
	s_load_b64 s[6:7], s[0:1], 0x1c8
	s_lshl_b64 s[8:9], s[8:9], 1
	s_add_nc_u64 s[10:11], s[10:11], s[12:13]
	v_mbcnt_lo_u32_b32 v13, -1, 0
	s_add_nc_u64 s[34:35], s[10:11], s[8:9]
	v_cmp_gt_u32_e32 vcc_lo, 32, v0
	s_movk_i32 s3, 0x3e0
	v_cmp_lt_u64_e64 s33, 0x600, s[36:37]
	v_and_or_b32 v30, v0, s3, 0xc00
	v_lshlrev_b64_e64 v[10:11], v13, -1
	v_cmp_gt_u64_e64 s43, s[36:37], v[0:1]
	v_mov_b64_e32 v[22:23], s[38:39]
	s_mov_b32 s57, s29
	v_cmp_eq_u32_e64 s2, 0, v13
	v_dual_mov_b32 v36, 0 :: v_dual_add_nc_u32 v29, 0xc00, v28
	v_not_b32_e32 v12, v10
	v_lshl_add_u64 v[14:15], v[4:5], 1, s[34:35]
	v_add_nc_u64_e32 v[4:5], v[6:7], v[8:9]
	s_wait_kmcnt 0x0
	s_bitcmp1_b32 s17, 0
	v_writelane_b32 v46, s6, 20
	s_cselect_b32 vcc_hi, -1, 0
	s_and_b32 s56, s24, 0xffff
	s_xor_b32 s103, vcc_hi, -1
	v_dual_mov_b32 v17, v3 :: v_dual_bitop2_b32 v18, -4, v4 bitop3:0x40
	v_writelane_b32 v46, s7, 21
	v_cmp_gt_i32_e64 s7, 4, v13
	v_cmp_lt_u64_e64 s3, 3, v[4:5]
	v_dual_mov_b32 v19, v5 :: v_dual_lshlrev_b32 v32, 3, v0
	v_cmp_gt_u32_e64 s6, 2, v0
	s_and_b32 s102, vcc_lo, s7
	s_bfe_u32 s7, s24, 0xb0005
	s_cmp_gt_u32 s56, 31
	v_writelane_b32 v46, s3, 22
	s_cselect_b32 s104, -1, 0
	s_cmp_lt_u32 s4, s16
	v_add_nc_u64_e32 v[20:21], v[18:19], v[0:1]
	s_cselect_b32 s28, 12, 18
	s_add_co_i32 s3, s7, -1
	v_lshl_or_b32 v33, v13, 3, 0xc00
	s_and_b32 s4, s3, 0xffff
	s_bfe_u32 s3, s56, 0x30005
	s_cmp_gt_u32 s4, 6
	v_writelane_b32 v46, s3, 23
	s_cselect_b32 s68, -1, 0
	s_and_b32 s69, s7, 0x7f8
	s_cmp_lg_u32 s3, 0
	v_cmp_ne_u64_e64 s3, v[4:5], v[18:19]
	v_dual_mov_b32 v34, 0x8000 :: v_dual_mov_b32 v31, 0
	v_mov_b32_e32 v35, 0
	s_add_nc_u64 s[74:75], s[56:57], -1
	s_mov_b32 s78, s30
	s_add_nc_u64 s[76:77], s[74:75], s[36:37]
	s_mov_b32 s79, s31
	s_mov_b32 s80, s30
	;; [unrolled: 1-line block ×5, first 2 shown]
	s_cselect_b32 s70, -1, 0
	s_lshl_b32 s71, s56, 1
	s_mov_b32 s48, 14
	s_and_b64 s[84:85], s[36:37], 0xffffffff00000000
	s_mov_b32 s72, 0x4f800000
	s_movk_i32 s73, 0x3f80
	s_add_nc_u64 s[86:87], s[20:21], s[28:29]
	s_mov_b32 s49, 0
	s_mov_b32 s51, 0
	v_writelane_b32 v46, s3, 24
                                        ; implicit-def: $sgpr50
                                        ; implicit-def: $sgpr54
                                        ; implicit-def: $sgpr53
                                        ; implicit-def: $sgpr55
                                        ; implicit-def: $sgpr52
                                        ; implicit-def: $sgpr61
                                        ; implicit-def: $sgpr7
                                        ; implicit-def: $sgpr8
                                        ; implicit-def: $sgpr60
                                        ; implicit-def: $sgpr4
	s_branch .LBB222_18
.LBB222_16:                             ;   in Loop: Header=BB222_18 Depth=1
	s_or_b32 exec_lo, exec_lo, s12
	v_mov_b64_e32 v[22:23], v[4:5]
	s_and_not1_b32 s3, s4, exec_lo
	s_and_b32 s4, s11, exec_lo
	s_and_not1_b32 s60, s60, exec_lo
	s_or_b32 s4, s3, s4
	s_and_not1_b32 s8, s8, exec_lo
	s_and_not1_b32 s7, s7, exec_lo
	;; [unrolled: 1-line block ×3, first 2 shown]
	s_or_not1_b32 s10, s10, exec_lo
.LBB222_17:                             ;   in Loop: Header=BB222_18 Depth=1
	s_or_b32 exec_lo, exec_lo, s9
	s_delay_alu instid0(SALU_CYCLE_1) | instskip(NEXT) | instid1(SALU_CYCLE_1)
	s_and_b32 s9, exec_lo, s10
	s_or_b32 s49, s9, s49
	s_and_not1_b32 s9, s52, exec_lo
	s_and_b32 s10, s4, exec_lo
	s_and_not1_b32 s11, s55, exec_lo
	s_or_b32 s52, s9, s10
	s_and_b32 s9, s60, exec_lo
	s_and_not1_b32 s10, s53, exec_lo
	s_and_b32 s12, s8, exec_lo
	s_or_b32 s55, s11, s9
	s_or_b32 s53, s10, s12
	s_and_not1_b32 s9, s54, exec_lo
	s_and_b32 s10, s7, exec_lo
	s_and_not1_b32 s11, s50, exec_lo
	s_and_b32 s12, s61, exec_lo
	s_or_b32 s54, s9, s10
	s_or_b32 s50, s11, s12
	s_and_not1_b32 exec_lo, exec_lo, s49
	s_cbranch_execz .LBB222_480
.LBB222_18:                             ; =>This Loop Header: Depth=1
                                        ;     Child Loop BB222_23 Depth 2
                                        ;     Child Loop BB222_37 Depth 2
	;; [unrolled: 1-line block ×25, first 2 shown]
	ds_load_b128 v[4:7], v3 offset:5120
	s_wait_dscnt 0x0
	v_readfirstlane_b32 s89, v5
	v_readfirstlane_b32 s88, v4
	s_cmp_lg_u64 s[88:89], 0
	s_cbranch_scc1 .LBB222_50
; %bb.19:                               ;   in Loop: Header=BB222_18 Depth=1
	s_and_b32 vcc_lo, exec_lo, s33
	s_cbranch_vccz .LBB222_31
; %bb.20:                               ;   in Loop: Header=BB222_18 Depth=1
	v_cmp_gt_u64_e32 vcc_lo, 0x601, v[6:7]
	s_mov_b32 s11, 0
	s_mov_b32 s9, 0
	s_cbranch_vccz .LBB222_32
; %bb.21:                               ;   in Loop: Header=BB222_18 Depth=1
	global_load_u16 v2, v3, s[86:87]
	global_load_u16 v6, v[14:15], off
	v_mov_b64_e32 v[4:5], v[0:1]
	s_mov_b32 s12, 0
	s_wait_loadcnt 0x1
	v_and_b32_e32 v2, 0xffff, v2
	s_branch .LBB222_23
.LBB222_22:                             ;   in Loop: Header=BB222_23 Depth=2
	s_or_b32 exec_lo, exec_lo, s10
	v_mov_b32_e32 v6, v7
	s_and_not1_b32 exec_lo, exec_lo, s12
	s_cbranch_execz .LBB222_104
.LBB222_23:                             ;   Parent Loop BB222_18 Depth=1
                                        ; =>  This Inner Loop Header: Depth=2
	s_delay_alu instid0(VALU_DEP_1) | instskip(SKIP_3) | instid1(VALU_DEP_2)
	v_add_nc_u64_e32 v[4:5], v[4:5], v[2:3]
	s_wait_dscnt 0x0
	v_dual_mov_b32 v8, 0 :: v_dual_mov_b32 v7, 0
	s_mov_b32 s10, exec_lo
	v_cmp_le_u64_e32 vcc_lo, s[36:37], v[4:5]
	s_wait_xcnt 0x0
	v_cmpx_gt_u64_e64 s[36:37], v[4:5]
	s_cbranch_execz .LBB222_25
; %bb.24:                               ;   in Loop: Header=BB222_23 Depth=2
	v_mul_u64_e32 v[10:11], s[30:31], v[4:5]
	s_delay_alu instid0(VALU_DEP_1)
	v_lshl_add_u64 v[10:11], v[10:11], 1, s[34:35]
	global_load_u16 v7, v[10:11], off
.LBB222_25:                             ;   in Loop: Header=BB222_23 Depth=2
	s_wait_xcnt 0x0
	s_or_b32 exec_lo, exec_lo, s10
	s_wait_loadcnt 0x0
	v_cmp_lt_i16_e64 s9, -1, v6
	v_and_b32_e32 v9, 0xffff, v6
	s_delay_alu instid0(VALU_DEP_2) | instskip(NEXT) | instid1(VALU_DEP_1)
	v_cndmask_b32_e64 v10, 0xffff, v34, s9
	v_dual_lshlrev_b32 v11, 16, v6 :: v_dual_bitop2_b32 v9, v10, v9 bitop3:0x14
	s_delay_alu instid0(VALU_DEP_1) | instskip(NEXT) | instid1(VALU_DEP_1)
	v_cmp_o_f32_e64 s9, v11, v11
	v_cndmask_b32_e64 v9, 0xffff, v9, s9
	s_delay_alu instid0(VALU_DEP_1) | instskip(NEXT) | instid1(VALU_DEP_1)
	v_and_b32_e32 v9, v9, v35
	v_cmp_eq_u32_e64 s9, v9, v31
	s_cmp_lg_u32 s9, 0
	s_cselect_b32 s10, -1, 0
	s_delay_alu instid0(SALU_CYCLE_1) | instskip(NEXT) | instid1(SALU_CYCLE_1)
	s_and_b32 s10, s2, s10
	s_and_saveexec_b32 s13, s10
	s_cbranch_execz .LBB222_29
; %bb.26:                               ;   in Loop: Header=BB222_23 Depth=2
	s_mov_b32 s16, exec_lo
	s_bcnt1_i32_b32 s14, s9
	v_mbcnt_lo_u32_b32 v8, s16, 0
	s_mov_b32 s15, exec_lo
                                        ; implicit-def: $vgpr9
	s_delay_alu instid0(VALU_DEP_1)
	v_cmpx_eq_u32_e32 0, v8
; %bb.27:                               ;   in Loop: Header=BB222_23 Depth=2
	s_bcnt1_i32_b32 s10, s16
	s_delay_alu instid0(SALU_CYCLE_1) | instskip(NEXT) | instid1(SALU_CYCLE_1)
	s_mul_i32 s10, s14, s10
	v_mov_b32_e32 v9, s10
	ds_add_rtn_u32 v9, v3, v9 offset:5144
; %bb.28:                               ;   in Loop: Header=BB222_23 Depth=2
	s_or_b32 exec_lo, exec_lo, s15
	s_wait_dscnt 0x0
	v_readfirstlane_b32 s10, v9
	s_delay_alu instid0(VALU_DEP_1)
	v_mad_u32_u24 v8, s14, v8, s10
.LBB222_29:                             ;   in Loop: Header=BB222_23 Depth=2
	s_or_b32 exec_lo, exec_lo, s13
	ds_bpermute_b32 v8, v3, v8
	s_and_b32 s10, exec_lo, vcc_lo
	s_delay_alu instid0(SALU_CYCLE_1)
	s_or_b32 s12, s10, s12
	s_and_saveexec_b32 s10, s9
	s_cbranch_execz .LBB222_22
; %bb.30:                               ;   in Loop: Header=BB222_23 Depth=2
	v_and_b32_e32 v9, s9, v12
	s_delay_alu instid0(VALU_DEP_1) | instskip(NEXT) | instid1(VALU_DEP_1)
	v_bcnt_u32_b32 v9, v9, 0
	v_lshlrev_b32_e32 v9, 1, v9
	s_wait_dscnt 0x0
	s_delay_alu instid0(VALU_DEP_1)
	v_lshl_add_u32 v8, v8, 1, v9
	ds_store_b16 v8, v6
	s_branch .LBB222_22
.LBB222_31:                             ;   in Loop: Header=BB222_18 Depth=1
	s_mov_b32 s11, -1
	s_mov_b32 s9, 0
.LBB222_32:                             ;   in Loop: Header=BB222_18 Depth=1
	s_and_b32 vcc_lo, exec_lo, s11
	s_cbranch_vccz .LBB222_48
.LBB222_33:                             ;   in Loop: Header=BB222_18 Depth=1
	s_and_saveexec_b32 s9, s43
	s_cbranch_execz .LBB222_45
; %bb.34:                               ;   in Loop: Header=BB222_18 Depth=1
	global_load_u16 v4, v3, s[86:87]
	global_load_u16 v26, v[14:15], off
	s_mov_b32 s12, exec_lo
	v_mov_b32_e32 v8, v0
	s_wait_loadcnt 0x1
	v_and_b32_e32 v2, 0xffff, v4
	v_readfirstlane_b32 s10, v4
	s_delay_alu instid0(VALU_DEP_2) | instskip(SKIP_1) | instid1(VALU_DEP_1)
	v_add_nc_u32_e32 v2, v2, v0
	s_wait_xcnt 0x0
	v_cmpx_gt_u64_e64 s[36:37], v[2:3]
	s_cbranch_execz .LBB222_44
; %bb.35:                               ;   in Loop: Header=BB222_18 Depth=1
	s_and_b32 s28, s10, 0xffff
	v_mov_b64_e32 v[6:7], v[0:1]
	v_mov_b64_e32 v[4:5], v[2:3]
	v_readlane_b32 s3, v46, 22
	s_cmp_eq_u32 s28, 1
	s_mov_b32 s11, -1
	s_cselect_b32 s10, -1, 0
                                        ; implicit-def: $vgpr8_vgpr9
	s_delay_alu instid0(SALU_CYCLE_1) | instskip(NEXT) | instid1(SALU_CYCLE_1)
	s_and_b32 s13, s3, s10
	s_and_saveexec_b32 s10, s13
	s_cbranch_execz .LBB222_39
; %bb.36:                               ;   in Loop: Header=BB222_18 Depth=1
	v_add_nc_u64_e32 v[8:9], 3, v[2:3]
	v_add_nc_u64_e32 v[6:7], 2, v[2:3]
	;; [unrolled: 1-line block ×3, first 2 shown]
	v_mov_b64_e32 v[24:25], v[18:19]
	s_wait_loadcnt 0x0
	v_dual_lshlrev_b32 v37, 16, v26 :: v_dual_mov_b32 v27, v28
	s_mov_b32 s11, 0
	v_mov_b64_e32 v[10:11], v[8:9]
	v_mov_b64_e32 v[8:9], v[6:7]
	;; [unrolled: 1-line block ×4, first 2 shown]
.LBB222_37:                             ;   Parent Loop BB222_18 Depth=1
                                        ; =>  This Inner Loop Header: Depth=2
	s_delay_alu instid0(VALU_DEP_2) | instskip(NEXT) | instid1(VALU_DEP_4)
	v_mul_u64_e32 v[38:39], s[30:31], v[6:7]
	v_mul_u64_e32 v[40:41], s[80:81], v[8:9]
	;; [unrolled: 1-line block ×3, first 2 shown]
	s_delay_alu instid0(VALU_DEP_4)
	v_mul_u64_e32 v[44:45], s[78:79], v[4:5]
	v_add_nc_u64_e32 v[24:25], -4, v[24:25]
	v_add_nc_u64_e32 v[10:11], 4, v[10:11]
	v_add_nc_u64_e32 v[8:9], 4, v[8:9]
	;; [unrolled: 1-line block ×4, first 2 shown]
	v_cmp_eq_u64_e32 vcc_lo, 0, v[24:25]
	s_or_b32 s11, vcc_lo, s11
	v_lshl_add_u64 v[38:39], v[38:39], 1, s[34:35]
	v_lshl_add_u64 v[40:41], v[40:41], 1, s[34:35]
	;; [unrolled: 1-line block ×4, first 2 shown]
	s_clause 0x3
	global_load_u16 v38, v[38:39], off
	global_load_u16 v40, v[40:41], off
	;; [unrolled: 1-line block ×4, first 2 shown]
	s_wait_loadcnt 0x2
	v_perm_b32 v39, v40, v38, 0x5040100
	s_wait_loadcnt 0x0
	v_alignbit_b32 v38, v41, v37, 16
	v_perm_b32 v37, v26, v40, 0x5040100
	ds_store_b64 v27, v[38:39]
	v_add_nc_u32_e32 v27, 8, v27
	s_wait_xcnt 0x0
	s_and_not1_b32 exec_lo, exec_lo, s11
	s_cbranch_execnz .LBB222_37
; %bb.38:                               ;   in Loop: Header=BB222_18 Depth=1
	s_or_b32 exec_lo, exec_lo, s11
	v_add_nc_u64_e32 v[4:5], v[2:3], v[18:19]
	v_mov_b64_e32 v[6:7], v[20:21]
	v_readlane_b32 s3, v46, 24
	s_or_not1_b32 s11, s3, exec_lo
	v_add_nc_u64_e32 v[8:9], -1, v[4:5]
.LBB222_39:                             ;   in Loop: Header=BB222_18 Depth=1
	s_or_b32 exec_lo, exec_lo, s10
	s_and_saveexec_b32 s13, s11
	s_cbranch_execz .LBB222_43
; %bb.40:                               ;   in Loop: Header=BB222_18 Depth=1
	s_sub_nc_u64 s[10:11], 0, s[28:29]
	s_mov_b32 s14, 0
.LBB222_41:                             ;   Parent Loop BB222_18 Depth=1
                                        ; =>  This Inner Loop Header: Depth=2
	v_mov_b64_e32 v[8:9], v[4:5]
	s_wait_loadcnt 0x0
	v_dual_mov_b32 v2, v26 :: v_dual_lshlrev_b32 v10, 1, v6
	ds_store_b16 v10, v2
	v_mul_u64_e32 v[4:5], s[30:31], v[8:9]
	v_mov_b64_e32 v[6:7], v[8:9]
	s_delay_alu instid0(VALU_DEP_2) | instskip(SKIP_3) | instid1(VALU_DEP_1)
	v_lshl_add_u64 v[4:5], v[4:5], 1, s[34:35]
	global_load_u16 v26, v[4:5], off
	s_wait_xcnt 0x0
	v_add_nc_u64_e32 v[4:5], s[28:29], v[8:9]
	v_cmp_le_u64_e32 vcc_lo, s[36:37], v[4:5]
	s_or_b32 s14, vcc_lo, s14
	s_delay_alu instid0(SALU_CYCLE_1)
	s_and_not1_b32 exec_lo, exec_lo, s14
	s_cbranch_execnz .LBB222_41
; %bb.42:                               ;   in Loop: Header=BB222_18 Depth=1
	s_or_b32 exec_lo, exec_lo, s14
	v_add_nc_u64_e32 v[8:9], s[10:11], v[4:5]
.LBB222_43:                             ;   in Loop: Header=BB222_18 Depth=1
	s_or_b32 exec_lo, exec_lo, s13
.LBB222_44:                             ;   in Loop: Header=BB222_18 Depth=1
	s_delay_alu instid0(SALU_CYCLE_1) | instskip(NEXT) | instid1(VALU_DEP_1)
	s_or_b32 exec_lo, exec_lo, s12
	v_lshlrev_b32_e32 v2, 1, v8
	s_wait_loadcnt 0x0
	ds_store_b16 v2, v26
.LBB222_45:                             ;   in Loop: Header=BB222_18 Depth=1
	s_or_b32 exec_lo, exec_lo, s9
	s_wait_dscnt 0x0
	s_barrier_signal -1
	s_barrier_wait -1
	s_and_saveexec_b32 s9, s5
; %bb.46:                               ;   in Loop: Header=BB222_18 Depth=1
	v_mov_b64_e32 v[4:5], s[36:37]
	ds_store_b64 v3, v[4:5] offset:5120
; %bb.47:                               ;   in Loop: Header=BB222_18 Depth=1
	s_or_b32 exec_lo, exec_lo, s9
	s_mov_b32 s9, -1
	s_wait_dscnt 0x0
	s_barrier_signal -1
	s_barrier_wait -1
.LBB222_48:                             ;   in Loop: Header=BB222_18 Depth=1
	s_and_b32 vcc_lo, exec_lo, s9
	s_mov_b64 s[88:89], 0
	s_cbranch_vccz .LBB222_50
; %bb.49:                               ;   in Loop: Header=BB222_18 Depth=1
	ds_load_b64 v[4:5], v3 offset:5120
	s_wait_dscnt 0x0
	v_readfirstlane_b32 s88, v4
	v_readfirstlane_b32 s89, v5
.LBB222_50:                             ;   in Loop: Header=BB222_18 Depth=1
	s_delay_alu instid0(VALU_DEP_2)
	s_cmp_lt_i32 s88, 1
	s_mov_b32 s9, -1
                                        ; implicit-def: $vgpr4_vgpr5
                                        ; implicit-def: $vgpr8_vgpr9
	s_cbranch_scc1 .LBB222_60
; %bb.51:                               ;   in Loop: Header=BB222_18 Depth=1
	s_and_b32 vcc_lo, exec_lo, s9
	s_cbranch_vccnz .LBB222_74
.LBB222_52:                             ;   in Loop: Header=BB222_18 Depth=1
	s_lshl_b32 s9, s51, 7
	s_and_saveexec_b32 s10, s2
	s_cbranch_execz .LBB222_54
.LBB222_53:                             ;   in Loop: Header=BB222_18 Depth=1
	v_lshl_add_u32 v2, s9, 3, v30
	ds_store_b128 v2, v[4:7]
	ds_store_b128 v2, v[8:11] offset:16
.LBB222_54:                             ;   in Loop: Header=BB222_18 Depth=1
	s_or_b32 exec_lo, exec_lo, s10
	s_wait_dscnt 0x0
	s_barrier_signal -1
	s_barrier_wait -1
	s_and_saveexec_b32 s10, s102
	s_cbranch_execz .LBB222_88
; %bb.55:                               ;   in Loop: Header=BB222_18 Depth=1
	v_mov_b64_e32 v[4:5], 0
	s_and_not1_b32 vcc_lo, exec_lo, s104
	s_cbranch_vccnz .LBB222_87
; %bb.56:                               ;   in Loop: Header=BB222_18 Depth=1
	v_mov_b64_e32 v[4:5], 0
	s_and_not1_b32 vcc_lo, exec_lo, s68
	s_cbranch_vccnz .LBB222_84
; %bb.57:                               ;   in Loop: Header=BB222_18 Depth=1
	v_lshl_add_u32 v2, s51, 10, v33
	s_mov_b32 s11, 0
.LBB222_58:                             ;   Parent Loop BB222_18 Depth=1
                                        ; =>  This Inner Loop Header: Depth=2
	ds_load_2addr_b64 v[6:9], v2 offset1:4
	ds_load_2addr_b64 v[24:27], v2 offset0:8 offset1:12
	s_add_co_i32 s11, s11, 8
	s_delay_alu instid0(SALU_CYCLE_1) | instskip(SKIP_2) | instid1(VALU_DEP_1)
	s_cmp_eq_u32 s69, s11
	s_wait_dscnt 0x1
	v_add_nc_u64_e32 v[4:5], v[6:7], v[4:5]
	v_add_nc_u64_e32 v[8:9], v[8:9], v[4:5]
	ds_load_2addr_b64 v[4:7], v2 offset0:16 offset1:20
	s_wait_dscnt 0x1
	v_add_nc_u64_e32 v[8:9], v[24:25], v[8:9]
	s_delay_alu instid0(VALU_DEP_1) | instskip(SKIP_4) | instid1(VALU_DEP_1)
	v_add_nc_u64_e32 v[24:25], v[26:27], v[8:9]
	ds_load_2addr_b64 v[8:11], v2 offset0:24 offset1:28
	v_add_nc_u32_e32 v2, 0x100, v2
	s_wait_dscnt 0x1
	v_add_nc_u64_e32 v[4:5], v[4:5], v[24:25]
	v_add_nc_u64_e32 v[4:5], v[6:7], v[4:5]
	s_wait_dscnt 0x0
	s_delay_alu instid0(VALU_DEP_1) | instskip(NEXT) | instid1(VALU_DEP_1)
	v_add_nc_u64_e32 v[4:5], v[8:9], v[4:5]
	v_add_nc_u64_e32 v[4:5], v[10:11], v[4:5]
	s_cbranch_scc0 .LBB222_58
; %bb.59:                               ;   in Loop: Header=BB222_18 Depth=1
	s_mov_b32 s11, s69
	s_and_not1_b32 vcc_lo, exec_lo, s70
	s_cbranch_vccz .LBB222_85
	s_branch .LBB222_87
.LBB222_60:                             ;   in Loop: Header=BB222_18 Depth=1
	global_load_u16 v2, v3, s[86:87]
	s_mov_b32 s21, s29
	s_wait_loadcnt 0x0
	v_readfirstlane_b32 s9, v2
	s_and_b32 s9, 0xffff, s9
	s_delay_alu instid0(SALU_CYCLE_1)
	s_lshl_b32 s20, s9, 2
	s_cmp_lg_u64 s[84:85], 0
	s_cbranch_scc0 .LBB222_83
; %bb.61:                               ;   in Loop: Header=BB222_18 Depth=1
	s_cvt_f32_u32 s9, s20
	s_sub_nc_u64 s[12:13], 0, s[20:21]
	s_delay_alu instid0(SALU_CYCLE_2) | instskip(NEXT) | instid1(SALU_CYCLE_3)
	s_fmamk_f32 s9, s72, 0x0, s9
	v_s_rcp_f32 s9, s9
	s_delay_alu instid0(TRANS32_DEP_1) | instskip(NEXT) | instid1(SALU_CYCLE_3)
	s_mul_f32 s9, s9, 0x5f7ffffc
	s_mul_f32 s10, s9, 0x2f800000
	s_delay_alu instid0(SALU_CYCLE_3) | instskip(NEXT) | instid1(SALU_CYCLE_3)
	s_trunc_f32 s10, s10
	s_fmamk_f32 s9, s10, 0xcf800000, s9
	s_cvt_u32_f32 s11, s10
	s_delay_alu instid0(SALU_CYCLE_2) | instskip(NEXT) | instid1(SALU_CYCLE_3)
	s_cvt_u32_f32 s10, s9
	s_mul_u64 s[14:15], s[12:13], s[10:11]
	s_delay_alu instid0(SALU_CYCLE_1)
	s_mul_hi_u32 s17, s10, s15
	s_mul_i32 s16, s10, s15
	s_mul_hi_u32 s28, s10, s14
	s_mul_i32 s18, s11, s14
	s_add_nc_u64 s[16:17], s[28:29], s[16:17]
	s_mul_hi_u32 s9, s11, s14
	s_mul_hi_u32 s19, s11, s15
	s_mul_i32 s14, s11, s15
	s_add_co_u32 s15, s16, s18
	s_add_co_ci_u32 s28, s17, s9
	s_add_co_ci_u32 s15, s19, 0
	s_delay_alu instid0(SALU_CYCLE_1) | instskip(NEXT) | instid1(SALU_CYCLE_1)
	s_add_nc_u64 s[14:15], s[28:29], s[14:15]
	s_add_co_u32 s10, s10, s14
	s_cselect_b32 s9, -1, 0
	s_delay_alu instid0(SALU_CYCLE_1) | instskip(SKIP_1) | instid1(SALU_CYCLE_1)
	s_cmp_lg_u32 s9, 0
	s_add_co_ci_u32 s11, s11, s15
	s_mul_u64 s[12:13], s[12:13], s[10:11]
	s_delay_alu instid0(SALU_CYCLE_1)
	s_mul_hi_u32 s15, s10, s13
	s_mul_i32 s14, s10, s13
	s_mul_hi_u32 s28, s10, s12
	s_mul_i32 s16, s11, s12
	s_add_nc_u64 s[14:15], s[28:29], s[14:15]
	s_mul_hi_u32 s9, s11, s12
	s_mul_hi_u32 s17, s11, s13
	s_mul_i32 s12, s11, s13
	s_add_co_u32 s13, s14, s16
	s_add_co_ci_u32 s28, s15, s9
	s_add_co_ci_u32 s13, s17, 0
	s_delay_alu instid0(SALU_CYCLE_1) | instskip(NEXT) | instid1(SALU_CYCLE_1)
	s_add_nc_u64 s[12:13], s[28:29], s[12:13]
	s_add_co_u32 s9, s10, s12
	s_cselect_b32 s10, -1, 0
	s_mul_hi_u32 s28, s36, s9
	s_cmp_lg_u32 s10, 0
	s_mul_hi_u32 s14, s37, s9
	s_add_co_ci_u32 s12, s11, s13
	s_mul_i32 s9, s37, s9
	s_mul_hi_u32 s11, s36, s12
	s_mul_i32 s10, s36, s12
	s_mul_hi_u32 s13, s37, s12
	s_add_nc_u64 s[10:11], s[28:29], s[10:11]
	s_mul_i32 s12, s37, s12
	s_add_co_u32 s9, s10, s9
	s_add_co_ci_u32 s28, s11, s14
	s_add_co_ci_u32 s13, s13, 0
	s_delay_alu instid0(SALU_CYCLE_1) | instskip(NEXT) | instid1(SALU_CYCLE_1)
	s_add_nc_u64 s[10:11], s[28:29], s[12:13]
	s_and_b64 s[12:13], s[10:11], 0xffffffff00000000
	s_delay_alu instid0(SALU_CYCLE_1) | instskip(NEXT) | instid1(SALU_CYCLE_1)
	s_or_b32 s12, s12, s10
	s_mul_u64 s[10:11], s[20:21], s[12:13]
	s_delay_alu instid0(SALU_CYCLE_1) | instskip(SKIP_1) | instid1(SALU_CYCLE_1)
	s_sub_co_u32 s9, s36, s10
	s_cselect_b32 s10, -1, 0
	s_cmp_lg_u32 s10, 0
	s_sub_co_ci_u32 s10, s37, s11
	s_sub_co_u32 s11, s9, s20
	s_cselect_b32 s12, -1, 0
	s_delay_alu instid0(SALU_CYCLE_1) | instskip(SKIP_3) | instid1(SALU_CYCLE_1)
	s_cmp_lg_u32 s12, 0
	s_sub_co_ci_u32 s12, s10, 0
	s_sub_co_u32 s13, s11, s20
	s_cselect_b32 s14, -1, 0
	s_cmp_lg_u32 s14, 0
	s_sub_co_ci_u32 s14, s12, 0
	s_cmp_ge_u32 s11, s20
	s_cselect_b32 s15, -1, 0
	s_cmp_eq_u32 s12, 0
	s_cselect_b32 s15, s15, -1
	s_delay_alu instid0(SALU_CYCLE_1)
	s_cmp_lg_u32 s15, 0
	s_cselect_b32 s12, s14, s12
	s_cselect_b32 s13, s13, s11
	s_cmp_ge_u32 s9, s20
	s_cselect_b32 s11, -1, 0
	s_cmp_eq_u32 s10, 0
	s_cselect_b32 s11, s11, -1
	s_delay_alu instid0(SALU_CYCLE_1)
	s_cmp_lg_u32 s11, 0
	s_cselect_b32 s11, s12, s10
	s_cselect_b32 s10, s13, s9
	s_cbranch_execnz .LBB222_63
.LBB222_62:                             ;   in Loop: Header=BB222_18 Depth=1
	v_cvt_f32_u32_e32 v4, s20
	s_sub_co_i32 s10, 0, s20
	s_delay_alu instid0(VALU_DEP_1) | instskip(SKIP_1) | instid1(TRANS32_DEP_1)
	v_rcp_iflag_f32_e32 v4, v4
	v_nop
	v_mul_f32_e32 v4, 0x4f7ffffe, v4
	s_delay_alu instid0(VALU_DEP_1) | instskip(NEXT) | instid1(VALU_DEP_1)
	v_cvt_u32_f32_e32 v4, v4
	v_readfirstlane_b32 s9, v4
	s_mul_i32 s10, s10, s9
	s_delay_alu instid0(SALU_CYCLE_1) | instskip(NEXT) | instid1(SALU_CYCLE_1)
	s_mul_hi_u32 s10, s9, s10
	s_add_co_i32 s9, s9, s10
	s_delay_alu instid0(SALU_CYCLE_1) | instskip(NEXT) | instid1(SALU_CYCLE_1)
	s_mul_hi_u32 s9, s36, s9
	s_mul_i32 s9, s9, s20
	s_delay_alu instid0(SALU_CYCLE_1) | instskip(NEXT) | instid1(SALU_CYCLE_1)
	s_sub_co_i32 s9, s36, s9
	s_sub_co_i32 s10, s9, s20
	s_cmp_ge_u32 s9, s20
	s_cselect_b32 s9, s10, s9
	s_delay_alu instid0(SALU_CYCLE_1) | instskip(SKIP_2) | instid1(SALU_CYCLE_1)
	s_sub_co_i32 s10, s9, s20
	s_cmp_ge_u32 s9, s20
	s_cselect_b32 s28, s10, s9
	s_mov_b64 s[10:11], s[28:29]
.LBB222_63:                             ;   in Loop: Header=BB222_18 Depth=1
	v_mov_b64_e32 v[4:5], 0
	v_mov_b64_e32 v[6:7], 0
	;; [unrolled: 1-line block ×4, first 2 shown]
	s_sub_nc_u64 s[22:23], s[36:37], s[10:11]
	s_mov_b32 s19, exec_lo
	v_cmpx_gt_u64_e64 s[22:23], v[16:17]
	s_cbranch_execz .LBB222_67
; %bb.64:                               ;   in Loop: Header=BB222_18 Depth=1
	v_mov_b64_e32 v[24:25], v[16:17]
	s_mov_b64 s[24:25], 0
	s_mov_b32 s64, 0
	s_mov_b64 s[26:27], 0
	s_mov_b64 s[90:91], 0
	;; [unrolled: 1-line block ×3, first 2 shown]
.LBB222_65:                             ;   Parent Loop BB222_18 Depth=1
                                        ; =>  This Inner Loop Header: Depth=2
	s_delay_alu instid0(VALU_DEP_1) | instskip(SKIP_2) | instid1(VALU_DEP_1)
	v_mul_u64_e32 v[4:5], s[30:31], v[24:25]
	s_lshl_b64 s[10:11], s[30:31], 1
	v_add_nc_u64_e32 v[24:25], s[20:21], v[24:25]
	v_cmp_le_u64_e32 vcc_lo, s[22:23], v[24:25]
	s_delay_alu instid0(VALU_DEP_3)
	v_lshl_add_u64 v[4:5], v[4:5], 1, s[34:35]
	global_load_u16 v6, v[4:5], off
	s_wait_xcnt 0x0
	v_add_nc_u64_e32 v[4:5], s[10:11], v[4:5]
	global_load_u16 v7, v[4:5], off
	s_wait_xcnt 0x0
	v_add_nc_u64_e32 v[4:5], s[10:11], v[4:5]
	;; [unrolled: 3-line block ×3, first 2 shown]
	global_load_u16 v4, v[4:5], off
	s_wait_loadcnt 0x3
	v_cmp_lt_i16_e64 s9, -1, v6
	s_wait_xcnt 0x0
	v_and_b32_e32 v5, 0xffff, v6
	s_delay_alu instid0(VALU_DEP_2) | instskip(SKIP_3) | instid1(VALU_DEP_3)
	v_cndmask_b32_e64 v9, 0xffff, v34, s9
	v_lshlrev_b32_e32 v6, 16, v6
	s_wait_loadcnt 0x2
	v_cmp_lt_i16_e64 s10, -1, v7
	v_xor_b32_e32 v5, v9, v5
	s_delay_alu instid0(VALU_DEP_3) | instskip(SKIP_1) | instid1(VALU_DEP_4)
	v_cmp_o_f32_e64 s9, v6, v6
	v_and_b32_e32 v6, 0xffff, v7
	v_cndmask_b32_e64 v9, 0xffff, v34, s10
	v_lshlrev_b32_e32 v7, 16, v7
	s_delay_alu instid0(VALU_DEP_4)
	v_cndmask_b32_e64 v5, 0xffff, v5, s9
	s_wait_loadcnt 0x1
	v_cmp_lt_i16_e64 s10, -1, v8
	v_xor_b32_e32 v6, v9, v6
	v_cmp_o_f32_e64 s9, v7, v7
	v_and_b32_e32 v7, 0xffff, v8
	v_dual_lshlrev_b32 v8, 16, v8 :: v_dual_bitop2_b32 v10, v5, v35 bitop3:0x40
	v_cndmask_b32_e64 v9, 0xffff, v34, s10
	v_bfe_u32 v5, v5, s48, 2
	v_cndmask_b32_e64 v6, 0xffff, v6, s9
	s_delay_alu instid0(VALU_DEP_4)
	v_cmp_o_f32_e64 s9, v8, v8
	v_cmp_eq_u32_e64 s10, v10, v31
	s_wait_loadcnt 0x0
	v_dual_lshlrev_b32 v8, 16, v4 :: v_dual_bitop2_b32 v7, v9, v7 bitop3:0x14
	v_cmp_eq_u32_e64 s11, 0, v5
	v_cmp_eq_u32_e64 s12, 1, v5
	v_cmp_lt_i16_e64 s15, -1, v4
	v_cmp_eq_u32_e64 s13, 2, v5
	v_cndmask_b32_e64 v7, 0xffff, v7, s9
	s_and_b32 s9, s10, s11
	v_cmp_eq_u32_e64 s14, 3, v5
	v_cndmask_b32_e64 v10, 0, 1, s9
	s_and_b32 s9, s10, s12
	v_and_b32_e32 v5, 0xffff, v4
	v_cndmask_b32_e64 v4, 0xffff, v34, s15
	v_and_b32_e32 v9, v6, v35
	v_bfe_u32 v6, v6, s48, 2
	v_cndmask_b32_e64 v11, 0, 1, s9
	s_and_b32 s9, s10, s13
	v_xor_b32_e32 v4, v4, v5
	v_cndmask_b32_e64 v26, 0, 1, s9
	s_and_b32 s9, s10, s14
	v_cmp_eq_u32_e64 s10, v9, v31
	v_cndmask_b32_e64 v27, 0, 1, s9
	v_cmp_o_f32_e64 s9, v8, v8
	v_cmp_eq_u32_e64 s11, 0, v6
	v_cmp_eq_u32_e64 s12, 1, v6
	;; [unrolled: 1-line block ×4, first 2 shown]
	v_cndmask_b32_e64 v4, 0xffff, v4, s9
	s_and_b32 s9, s10, s11
	v_and_b32_e32 v5, v7, v35
	v_bfe_u32 v6, v7, s48, 2
	v_cndmask_b32_e64 v7, 0, 1, s9
	s_and_b32 s9, s10, s12
	v_cmp_ne_u32_e64 s15, 0, v10
	v_cndmask_b32_e64 v8, 0, 1, s9
	s_and_b32 s9, s10, s13
	v_cmp_eq_u32_e64 s11, 1, v6
	v_cndmask_b32_e64 v9, 0, 1, s9
	s_and_b32 s9, s10, s14
	v_cmp_eq_u32_e64 s10, 0, v6
	v_cndmask_b32_e64 v10, 0, 1, s9
	v_cmp_eq_u32_e64 s9, v5, v31
	v_cmp_eq_u32_e64 s12, 2, v6
	;; [unrolled: 1-line block ×3, first 2 shown]
	v_cmp_ne_u32_e64 s16, 0, v11
	v_and_b32_e32 v5, v4, v35
	s_and_b32 s10, s9, s10
	v_bfe_u32 v4, v4, s48, 2
	v_cndmask_b32_e64 v6, 0, 1, s10
	s_and_b32 s10, s9, s11
	v_cmp_ne_u32_e64 s14, 0, v7
	v_cndmask_b32_e64 v7, 0, 1, s10
	s_and_b32 s10, s9, s12
	s_and_b32 s9, s9, s13
	s_bcnt1_i32_b32 s28, s15
	s_bcnt1_i32_b32 s62, s16
	v_cmp_ne_u32_e64 s15, 0, v8
	v_cmp_ne_u32_e64 s16, 0, v9
	v_cndmask_b32_e64 v8, 0, 1, s10
	v_cndmask_b32_e64 v9, 0, 1, s9
	v_cmp_eq_u32_e64 s9, v5, v31
	v_cmp_eq_u32_e64 s10, 0, v4
	;; [unrolled: 1-line block ×3, first 2 shown]
	v_cmp_ne_u32_e64 s17, 0, v26
	v_cmp_eq_u32_e64 s12, 2, v4
	v_cmp_eq_u32_e64 s13, 3, v4
	s_bcnt1_i32_b32 s14, s14
	s_and_b32 s10, s9, s10
	s_bcnt1_i32_b32 s15, s15
	s_add_co_i32 s28, s14, s28
	v_cmp_ne_u32_e64 s14, 0, v6
	v_cndmask_b32_e64 v4, 0, 1, s10
	s_and_b32 s10, s9, s11
	s_bcnt1_i32_b32 s63, s17
	s_bcnt1_i32_b32 s16, s16
	s_add_co_i32 s62, s15, s62
	v_cmp_ne_u32_e64 s15, 0, v7
	v_cndmask_b32_e64 v5, 0, 1, s10
	s_and_b32 s10, s9, s12
	s_and_b32 s9, s9, s13
	v_cmp_ne_u32_e64 s18, 0, v27
	v_cmp_ne_u32_e64 s17, 0, v10
	s_add_co_i32 s63, s16, s63
	v_cmp_ne_u32_e64 s16, 0, v8
	v_cndmask_b32_e64 v7, 0, 1, s9
	s_bcnt1_i32_b32 s9, s14
	v_cndmask_b32_e64 v6, 0, 1, s10
	s_bcnt1_i32_b32 s10, s15
	s_add_co_i32 s14, s28, s9
	v_cmp_ne_u32_e64 s9, 0, v4
	s_bcnt1_i32_b32 s18, s18
	s_bcnt1_i32_b32 s17, s17
	;; [unrolled: 1-line block ×3, first 2 shown]
	s_add_co_i32 s15, s62, s10
	v_cmp_ne_u32_e64 s10, 0, v5
	s_add_co_i32 s18, s17, s18
	v_cmp_ne_u32_e64 s17, 0, v9
	;; [unrolled: 2-line block ×3, first 2 shown]
	s_bcnt1_i32_b32 s9, s9
	v_cmp_ne_u32_e64 s12, 0, v7
	s_bcnt1_i32_b32 s10, s10
	s_add_co_i32 s28, s14, s9
	s_bcnt1_i32_b32 s13, s17
	s_bcnt1_i32_b32 s11, s11
	s_add_nc_u64 s[92:93], s[92:93], s[28:29]
	s_add_co_i32 s28, s15, s10
	s_add_co_i32 s13, s18, s13
	s_bcnt1_i32_b32 s12, s12
	s_add_nc_u64 s[90:91], s[90:91], s[28:29]
	s_add_co_i32 s28, s16, s11
	v_mov_b64_e32 v[4:5], s[92:93]
	s_add_nc_u64 s[26:27], s[26:27], s[28:29]
	s_add_co_i32 s28, s13, s12
	v_mov_b64_e32 v[6:7], s[90:91]
	s_add_nc_u64 s[24:25], s[24:25], s[28:29]
	v_mov_b64_e32 v[8:9], s[26:27]
	v_mov_b64_e32 v[10:11], s[24:25]
	s_or_b32 s64, vcc_lo, s64
	s_delay_alu instid0(SALU_CYCLE_1)
	s_and_not1_b32 exec_lo, exec_lo, s64
	s_cbranch_execnz .LBB222_65
; %bb.66:                               ;   in Loop: Header=BB222_18 Depth=1
	s_or_b32 exec_lo, exec_lo, s64
.LBB222_67:                             ;   in Loop: Header=BB222_18 Depth=1
	s_delay_alu instid0(SALU_CYCLE_1) | instskip(SKIP_3) | instid1(VALU_DEP_2)
	s_or_b32 exec_lo, exec_lo, s19
	v_add_nc_u64_e32 v[24:25], s[22:23], v[0:1]
	v_and_b32_e32 v2, 0xffff, v2
	s_mov_b32 s12, exec_lo
	v_cmpx_gt_u64_e64 s[36:37], v[24:25]
	s_cbranch_execz .LBB222_73
; %bb.68:                               ;   in Loop: Header=BB222_18 Depth=1
	v_mul_u64_e32 v[26:27], s[30:31], v[24:25]
	s_mov_b32 s13, 0
	s_delay_alu instid0(VALU_DEP_1)
	v_lshl_add_u64 v[26:27], v[26:27], 1, s[34:35]
	global_load_u16 v27, v[26:27], off
	s_branch .LBB222_70
.LBB222_69:                             ;   in Loop: Header=BB222_70 Depth=2
	s_wait_xcnt 0x0
	s_or_b32 exec_lo, exec_lo, s10
	s_wait_loadcnt 0x0
	v_cmp_lt_i16_e64 s9, -1, v27
	v_and_b32_e32 v37, 0xffff, v27
	s_and_b32 s11, exec_lo, vcc_lo
	s_delay_alu instid0(SALU_CYCLE_1) | instskip(SKIP_1) | instid1(VALU_DEP_1)
	s_or_b32 s13, s11, s13
	v_cndmask_b32_e64 v38, 0xffff, v34, s9
	v_dual_lshlrev_b32 v27, 16, v27 :: v_dual_bitop2_b32 v37, v38, v37 bitop3:0x14
	s_delay_alu instid0(VALU_DEP_1) | instskip(NEXT) | instid1(VALU_DEP_1)
	v_cmp_o_f32_e64 s9, v27, v27
	v_cndmask_b32_e64 v27, 0xffff, v37, s9
	s_delay_alu instid0(VALU_DEP_1) | instskip(SKIP_1) | instid1(VALU_DEP_2)
	v_and_b32_e32 v37, v27, v35
	v_bfe_u32 v27, v27, s48, 2
	v_cmp_eq_u32_e64 s9, v37, v31
	s_delay_alu instid0(VALU_DEP_2)
	v_cmp_eq_u32_e64 s10, 0, v27
	v_cmp_eq_u32_e32 vcc_lo, 1, v27
	s_and_b32 s10, s9, s10
	s_and_b32 s11, s9, vcc_lo
	v_cndmask_b32_e64 v37, 0, 1, s10
	v_cmp_eq_u32_e64 s10, 2, v27
	v_cmp_eq_u32_e32 vcc_lo, 3, v27
	v_cndmask_b32_e64 v38, 0, 1, s11
	s_delay_alu instid0(VALU_DEP_4)
	v_cmp_ne_u32_e64 s11, 0, v37
	s_and_b32 s10, s9, s10
	s_and_b32 s9, s9, vcc_lo
	v_cndmask_b32_e64 v27, 0, 1, s10
	v_cndmask_b32_e64 v37, 0, 1, s9
	v_cmp_ne_u32_e64 s10, 0, v38
	s_bcnt1_i32_b32 s28, s11
	v_cmp_ne_u32_e32 vcc_lo, 0, v27
	v_cmp_ne_u32_e64 s9, 0, v37
	v_add_nc_u64_e32 v[4:5], s[28:29], v[4:5]
	s_bcnt1_i32_b32 s28, s10
	v_mov_b32_e32 v27, v26
	v_add_nc_u64_e32 v[6:7], s[28:29], v[6:7]
	s_bcnt1_i32_b32 s28, vcc_lo
	s_delay_alu instid0(SALU_CYCLE_1) | instskip(SKIP_1) | instid1(SALU_CYCLE_1)
	v_add_nc_u64_e32 v[8:9], s[28:29], v[8:9]
	s_bcnt1_i32_b32 s28, s9
	v_add_nc_u64_e32 v[10:11], s[28:29], v[10:11]
	s_and_not1_b32 exec_lo, exec_lo, s13
	s_cbranch_execz .LBB222_72
.LBB222_70:                             ;   Parent Loop BB222_18 Depth=1
                                        ; =>  This Inner Loop Header: Depth=2
	v_add_nc_u64_e32 v[24:25], v[24:25], v[2:3]
	s_wait_xcnt 0x0
	v_mov_b32_e32 v26, 0
	s_mov_b32 s10, exec_lo
	s_delay_alu instid0(VALU_DEP_2)
	v_cmp_le_u64_e32 vcc_lo, s[36:37], v[24:25]
	v_cmpx_gt_u64_e64 s[36:37], v[24:25]
	s_cbranch_execz .LBB222_69
; %bb.71:                               ;   in Loop: Header=BB222_70 Depth=2
	v_mul_u64_e32 v[38:39], s[30:31], v[24:25]
	s_delay_alu instid0(VALU_DEP_1)
	v_lshl_add_u64 v[38:39], v[38:39], 1, s[34:35]
	global_load_u16 v26, v[38:39], off
	s_branch .LBB222_69
.LBB222_72:                             ;   in Loop: Header=BB222_18 Depth=1
	s_or_b32 exec_lo, exec_lo, s13
.LBB222_73:                             ;   in Loop: Header=BB222_18 Depth=1
	s_delay_alu instid0(SALU_CYCLE_1)
	s_or_b32 exec_lo, exec_lo, s12
	s_branch .LBB222_52
.LBB222_74:                             ;   in Loop: Header=BB222_18 Depth=1
	global_load_u16 v2, v3, s[86:87]
	s_mov_b32 s91, s29
	v_mov_b64_e32 v[6:7], 0
	v_mov_b64_e32 v[8:9], 0
	;; [unrolled: 1-line block ×3, first 2 shown]
	s_mov_b32 s65, exec_lo
	s_wait_loadcnt 0x0
	v_readfirstlane_b32 s9, v2
	v_and_b32_e32 v2, 0xffff, v2
	s_and_b32 s64, 0xffff, s9
	s_delay_alu instid0(SALU_CYCLE_1) | instskip(NEXT) | instid1(SALU_CYCLE_1)
	s_lshl_b32 s92, s64, 2
	s_cvt_f32_u32 s9, s92
	s_sub_co_i32 s10, 0, s92
	s_delay_alu instid0(SALU_CYCLE_2) | instskip(SKIP_1) | instid1(TRANS32_DEP_1)
	v_rcp_iflag_f32_e32 v4, s9
	v_nop
	v_readfirstlane_b32 s9, v4
	s_mul_f32 s9, s9, 0x4f7ffffe
	s_delay_alu instid0(SALU_CYCLE_3) | instskip(NEXT) | instid1(SALU_CYCLE_3)
	s_cvt_u32_f32 s9, s9
	s_mul_i32 s10, s10, s9
	s_delay_alu instid0(SALU_CYCLE_1) | instskip(NEXT) | instid1(SALU_CYCLE_1)
	s_mul_hi_u32 s10, s9, s10
	s_add_co_i32 s9, s9, s10
	s_delay_alu instid0(SALU_CYCLE_1) | instskip(NEXT) | instid1(SALU_CYCLE_1)
	s_mul_hi_u32 s9, s88, s9
	s_mul_i32 s10, s9, s92
	s_add_co_i32 s11, s9, 1
	s_sub_co_i32 s10, s88, s10
	s_delay_alu instid0(SALU_CYCLE_1)
	s_sub_co_i32 s12, s10, s92
	s_cmp_ge_u32 s10, s92
	s_cselect_b32 s9, s11, s9
	s_cselect_b32 s10, s12, s10
	s_add_co_i32 s11, s9, 1
	s_cmp_ge_u32 s10, s92
	s_cselect_b32 s90, s11, s9
	s_delay_alu instid0(SALU_CYCLE_1) | instskip(NEXT) | instid1(VALU_DEP_1)
	v_mul_u64_e32 v[4:5], s[90:91], v[2:3]
	v_lshlrev_b64_e32 v[24:25], 2, v[4:5]
	v_mov_b64_e32 v[4:5], 0
	s_delay_alu instid0(VALU_DEP_2)
	v_cmpx_gt_u64_e64 v[24:25], v[16:17]
	s_cbranch_execz .LBB222_78
; %bb.75:                               ;   in Loop: Header=BB222_18 Depth=1
	v_mov_b64_e32 v[26:27], v[16:17]
	v_mov_b32_e32 v37, v32
	s_mov_b32 s93, s29
	s_lshl_b32 s91, s64, 3
	s_mov_b64 s[94:95], 0
	s_mov_b32 s62, 0
	s_mov_b64 s[96:97], 0
	s_mov_b64 s[98:99], 0
	s_mov_b64 s[100:101], 0
.LBB222_76:                             ;   Parent Loop BB222_18 Depth=1
                                        ; =>  This Inner Loop Header: Depth=2
	ds_load_b64 v[4:5], v37
	v_add_nc_u32_e32 v37, s91, v37
	v_add_nc_u64_e32 v[26:27], s[92:93], v[26:27]
	s_delay_alu instid0(VALU_DEP_1)
	v_cmp_ge_u64_e32 vcc_lo, v[26:27], v[24:25]
	s_wait_dscnt 0x0
	v_cmp_lt_i16_e64 s9, -1, v4
	v_dual_lshrrev_b32 v6, 16, v4 :: v_dual_lshrrev_b32 v7, 16, v5
	v_lshlrev_b32_e32 v8, 16, v4
	v_and_b32_e32 v9, 0xffff0000, v4
	s_delay_alu instid0(VALU_DEP_4) | instskip(SKIP_3) | instid1(VALU_DEP_4)
	v_cndmask_b32_e64 v38, 0xffff, v34, s9
	v_cmp_lt_i16_e64 s9, -1, v5
	v_and_b32_e32 v11, 0xffff0000, v5
	v_cmp_o_f32_e64 s10, v8, v8
	v_bitop3_b32 v4, v38, v4, 0xffff bitop3:0x78
	s_delay_alu instid0(VALU_DEP_4) | instskip(SKIP_1) | instid1(VALU_DEP_3)
	v_cndmask_b32_e64 v39, 0xffff, v34, s9
	v_cmp_lt_i16_e64 s9, -1, v6
	v_cndmask_b32_e64 v4, 0xffff, v4, s10
	v_cmp_o_f32_e64 s10, v11, v11
	s_delay_alu instid0(VALU_DEP_3)
	v_cndmask_b32_e64 v40, 0xffff, v34, s9
	v_lshlrev_b32_e32 v10, 16, v5
	v_cmp_lt_i16_e64 s9, -1, v7
	v_bitop3_b32 v5, v39, v5, 0xffff bitop3:0x78
	v_and_b32_e32 v8, v4, v35
	v_xor_b32_e32 v6, v40, v6
	v_bfe_u32 v4, v4, s48, 2
	v_cndmask_b32_e64 v38, 0xffff, v34, s9
	v_cmp_o_f32_e64 s9, v10, v10
	s_delay_alu instid0(VALU_DEP_3) | instskip(NEXT) | instid1(VALU_DEP_3)
	v_cmp_eq_u32_e64 s11, 0, v4
	v_xor_b32_e32 v7, v38, v7
	s_delay_alu instid0(VALU_DEP_3)
	v_cndmask_b32_e64 v5, 0xffff, v5, s9
	v_cmp_o_f32_e64 s9, v9, v9
	v_cmp_eq_u32_e64 s13, 1, v4
	v_cmp_eq_u32_e64 s15, 2, v4
	v_cndmask_b32_e64 v7, 0xffff, v7, s10
	v_and_b32_e32 v9, v5, v35
	v_bfe_u32 v5, v5, s48, 2
	v_cndmask_b32_e64 v6, 0xffff, v6, s9
	v_cmp_eq_u32_e64 s9, v8, v31
	v_cmp_eq_u32_e64 s17, 3, v4
	;; [unrolled: 1-line block ×4, first 2 shown]
	v_and_b32_e32 v8, v6, v35
	v_bfe_u32 v6, v6, s48, 2
	s_and_b32 s11, s9, s11
	v_cmp_eq_u32_e64 s14, 1, v5
	v_and_b32_e32 v9, v7, v35
	v_bfe_u32 v7, v7, s48, 2
	v_cndmask_b32_e64 v4, 0, 1, s11
	s_and_b32 s11, s10, s12
	v_cmp_eq_u32_e64 s16, 2, v5
	v_cmp_eq_u32_e64 s18, 3, v5
	v_cndmask_b32_e64 v5, 0, 1, s11
	s_and_b32 s11, s9, s13
	v_cmp_eq_u32_e64 s19, v8, v31
	v_cmp_eq_u32_e64 s21, 0, v6
	;; [unrolled: 1-line block ×5, first 2 shown]
	v_cndmask_b32_e64 v6, 0, 1, s11
	s_and_b32 s11, s10, s14
	v_cmp_eq_u32_e64 s20, v9, v31
	v_cmp_eq_u32_e64 s22, 0, v7
	;; [unrolled: 1-line block ×5, first 2 shown]
	v_cndmask_b32_e64 v7, 0, 1, s11
	s_and_b32 s11, s9, s15
	s_and_b32 s9, s9, s17
	v_cndmask_b32_e64 v8, 0, 1, s11
	s_and_b32 s11, s10, s16
	v_cndmask_b32_e64 v10, 0, 1, s9
	s_and_b32 s9, s10, s18
	s_and_b32 s10, s19, s21
	v_cndmask_b32_e64 v9, 0, 1, s11
	v_cndmask_b32_e64 v11, 0, 1, s9
	v_cmp_ne_u32_e64 s9, 0, v4
	v_cndmask_b32_e64 v4, 0, 1, s10
	s_and_b32 s11, s20, s22
	s_and_b32 s12, s19, s23
	v_cmp_ne_u32_e64 s10, 0, v5
	v_cndmask_b32_e64 v5, 0, 1, s11
	v_cmp_ne_u32_e64 s11, 0, v6
	v_cndmask_b32_e64 v6, 0, 1, s12
	s_and_b32 s13, s20, s24
	s_and_b32 s14, s19, s25
	;; [unrolled: 1-line block ×5, first 2 shown]
	v_cmp_ne_u32_e64 s12, 0, v7
	v_cndmask_b32_e64 v7, 0, 1, s13
	v_cmp_ne_u32_e64 s13, 0, v8
	v_cndmask_b32_e64 v8, 0, 1, s14
	;; [unrolled: 2-line block ×5, first 2 shown]
	s_bcnt1_i32_b32 s17, s9
	v_cmp_ne_u32_e64 s9, 0, v4
	s_bcnt1_i32_b32 s19, s11
	v_cmp_ne_u32_e64 s11, 0, v6
	;; [unrolled: 2-line block ×4, first 2 shown]
	s_bcnt1_i32_b32 s9, s9
	s_bcnt1_i32_b32 s20, s12
	v_cmp_ne_u32_e64 s12, 0, v7
	s_bcnt1_i32_b32 s23, s15
	v_cmp_ne_u32_e64 s15, 0, v10
	s_bcnt1_i32_b32 s11, s11
	s_add_co_i32 s9, s9, s17
	s_bcnt1_i32_b32 s22, s14
	v_cmp_ne_u32_e64 s14, 0, v9
	s_bcnt1_i32_b32 s10, s10
	s_bcnt1_i32_b32 s13, s13
	s_add_co_i32 s11, s11, s19
	s_add_co_i32 s9, s9, s18
	s_bcnt1_i32_b32 s24, s16
	v_cmp_ne_u32_e64 s16, 0, v11
	s_bcnt1_i32_b32 s12, s12
	s_bcnt1_i32_b32 s15, s15
	s_add_co_i32 s13, s13, s21
	s_add_co_i32 s11, s11, s20
	;; [unrolled: 1-line block ×3, first 2 shown]
	s_bcnt1_i32_b32 s14, s14
	s_add_co_i32 s15, s15, s23
	s_add_co_i32 s13, s13, s22
	s_add_nc_u64 s[100:101], s[100:101], s[28:29]
	s_add_co_i32 s28, s11, s12
	s_bcnt1_i32_b32 s16, s16
	s_add_co_i32 s15, s15, s24
	s_add_nc_u64 s[98:99], s[98:99], s[28:29]
	s_add_co_i32 s28, s13, s14
	v_mov_b64_e32 v[4:5], s[100:101]
	s_add_nc_u64 s[96:97], s[96:97], s[28:29]
	s_add_co_i32 s28, s15, s16
	v_mov_b64_e32 v[6:7], s[98:99]
	s_add_nc_u64 s[94:95], s[94:95], s[28:29]
	v_mov_b64_e32 v[8:9], s[96:97]
	v_mov_b64_e32 v[10:11], s[94:95]
	s_or_b32 s62, vcc_lo, s62
	s_delay_alu instid0(SALU_CYCLE_1)
	s_and_not1_b32 exec_lo, exec_lo, s62
	s_cbranch_execnz .LBB222_76
; %bb.77:                               ;   in Loop: Header=BB222_18 Depth=1
	s_or_b32 exec_lo, exec_lo, s62
.LBB222_78:                             ;   in Loop: Header=BB222_18 Depth=1
	s_delay_alu instid0(SALU_CYCLE_1) | instskip(SKIP_3) | instid1(VALU_DEP_1)
	s_or_b32 exec_lo, exec_lo, s65
	v_add_nc_u64_e32 v[24:25], v[24:25], v[0:1]
	s_and_b64 s[14:15], s[88:89], 0x7fffffff
	s_mov_b32 s16, exec_lo
	v_cmpx_gt_u64_e64 s[14:15], v[24:25]
	s_cbranch_execz .LBB222_82
; %bb.79:                               ;   in Loop: Header=BB222_18 Depth=1
	s_mul_i32 s9, s90, s64
	s_lshl_b32 s18, s64, 1
	v_lshl_add_u32 v26, s9, 3, v28
	s_mov_b32 s17, 0
.LBB222_80:                             ;   Parent Loop BB222_18 Depth=1
                                        ; =>  This Inner Loop Header: Depth=2
	ds_load_u16 v27, v26
	v_add_nc_u64_e32 v[24:25], v[24:25], v[2:3]
	v_add_nc_u32_e32 v26, s18, v26
	s_delay_alu instid0(VALU_DEP_2) | instskip(SKIP_3) | instid1(VALU_DEP_2)
	v_cmp_le_u64_e32 vcc_lo, s[14:15], v[24:25]
	s_wait_dscnt 0x0
	v_cmp_lt_i16_e64 s9, -1, v27
	v_and_b32_e32 v37, 0xffff, v27
	v_cndmask_b32_e64 v38, 0xffff, v34, s9
	s_delay_alu instid0(VALU_DEP_1) | instskip(NEXT) | instid1(VALU_DEP_1)
	v_dual_lshlrev_b32 v27, 16, v27 :: v_dual_bitop2_b32 v37, v38, v37 bitop3:0x14
	v_cmp_o_f32_e64 s9, v27, v27
	s_delay_alu instid0(VALU_DEP_1) | instskip(NEXT) | instid1(VALU_DEP_1)
	v_cndmask_b32_e64 v27, 0xffff, v37, s9
	v_and_b32_e32 v37, v27, v35
	v_bfe_u32 v27, v27, s48, 2
	s_delay_alu instid0(VALU_DEP_2) | instskip(NEXT) | instid1(VALU_DEP_2)
	v_cmp_eq_u32_e64 s9, v37, v31
	v_cmp_eq_u32_e64 s10, 0, v27
	;; [unrolled: 1-line block ×5, first 2 shown]
	s_and_b32 s10, s9, s10
	s_delay_alu instid0(SALU_CYCLE_1) | instskip(SKIP_1) | instid1(SALU_CYCLE_1)
	v_cndmask_b32_e64 v27, 0, 1, s10
	s_and_b32 s10, s9, s11
	v_cndmask_b32_e64 v37, 0, 1, s10
	s_and_b32 s10, s9, s12
	s_and_b32 s9, s9, s13
	v_cndmask_b32_e64 v38, 0, 1, s10
	v_cndmask_b32_e64 v39, 0, 1, s9
	v_cmp_ne_u32_e64 s9, 0, v27
	v_cmp_ne_u32_e64 s10, 0, v37
	s_delay_alu instid0(VALU_DEP_4) | instskip(NEXT) | instid1(VALU_DEP_4)
	v_cmp_ne_u32_e64 s11, 0, v38
	v_cmp_ne_u32_e64 s12, 0, v39
	s_bcnt1_i32_b32 s28, s9
	s_delay_alu instid0(SALU_CYCLE_1) | instskip(SKIP_1) | instid1(SALU_CYCLE_1)
	v_add_nc_u64_e32 v[4:5], s[28:29], v[4:5]
	s_bcnt1_i32_b32 s28, s10
	v_add_nc_u64_e32 v[6:7], s[28:29], v[6:7]
	s_bcnt1_i32_b32 s28, s11
	s_delay_alu instid0(SALU_CYCLE_1)
	v_add_nc_u64_e32 v[8:9], s[28:29], v[8:9]
	s_bcnt1_i32_b32 s28, s12
	s_or_b32 s17, vcc_lo, s17
	v_add_nc_u64_e32 v[10:11], s[28:29], v[10:11]
	s_and_not1_b32 exec_lo, exec_lo, s17
	s_cbranch_execnz .LBB222_80
; %bb.81:                               ;   in Loop: Header=BB222_18 Depth=1
	s_or_b32 exec_lo, exec_lo, s17
.LBB222_82:                             ;   in Loop: Header=BB222_18 Depth=1
	s_delay_alu instid0(SALU_CYCLE_1)
	s_or_b32 exec_lo, exec_lo, s16
	s_lshl_b32 s9, s51, 7
	s_and_saveexec_b32 s10, s2
	s_cbranch_execnz .LBB222_53
	s_branch .LBB222_54
.LBB222_83:                             ;   in Loop: Header=BB222_18 Depth=1
                                        ; implicit-def: $sgpr10_sgpr11
	s_branch .LBB222_62
.LBB222_84:                             ;   in Loop: Header=BB222_18 Depth=1
	s_mov_b32 s11, 0
	s_and_not1_b32 vcc_lo, exec_lo, s70
	s_cbranch_vccnz .LBB222_87
.LBB222_85:                             ;   in Loop: Header=BB222_18 Depth=1
	s_lshl_b32 s12, s51, 10
	s_lshl_b32 s11, s11, 5
	s_delay_alu instid0(SALU_CYCLE_1)
	v_add3_u32 v2, s12, s11, v33
	v_readlane_b32 s11, v46, 23
.LBB222_86:                             ;   Parent Loop BB222_18 Depth=1
                                        ; =>  This Inner Loop Header: Depth=2
	ds_load_b64 v[6:7], v2
	v_add_nc_u32_e32 v2, 32, v2
	s_add_co_i32 s11, s11, -1
	s_delay_alu instid0(SALU_CYCLE_1)
	s_cmp_lg_u32 s11, 0
	s_wait_dscnt 0x0
	v_add_nc_u64_e32 v[4:5], v[6:7], v[4:5]
	s_cbranch_scc1 .LBB222_86
.LBB222_87:                             ;   in Loop: Header=BB222_18 Depth=1
	v_add_lshl_u32 v2, s9, v13, 3
	ds_store_b64 v2, v[4:5] offset:3072
.LBB222_88:                             ;   in Loop: Header=BB222_18 Depth=1
	s_or_b32 exec_lo, exec_lo, s10
	s_lshl_b32 s9, s9, 3
	s_wait_dscnt 0x0
	v_mov_b32_e32 v2, s9
	s_barrier_signal -1
	s_barrier_wait -1
	v_cmp_eq_u64_e64 s9, 1, v[22:23]
	ds_load_b128 v[4:7], v2 offset:3072
	ds_load_b128 v[8:11], v2 offset:3088
	s_lshl_b32 s24, 3, s48
	s_mov_b32 s91, -1
	s_not_b32 s25, s24
	s_mov_b32 s26, 0
	s_and_not1_b32 vcc_lo, exec_lo, s103
	s_mov_b32 s88, 0
	s_mov_b32 s27, 0
                                        ; implicit-def: $sgpr89
                                        ; implicit-def: $sgpr90
                                        ; implicit-def: $vgpr2
	s_wait_dscnt 0x1
	v_readfirstlane_b32 s13, v5
	v_readfirstlane_b32 s12, v4
	;; [unrolled: 1-line block ×4, first 2 shown]
	s_wait_dscnt 0x0
	v_readfirstlane_b32 s17, v9
	v_readfirstlane_b32 s16, v8
	;; [unrolled: 1-line block ×4, first 2 shown]
                                        ; implicit-def: $vgpr4_vgpr5
                                        ; implicit-def: $vgpr8
                                        ; implicit-def: $vgpr9
                                        ; implicit-def: $vgpr10
	s_cbranch_vccnz .LBB222_283
; %bb.89:                               ;   in Loop: Header=BB222_18 Depth=1
	s_cmp_eq_u64 s[12:13], 1
	v_dual_mov_b32 v8, v31 :: v_dual_mov_b32 v9, v35
	v_mov_b32_e32 v10, v36
	s_cselect_b32 s10, -1, 0
                                        ; implicit-def: $sgpr90
                                        ; implicit-def: $sgpr89
	s_delay_alu instid0(SALU_CYCLE_1)
	s_and_b32 s93, s10, s9
	s_mov_b32 s10, -1
	s_and_saveexec_b32 s27, s93
	s_cbranch_execz .LBB222_124
; %bb.90:                               ;   in Loop: Header=BB222_18 Depth=1
	ds_load_b64 v[4:5], v3 offset:5120
	s_wait_dscnt 0x0
	s_barrier_signal -1
	s_barrier_wait -1
	v_readfirstlane_b32 s10, v4
	v_readfirstlane_b32 s11, v5
	s_and_saveexec_b32 s20, s6
; %bb.91:                               ;   in Loop: Header=BB222_18 Depth=1
	ds_store_b16 v29, v3
; %bb.92:                               ;   in Loop: Header=BB222_18 Depth=1
	s_or_b32 exec_lo, exec_lo, s20
	v_and_b32_e32 v8, s25, v31
	v_or_b32_e32 v9, s24, v35
	s_mov_b32 s89, -1
	s_mov_b32 s90, 0
	s_cmp_eq_u64 s[10:11], 0
	s_mov_b32 s22, 0
	s_mov_b32 s23, -1
	s_wait_dscnt 0x0
	s_barrier_signal -1
	s_barrier_wait -1
                                        ; implicit-def: $vgpr10
	s_cbranch_scc1 .LBB222_109
; %bb.93:                               ;   in Loop: Header=BB222_18 Depth=1
	s_add_nc_u64 s[20:21], s[10:11], s[74:75]
	s_delay_alu instid0(SALU_CYCLE_1) | instskip(NEXT) | instid1(SALU_CYCLE_1)
	s_and_b64 s[22:23], s[20:21], 0xffffffff00000000
	s_cmp_lg_u64 s[22:23], 0
	s_cbranch_scc0 .LBB222_150
; %bb.94:                               ;   in Loop: Header=BB222_18 Depth=1
	s_cvt_f32_u32 s3, s56
	s_sub_nc_u64 s[62:63], 0, s[56:57]
	s_delay_alu instid0(SALU_CYCLE_2) | instskip(NEXT) | instid1(SALU_CYCLE_3)
	s_fmamk_f32 s3, s72, 0x0, s3
	v_s_rcp_f32 s3, s3
	s_delay_alu instid0(TRANS32_DEP_1) | instskip(NEXT) | instid1(SALU_CYCLE_3)
	s_mul_f32 s3, s3, 0x5f7ffffc
	s_mul_f32 s22, s3, 0x2f800000
	s_delay_alu instid0(SALU_CYCLE_3) | instskip(NEXT) | instid1(SALU_CYCLE_3)
	s_trunc_f32 s22, s22
	s_fmamk_f32 s3, s22, 0xcf800000, s3
	s_cvt_u32_f32 s23, s22
	s_delay_alu instid0(SALU_CYCLE_2) | instskip(NEXT) | instid1(SALU_CYCLE_3)
	s_cvt_u32_f32 s22, s3
	s_mul_u64 s[64:65], s[62:63], s[22:23]
	s_delay_alu instid0(SALU_CYCLE_1)
	s_mul_hi_u32 s67, s22, s65
	s_mul_i32 s66, s22, s65
	s_mul_hi_u32 s28, s22, s64
	s_mul_i32 s40, s23, s64
	s_add_nc_u64 s[66:67], s[28:29], s[66:67]
	s_mul_hi_u32 s3, s23, s64
	s_mul_hi_u32 s41, s23, s65
	s_add_co_u32 s28, s66, s40
	s_add_co_ci_u32 s28, s67, s3
	s_mul_i32 s64, s23, s65
	s_add_co_ci_u32 s65, s41, 0
	s_delay_alu instid0(SALU_CYCLE_1) | instskip(NEXT) | instid1(SALU_CYCLE_1)
	s_add_nc_u64 s[64:65], s[28:29], s[64:65]
	s_add_co_u32 s22, s22, s64
	s_cselect_b32 s3, -1, 0
	s_delay_alu instid0(SALU_CYCLE_1) | instskip(SKIP_1) | instid1(SALU_CYCLE_1)
	s_cmp_lg_u32 s3, 0
	s_add_co_ci_u32 s23, s23, s65
	s_mul_u64 s[62:63], s[62:63], s[22:23]
	s_delay_alu instid0(SALU_CYCLE_1)
	s_mul_hi_u32 s65, s22, s63
	s_mul_i32 s64, s22, s63
	s_mul_hi_u32 s28, s22, s62
	s_mul_i32 s40, s23, s62
	s_add_nc_u64 s[64:65], s[28:29], s[64:65]
	s_mul_hi_u32 s3, s23, s62
	s_mul_hi_u32 s41, s23, s63
	s_add_co_u32 s28, s64, s40
	s_add_co_ci_u32 s28, s65, s3
	s_mul_i32 s62, s23, s63
	s_add_co_ci_u32 s63, s41, 0
	s_delay_alu instid0(SALU_CYCLE_1) | instskip(NEXT) | instid1(SALU_CYCLE_1)
	s_add_nc_u64 s[62:63], s[28:29], s[62:63]
	s_add_co_u32 s3, s22, s62
	s_cselect_b32 s22, -1, 0
	s_mul_hi_u32 s28, s20, s3
	s_cmp_lg_u32 s22, 0
	s_mul_hi_u32 s40, s21, s3
	s_add_co_ci_u32 s41, s23, s63
	s_mul_i32 s3, s21, s3
	s_mul_hi_u32 s23, s20, s41
	s_mul_i32 s22, s20, s41
	s_mul_hi_u32 s42, s21, s41
	s_add_nc_u64 s[22:23], s[28:29], s[22:23]
	s_mul_i32 s62, s21, s41
	s_add_co_u32 s3, s22, s3
	s_add_co_ci_u32 s28, s23, s40
	s_add_co_ci_u32 s63, s42, 0
	s_delay_alu instid0(SALU_CYCLE_1) | instskip(NEXT) | instid1(SALU_CYCLE_1)
	s_add_nc_u64 s[22:23], s[28:29], s[62:63]
	s_and_b64 s[62:63], s[22:23], 0xffffffff00000000
	s_delay_alu instid0(SALU_CYCLE_1) | instskip(NEXT) | instid1(SALU_CYCLE_1)
	s_or_b32 s62, s62, s22
	s_mul_u64 s[22:23], s[56:57], s[62:63]
	s_delay_alu instid0(SALU_CYCLE_1) | instskip(SKIP_1) | instid1(SALU_CYCLE_1)
	s_sub_co_u32 s3, s20, s22
	s_cselect_b32 s22, -1, 0
	s_cmp_lg_u32 s22, 0
	s_sub_co_ci_u32 s22, s21, s23
	s_sub_co_u32 s23, s3, s56
	s_cselect_b32 s28, -1, 0
	s_delay_alu instid0(SALU_CYCLE_1) | instskip(SKIP_3) | instid1(SALU_CYCLE_1)
	s_cmp_lg_u32 s28, 0
	s_sub_co_ci_u32 s28, s22, 0
	s_sub_co_u32 s40, s23, s56
	s_cselect_b32 s41, -1, 0
	s_cmp_lg_u32 s41, 0
	s_sub_co_ci_u32 s41, s28, 0
	s_cmp_ge_u32 s23, s56
	s_cselect_b32 s42, -1, 0
	s_cmp_eq_u32 s28, 0
	s_cselect_b32 s42, s42, -1
	s_delay_alu instid0(SALU_CYCLE_1)
	s_cmp_lg_u32 s42, 0
	s_cselect_b32 s28, s41, s28
	s_cselect_b32 s40, s40, s23
	s_cmp_ge_u32 s3, s56
	s_cselect_b32 s23, -1, 0
	s_cmp_eq_u32 s22, 0
	s_cselect_b32 s23, s23, -1
	s_delay_alu instid0(SALU_CYCLE_1)
	s_cmp_lg_u32 s23, 0
	s_cselect_b32 s23, s28, s22
	s_cselect_b32 s22, s40, s3
	s_cbranch_execnz .LBB222_96
.LBB222_95:                             ;   in Loop: Header=BB222_18 Depth=1
	v_cvt_f32_u32_e32 v2, s56
	s_sub_co_i32 s22, 0, s56
	s_delay_alu instid0(VALU_DEP_1) | instskip(SKIP_1) | instid1(TRANS32_DEP_1)
	v_rcp_iflag_f32_e32 v2, v2
	v_nop
	v_mul_f32_e32 v2, 0x4f7ffffe, v2
	s_delay_alu instid0(VALU_DEP_1) | instskip(NEXT) | instid1(VALU_DEP_1)
	v_cvt_u32_f32_e32 v2, v2
	v_readfirstlane_b32 s3, v2
	s_mul_i32 s22, s22, s3
	s_delay_alu instid0(SALU_CYCLE_1) | instskip(NEXT) | instid1(SALU_CYCLE_1)
	s_mul_hi_u32 s22, s3, s22
	s_add_co_i32 s3, s3, s22
	s_delay_alu instid0(SALU_CYCLE_1) | instskip(NEXT) | instid1(SALU_CYCLE_1)
	s_mul_hi_u32 s3, s20, s3
	s_mul_i32 s3, s3, s56
	s_delay_alu instid0(SALU_CYCLE_1) | instskip(NEXT) | instid1(SALU_CYCLE_1)
	s_sub_co_i32 s3, s20, s3
	s_sub_co_i32 s22, s3, s56
	s_cmp_ge_u32 s3, s56
	s_cselect_b32 s3, s22, s3
	s_delay_alu instid0(SALU_CYCLE_1) | instskip(SKIP_2) | instid1(SALU_CYCLE_1)
	s_sub_co_i32 s22, s3, s56
	s_cmp_ge_u32 s3, s56
	s_cselect_b32 s28, s22, s3
	s_mov_b64 s[22:23], s[28:29]
.LBB222_96:                             ;   in Loop: Header=BB222_18 Depth=1
	s_delay_alu instid0(SALU_CYCLE_1)
	s_sub_nc_u64 s[20:21], s[20:21], s[22:23]
	s_mov_b32 s23, 0
	s_mov_b32 s22, 0
	s_mov_b32 s28, exec_lo
                                        ; implicit-def: $vgpr10
	v_cmpx_gt_u64_e64 s[20:21], v[0:1]
	s_cbranch_execz .LBB222_108
; %bb.97:                               ;   in Loop: Header=BB222_18 Depth=1
	v_mov_b64_e32 v[4:5], v[0:1]
	v_mov_b32_e32 v2, v28
                                        ; implicit-def: $sgpr62
	s_branch .LBB222_100
.LBB222_98:                             ;   in Loop: Header=BB222_100 Depth=2
	s_or_b32 exec_lo, exec_lo, s63
	s_wait_dscnt 0x0
	s_barrier_signal -1
	s_barrier_wait -1
	ds_load_b32 v6, v3 offset:3072
	s_mov_b32 s63, -1
	s_mov_b32 s64, -1
	s_wait_dscnt 0x0
	s_barrier_signal -1
	s_barrier_wait -1
	v_and_b32_e32 v7, 0x7fff, v6
	s_delay_alu instid0(VALU_DEP_1)
	v_cmp_ne_u32_e32 vcc_lo, 0, v7
	s_cbranch_vccz .LBB222_103
.LBB222_99:                             ;   in Loop: Header=BB222_100 Depth=2
	s_and_b32 s3, exec_lo, s63
	s_delay_alu instid0(SALU_CYCLE_1) | instskip(SKIP_2) | instid1(SALU_CYCLE_1)
	s_or_b32 s22, s3, s22
	s_and_not1_b32 s3, s62, exec_lo
	s_and_b32 s40, s64, exec_lo
	s_or_b32 s62, s3, s40
	s_and_not1_b32 exec_lo, exec_lo, s22
	s_cbranch_execz .LBB222_107
.LBB222_100:                            ;   Parent Loop BB222_18 Depth=1
                                        ; =>  This Inner Loop Header: Depth=2
	s_mov_b32 s63, exec_lo
	s_delay_alu instid0(VALU_DEP_2)
	v_cmpx_gt_u64_e64 s[10:11], v[4:5]
	s_cbranch_execz .LBB222_98
; %bb.101:                              ;   in Loop: Header=BB222_100 Depth=2
	ds_load_u16 v6, v2
	s_wait_dscnt 0x0
	v_cmp_lt_i16_e32 vcc_lo, -1, v6
	v_and_b32_e32 v7, 0xffff, v6
	v_cndmask_b32_e32 v10, 0xffff, v34, vcc_lo
	s_delay_alu instid0(VALU_DEP_1) | instskip(NEXT) | instid1(VALU_DEP_1)
	v_dual_lshlrev_b32 v11, 16, v6 :: v_dual_bitop2_b32 v7, v10, v7 bitop3:0x14
	v_cmp_o_f32_e32 vcc_lo, v11, v11
	s_delay_alu instid0(VALU_DEP_2) | instskip(NEXT) | instid1(VALU_DEP_1)
	v_cndmask_b32_e32 v7, 0xffff, v7, vcc_lo
	v_and_b32_e32 v7, v7, v9
	s_delay_alu instid0(VALU_DEP_1)
	v_cmp_eq_u32_e32 vcc_lo, v7, v8
	s_and_b32 exec_lo, exec_lo, vcc_lo
	s_cbranch_execz .LBB222_98
; %bb.102:                              ;   in Loop: Header=BB222_100 Depth=2
	v_perm_b32 v6, v6, s73, 0x5040100
	ds_store_b32 v3, v6 offset:3072
	s_branch .LBB222_98
.LBB222_103:                            ;   in Loop: Header=BB222_100 Depth=2
	v_add_nc_u64_e32 v[4:5], s[56:57], v[4:5]
	v_add_nc_u32_e32 v2, s71, v2
	s_mov_b32 s64, 0
	s_delay_alu instid0(VALU_DEP_2)
	v_cmp_le_u64_e32 vcc_lo, s[20:21], v[4:5]
	s_or_not1_b32 s63, vcc_lo, exec_lo
	s_branch .LBB222_99
.LBB222_104:                            ;   in Loop: Header=BB222_18 Depth=1
	s_or_b32 exec_lo, exec_lo, s12
	s_wait_dscnt 0x0
	s_barrier_signal -1
	s_barrier_wait -1
	s_and_saveexec_b32 s9, s5
	s_cbranch_execz .LBB222_106
; %bb.105:                              ;   in Loop: Header=BB222_18 Depth=1
	ds_load_b32 v4, v3 offset:5144
	s_wait_dscnt 0x0
	v_ashrrev_i32_e32 v5, 31, v4
	ds_store_b64 v3, v[4:5] offset:5120
.LBB222_106:                            ;   in Loop: Header=BB222_18 Depth=1
	s_or_b32 exec_lo, exec_lo, s9
	s_wait_dscnt 0x0
	s_barrier_signal -1
	s_mov_b32 s9, -1
	s_barrier_wait -1
	s_and_b32 vcc_lo, exec_lo, s11
	s_cbranch_vccnz .LBB222_33
	s_branch .LBB222_48
.LBB222_107:                            ;   in Loop: Header=BB222_18 Depth=1
	s_or_b32 exec_lo, exec_lo, s22
	v_lshrrev_b32_e32 v10, 16, v6
	s_and_b32 s22, s62, exec_lo
.LBB222_108:                            ;   in Loop: Header=BB222_18 Depth=1
	s_or_b32 exec_lo, exec_lo, s28
.LBB222_109:                            ;   in Loop: Header=BB222_18 Depth=1
	s_delay_alu instid0(SALU_CYCLE_1)
	s_and_b32 vcc_lo, exec_lo, s23
	s_cbranch_vccz .LBB222_123
; %bb.110:                              ;   in Loop: Header=BB222_18 Depth=1
	s_and_b64 s[10:11], s[76:77], 0xffffffff00000000
	s_delay_alu instid0(SALU_CYCLE_1)
	s_cmp_lg_u64 s[10:11], 0
	s_cbranch_scc0 .LBB222_151
; %bb.111:                              ;   in Loop: Header=BB222_18 Depth=1
	s_cvt_f32_u32 s3, s56
	s_sub_nc_u64 s[20:21], 0, s[56:57]
	s_delay_alu instid0(SALU_CYCLE_2) | instskip(NEXT) | instid1(SALU_CYCLE_3)
	s_fmamk_f32 s3, s72, 0x0, s3
	v_s_rcp_f32 s3, s3
	s_delay_alu instid0(TRANS32_DEP_1) | instskip(NEXT) | instid1(SALU_CYCLE_3)
	s_mul_f32 s3, s3, 0x5f7ffffc
	s_mul_f32 s10, s3, 0x2f800000
	s_delay_alu instid0(SALU_CYCLE_3) | instskip(NEXT) | instid1(SALU_CYCLE_3)
	s_trunc_f32 s10, s10
	s_fmamk_f32 s3, s10, 0xcf800000, s3
	s_cvt_u32_f32 s11, s10
	s_delay_alu instid0(SALU_CYCLE_2) | instskip(NEXT) | instid1(SALU_CYCLE_3)
	s_cvt_u32_f32 s10, s3
	s_mul_u64 s[62:63], s[20:21], s[10:11]
	s_delay_alu instid0(SALU_CYCLE_1)
	s_mul_hi_u32 s65, s10, s63
	s_mul_i32 s64, s10, s63
	s_mul_hi_u32 s28, s10, s62
	s_mul_i32 s23, s11, s62
	s_add_nc_u64 s[64:65], s[28:29], s[64:65]
	s_mul_hi_u32 s3, s11, s62
	s_mul_hi_u32 s40, s11, s63
	s_add_co_u32 s23, s64, s23
	s_add_co_ci_u32 s28, s65, s3
	s_mul_i32 s62, s11, s63
	s_add_co_ci_u32 s63, s40, 0
	s_delay_alu instid0(SALU_CYCLE_1) | instskip(NEXT) | instid1(SALU_CYCLE_1)
	s_add_nc_u64 s[62:63], s[28:29], s[62:63]
	s_add_co_u32 s10, s10, s62
	s_cselect_b32 s3, -1, 0
	s_delay_alu instid0(SALU_CYCLE_1) | instskip(SKIP_1) | instid1(SALU_CYCLE_1)
	s_cmp_lg_u32 s3, 0
	s_add_co_ci_u32 s11, s11, s63
	s_mul_u64 s[20:21], s[20:21], s[10:11]
	s_delay_alu instid0(SALU_CYCLE_1)
	s_mul_hi_u32 s63, s10, s21
	s_mul_i32 s62, s10, s21
	s_mul_hi_u32 s28, s10, s20
	s_mul_i32 s23, s11, s20
	s_add_nc_u64 s[62:63], s[28:29], s[62:63]
	s_mul_hi_u32 s3, s11, s20
	s_mul_hi_u32 s40, s11, s21
	s_mul_i32 s20, s11, s21
	s_add_co_u32 s21, s62, s23
	s_add_co_ci_u32 s28, s63, s3
	s_add_co_ci_u32 s21, s40, 0
	s_delay_alu instid0(SALU_CYCLE_1) | instskip(NEXT) | instid1(SALU_CYCLE_1)
	s_add_nc_u64 s[20:21], s[28:29], s[20:21]
	s_add_co_u32 s3, s10, s20
	s_cselect_b32 s10, -1, 0
	s_mul_hi_u32 s28, s76, s3
	s_cmp_lg_u32 s10, 0
	s_mul_hi_u32 s23, s77, s3
	s_add_co_ci_u32 s20, s11, s21
	s_mul_i32 s3, s77, s3
	s_mul_hi_u32 s11, s76, s20
	s_mul_i32 s10, s76, s20
	s_mul_hi_u32 s21, s77, s20
	s_add_nc_u64 s[10:11], s[28:29], s[10:11]
	s_mul_i32 s20, s77, s20
	s_add_co_u32 s3, s10, s3
	s_add_co_ci_u32 s28, s11, s23
	s_add_co_ci_u32 s21, s21, 0
	s_delay_alu instid0(SALU_CYCLE_1) | instskip(NEXT) | instid1(SALU_CYCLE_1)
	s_add_nc_u64 s[10:11], s[28:29], s[20:21]
	s_and_b64 s[20:21], s[10:11], 0xffffffff00000000
	s_delay_alu instid0(SALU_CYCLE_1) | instskip(NEXT) | instid1(SALU_CYCLE_1)
	s_or_b32 s20, s20, s10
	s_mul_u64 s[10:11], s[56:57], s[20:21]
	s_delay_alu instid0(SALU_CYCLE_1) | instskip(SKIP_1) | instid1(SALU_CYCLE_1)
	s_sub_co_u32 s3, s76, s10
	s_cselect_b32 s10, -1, 0
	s_cmp_lg_u32 s10, 0
	s_sub_co_ci_u32 s10, s77, s11
	s_sub_co_u32 s11, s3, s56
	s_cselect_b32 s20, -1, 0
	s_delay_alu instid0(SALU_CYCLE_1) | instskip(SKIP_3) | instid1(SALU_CYCLE_1)
	s_cmp_lg_u32 s20, 0
	s_sub_co_ci_u32 s20, s10, 0
	s_sub_co_u32 s21, s11, s56
	s_cselect_b32 s23, -1, 0
	s_cmp_lg_u32 s23, 0
	s_sub_co_ci_u32 s23, s20, 0
	s_cmp_ge_u32 s11, s56
	s_cselect_b32 s28, -1, 0
	s_cmp_eq_u32 s20, 0
	s_cselect_b32 s28, s28, -1
	s_delay_alu instid0(SALU_CYCLE_1)
	s_cmp_lg_u32 s28, 0
	s_cselect_b32 s20, s23, s20
	s_cselect_b32 s21, s21, s11
	s_cmp_ge_u32 s3, s56
	s_cselect_b32 s11, -1, 0
	s_cmp_eq_u32 s10, 0
	s_cselect_b32 s11, s11, -1
	s_delay_alu instid0(SALU_CYCLE_1)
	s_cmp_lg_u32 s11, 0
	s_cselect_b32 s11, s20, s10
	s_cselect_b32 s10, s21, s3
	s_cbranch_execnz .LBB222_113
.LBB222_112:                            ;   in Loop: Header=BB222_18 Depth=1
	v_cvt_f32_u32_e32 v2, s56
	s_sub_co_i32 s10, 0, s56
	s_delay_alu instid0(VALU_DEP_1) | instskip(SKIP_1) | instid1(TRANS32_DEP_1)
	v_rcp_iflag_f32_e32 v2, v2
	v_nop
	v_mul_f32_e32 v2, 0x4f7ffffe, v2
	s_delay_alu instid0(VALU_DEP_1) | instskip(NEXT) | instid1(VALU_DEP_1)
	v_cvt_u32_f32_e32 v2, v2
	v_readfirstlane_b32 s3, v2
	s_mul_i32 s10, s10, s3
	s_delay_alu instid0(SALU_CYCLE_1) | instskip(NEXT) | instid1(SALU_CYCLE_1)
	s_mul_hi_u32 s10, s3, s10
	s_add_co_i32 s3, s3, s10
	s_delay_alu instid0(SALU_CYCLE_1) | instskip(NEXT) | instid1(SALU_CYCLE_1)
	s_mul_hi_u32 s3, s76, s3
	s_mul_i32 s3, s3, s56
	s_delay_alu instid0(SALU_CYCLE_1) | instskip(NEXT) | instid1(SALU_CYCLE_1)
	s_sub_co_i32 s3, s76, s3
	s_sub_co_i32 s10, s3, s56
	s_cmp_ge_u32 s3, s56
	s_cselect_b32 s3, s10, s3
	s_delay_alu instid0(SALU_CYCLE_1) | instskip(SKIP_2) | instid1(SALU_CYCLE_1)
	s_sub_co_i32 s10, s3, s56
	s_cmp_ge_u32 s3, s56
	s_cselect_b32 s28, s10, s3
	s_mov_b64 s[10:11], s[28:29]
.LBB222_113:                            ;   in Loop: Header=BB222_18 Depth=1
	s_delay_alu instid0(SALU_CYCLE_1)
	s_sub_nc_u64 s[10:11], s[76:77], s[10:11]
	s_mov_b32 s20, exec_lo
                                        ; implicit-def: $vgpr10
	v_cmpx_gt_u64_e64 s[10:11], v[0:1]
	s_cbranch_execz .LBB222_122
; %bb.114:                              ;   in Loop: Header=BB222_18 Depth=1
	v_mov_b64_e32 v[4:5], v[0:1]
	s_mov_b32 s21, 0
                                        ; implicit-def: $sgpr23
	s_branch .LBB222_117
.LBB222_115:                            ;   in Loop: Header=BB222_117 Depth=2
	s_or_b32 exec_lo, exec_lo, s28
	s_wait_dscnt 0x0
	s_barrier_signal -1
	s_barrier_wait -1
	ds_load_b32 v2, v3 offset:3072
	s_mov_b32 s62, -1
	s_mov_b32 s28, -1
	s_wait_dscnt 0x0
	s_barrier_signal -1
	s_barrier_wait -1
	v_and_b32_e32 v6, 0x7fff, v2
	s_delay_alu instid0(VALU_DEP_1)
	v_cmp_ne_u32_e32 vcc_lo, 0, v6
	s_cbranch_vccz .LBB222_120
.LBB222_116:                            ;   in Loop: Header=BB222_117 Depth=2
	s_and_b32 s3, exec_lo, s62
	s_delay_alu instid0(SALU_CYCLE_1) | instskip(SKIP_2) | instid1(SALU_CYCLE_1)
	s_or_b32 s21, s3, s21
	s_and_not1_b32 s3, s23, exec_lo
	s_and_b32 s23, s28, exec_lo
	s_or_b32 s23, s3, s23
	s_and_not1_b32 exec_lo, exec_lo, s21
	s_cbranch_execz .LBB222_121
.LBB222_117:                            ;   Parent Loop BB222_18 Depth=1
                                        ; =>  This Inner Loop Header: Depth=2
	s_mov_b32 s28, exec_lo
	s_delay_alu instid0(VALU_DEP_1)
	v_cmpx_gt_u64_e64 s[36:37], v[4:5]
	s_cbranch_execz .LBB222_115
; %bb.118:                              ;   in Loop: Header=BB222_117 Depth=2
	v_mul_u64_e32 v[6:7], s[30:31], v[4:5]
	s_delay_alu instid0(VALU_DEP_1)
	v_lshl_add_u64 v[6:7], v[6:7], 1, s[34:35]
	global_load_u16 v2, v[6:7], off
	s_wait_loadcnt 0x0
	v_cmp_lt_i16_e32 vcc_lo, -1, v2
	v_and_b32_e32 v6, 0xffff, v2
	v_lshlrev_b32_e32 v10, 16, v2
	v_cndmask_b32_e32 v7, 0xffff, v34, vcc_lo
	s_delay_alu instid0(VALU_DEP_2) | instskip(NEXT) | instid1(VALU_DEP_2)
	v_cmp_o_f32_e32 vcc_lo, v10, v10
	v_xor_b32_e32 v6, v7, v6
	s_delay_alu instid0(VALU_DEP_1) | instskip(NEXT) | instid1(VALU_DEP_1)
	v_cndmask_b32_e32 v6, 0xffff, v6, vcc_lo
	v_and_b32_e32 v6, v6, v9
	s_delay_alu instid0(VALU_DEP_1)
	v_cmp_eq_u32_e32 vcc_lo, v6, v8
	s_and_b32 exec_lo, exec_lo, vcc_lo
	s_cbranch_execz .LBB222_115
; %bb.119:                              ;   in Loop: Header=BB222_117 Depth=2
	v_perm_b32 v2, v2, s73, 0x5040100
	ds_store_b32 v3, v2 offset:3072
	s_branch .LBB222_115
.LBB222_120:                            ;   in Loop: Header=BB222_117 Depth=2
	v_add_nc_u64_e32 v[4:5], s[56:57], v[4:5]
	s_mov_b32 s28, 0
	s_delay_alu instid0(VALU_DEP_1)
	v_cmp_le_u64_e32 vcc_lo, s[10:11], v[4:5]
	s_or_not1_b32 s62, vcc_lo, exec_lo
	s_branch .LBB222_116
.LBB222_121:                            ;   in Loop: Header=BB222_18 Depth=1
	s_or_b32 exec_lo, exec_lo, s21
	v_lshrrev_b32_e32 v10, 16, v2
	s_and_not1_b32 s3, s22, exec_lo
	s_and_b32 s10, s23, exec_lo
	s_delay_alu instid0(SALU_CYCLE_1)
	s_or_b32 s22, s3, s10
.LBB222_122:                            ;   in Loop: Header=BB222_18 Depth=1
	s_or_b32 exec_lo, exec_lo, s20
	s_mov_b32 s89, 0
	s_mov_b32 s90, -1
.LBB222_123:                            ;   in Loop: Header=BB222_18 Depth=1
	s_or_not1_b32 s10, s22, exec_lo
.LBB222_124:                            ;   in Loop: Header=BB222_18 Depth=1
	s_or_b32 exec_lo, exec_lo, s27
	s_mov_b32 s91, 0
	s_mov_b32 s88, 0
	;; [unrolled: 1-line block ×3, first 2 shown]
                                        ; implicit-def: $vgpr4_vgpr5
                                        ; implicit-def: $vgpr2
	s_and_saveexec_b32 s92, s10
	s_cbranch_execz .LBB222_282
; %bb.125:                              ;   in Loop: Header=BB222_18 Depth=1
	v_mov_b64_e32 v[4:5], 1
	v_mov_b32_e32 v2, 1
	s_xor_b32 s3, s93, -1
	s_mov_b32 s11, 0
	s_and_saveexec_b32 s10, s3
	s_cbranch_execz .LBB222_134
; %bb.126:                              ;   in Loop: Header=BB222_18 Depth=1
	s_mov_b32 s3, exec_lo
	v_cmpx_ge_u64_e64 s[12:13], v[22:23]
	s_xor_b32 s11, exec_lo, s3
	s_cbranch_execz .LBB222_131
; %bb.127:                              ;   in Loop: Header=BB222_18 Depth=1
	ds_load_b64 v[4:5], v3 offset:5120
	v_and_b32_e32 v8, s25, v8
	v_or_b32_e32 v9, s24, v9
	s_wait_dscnt 0x0
	v_cmp_ne_u64_e32 vcc_lo, 0, v[4:5]
	s_cbranch_vccnz .LBB222_131
; %bb.128:                              ;   in Loop: Header=BB222_18 Depth=1
	s_and_saveexec_b32 s20, s5
; %bb.129:                              ;   in Loop: Header=BB222_18 Depth=1
	v_mov_b64_e32 v[4:5], s[12:13]
	ds_store_b64 v3, v[4:5] offset:5128
; %bb.130:                              ;   in Loop: Header=BB222_18 Depth=1
	s_or_b32 exec_lo, exec_lo, s20
	s_wait_dscnt 0x0
	s_barrier_signal -1
	s_barrier_wait -1
.LBB222_131:                            ;   in Loop: Header=BB222_18 Depth=1
	s_or_saveexec_b32 s11, s11
	v_mov_b64_e32 v[4:5], v[22:23]
	v_mov_b32_e32 v2, 8
	s_mov_b32 s20, 0
	s_xor_b32 exec_lo, exec_lo, s11
; %bb.132:                              ;   in Loop: Header=BB222_18 Depth=1
	v_sub_nc_u64_e64 v[4:5], v[22:23], s[12:13]
	v_mov_b32_e32 v2, 0
	s_mov_b32 s20, exec_lo
; %bb.133:                              ;   in Loop: Header=BB222_18 Depth=1
	s_or_b32 exec_lo, exec_lo, s11
	s_delay_alu instid0(SALU_CYCLE_1)
	s_and_b32 s11, s20, exec_lo
.LBB222_134:                            ;   in Loop: Header=BB222_18 Depth=1
	s_or_b32 exec_lo, exec_lo, s10
	s_mov_b32 s10, -1
                                        ; implicit-def: $sgpr88
                                        ; implicit-def: $sgpr93
	s_and_saveexec_b32 s3, s11
	s_delay_alu instid0(SALU_CYCLE_1)
	s_xor_b32 s27, exec_lo, s3
	s_cbranch_execz .LBB222_279
; %bb.135:                              ;   in Loop: Header=BB222_18 Depth=1
	v_cmp_eq_u64_e32 vcc_lo, 1, v[4:5]
	s_cmp_eq_u64 s[14:15], 1
                                        ; implicit-def: $sgpr93
                                        ; implicit-def: $sgpr88
	s_cselect_b32 s10, -1, 0
	s_delay_alu instid0(SALU_CYCLE_1)
	s_and_b32 s95, s10, vcc_lo
	s_mov_b32 s10, -1
	s_and_saveexec_b32 s94, s95
	s_cbranch_execz .LBB222_169
; %bb.136:                              ;   in Loop: Header=BB222_18 Depth=1
	ds_load_b64 v[6:7], v3 offset:5120
	s_wait_dscnt 0x0
	s_barrier_signal -1
	s_barrier_wait -1
	v_readfirstlane_b32 s10, v6
	v_readfirstlane_b32 s11, v7
	s_and_saveexec_b32 s20, s6
; %bb.137:                              ;   in Loop: Header=BB222_18 Depth=1
	ds_store_b16 v29, v3
; %bb.138:                              ;   in Loop: Header=BB222_18 Depth=1
	s_or_b32 exec_lo, exec_lo, s20
	s_lshl_b32 s20, 1, s48
	v_or_b32_e32 v9, s24, v9
	v_and_or_b32 v8, v8, s25, s20
	s_mov_b32 s88, -1
	s_mov_b32 s93, 0
	s_cmp_eq_u64 s[10:11], 0
	s_mov_b32 s22, 0
	s_mov_b32 s23, -1
	s_wait_dscnt 0x0
	s_barrier_signal -1
	s_barrier_wait -1
                                        ; implicit-def: $vgpr10
	s_cbranch_scc1 .LBB222_154
; %bb.139:                              ;   in Loop: Header=BB222_18 Depth=1
	s_add_nc_u64 s[20:21], s[10:11], s[74:75]
	s_delay_alu instid0(SALU_CYCLE_1) | instskip(NEXT) | instid1(SALU_CYCLE_1)
	s_and_b64 s[22:23], s[20:21], 0xffffffff00000000
	s_cmp_lg_u64 s[22:23], 0
	s_cbranch_scc0 .LBB222_195
; %bb.140:                              ;   in Loop: Header=BB222_18 Depth=1
	s_cvt_f32_u32 s22, s56
	s_sub_nc_u64 s[62:63], 0, s[56:57]
	s_delay_alu instid0(SALU_CYCLE_2) | instskip(NEXT) | instid1(SALU_CYCLE_3)
	s_fmamk_f32 s22, s72, 0x0, s22
	v_s_rcp_f32 s22, s22
	s_delay_alu instid0(TRANS32_DEP_1) | instskip(NEXT) | instid1(SALU_CYCLE_3)
	s_mul_f32 s22, s22, 0x5f7ffffc
	s_mul_f32 s23, s22, 0x2f800000
	s_delay_alu instid0(SALU_CYCLE_3) | instskip(NEXT) | instid1(SALU_CYCLE_3)
	s_trunc_f32 s23, s23
	s_fmamk_f32 s22, s23, 0xcf800000, s22
	s_cvt_u32_f32 s23, s23
	s_delay_alu instid0(SALU_CYCLE_2) | instskip(NEXT) | instid1(SALU_CYCLE_3)
	s_cvt_u32_f32 s22, s22
	s_mul_u64 s[64:65], s[62:63], s[22:23]
	s_delay_alu instid0(SALU_CYCLE_1)
	s_mul_hi_u32 s67, s22, s65
	s_mul_i32 s66, s22, s65
	s_mul_hi_u32 s28, s22, s64
	s_mul_i32 s97, s23, s64
	s_add_nc_u64 s[66:67], s[28:29], s[66:67]
	s_mul_hi_u32 s96, s23, s64
	s_mul_hi_u32 s98, s23, s65
	s_add_co_u32 s28, s66, s97
	s_add_co_ci_u32 s28, s67, s96
	s_mul_i32 s64, s23, s65
	s_add_co_ci_u32 s65, s98, 0
	s_delay_alu instid0(SALU_CYCLE_1) | instskip(NEXT) | instid1(SALU_CYCLE_1)
	s_add_nc_u64 s[64:65], s[28:29], s[64:65]
	s_add_co_u32 s22, s22, s64
	s_cselect_b32 s28, -1, 0
	s_delay_alu instid0(SALU_CYCLE_1) | instskip(SKIP_1) | instid1(SALU_CYCLE_1)
	s_cmp_lg_u32 s28, 0
	s_add_co_ci_u32 s23, s23, s65
	s_mul_u64 s[62:63], s[62:63], s[22:23]
	s_delay_alu instid0(SALU_CYCLE_1)
	s_mul_hi_u32 s65, s22, s63
	s_mul_i32 s64, s22, s63
	s_mul_hi_u32 s28, s22, s62
	s_mul_i32 s67, s23, s62
	s_add_nc_u64 s[64:65], s[28:29], s[64:65]
	s_mul_hi_u32 s66, s23, s62
	s_mul_hi_u32 s96, s23, s63
	s_add_co_u32 s28, s64, s67
	s_add_co_ci_u32 s28, s65, s66
	s_mul_i32 s62, s23, s63
	s_add_co_ci_u32 s63, s96, 0
	s_delay_alu instid0(SALU_CYCLE_1) | instskip(NEXT) | instid1(SALU_CYCLE_1)
	s_add_nc_u64 s[62:63], s[28:29], s[62:63]
	s_add_co_u32 s22, s22, s62
	s_cselect_b32 s62, -1, 0
	s_mul_hi_u32 s28, s20, s22
	s_cmp_lg_u32 s62, 0
	s_mul_hi_u32 s64, s21, s22
	s_add_co_ci_u32 s62, s23, s63
	s_mul_i32 s63, s21, s22
	s_mul_hi_u32 s23, s20, s62
	s_mul_i32 s22, s20, s62
	s_mul_hi_u32 s65, s21, s62
	s_add_nc_u64 s[22:23], s[28:29], s[22:23]
	s_mul_i32 s62, s21, s62
	s_add_co_u32 s22, s22, s63
	s_add_co_ci_u32 s28, s23, s64
	s_add_co_ci_u32 s63, s65, 0
	s_delay_alu instid0(SALU_CYCLE_1) | instskip(NEXT) | instid1(SALU_CYCLE_1)
	s_add_nc_u64 s[22:23], s[28:29], s[62:63]
	s_and_b64 s[62:63], s[22:23], 0xffffffff00000000
	s_delay_alu instid0(SALU_CYCLE_1) | instskip(NEXT) | instid1(SALU_CYCLE_1)
	s_or_b32 s62, s62, s22
	s_mul_u64 s[22:23], s[56:57], s[62:63]
	s_delay_alu instid0(SALU_CYCLE_1) | instskip(SKIP_1) | instid1(SALU_CYCLE_1)
	s_sub_co_u32 s22, s20, s22
	s_cselect_b32 s28, -1, 0
	s_cmp_lg_u32 s28, 0
	s_sub_co_ci_u32 s23, s21, s23
	s_sub_co_u32 s28, s22, s56
	s_cselect_b32 s62, -1, 0
	s_delay_alu instid0(SALU_CYCLE_1) | instskip(SKIP_3) | instid1(SALU_CYCLE_1)
	s_cmp_lg_u32 s62, 0
	s_sub_co_ci_u32 s62, s23, 0
	s_sub_co_u32 s63, s28, s56
	s_cselect_b32 s64, -1, 0
	s_cmp_lg_u32 s64, 0
	s_sub_co_ci_u32 s64, s62, 0
	s_cmp_ge_u32 s28, s56
	s_cselect_b32 s65, -1, 0
	s_cmp_eq_u32 s62, 0
	s_cselect_b32 s65, s65, -1
	s_delay_alu instid0(SALU_CYCLE_1)
	s_cmp_lg_u32 s65, 0
	s_cselect_b32 s62, s64, s62
	s_cselect_b32 s28, s63, s28
	s_cmp_ge_u32 s22, s56
	s_cselect_b32 s63, -1, 0
	s_cmp_eq_u32 s23, 0
	s_cselect_b32 s63, s63, -1
	s_delay_alu instid0(SALU_CYCLE_1)
	s_cmp_lg_u32 s63, 0
	s_cselect_b32 s23, s62, s23
	s_cselect_b32 s22, s28, s22
	s_cbranch_execnz .LBB222_142
.LBB222_141:                            ;   in Loop: Header=BB222_18 Depth=1
	v_cvt_f32_u32_e32 v6, s56
	s_sub_co_i32 s23, 0, s56
	s_delay_alu instid0(VALU_DEP_1) | instskip(SKIP_1) | instid1(TRANS32_DEP_1)
	v_rcp_iflag_f32_e32 v6, v6
	v_nop
	v_mul_f32_e32 v6, 0x4f7ffffe, v6
	s_delay_alu instid0(VALU_DEP_1) | instskip(NEXT) | instid1(VALU_DEP_1)
	v_cvt_u32_f32_e32 v6, v6
	v_readfirstlane_b32 s22, v6
	s_mul_i32 s23, s23, s22
	s_delay_alu instid0(SALU_CYCLE_1) | instskip(NEXT) | instid1(SALU_CYCLE_1)
	s_mul_hi_u32 s23, s22, s23
	s_add_co_i32 s22, s22, s23
	s_delay_alu instid0(SALU_CYCLE_1) | instskip(NEXT) | instid1(SALU_CYCLE_1)
	s_mul_hi_u32 s22, s20, s22
	s_mul_i32 s22, s22, s56
	s_delay_alu instid0(SALU_CYCLE_1) | instskip(NEXT) | instid1(SALU_CYCLE_1)
	s_sub_co_i32 s22, s20, s22
	s_sub_co_i32 s23, s22, s56
	s_cmp_ge_u32 s22, s56
	s_cselect_b32 s22, s23, s22
	s_delay_alu instid0(SALU_CYCLE_1) | instskip(SKIP_2) | instid1(SALU_CYCLE_1)
	s_sub_co_i32 s23, s22, s56
	s_cmp_ge_u32 s22, s56
	s_cselect_b32 s28, s23, s22
	s_mov_b64 s[22:23], s[28:29]
.LBB222_142:                            ;   in Loop: Header=BB222_18 Depth=1
	s_delay_alu instid0(SALU_CYCLE_1)
	s_sub_nc_u64 s[20:21], s[20:21], s[22:23]
	s_mov_b32 s23, 0
	s_mov_b32 s22, 0
	s_mov_b32 s28, exec_lo
                                        ; implicit-def: $vgpr10
	v_cmpx_gt_u64_e64 s[20:21], v[0:1]
	s_cbranch_execz .LBB222_153
; %bb.143:                              ;   in Loop: Header=BB222_18 Depth=1
	v_mov_b64_e32 v[6:7], v[0:1]
	v_mov_b32_e32 v10, v28
                                        ; implicit-def: $sgpr62
	s_branch .LBB222_146
.LBB222_144:                            ;   in Loop: Header=BB222_146 Depth=2
	s_or_b32 exec_lo, exec_lo, s63
	s_wait_dscnt 0x0
	s_barrier_signal -1
	s_barrier_wait -1
	ds_load_b32 v11, v3 offset:3072
	s_mov_b32 s63, -1
	s_mov_b32 s64, -1
	s_wait_dscnt 0x0
	s_barrier_signal -1
	s_barrier_wait -1
	v_and_b32_e32 v24, 0x7fff, v11
	s_delay_alu instid0(VALU_DEP_1)
	v_cmp_ne_u32_e32 vcc_lo, 0, v24
	s_cbranch_vccz .LBB222_149
.LBB222_145:                            ;   in Loop: Header=BB222_146 Depth=2
	s_and_b32 s3, exec_lo, s63
	s_delay_alu instid0(SALU_CYCLE_1) | instskip(SKIP_2) | instid1(SALU_CYCLE_1)
	s_or_b32 s22, s3, s22
	s_and_not1_b32 s3, s62, exec_lo
	s_and_b32 s40, s64, exec_lo
	s_or_b32 s62, s3, s40
	s_and_not1_b32 exec_lo, exec_lo, s22
	s_cbranch_execz .LBB222_152
.LBB222_146:                            ;   Parent Loop BB222_18 Depth=1
                                        ; =>  This Inner Loop Header: Depth=2
	s_mov_b32 s63, exec_lo
	s_delay_alu instid0(VALU_DEP_2)
	v_cmpx_gt_u64_e64 s[10:11], v[6:7]
	s_cbranch_execz .LBB222_144
; %bb.147:                              ;   in Loop: Header=BB222_146 Depth=2
	ds_load_u16 v11, v10
	s_wait_dscnt 0x0
	v_cmp_lt_i16_e32 vcc_lo, -1, v11
	v_and_b32_e32 v24, 0xffff, v11
	v_dual_cndmask_b32 v25, 0xffff, v34 :: v_dual_lshlrev_b32 v26, 16, v11
	s_delay_alu instid0(VALU_DEP_1) | instskip(NEXT) | instid1(VALU_DEP_2)
	v_cmp_o_f32_e32 vcc_lo, v26, v26
	v_xor_b32_e32 v24, v25, v24
	s_delay_alu instid0(VALU_DEP_1) | instskip(NEXT) | instid1(VALU_DEP_1)
	v_cndmask_b32_e32 v24, 0xffff, v24, vcc_lo
	v_and_b32_e32 v24, v24, v9
	s_delay_alu instid0(VALU_DEP_1)
	v_cmp_eq_u32_e32 vcc_lo, v24, v8
	s_and_b32 exec_lo, exec_lo, vcc_lo
	s_cbranch_execz .LBB222_144
; %bb.148:                              ;   in Loop: Header=BB222_146 Depth=2
	v_perm_b32 v11, v11, s73, 0x5040100
	ds_store_b32 v3, v11 offset:3072
	s_branch .LBB222_144
.LBB222_149:                            ;   in Loop: Header=BB222_146 Depth=2
	v_add_nc_u64_e32 v[6:7], s[56:57], v[6:7]
	v_add_nc_u32_e32 v10, s71, v10
	s_mov_b32 s64, 0
	s_delay_alu instid0(VALU_DEP_2)
	v_cmp_le_u64_e32 vcc_lo, s[20:21], v[6:7]
	s_or_not1_b32 s63, vcc_lo, exec_lo
	s_branch .LBB222_145
.LBB222_150:                            ;   in Loop: Header=BB222_18 Depth=1
                                        ; implicit-def: $sgpr22_sgpr23
	s_branch .LBB222_95
.LBB222_151:                            ;   in Loop: Header=BB222_18 Depth=1
                                        ; implicit-def: $sgpr10_sgpr11
	s_branch .LBB222_112
.LBB222_152:                            ;   in Loop: Header=BB222_18 Depth=1
	s_or_b32 exec_lo, exec_lo, s22
	v_lshrrev_b32_e32 v10, 16, v11
	s_and_b32 s22, s62, exec_lo
.LBB222_153:                            ;   in Loop: Header=BB222_18 Depth=1
	s_or_b32 exec_lo, exec_lo, s28
.LBB222_154:                            ;   in Loop: Header=BB222_18 Depth=1
	s_delay_alu instid0(SALU_CYCLE_1)
	s_and_b32 vcc_lo, exec_lo, s23
	s_cbranch_vccz .LBB222_168
; %bb.155:                              ;   in Loop: Header=BB222_18 Depth=1
	s_and_b64 s[10:11], s[76:77], 0xffffffff00000000
	s_delay_alu instid0(SALU_CYCLE_1)
	s_cmp_lg_u64 s[10:11], 0
	s_cbranch_scc0 .LBB222_196
; %bb.156:                              ;   in Loop: Header=BB222_18 Depth=1
	s_cvt_f32_u32 s10, s56
	s_sub_nc_u64 s[20:21], 0, s[56:57]
	s_delay_alu instid0(SALU_CYCLE_2) | instskip(NEXT) | instid1(SALU_CYCLE_3)
	s_fmamk_f32 s10, s72, 0x0, s10
	v_s_rcp_f32 s10, s10
	s_delay_alu instid0(TRANS32_DEP_1) | instskip(NEXT) | instid1(SALU_CYCLE_3)
	s_mul_f32 s10, s10, 0x5f7ffffc
	s_mul_f32 s11, s10, 0x2f800000
	s_delay_alu instid0(SALU_CYCLE_3) | instskip(NEXT) | instid1(SALU_CYCLE_3)
	s_trunc_f32 s11, s11
	s_fmamk_f32 s10, s11, 0xcf800000, s10
	s_cvt_u32_f32 s11, s11
	s_delay_alu instid0(SALU_CYCLE_2) | instskip(NEXT) | instid1(SALU_CYCLE_3)
	s_cvt_u32_f32 s10, s10
	s_mul_u64 s[62:63], s[20:21], s[10:11]
	s_delay_alu instid0(SALU_CYCLE_1)
	s_mul_hi_u32 s65, s10, s63
	s_mul_i32 s64, s10, s63
	s_mul_hi_u32 s28, s10, s62
	s_mul_i32 s66, s11, s62
	s_add_nc_u64 s[64:65], s[28:29], s[64:65]
	s_mul_hi_u32 s23, s11, s62
	s_mul_hi_u32 s67, s11, s63
	s_add_co_u32 s28, s64, s66
	s_add_co_ci_u32 s28, s65, s23
	s_mul_i32 s62, s11, s63
	s_add_co_ci_u32 s63, s67, 0
	s_delay_alu instid0(SALU_CYCLE_1) | instskip(NEXT) | instid1(SALU_CYCLE_1)
	s_add_nc_u64 s[62:63], s[28:29], s[62:63]
	s_add_co_u32 s10, s10, s62
	s_cselect_b32 s23, -1, 0
	s_delay_alu instid0(SALU_CYCLE_1) | instskip(SKIP_1) | instid1(SALU_CYCLE_1)
	s_cmp_lg_u32 s23, 0
	s_add_co_ci_u32 s11, s11, s63
	s_mul_u64 s[20:21], s[20:21], s[10:11]
	s_delay_alu instid0(SALU_CYCLE_1)
	s_mul_hi_u32 s63, s10, s21
	s_mul_i32 s62, s10, s21
	s_mul_hi_u32 s28, s10, s20
	s_mul_i32 s64, s11, s20
	s_add_nc_u64 s[62:63], s[28:29], s[62:63]
	s_mul_hi_u32 s23, s11, s20
	s_mul_hi_u32 s65, s11, s21
	s_mul_i32 s20, s11, s21
	s_add_co_u32 s21, s62, s64
	s_add_co_ci_u32 s28, s63, s23
	s_add_co_ci_u32 s21, s65, 0
	s_delay_alu instid0(SALU_CYCLE_1) | instskip(NEXT) | instid1(SALU_CYCLE_1)
	s_add_nc_u64 s[20:21], s[28:29], s[20:21]
	s_add_co_u32 s10, s10, s20
	s_cselect_b32 s20, -1, 0
	s_mul_hi_u32 s28, s76, s10
	s_cmp_lg_u32 s20, 0
	s_mul_hi_u32 s23, s77, s10
	s_add_co_ci_u32 s20, s11, s21
	s_mul_i32 s21, s77, s10
	s_mul_hi_u32 s11, s76, s20
	s_mul_i32 s10, s76, s20
	s_mul_hi_u32 s62, s77, s20
	s_add_nc_u64 s[10:11], s[28:29], s[10:11]
	s_mul_i32 s20, s77, s20
	s_add_co_u32 s10, s10, s21
	s_add_co_ci_u32 s28, s11, s23
	s_add_co_ci_u32 s21, s62, 0
	s_delay_alu instid0(SALU_CYCLE_1) | instskip(NEXT) | instid1(SALU_CYCLE_1)
	s_add_nc_u64 s[10:11], s[28:29], s[20:21]
	s_and_b64 s[20:21], s[10:11], 0xffffffff00000000
	s_delay_alu instid0(SALU_CYCLE_1) | instskip(NEXT) | instid1(SALU_CYCLE_1)
	s_or_b32 s20, s20, s10
	s_mul_u64 s[10:11], s[56:57], s[20:21]
	s_delay_alu instid0(SALU_CYCLE_1) | instskip(SKIP_1) | instid1(SALU_CYCLE_1)
	s_sub_co_u32 s10, s76, s10
	s_cselect_b32 s20, -1, 0
	s_cmp_lg_u32 s20, 0
	s_sub_co_ci_u32 s11, s77, s11
	s_sub_co_u32 s20, s10, s56
	s_cselect_b32 s21, -1, 0
	s_delay_alu instid0(SALU_CYCLE_1) | instskip(SKIP_3) | instid1(SALU_CYCLE_1)
	s_cmp_lg_u32 s21, 0
	s_sub_co_ci_u32 s21, s11, 0
	s_sub_co_u32 s23, s20, s56
	s_cselect_b32 s28, -1, 0
	s_cmp_lg_u32 s28, 0
	s_sub_co_ci_u32 s28, s21, 0
	s_cmp_ge_u32 s20, s56
	s_cselect_b32 s62, -1, 0
	s_cmp_eq_u32 s21, 0
	s_cselect_b32 s62, s62, -1
	s_delay_alu instid0(SALU_CYCLE_1)
	s_cmp_lg_u32 s62, 0
	s_cselect_b32 s21, s28, s21
	s_cselect_b32 s20, s23, s20
	s_cmp_ge_u32 s10, s56
	s_cselect_b32 s23, -1, 0
	s_cmp_eq_u32 s11, 0
	s_cselect_b32 s23, s23, -1
	s_delay_alu instid0(SALU_CYCLE_1)
	s_cmp_lg_u32 s23, 0
	s_cselect_b32 s11, s21, s11
	s_cselect_b32 s10, s20, s10
	s_cbranch_execnz .LBB222_158
.LBB222_157:                            ;   in Loop: Header=BB222_18 Depth=1
	v_cvt_f32_u32_e32 v6, s56
	s_sub_co_i32 s11, 0, s56
	s_delay_alu instid0(VALU_DEP_1) | instskip(SKIP_1) | instid1(TRANS32_DEP_1)
	v_rcp_iflag_f32_e32 v6, v6
	v_nop
	v_mul_f32_e32 v6, 0x4f7ffffe, v6
	s_delay_alu instid0(VALU_DEP_1) | instskip(NEXT) | instid1(VALU_DEP_1)
	v_cvt_u32_f32_e32 v6, v6
	v_readfirstlane_b32 s10, v6
	s_mul_i32 s11, s11, s10
	s_delay_alu instid0(SALU_CYCLE_1) | instskip(NEXT) | instid1(SALU_CYCLE_1)
	s_mul_hi_u32 s11, s10, s11
	s_add_co_i32 s10, s10, s11
	s_delay_alu instid0(SALU_CYCLE_1) | instskip(NEXT) | instid1(SALU_CYCLE_1)
	s_mul_hi_u32 s10, s76, s10
	s_mul_i32 s10, s10, s56
	s_delay_alu instid0(SALU_CYCLE_1) | instskip(NEXT) | instid1(SALU_CYCLE_1)
	s_sub_co_i32 s10, s76, s10
	s_sub_co_i32 s11, s10, s56
	s_cmp_ge_u32 s10, s56
	s_cselect_b32 s10, s11, s10
	s_delay_alu instid0(SALU_CYCLE_1) | instskip(SKIP_2) | instid1(SALU_CYCLE_1)
	s_sub_co_i32 s11, s10, s56
	s_cmp_ge_u32 s10, s56
	s_cselect_b32 s28, s11, s10
	s_mov_b64 s[10:11], s[28:29]
.LBB222_158:                            ;   in Loop: Header=BB222_18 Depth=1
	s_delay_alu instid0(SALU_CYCLE_1)
	s_sub_nc_u64 s[10:11], s[76:77], s[10:11]
	s_mov_b32 s20, exec_lo
                                        ; implicit-def: $vgpr10
	v_nop
	v_cmpx_gt_u64_e64 s[10:11], v[0:1]
	s_cbranch_execz .LBB222_167
; %bb.159:                              ;   in Loop: Header=BB222_18 Depth=1
	v_mov_b64_e32 v[6:7], v[0:1]
	s_mov_b32 s21, 0
                                        ; implicit-def: $sgpr23
	s_branch .LBB222_162
.LBB222_160:                            ;   in Loop: Header=BB222_162 Depth=2
	s_or_b32 exec_lo, exec_lo, s28
	s_wait_dscnt 0x0
	s_barrier_signal -1
	s_barrier_wait -1
	ds_load_b32 v10, v3 offset:3072
	s_mov_b32 s62, -1
	s_mov_b32 s28, -1
	s_wait_dscnt 0x0
	s_barrier_signal -1
	s_barrier_wait -1
	v_and_b32_e32 v11, 0x7fff, v10
	s_delay_alu instid0(VALU_DEP_1)
	v_cmp_eq_u32_e32 vcc_lo, 0, v11
	s_cbranch_vccnz .LBB222_165
.LBB222_161:                            ;   in Loop: Header=BB222_162 Depth=2
	s_and_b32 s3, exec_lo, s62
	s_delay_alu instid0(SALU_CYCLE_1) | instskip(SKIP_2) | instid1(SALU_CYCLE_1)
	s_or_b32 s21, s3, s21
	s_and_not1_b32 s3, s23, exec_lo
	s_and_b32 s23, s28, exec_lo
	s_or_b32 s23, s3, s23
	s_and_not1_b32 exec_lo, exec_lo, s21
	s_cbranch_execz .LBB222_166
.LBB222_162:                            ;   Parent Loop BB222_18 Depth=1
                                        ; =>  This Inner Loop Header: Depth=2
	s_mov_b32 s28, exec_lo
	s_delay_alu instid0(VALU_DEP_1)
	v_cmpx_gt_u64_e64 s[36:37], v[6:7]
	s_cbranch_execz .LBB222_160
; %bb.163:                              ;   in Loop: Header=BB222_162 Depth=2
	v_mul_u64_e32 v[10:11], s[30:31], v[6:7]
	s_delay_alu instid0(VALU_DEP_1)
	v_lshl_add_u64 v[10:11], v[10:11], 1, s[34:35]
	global_load_u16 v10, v[10:11], off
	s_wait_loadcnt 0x0
	v_cmp_lt_i16_e32 vcc_lo, -1, v10
	v_and_b32_e32 v11, 0xffff, v10
	v_cndmask_b32_e32 v24, 0xffff, v34, vcc_lo
	s_delay_alu instid0(VALU_DEP_1) | instskip(NEXT) | instid1(VALU_DEP_1)
	v_dual_lshlrev_b32 v25, 16, v10 :: v_dual_bitop2_b32 v11, v24, v11 bitop3:0x14
	v_cmp_o_f32_e32 vcc_lo, v25, v25
	s_delay_alu instid0(VALU_DEP_2) | instskip(NEXT) | instid1(VALU_DEP_1)
	v_cndmask_b32_e32 v11, 0xffff, v11, vcc_lo
	v_and_b32_e32 v11, v11, v9
	s_delay_alu instid0(VALU_DEP_1)
	v_cmp_eq_u32_e32 vcc_lo, v11, v8
	s_and_b32 exec_lo, exec_lo, vcc_lo
	s_cbranch_execz .LBB222_160
; %bb.164:                              ;   in Loop: Header=BB222_162 Depth=2
	v_perm_b32 v10, v10, s73, 0x5040100
	ds_store_b32 v3, v10 offset:3072
	s_branch .LBB222_160
.LBB222_165:                            ;   in Loop: Header=BB222_162 Depth=2
	v_add_nc_u64_e32 v[6:7], s[56:57], v[6:7]
	s_mov_b32 s28, 0
	s_delay_alu instid0(VALU_DEP_1)
	v_cmp_le_u64_e32 vcc_lo, s[10:11], v[6:7]
	s_or_not1_b32 s62, vcc_lo, exec_lo
	s_branch .LBB222_161
.LBB222_166:                            ;   in Loop: Header=BB222_18 Depth=1
	s_or_b32 exec_lo, exec_lo, s21
	v_lshrrev_b32_e32 v10, 16, v10
	s_and_not1_b32 s3, s22, exec_lo
	s_and_b32 s10, s23, exec_lo
	s_delay_alu instid0(SALU_CYCLE_1)
	s_or_b32 s22, s3, s10
.LBB222_167:                            ;   in Loop: Header=BB222_18 Depth=1
	s_or_b32 exec_lo, exec_lo, s20
	s_mov_b32 s88, 0
	s_mov_b32 s93, -1
.LBB222_168:                            ;   in Loop: Header=BB222_18 Depth=1
	s_or_not1_b32 s10, s22, exec_lo
.LBB222_169:                            ;   in Loop: Header=BB222_18 Depth=1
	s_or_b32 exec_lo, exec_lo, s94
	s_mov_b32 s11, 0
	s_and_saveexec_b32 s94, s10
	s_cbranch_execz .LBB222_278
; %bb.170:                              ;   in Loop: Header=BB222_18 Depth=1
	v_mov_b64_e32 v[6:7], 1
	v_mov_b32_e32 v2, 1
	s_xor_b32 s20, s95, -1
	s_delay_alu instid0(SALU_CYCLE_1)
	s_and_saveexec_b32 s10, s20
	s_cbranch_execz .LBB222_179
; %bb.171:                              ;   in Loop: Header=BB222_18 Depth=1
	s_mov_b32 s11, exec_lo
	v_cmpx_ge_u64_e64 s[14:15], v[4:5]
	s_xor_b32 s11, exec_lo, s11
	s_cbranch_execz .LBB222_176
; %bb.172:                              ;   in Loop: Header=BB222_18 Depth=1
	ds_load_b64 v[6:7], v3 offset:5120
	s_lshl_b32 s20, 1, s48
	v_or_b32_e32 v9, s24, v9
	v_and_or_b32 v8, v8, s25, s20
	s_wait_dscnt 0x0
	v_cmp_ne_u64_e32 vcc_lo, 0, v[6:7]
	s_cbranch_vccnz .LBB222_176
; %bb.173:                              ;   in Loop: Header=BB222_18 Depth=1
	s_and_saveexec_b32 s20, s5
; %bb.174:                              ;   in Loop: Header=BB222_18 Depth=1
	v_mov_b64_e32 v[6:7], s[14:15]
	ds_store_b64 v3, v[6:7] offset:5128
; %bb.175:                              ;   in Loop: Header=BB222_18 Depth=1
	s_or_b32 exec_lo, exec_lo, s20
	s_wait_dscnt 0x0
	s_barrier_signal -1
	s_barrier_wait -1
.LBB222_176:                            ;   in Loop: Header=BB222_18 Depth=1
	s_or_saveexec_b32 s11, s11
	v_mov_b32_e32 v2, 8
	s_mov_b32 s20, 0
	s_xor_b32 exec_lo, exec_lo, s11
; %bb.177:                              ;   in Loop: Header=BB222_18 Depth=1
	v_sub_nc_u64_e64 v[4:5], v[4:5], s[14:15]
	v_mov_b32_e32 v2, 0
	s_mov_b32 s20, exec_lo
; %bb.178:                              ;   in Loop: Header=BB222_18 Depth=1
	s_or_b32 exec_lo, exec_lo, s11
	s_delay_alu instid0(VALU_DEP_2)
	v_mov_b64_e32 v[6:7], v[4:5]
	s_and_b32 s11, s20, exec_lo
.LBB222_179:                            ;   in Loop: Header=BB222_18 Depth=1
	s_or_b32 exec_lo, exec_lo, s10
	s_mov_b32 s10, -1
                                        ; implicit-def: $sgpr96
                                        ; implicit-def: $sgpr97
	s_and_saveexec_b32 s95, s11
	s_cbranch_execz .LBB222_277
; %bb.180:                              ;   in Loop: Header=BB222_18 Depth=1
	s_delay_alu instid0(VALU_DEP_1) | instskip(SKIP_2) | instid1(SALU_CYCLE_1)
	v_cmp_eq_u64_e32 vcc_lo, 1, v[6:7]
	s_cmp_eq_u64 s[16:17], 1
                                        ; implicit-def: $sgpr97
                                        ; implicit-def: $sgpr96
	s_cselect_b32 s10, -1, 0
	s_and_b32 s99, s10, vcc_lo
	s_mov_b32 s10, -1
	s_and_saveexec_b32 s98, s99
	s_cbranch_execz .LBB222_214
; %bb.181:                              ;   in Loop: Header=BB222_18 Depth=1
	ds_load_b64 v[4:5], v3 offset:5120
	s_wait_dscnt 0x0
	s_barrier_signal -1
	s_barrier_wait -1
	v_readfirstlane_b32 s10, v4
	v_readfirstlane_b32 s11, v5
	s_and_saveexec_b32 s20, s6
; %bb.182:                              ;   in Loop: Header=BB222_18 Depth=1
	ds_store_b16 v29, v3
; %bb.183:                              ;   in Loop: Header=BB222_18 Depth=1
	s_or_b32 exec_lo, exec_lo, s20
	s_lshl_b32 s20, 2, s48
	v_or_b32_e32 v9, s24, v9
	v_and_or_b32 v8, v8, s25, s20
	s_mov_b32 s96, -1
	s_mov_b32 s97, 0
	s_cmp_eq_u64 s[10:11], 0
	s_mov_b32 s22, 0
	s_mov_b32 s23, -1
	s_wait_dscnt 0x0
	s_barrier_signal -1
	s_barrier_wait -1
                                        ; implicit-def: $vgpr10
	s_cbranch_scc1 .LBB222_199
; %bb.184:                              ;   in Loop: Header=BB222_18 Depth=1
	s_add_nc_u64 s[20:21], s[10:11], s[74:75]
	s_delay_alu instid0(SALU_CYCLE_1) | instskip(NEXT) | instid1(SALU_CYCLE_1)
	s_and_b64 s[22:23], s[20:21], 0xffffffff00000000
	s_cmp_lg_u64 s[22:23], 0
	s_cbranch_scc0 .LBB222_231
; %bb.185:                              ;   in Loop: Header=BB222_18 Depth=1
	s_cvt_f32_u32 s22, s56
	s_sub_nc_u64 s[62:63], 0, s[56:57]
	s_delay_alu instid0(SALU_CYCLE_2) | instskip(NEXT) | instid1(SALU_CYCLE_3)
	s_fmamk_f32 s22, s72, 0x0, s22
	v_s_rcp_f32 s22, s22
	s_delay_alu instid0(TRANS32_DEP_1) | instskip(NEXT) | instid1(SALU_CYCLE_3)
	s_mul_f32 s22, s22, 0x5f7ffffc
	s_mul_f32 s23, s22, 0x2f800000
	s_delay_alu instid0(SALU_CYCLE_3) | instskip(NEXT) | instid1(SALU_CYCLE_3)
	s_trunc_f32 s23, s23
	s_fmamk_f32 s22, s23, 0xcf800000, s22
	s_cvt_u32_f32 s23, s23
	s_delay_alu instid0(SALU_CYCLE_2) | instskip(NEXT) | instid1(SALU_CYCLE_3)
	s_cvt_u32_f32 s22, s22
	s_mul_u64 s[64:65], s[62:63], s[22:23]
	s_delay_alu instid0(SALU_CYCLE_1)
	s_mul_hi_u32 s67, s22, s65
	s_mul_i32 s66, s22, s65
	s_mul_hi_u32 s28, s22, s64
	s_mul_i32 s101, s23, s64
	s_add_nc_u64 s[66:67], s[28:29], s[66:67]
	s_mul_hi_u32 s100, s23, s64
	s_mul_hi_u32 vcc_lo, s23, s65
	s_add_co_u32 s28, s66, s101
	s_add_co_ci_u32 s28, s67, s100
	s_mul_i32 s64, s23, s65
	s_add_co_ci_u32 s65, vcc_lo, 0
	s_delay_alu instid0(SALU_CYCLE_1) | instskip(NEXT) | instid1(SALU_CYCLE_1)
	s_add_nc_u64 s[64:65], s[28:29], s[64:65]
	s_add_co_u32 s22, s22, s64
	s_cselect_b32 s28, -1, 0
	s_delay_alu instid0(SALU_CYCLE_1) | instskip(SKIP_1) | instid1(SALU_CYCLE_1)
	s_cmp_lg_u32 s28, 0
	s_add_co_ci_u32 s23, s23, s65
	s_mul_u64 s[62:63], s[62:63], s[22:23]
	s_delay_alu instid0(SALU_CYCLE_1)
	s_mul_hi_u32 s65, s22, s63
	s_mul_i32 s64, s22, s63
	s_mul_hi_u32 s28, s22, s62
	s_mul_i32 s67, s23, s62
	s_add_nc_u64 s[64:65], s[28:29], s[64:65]
	s_mul_hi_u32 s66, s23, s62
	s_mul_hi_u32 s100, s23, s63
	s_add_co_u32 s28, s64, s67
	s_add_co_ci_u32 s28, s65, s66
	s_mul_i32 s62, s23, s63
	s_add_co_ci_u32 s63, s100, 0
	s_delay_alu instid0(SALU_CYCLE_1) | instskip(NEXT) | instid1(SALU_CYCLE_1)
	s_add_nc_u64 s[62:63], s[28:29], s[62:63]
	s_add_co_u32 s22, s22, s62
	s_cselect_b32 s62, -1, 0
	s_mul_hi_u32 s28, s20, s22
	s_cmp_lg_u32 s62, 0
	s_mul_hi_u32 s64, s21, s22
	s_add_co_ci_u32 s62, s23, s63
	s_mul_i32 s63, s21, s22
	s_mul_hi_u32 s23, s20, s62
	s_mul_i32 s22, s20, s62
	s_mul_hi_u32 s65, s21, s62
	s_add_nc_u64 s[22:23], s[28:29], s[22:23]
	s_mul_i32 s62, s21, s62
	s_add_co_u32 s22, s22, s63
	s_add_co_ci_u32 s28, s23, s64
	s_add_co_ci_u32 s63, s65, 0
	s_delay_alu instid0(SALU_CYCLE_1) | instskip(NEXT) | instid1(SALU_CYCLE_1)
	s_add_nc_u64 s[22:23], s[28:29], s[62:63]
	s_and_b64 s[62:63], s[22:23], 0xffffffff00000000
	s_delay_alu instid0(SALU_CYCLE_1) | instskip(NEXT) | instid1(SALU_CYCLE_1)
	s_or_b32 s62, s62, s22
	s_mul_u64 s[22:23], s[56:57], s[62:63]
	s_delay_alu instid0(SALU_CYCLE_1) | instskip(SKIP_1) | instid1(SALU_CYCLE_1)
	s_sub_co_u32 s22, s20, s22
	s_cselect_b32 s28, -1, 0
	s_cmp_lg_u32 s28, 0
	s_sub_co_ci_u32 s23, s21, s23
	s_sub_co_u32 s28, s22, s56
	s_cselect_b32 s62, -1, 0
	s_delay_alu instid0(SALU_CYCLE_1) | instskip(SKIP_3) | instid1(SALU_CYCLE_1)
	s_cmp_lg_u32 s62, 0
	s_sub_co_ci_u32 s62, s23, 0
	s_sub_co_u32 s63, s28, s56
	s_cselect_b32 s64, -1, 0
	s_cmp_lg_u32 s64, 0
	s_sub_co_ci_u32 s64, s62, 0
	s_cmp_ge_u32 s28, s56
	s_cselect_b32 s65, -1, 0
	s_cmp_eq_u32 s62, 0
	s_cselect_b32 s65, s65, -1
	s_delay_alu instid0(SALU_CYCLE_1)
	s_cmp_lg_u32 s65, 0
	s_cselect_b32 s62, s64, s62
	s_cselect_b32 s28, s63, s28
	s_cmp_ge_u32 s22, s56
	s_cselect_b32 s63, -1, 0
	s_cmp_eq_u32 s23, 0
	s_cselect_b32 s63, s63, -1
	s_delay_alu instid0(SALU_CYCLE_1)
	s_cmp_lg_u32 s63, 0
	s_cselect_b32 s23, s62, s23
	s_cselect_b32 s22, s28, s22
	s_cbranch_execnz .LBB222_187
.LBB222_186:                            ;   in Loop: Header=BB222_18 Depth=1
	v_cvt_f32_u32_e32 v4, s56
	s_sub_co_i32 s23, 0, s56
	s_delay_alu instid0(VALU_DEP_1) | instskip(SKIP_1) | instid1(TRANS32_DEP_1)
	v_rcp_iflag_f32_e32 v4, v4
	v_nop
	v_mul_f32_e32 v4, 0x4f7ffffe, v4
	s_delay_alu instid0(VALU_DEP_1) | instskip(NEXT) | instid1(VALU_DEP_1)
	v_cvt_u32_f32_e32 v4, v4
	v_readfirstlane_b32 s22, v4
	s_mul_i32 s23, s23, s22
	s_delay_alu instid0(SALU_CYCLE_1) | instskip(NEXT) | instid1(SALU_CYCLE_1)
	s_mul_hi_u32 s23, s22, s23
	s_add_co_i32 s22, s22, s23
	s_delay_alu instid0(SALU_CYCLE_1) | instskip(NEXT) | instid1(SALU_CYCLE_1)
	s_mul_hi_u32 s22, s20, s22
	s_mul_i32 s22, s22, s56
	s_delay_alu instid0(SALU_CYCLE_1) | instskip(NEXT) | instid1(SALU_CYCLE_1)
	s_sub_co_i32 s22, s20, s22
	s_sub_co_i32 s23, s22, s56
	s_cmp_ge_u32 s22, s56
	s_cselect_b32 s22, s23, s22
	s_delay_alu instid0(SALU_CYCLE_1) | instskip(SKIP_2) | instid1(SALU_CYCLE_1)
	s_sub_co_i32 s23, s22, s56
	s_cmp_ge_u32 s22, s56
	s_cselect_b32 s28, s23, s22
	s_mov_b64 s[22:23], s[28:29]
.LBB222_187:                            ;   in Loop: Header=BB222_18 Depth=1
	s_delay_alu instid0(SALU_CYCLE_1)
	s_sub_nc_u64 s[20:21], s[20:21], s[22:23]
	s_mov_b32 s23, 0
	s_mov_b32 s22, 0
	s_mov_b32 s28, exec_lo
                                        ; implicit-def: $vgpr10
	v_cmpx_gt_u64_e64 s[20:21], v[0:1]
	s_cbranch_execz .LBB222_198
; %bb.188:                              ;   in Loop: Header=BB222_18 Depth=1
	v_mov_b64_e32 v[4:5], v[0:1]
	v_mov_b32_e32 v10, v28
                                        ; implicit-def: $sgpr62
	s_branch .LBB222_191
.LBB222_189:                            ;   in Loop: Header=BB222_191 Depth=2
	s_or_b32 exec_lo, exec_lo, s63
	s_wait_dscnt 0x0
	s_barrier_signal -1
	s_barrier_wait -1
	ds_load_b32 v11, v3 offset:3072
	s_mov_b32 s63, -1
	s_mov_b32 s64, -1
	s_wait_dscnt 0x0
	s_barrier_signal -1
	s_barrier_wait -1
	v_and_b32_e32 v24, 0x7fff, v11
	s_delay_alu instid0(VALU_DEP_1)
	v_cmp_ne_u32_e32 vcc_lo, 0, v24
	s_cbranch_vccz .LBB222_194
.LBB222_190:                            ;   in Loop: Header=BB222_191 Depth=2
	s_and_b32 s3, exec_lo, s63
	s_delay_alu instid0(SALU_CYCLE_1) | instskip(SKIP_2) | instid1(SALU_CYCLE_1)
	s_or_b32 s22, s3, s22
	s_and_not1_b32 s3, s62, exec_lo
	s_and_b32 s40, s64, exec_lo
	s_or_b32 s62, s3, s40
	s_and_not1_b32 exec_lo, exec_lo, s22
	s_cbranch_execz .LBB222_197
.LBB222_191:                            ;   Parent Loop BB222_18 Depth=1
                                        ; =>  This Inner Loop Header: Depth=2
	s_mov_b32 s63, exec_lo
	s_delay_alu instid0(VALU_DEP_2)
	v_cmpx_gt_u64_e64 s[10:11], v[4:5]
	s_cbranch_execz .LBB222_189
; %bb.192:                              ;   in Loop: Header=BB222_191 Depth=2
	ds_load_u16 v11, v10
	s_wait_dscnt 0x0
	v_cmp_lt_i16_e32 vcc_lo, -1, v11
	v_and_b32_e32 v24, 0xffff, v11
	v_dual_cndmask_b32 v25, 0xffff, v34 :: v_dual_lshlrev_b32 v26, 16, v11
	s_delay_alu instid0(VALU_DEP_1) | instskip(NEXT) | instid1(VALU_DEP_2)
	v_cmp_o_f32_e32 vcc_lo, v26, v26
	v_xor_b32_e32 v24, v25, v24
	s_delay_alu instid0(VALU_DEP_1) | instskip(NEXT) | instid1(VALU_DEP_1)
	v_cndmask_b32_e32 v24, 0xffff, v24, vcc_lo
	v_and_b32_e32 v24, v24, v9
	s_delay_alu instid0(VALU_DEP_1)
	v_cmp_eq_u32_e32 vcc_lo, v24, v8
	s_and_b32 exec_lo, exec_lo, vcc_lo
	s_cbranch_execz .LBB222_189
; %bb.193:                              ;   in Loop: Header=BB222_191 Depth=2
	v_perm_b32 v11, v11, s73, 0x5040100
	ds_store_b32 v3, v11 offset:3072
	s_branch .LBB222_189
.LBB222_194:                            ;   in Loop: Header=BB222_191 Depth=2
	v_add_nc_u64_e32 v[4:5], s[56:57], v[4:5]
	v_add_nc_u32_e32 v10, s71, v10
	s_mov_b32 s64, 0
	s_delay_alu instid0(VALU_DEP_2)
	v_cmp_le_u64_e32 vcc_lo, s[20:21], v[4:5]
	s_or_not1_b32 s63, vcc_lo, exec_lo
	s_branch .LBB222_190
.LBB222_195:                            ;   in Loop: Header=BB222_18 Depth=1
                                        ; implicit-def: $sgpr22_sgpr23
	s_branch .LBB222_141
.LBB222_196:                            ;   in Loop: Header=BB222_18 Depth=1
                                        ; implicit-def: $sgpr10_sgpr11
	s_branch .LBB222_157
.LBB222_197:                            ;   in Loop: Header=BB222_18 Depth=1
	s_or_b32 exec_lo, exec_lo, s22
	v_lshrrev_b32_e32 v10, 16, v11
	s_and_b32 s22, s62, exec_lo
.LBB222_198:                            ;   in Loop: Header=BB222_18 Depth=1
	s_or_b32 exec_lo, exec_lo, s28
.LBB222_199:                            ;   in Loop: Header=BB222_18 Depth=1
	s_delay_alu instid0(SALU_CYCLE_1)
	s_and_b32 vcc_lo, exec_lo, s23
	s_cbranch_vccz .LBB222_213
; %bb.200:                              ;   in Loop: Header=BB222_18 Depth=1
	s_and_b64 s[10:11], s[76:77], 0xffffffff00000000
	s_delay_alu instid0(SALU_CYCLE_1)
	s_cmp_lg_u64 s[10:11], 0
	s_cbranch_scc0 .LBB222_232
; %bb.201:                              ;   in Loop: Header=BB222_18 Depth=1
	s_cvt_f32_u32 s10, s56
	s_sub_nc_u64 s[20:21], 0, s[56:57]
	s_delay_alu instid0(SALU_CYCLE_2) | instskip(NEXT) | instid1(SALU_CYCLE_3)
	s_fmamk_f32 s10, s72, 0x0, s10
	v_s_rcp_f32 s10, s10
	s_delay_alu instid0(TRANS32_DEP_1) | instskip(NEXT) | instid1(SALU_CYCLE_3)
	s_mul_f32 s10, s10, 0x5f7ffffc
	s_mul_f32 s11, s10, 0x2f800000
	s_delay_alu instid0(SALU_CYCLE_3) | instskip(NEXT) | instid1(SALU_CYCLE_3)
	s_trunc_f32 s11, s11
	s_fmamk_f32 s10, s11, 0xcf800000, s10
	s_cvt_u32_f32 s11, s11
	s_delay_alu instid0(SALU_CYCLE_2) | instskip(NEXT) | instid1(SALU_CYCLE_3)
	s_cvt_u32_f32 s10, s10
	s_mul_u64 s[62:63], s[20:21], s[10:11]
	s_delay_alu instid0(SALU_CYCLE_1)
	s_mul_hi_u32 s65, s10, s63
	s_mul_i32 s64, s10, s63
	s_mul_hi_u32 s28, s10, s62
	s_mul_i32 s66, s11, s62
	s_add_nc_u64 s[64:65], s[28:29], s[64:65]
	s_mul_hi_u32 s23, s11, s62
	s_mul_hi_u32 s67, s11, s63
	s_add_co_u32 s28, s64, s66
	s_add_co_ci_u32 s28, s65, s23
	s_mul_i32 s62, s11, s63
	s_add_co_ci_u32 s63, s67, 0
	s_delay_alu instid0(SALU_CYCLE_1) | instskip(NEXT) | instid1(SALU_CYCLE_1)
	s_add_nc_u64 s[62:63], s[28:29], s[62:63]
	s_add_co_u32 s10, s10, s62
	s_cselect_b32 s23, -1, 0
	s_delay_alu instid0(SALU_CYCLE_1) | instskip(SKIP_1) | instid1(SALU_CYCLE_1)
	s_cmp_lg_u32 s23, 0
	s_add_co_ci_u32 s11, s11, s63
	s_mul_u64 s[20:21], s[20:21], s[10:11]
	s_delay_alu instid0(SALU_CYCLE_1)
	s_mul_hi_u32 s63, s10, s21
	s_mul_i32 s62, s10, s21
	s_mul_hi_u32 s28, s10, s20
	s_mul_i32 s64, s11, s20
	s_add_nc_u64 s[62:63], s[28:29], s[62:63]
	s_mul_hi_u32 s23, s11, s20
	s_mul_hi_u32 s65, s11, s21
	s_mul_i32 s20, s11, s21
	s_add_co_u32 s21, s62, s64
	s_add_co_ci_u32 s28, s63, s23
	s_add_co_ci_u32 s21, s65, 0
	s_delay_alu instid0(SALU_CYCLE_1) | instskip(NEXT) | instid1(SALU_CYCLE_1)
	s_add_nc_u64 s[20:21], s[28:29], s[20:21]
	s_add_co_u32 s10, s10, s20
	s_cselect_b32 s20, -1, 0
	s_mul_hi_u32 s28, s76, s10
	s_cmp_lg_u32 s20, 0
	s_mul_hi_u32 s23, s77, s10
	s_add_co_ci_u32 s20, s11, s21
	s_mul_i32 s21, s77, s10
	s_mul_hi_u32 s11, s76, s20
	s_mul_i32 s10, s76, s20
	s_mul_hi_u32 s62, s77, s20
	s_add_nc_u64 s[10:11], s[28:29], s[10:11]
	s_mul_i32 s20, s77, s20
	s_add_co_u32 s10, s10, s21
	s_add_co_ci_u32 s28, s11, s23
	s_add_co_ci_u32 s21, s62, 0
	s_delay_alu instid0(SALU_CYCLE_1) | instskip(NEXT) | instid1(SALU_CYCLE_1)
	s_add_nc_u64 s[10:11], s[28:29], s[20:21]
	s_and_b64 s[20:21], s[10:11], 0xffffffff00000000
	s_delay_alu instid0(SALU_CYCLE_1) | instskip(NEXT) | instid1(SALU_CYCLE_1)
	s_or_b32 s20, s20, s10
	s_mul_u64 s[10:11], s[56:57], s[20:21]
	s_delay_alu instid0(SALU_CYCLE_1) | instskip(SKIP_1) | instid1(SALU_CYCLE_1)
	s_sub_co_u32 s10, s76, s10
	s_cselect_b32 s20, -1, 0
	s_cmp_lg_u32 s20, 0
	s_sub_co_ci_u32 s11, s77, s11
	s_sub_co_u32 s20, s10, s56
	s_cselect_b32 s21, -1, 0
	s_delay_alu instid0(SALU_CYCLE_1) | instskip(SKIP_3) | instid1(SALU_CYCLE_1)
	s_cmp_lg_u32 s21, 0
	s_sub_co_ci_u32 s21, s11, 0
	s_sub_co_u32 s23, s20, s56
	s_cselect_b32 s28, -1, 0
	s_cmp_lg_u32 s28, 0
	s_sub_co_ci_u32 s28, s21, 0
	s_cmp_ge_u32 s20, s56
	s_cselect_b32 s62, -1, 0
	s_cmp_eq_u32 s21, 0
	s_cselect_b32 s62, s62, -1
	s_delay_alu instid0(SALU_CYCLE_1)
	s_cmp_lg_u32 s62, 0
	s_cselect_b32 s21, s28, s21
	s_cselect_b32 s20, s23, s20
	s_cmp_ge_u32 s10, s56
	s_cselect_b32 s23, -1, 0
	s_cmp_eq_u32 s11, 0
	s_cselect_b32 s23, s23, -1
	s_delay_alu instid0(SALU_CYCLE_1)
	s_cmp_lg_u32 s23, 0
	s_cselect_b32 s11, s21, s11
	s_cselect_b32 s10, s20, s10
	s_cbranch_execnz .LBB222_203
.LBB222_202:                            ;   in Loop: Header=BB222_18 Depth=1
	v_cvt_f32_u32_e32 v4, s56
	s_sub_co_i32 s11, 0, s56
	s_delay_alu instid0(VALU_DEP_1) | instskip(SKIP_1) | instid1(TRANS32_DEP_1)
	v_rcp_iflag_f32_e32 v4, v4
	v_nop
	v_mul_f32_e32 v4, 0x4f7ffffe, v4
	s_delay_alu instid0(VALU_DEP_1) | instskip(NEXT) | instid1(VALU_DEP_1)
	v_cvt_u32_f32_e32 v4, v4
	v_readfirstlane_b32 s10, v4
	s_mul_i32 s11, s11, s10
	s_delay_alu instid0(SALU_CYCLE_1) | instskip(NEXT) | instid1(SALU_CYCLE_1)
	s_mul_hi_u32 s11, s10, s11
	s_add_co_i32 s10, s10, s11
	s_delay_alu instid0(SALU_CYCLE_1) | instskip(NEXT) | instid1(SALU_CYCLE_1)
	s_mul_hi_u32 s10, s76, s10
	s_mul_i32 s10, s10, s56
	s_delay_alu instid0(SALU_CYCLE_1) | instskip(NEXT) | instid1(SALU_CYCLE_1)
	s_sub_co_i32 s10, s76, s10
	s_sub_co_i32 s11, s10, s56
	s_cmp_ge_u32 s10, s56
	s_cselect_b32 s10, s11, s10
	s_delay_alu instid0(SALU_CYCLE_1) | instskip(SKIP_2) | instid1(SALU_CYCLE_1)
	s_sub_co_i32 s11, s10, s56
	s_cmp_ge_u32 s10, s56
	s_cselect_b32 s28, s11, s10
	s_mov_b64 s[10:11], s[28:29]
.LBB222_203:                            ;   in Loop: Header=BB222_18 Depth=1
	s_delay_alu instid0(SALU_CYCLE_1)
	s_sub_nc_u64 s[10:11], s[76:77], s[10:11]
	s_mov_b32 s20, exec_lo
                                        ; implicit-def: $vgpr10
	v_nop
	v_cmpx_gt_u64_e64 s[10:11], v[0:1]
	s_cbranch_execz .LBB222_212
; %bb.204:                              ;   in Loop: Header=BB222_18 Depth=1
	v_mov_b64_e32 v[4:5], v[0:1]
	s_mov_b32 s21, 0
                                        ; implicit-def: $sgpr23
	s_branch .LBB222_207
.LBB222_205:                            ;   in Loop: Header=BB222_207 Depth=2
	s_or_b32 exec_lo, exec_lo, s28
	s_wait_dscnt 0x0
	s_barrier_signal -1
	s_barrier_wait -1
	ds_load_b32 v10, v3 offset:3072
	s_mov_b32 s62, -1
	s_mov_b32 s28, -1
	s_wait_dscnt 0x0
	s_barrier_signal -1
	s_barrier_wait -1
	v_and_b32_e32 v11, 0x7fff, v10
	s_delay_alu instid0(VALU_DEP_1)
	v_cmp_eq_u32_e32 vcc_lo, 0, v11
	s_cbranch_vccnz .LBB222_210
.LBB222_206:                            ;   in Loop: Header=BB222_207 Depth=2
	s_and_b32 s3, exec_lo, s62
	s_delay_alu instid0(SALU_CYCLE_1) | instskip(SKIP_2) | instid1(SALU_CYCLE_1)
	s_or_b32 s21, s3, s21
	s_and_not1_b32 s3, s23, exec_lo
	s_and_b32 s23, s28, exec_lo
	s_or_b32 s23, s3, s23
	s_and_not1_b32 exec_lo, exec_lo, s21
	s_cbranch_execz .LBB222_211
.LBB222_207:                            ;   Parent Loop BB222_18 Depth=1
                                        ; =>  This Inner Loop Header: Depth=2
	s_mov_b32 s28, exec_lo
	s_delay_alu instid0(VALU_DEP_1)
	v_cmpx_gt_u64_e64 s[36:37], v[4:5]
	s_cbranch_execz .LBB222_205
; %bb.208:                              ;   in Loop: Header=BB222_207 Depth=2
	v_mul_u64_e32 v[10:11], s[30:31], v[4:5]
	s_delay_alu instid0(VALU_DEP_1)
	v_lshl_add_u64 v[10:11], v[10:11], 1, s[34:35]
	global_load_u16 v10, v[10:11], off
	s_wait_loadcnt 0x0
	v_cmp_lt_i16_e32 vcc_lo, -1, v10
	v_and_b32_e32 v11, 0xffff, v10
	v_cndmask_b32_e32 v24, 0xffff, v34, vcc_lo
	s_delay_alu instid0(VALU_DEP_1) | instskip(NEXT) | instid1(VALU_DEP_1)
	v_dual_lshlrev_b32 v25, 16, v10 :: v_dual_bitop2_b32 v11, v24, v11 bitop3:0x14
	v_cmp_o_f32_e32 vcc_lo, v25, v25
	s_delay_alu instid0(VALU_DEP_2) | instskip(NEXT) | instid1(VALU_DEP_1)
	v_cndmask_b32_e32 v11, 0xffff, v11, vcc_lo
	v_and_b32_e32 v11, v11, v9
	s_delay_alu instid0(VALU_DEP_1)
	v_cmp_eq_u32_e32 vcc_lo, v11, v8
	s_and_b32 exec_lo, exec_lo, vcc_lo
	s_cbranch_execz .LBB222_205
; %bb.209:                              ;   in Loop: Header=BB222_207 Depth=2
	v_perm_b32 v10, v10, s73, 0x5040100
	ds_store_b32 v3, v10 offset:3072
	s_branch .LBB222_205
.LBB222_210:                            ;   in Loop: Header=BB222_207 Depth=2
	v_add_nc_u64_e32 v[4:5], s[56:57], v[4:5]
	s_mov_b32 s28, 0
	s_delay_alu instid0(VALU_DEP_1)
	v_cmp_le_u64_e32 vcc_lo, s[10:11], v[4:5]
	s_or_not1_b32 s62, vcc_lo, exec_lo
	s_branch .LBB222_206
.LBB222_211:                            ;   in Loop: Header=BB222_18 Depth=1
	s_or_b32 exec_lo, exec_lo, s21
	v_lshrrev_b32_e32 v10, 16, v10
	s_and_not1_b32 s3, s22, exec_lo
	s_and_b32 s10, s23, exec_lo
	s_delay_alu instid0(SALU_CYCLE_1)
	s_or_b32 s22, s3, s10
.LBB222_212:                            ;   in Loop: Header=BB222_18 Depth=1
	s_or_b32 exec_lo, exec_lo, s20
	s_mov_b32 s96, 0
	s_mov_b32 s97, -1
.LBB222_213:                            ;   in Loop: Header=BB222_18 Depth=1
	s_or_not1_b32 s10, s22, exec_lo
.LBB222_214:                            ;   in Loop: Header=BB222_18 Depth=1
	s_or_b32 exec_lo, exec_lo, s98
	s_mov_b32 s11, 0
	s_and_saveexec_b32 s98, s10
	s_cbranch_execz .LBB222_276
; %bb.215:                              ;   in Loop: Header=BB222_18 Depth=1
	v_mov_b64_e32 v[4:5], 1
	v_mov_b32_e32 v2, 1
	s_xor_b32 s20, s99, -1
	s_delay_alu instid0(SALU_CYCLE_1)
	s_and_saveexec_b32 s10, s20
	s_cbranch_execz .LBB222_224
; %bb.216:                              ;   in Loop: Header=BB222_18 Depth=1
	s_mov_b32 s11, exec_lo
	v_cmpx_ge_u64_e64 s[16:17], v[6:7]
	s_xor_b32 s11, exec_lo, s11
	s_cbranch_execz .LBB222_221
; %bb.217:                              ;   in Loop: Header=BB222_18 Depth=1
	ds_load_b64 v[4:5], v3 offset:5120
	s_lshl_b32 s20, 2, s48
	v_or_b32_e32 v9, s24, v9
	v_and_or_b32 v8, v8, s25, s20
	s_wait_dscnt 0x0
	v_cmp_ne_u64_e32 vcc_lo, 0, v[4:5]
	s_cbranch_vccnz .LBB222_221
; %bb.218:                              ;   in Loop: Header=BB222_18 Depth=1
	s_and_saveexec_b32 s20, s5
; %bb.219:                              ;   in Loop: Header=BB222_18 Depth=1
	v_mov_b64_e32 v[4:5], s[16:17]
	ds_store_b64 v3, v[4:5] offset:5128
; %bb.220:                              ;   in Loop: Header=BB222_18 Depth=1
	s_or_b32 exec_lo, exec_lo, s20
	s_wait_dscnt 0x0
	s_barrier_signal -1
	s_barrier_wait -1
.LBB222_221:                            ;   in Loop: Header=BB222_18 Depth=1
	s_or_saveexec_b32 s11, s11
	v_mov_b32_e32 v2, 8
	s_mov_b32 s20, 0
	s_xor_b32 exec_lo, exec_lo, s11
; %bb.222:                              ;   in Loop: Header=BB222_18 Depth=1
	v_sub_nc_u64_e64 v[6:7], v[6:7], s[16:17]
	v_mov_b32_e32 v2, 0
	s_mov_b32 s20, exec_lo
; %bb.223:                              ;   in Loop: Header=BB222_18 Depth=1
	s_or_b32 exec_lo, exec_lo, s11
	s_delay_alu instid0(VALU_DEP_2)
	v_mov_b64_e32 v[4:5], v[6:7]
	s_and_b32 s11, s20, exec_lo
.LBB222_224:                            ;   in Loop: Header=BB222_18 Depth=1
	s_or_b32 exec_lo, exec_lo, s10
	s_mov_b32 s10, -1
                                        ; implicit-def: $sgpr65
                                        ; implicit-def: $sgpr64
	s_and_saveexec_b32 s99, s11
	s_cbranch_execz .LBB222_275
; %bb.225:                              ;   in Loop: Header=BB222_18 Depth=1
	s_delay_alu instid0(VALU_DEP_1) | instskip(SKIP_3) | instid1(SALU_CYCLE_1)
	v_cmp_eq_u64_e32 vcc_lo, 1, v[4:5]
	s_cmp_eq_u64 s[18:19], 1
	s_mov_b32 s11, -1
	s_cselect_b32 s10, -1, 0
                                        ; implicit-def: $sgpr65
                                        ; implicit-def: $sgpr64
	s_and_b32 s41, s10, vcc_lo
	s_delay_alu instid0(SALU_CYCLE_1)
	s_and_saveexec_b32 s101, s41
	s_cbranch_execz .LBB222_263
; %bb.226:                              ;   in Loop: Header=BB222_18 Depth=1
	ds_load_b64 v[6:7], v3 offset:5120
	s_wait_dscnt 0x0
	s_barrier_signal -1
	s_barrier_wait -1
	v_readfirstlane_b32 s10, v6
	v_readfirstlane_b32 s11, v7
	s_and_saveexec_b32 s20, s6
; %bb.227:                              ;   in Loop: Header=BB222_18 Depth=1
	ds_store_b16 v29, v3
; %bb.228:                              ;   in Loop: Header=BB222_18 Depth=1
	s_or_b32 exec_lo, exec_lo, s20
	v_or_b32_e32 v8, s24, v8
	v_or_b32_e32 v9, s24, v9
	s_mov_b32 s64, -1
	s_mov_b32 s65, 0
	s_cmp_eq_u64 s[10:11], 0
	s_mov_b32 s22, 0
	s_mov_b32 s23, -1
	s_wait_dscnt 0x0
	s_barrier_signal -1
	s_barrier_wait -1
                                        ; implicit-def: $vgpr10
	s_cbranch_scc1 .LBB222_246
; %bb.229:                              ;   in Loop: Header=BB222_18 Depth=1
	v_writelane_b32 v46, s41, 25
	s_add_nc_u64 s[20:21], s[10:11], s[74:75]
	s_delay_alu instid0(SALU_CYCLE_1) | instskip(NEXT) | instid1(SALU_CYCLE_1)
	s_and_b64 s[22:23], s[20:21], 0xffffffff00000000
	s_cmp_lg_u64 s[22:23], 0
	v_writelane_b32 v46, s43, 26
	s_mov_b32 s43, vcc_hi
	s_cbranch_scc0 .LBB222_233
; %bb.230:                              ;   in Loop: Header=BB222_18 Depth=1
	s_cvt_f32_u32 s22, s56
	s_sub_nc_u64 s[62:63], 0, s[56:57]
	s_delay_alu instid0(SALU_CYCLE_2) | instskip(NEXT) | instid1(SALU_CYCLE_3)
	s_fmamk_f32 s22, s72, 0x0, s22
	v_s_rcp_f32 s22, s22
	s_delay_alu instid0(TRANS32_DEP_1) | instskip(NEXT) | instid1(SALU_CYCLE_3)
	s_mul_f32 s22, s22, 0x5f7ffffc
	s_mul_f32 s23, s22, 0x2f800000
	s_delay_alu instid0(SALU_CYCLE_3) | instskip(NEXT) | instid1(SALU_CYCLE_3)
	s_trunc_f32 s23, s23
	s_fmamk_f32 s22, s23, 0xcf800000, s22
	s_cvt_u32_f32 s23, s23
	s_delay_alu instid0(SALU_CYCLE_2) | instskip(NEXT) | instid1(SALU_CYCLE_3)
	s_cvt_u32_f32 s22, s22
	s_mul_u64 s[66:67], s[62:63], s[22:23]
	s_delay_alu instid0(SALU_CYCLE_1)
	s_mul_hi_u32 vcc_hi, s22, s67
	s_mul_i32 vcc_lo, s22, s67
	s_mul_hi_u32 s28, s22, s66
	s_mul_i32 s100, s23, s66
	s_add_nc_u64 vcc, s[28:29], vcc
	s_mul_hi_u32 s3, s23, s66
	s_mul_hi_u32 s40, s23, s67
	s_add_co_u32 s28, vcc_lo, s100
	s_add_co_ci_u32 s28, vcc_hi, s3
	s_mul_i32 s66, s23, s67
	s_add_co_ci_u32 s67, s40, 0
	s_delay_alu instid0(SALU_CYCLE_1) | instskip(NEXT) | instid1(SALU_CYCLE_1)
	s_add_nc_u64 s[66:67], s[28:29], s[66:67]
	s_add_co_u32 s22, s22, s66
	s_cselect_b32 s3, -1, 0
	s_delay_alu instid0(SALU_CYCLE_1) | instskip(SKIP_1) | instid1(SALU_CYCLE_1)
	s_cmp_lg_u32 s3, 0
	s_add_co_ci_u32 s23, s23, s67
	s_mul_u64 s[62:63], s[62:63], s[22:23]
	s_delay_alu instid0(SALU_CYCLE_1)
	s_mul_hi_u32 s67, s22, s63
	s_mul_i32 s66, s22, s63
	s_mul_hi_u32 s28, s22, s62
	s_mul_i32 s40, s23, s62
	s_add_nc_u64 s[66:67], s[28:29], s[66:67]
	s_mul_hi_u32 s3, s23, s62
	s_mul_hi_u32 s41, s23, s63
	s_add_co_u32 s28, s66, s40
	s_add_co_ci_u32 s28, s67, s3
	s_mul_i32 s62, s23, s63
	s_add_co_ci_u32 s63, s41, 0
	s_delay_alu instid0(SALU_CYCLE_1) | instskip(NEXT) | instid1(SALU_CYCLE_1)
	s_add_nc_u64 s[62:63], s[28:29], s[62:63]
	s_add_co_u32 s3, s22, s62
	s_cselect_b32 s22, -1, 0
	s_mul_hi_u32 s28, s20, s3
	s_cmp_lg_u32 s22, 0
	s_mul_hi_u32 s40, s21, s3
	s_add_co_ci_u32 s41, s23, s63
	s_mul_i32 s3, s21, s3
	s_mul_hi_u32 s23, s20, s41
	s_mul_i32 s22, s20, s41
	s_mul_hi_u32 s42, s21, s41
	s_add_nc_u64 s[22:23], s[28:29], s[22:23]
	s_mul_i32 s62, s21, s41
	s_add_co_u32 s3, s22, s3
	s_add_co_ci_u32 s28, s23, s40
	s_add_co_ci_u32 s63, s42, 0
	s_delay_alu instid0(SALU_CYCLE_1) | instskip(NEXT) | instid1(SALU_CYCLE_1)
	s_add_nc_u64 s[22:23], s[28:29], s[62:63]
	s_and_b64 s[62:63], s[22:23], 0xffffffff00000000
	s_delay_alu instid0(SALU_CYCLE_1) | instskip(NEXT) | instid1(SALU_CYCLE_1)
	s_or_b32 s62, s62, s22
	s_mul_u64 s[22:23], s[56:57], s[62:63]
	s_delay_alu instid0(SALU_CYCLE_1) | instskip(SKIP_1) | instid1(SALU_CYCLE_1)
	s_sub_co_u32 s3, s20, s22
	s_cselect_b32 s22, -1, 0
	s_cmp_lg_u32 s22, 0
	s_sub_co_ci_u32 s22, s21, s23
	s_sub_co_u32 s23, s3, s56
	s_cselect_b32 s28, -1, 0
	s_delay_alu instid0(SALU_CYCLE_1) | instskip(SKIP_3) | instid1(SALU_CYCLE_1)
	s_cmp_lg_u32 s28, 0
	s_sub_co_ci_u32 s28, s22, 0
	s_sub_co_u32 s40, s23, s56
	s_cselect_b32 s41, -1, 0
	s_cmp_lg_u32 s41, 0
	s_sub_co_ci_u32 s41, s28, 0
	s_cmp_ge_u32 s23, s56
	s_cselect_b32 s42, -1, 0
	s_cmp_eq_u32 s28, 0
	s_cselect_b32 s42, s42, -1
	s_delay_alu instid0(SALU_CYCLE_1)
	s_cmp_lg_u32 s42, 0
	s_cselect_b32 s28, s41, s28
	s_cselect_b32 s40, s40, s23
	s_cmp_ge_u32 s3, s56
	s_cselect_b32 s23, -1, 0
	s_cmp_eq_u32 s22, 0
	s_cselect_b32 s23, s23, -1
	s_delay_alu instid0(SALU_CYCLE_1)
	s_cmp_lg_u32 s23, 0
	s_cselect_b32 s23, s28, s22
	s_cselect_b32 s22, s40, s3
	s_mov_b32 s28, 0
	s_branch .LBB222_234
.LBB222_231:                            ;   in Loop: Header=BB222_18 Depth=1
                                        ; implicit-def: $sgpr22_sgpr23
	s_branch .LBB222_186
.LBB222_232:                            ;   in Loop: Header=BB222_18 Depth=1
                                        ; implicit-def: $sgpr10_sgpr11
	s_branch .LBB222_202
.LBB222_233:                            ;   in Loop: Header=BB222_18 Depth=1
	s_mov_b32 s28, -1
                                        ; implicit-def: $sgpr22_sgpr23
.LBB222_234:                            ;   in Loop: Header=BB222_18 Depth=1
	s_delay_alu instid0(SALU_CYCLE_1)
	s_and_not1_b32 vcc_lo, exec_lo, s28
	s_cbranch_vccnz .LBB222_236
; %bb.235:                              ;   in Loop: Header=BB222_18 Depth=1
	v_cvt_f32_u32_e32 v6, s56
	s_sub_co_i32 s23, 0, s56
	s_delay_alu instid0(VALU_DEP_1) | instskip(SKIP_1) | instid1(TRANS32_DEP_1)
	v_rcp_iflag_f32_e32 v6, v6
	v_nop
	v_mul_f32_e32 v6, 0x4f7ffffe, v6
	s_delay_alu instid0(VALU_DEP_1) | instskip(NEXT) | instid1(VALU_DEP_1)
	v_cvt_u32_f32_e32 v6, v6
	v_readfirstlane_b32 s22, v6
	s_mul_i32 s23, s23, s22
	s_delay_alu instid0(SALU_CYCLE_1) | instskip(NEXT) | instid1(SALU_CYCLE_1)
	s_mul_hi_u32 s23, s22, s23
	s_add_co_i32 s22, s22, s23
	s_delay_alu instid0(SALU_CYCLE_1) | instskip(NEXT) | instid1(SALU_CYCLE_1)
	s_mul_hi_u32 s22, s20, s22
	s_mul_i32 s22, s22, s56
	s_delay_alu instid0(SALU_CYCLE_1) | instskip(NEXT) | instid1(SALU_CYCLE_1)
	s_sub_co_i32 s22, s20, s22
	s_sub_co_i32 s23, s22, s56
	s_cmp_ge_u32 s22, s56
	s_cselect_b32 s22, s23, s22
	s_delay_alu instid0(SALU_CYCLE_1) | instskip(SKIP_2) | instid1(SALU_CYCLE_1)
	s_sub_co_i32 s23, s22, s56
	s_cmp_ge_u32 s22, s56
	s_cselect_b32 s28, s23, s22
	s_mov_b64 s[22:23], s[28:29]
.LBB222_236:                            ;   in Loop: Header=BB222_18 Depth=1
	s_delay_alu instid0(SALU_CYCLE_1)
	s_sub_nc_u64 s[20:21], s[20:21], s[22:23]
	s_mov_b32 s23, 0
	s_mov_b32 s22, 0
	s_mov_b32 s28, exec_lo
                                        ; implicit-def: $vgpr10
	v_cmpx_gt_u64_e64 s[20:21], v[0:1]
	s_mov_b32 vcc_hi, s43
	v_readlane_b32 s43, v46, 26
	v_readlane_b32 s41, v46, 25
	s_cbranch_execz .LBB222_245
; %bb.237:                              ;   in Loop: Header=BB222_18 Depth=1
	v_mov_b64_e32 v[6:7], v[0:1]
	v_mov_b32_e32 v10, v28
                                        ; implicit-def: $sgpr62
	s_branch .LBB222_240
.LBB222_238:                            ;   in Loop: Header=BB222_240 Depth=2
	s_or_b32 exec_lo, exec_lo, s63
	s_wait_dscnt 0x0
	s_barrier_signal -1
	s_barrier_wait -1
	ds_load_b32 v11, v3 offset:3072
	s_mov_b32 s63, -1
	s_mov_b32 s66, -1
	s_wait_dscnt 0x0
	s_barrier_signal -1
	s_barrier_wait -1
	v_and_b32_e32 v24, 0x7fff, v11
	s_delay_alu instid0(VALU_DEP_1)
	v_cmp_ne_u32_e32 vcc_lo, 0, v24
	s_cbranch_vccz .LBB222_243
.LBB222_239:                            ;   in Loop: Header=BB222_240 Depth=2
	s_and_b32 s3, exec_lo, s63
	s_delay_alu instid0(SALU_CYCLE_1) | instskip(SKIP_2) | instid1(SALU_CYCLE_1)
	s_or_b32 s22, s3, s22
	s_and_not1_b32 s3, s62, exec_lo
	s_and_b32 s40, s66, exec_lo
	s_or_b32 s62, s3, s40
	s_and_not1_b32 exec_lo, exec_lo, s22
	s_cbranch_execz .LBB222_244
.LBB222_240:                            ;   Parent Loop BB222_18 Depth=1
                                        ; =>  This Inner Loop Header: Depth=2
	s_mov_b32 s63, exec_lo
	s_delay_alu instid0(VALU_DEP_2)
	v_cmpx_gt_u64_e64 s[10:11], v[6:7]
	s_cbranch_execz .LBB222_238
; %bb.241:                              ;   in Loop: Header=BB222_240 Depth=2
	ds_load_u16 v11, v10
	s_wait_dscnt 0x0
	v_cmp_lt_i16_e32 vcc_lo, -1, v11
	v_and_b32_e32 v24, 0xffff, v11
	v_dual_cndmask_b32 v25, 0xffff, v34 :: v_dual_lshlrev_b32 v26, 16, v11
	s_delay_alu instid0(VALU_DEP_1) | instskip(NEXT) | instid1(VALU_DEP_2)
	v_cmp_o_f32_e32 vcc_lo, v26, v26
	v_xor_b32_e32 v24, v25, v24
	s_delay_alu instid0(VALU_DEP_1) | instskip(NEXT) | instid1(VALU_DEP_1)
	v_cndmask_b32_e32 v24, 0xffff, v24, vcc_lo
	v_and_b32_e32 v24, v24, v9
	s_delay_alu instid0(VALU_DEP_1)
	v_cmp_eq_u32_e32 vcc_lo, v24, v8
	s_and_b32 exec_lo, exec_lo, vcc_lo
	s_cbranch_execz .LBB222_238
; %bb.242:                              ;   in Loop: Header=BB222_240 Depth=2
	v_perm_b32 v11, v11, s73, 0x5040100
	ds_store_b32 v3, v11 offset:3072
	s_branch .LBB222_238
.LBB222_243:                            ;   in Loop: Header=BB222_240 Depth=2
	v_add_nc_u64_e32 v[6:7], s[56:57], v[6:7]
	v_add_nc_u32_e32 v10, s71, v10
	s_mov_b32 s66, 0
	s_delay_alu instid0(VALU_DEP_2)
	v_cmp_le_u64_e32 vcc_lo, s[20:21], v[6:7]
	s_or_not1_b32 s63, vcc_lo, exec_lo
	s_branch .LBB222_239
.LBB222_244:                            ;   in Loop: Header=BB222_18 Depth=1
	s_or_b32 exec_lo, exec_lo, s22
	v_lshrrev_b32_e32 v10, 16, v11
	s_and_b32 s22, s62, exec_lo
.LBB222_245:                            ;   in Loop: Header=BB222_18 Depth=1
	s_or_b32 exec_lo, exec_lo, s28
.LBB222_246:                            ;   in Loop: Header=BB222_18 Depth=1
	s_delay_alu instid0(SALU_CYCLE_1)
	s_and_b32 vcc_lo, exec_lo, s23
	s_cbranch_vccz .LBB222_262
; %bb.247:                              ;   in Loop: Header=BB222_18 Depth=1
	s_and_b64 s[10:11], s[76:77], 0xffffffff00000000
	s_delay_alu instid0(SALU_CYCLE_1)
	s_cmp_lg_u64 s[10:11], 0
	s_cbranch_scc0 .LBB222_249
; %bb.248:                              ;   in Loop: Header=BB222_18 Depth=1
	s_cvt_f32_u32 s3, s56
	s_sub_nc_u64 s[20:21], 0, s[56:57]
	s_delay_alu instid0(SALU_CYCLE_2) | instskip(NEXT) | instid1(SALU_CYCLE_3)
	s_fmamk_f32 s3, s72, 0x0, s3
	v_s_rcp_f32 s3, s3
	s_delay_alu instid0(TRANS32_DEP_1) | instskip(NEXT) | instid1(SALU_CYCLE_3)
	s_mul_f32 s3, s3, 0x5f7ffffc
	s_mul_f32 s10, s3, 0x2f800000
	s_delay_alu instid0(SALU_CYCLE_3) | instskip(NEXT) | instid1(SALU_CYCLE_3)
	s_trunc_f32 s10, s10
	s_fmamk_f32 s3, s10, 0xcf800000, s3
	s_cvt_u32_f32 s11, s10
	s_delay_alu instid0(SALU_CYCLE_2) | instskip(NEXT) | instid1(SALU_CYCLE_3)
	s_cvt_u32_f32 s10, s3
	s_mul_u64 s[62:63], s[20:21], s[10:11]
	s_delay_alu instid0(SALU_CYCLE_1)
	s_mul_hi_u32 s65, s10, s63
	s_mul_i32 s64, s10, s63
	s_mul_hi_u32 s28, s10, s62
	s_mul_i32 s23, s11, s62
	s_add_nc_u64 s[64:65], s[28:29], s[64:65]
	s_mul_hi_u32 s3, s11, s62
	s_mul_hi_u32 s40, s11, s63
	s_add_co_u32 s23, s64, s23
	s_add_co_ci_u32 s28, s65, s3
	s_mul_i32 s62, s11, s63
	s_add_co_ci_u32 s63, s40, 0
	s_delay_alu instid0(SALU_CYCLE_1) | instskip(NEXT) | instid1(SALU_CYCLE_1)
	s_add_nc_u64 s[62:63], s[28:29], s[62:63]
	s_add_co_u32 s10, s10, s62
	s_cselect_b32 s3, -1, 0
	s_delay_alu instid0(SALU_CYCLE_1) | instskip(SKIP_1) | instid1(SALU_CYCLE_1)
	s_cmp_lg_u32 s3, 0
	s_add_co_ci_u32 s11, s11, s63
	s_mul_u64 s[20:21], s[20:21], s[10:11]
	s_delay_alu instid0(SALU_CYCLE_1)
	s_mul_hi_u32 s63, s10, s21
	s_mul_i32 s62, s10, s21
	s_mul_hi_u32 s28, s10, s20
	s_mul_i32 s23, s11, s20
	s_add_nc_u64 s[62:63], s[28:29], s[62:63]
	s_mul_hi_u32 s3, s11, s20
	s_mul_hi_u32 s40, s11, s21
	s_mul_i32 s20, s11, s21
	s_add_co_u32 s21, s62, s23
	s_add_co_ci_u32 s28, s63, s3
	s_add_co_ci_u32 s21, s40, 0
	s_delay_alu instid0(SALU_CYCLE_1) | instskip(NEXT) | instid1(SALU_CYCLE_1)
	s_add_nc_u64 s[20:21], s[28:29], s[20:21]
	s_add_co_u32 s3, s10, s20
	s_cselect_b32 s10, -1, 0
	s_mul_hi_u32 s28, s76, s3
	s_cmp_lg_u32 s10, 0
	s_mul_hi_u32 s23, s77, s3
	s_add_co_ci_u32 s20, s11, s21
	s_mul_i32 s3, s77, s3
	s_mul_hi_u32 s11, s76, s20
	s_mul_i32 s10, s76, s20
	s_mul_hi_u32 s21, s77, s20
	s_add_nc_u64 s[10:11], s[28:29], s[10:11]
	s_mul_i32 s20, s77, s20
	s_add_co_u32 s3, s10, s3
	s_add_co_ci_u32 s28, s11, s23
	s_add_co_ci_u32 s21, s21, 0
	s_delay_alu instid0(SALU_CYCLE_1) | instskip(NEXT) | instid1(SALU_CYCLE_1)
	s_add_nc_u64 s[10:11], s[28:29], s[20:21]
	s_and_b64 s[20:21], s[10:11], 0xffffffff00000000
	s_delay_alu instid0(SALU_CYCLE_1) | instskip(NEXT) | instid1(SALU_CYCLE_1)
	s_or_b32 s20, s20, s10
	s_mul_u64 s[10:11], s[56:57], s[20:21]
	s_delay_alu instid0(SALU_CYCLE_1) | instskip(SKIP_1) | instid1(SALU_CYCLE_1)
	s_sub_co_u32 s3, s76, s10
	s_cselect_b32 s10, -1, 0
	s_cmp_lg_u32 s10, 0
	s_sub_co_ci_u32 s10, s77, s11
	s_sub_co_u32 s11, s3, s56
	s_cselect_b32 s20, -1, 0
	s_delay_alu instid0(SALU_CYCLE_1) | instskip(SKIP_3) | instid1(SALU_CYCLE_1)
	s_cmp_lg_u32 s20, 0
	s_sub_co_ci_u32 s20, s10, 0
	s_sub_co_u32 s21, s11, s56
	s_cselect_b32 s23, -1, 0
	s_cmp_lg_u32 s23, 0
	s_sub_co_ci_u32 s23, s20, 0
	s_cmp_ge_u32 s11, s56
	s_cselect_b32 s28, -1, 0
	s_cmp_eq_u32 s20, 0
	s_cselect_b32 s28, s28, -1
	s_delay_alu instid0(SALU_CYCLE_1)
	s_cmp_lg_u32 s28, 0
	s_cselect_b32 s20, s23, s20
	s_cselect_b32 s21, s21, s11
	s_cmp_ge_u32 s3, s56
	s_cselect_b32 s11, -1, 0
	s_cmp_eq_u32 s10, 0
	s_cselect_b32 s11, s11, -1
	s_delay_alu instid0(SALU_CYCLE_1)
	s_cmp_lg_u32 s11, 0
	s_cselect_b32 s11, s20, s10
	s_cselect_b32 s10, s21, s3
	s_mov_b32 s20, 0
	s_branch .LBB222_250
.LBB222_249:                            ;   in Loop: Header=BB222_18 Depth=1
	s_mov_b32 s20, -1
                                        ; implicit-def: $sgpr10_sgpr11
.LBB222_250:                            ;   in Loop: Header=BB222_18 Depth=1
	s_delay_alu instid0(SALU_CYCLE_1)
	s_and_not1_b32 vcc_lo, exec_lo, s20
	s_cbranch_vccnz .LBB222_252
; %bb.251:                              ;   in Loop: Header=BB222_18 Depth=1
	v_cvt_f32_u32_e32 v6, s56
	s_sub_co_i32 s10, 0, s56
	s_delay_alu instid0(VALU_DEP_1) | instskip(SKIP_1) | instid1(TRANS32_DEP_1)
	v_rcp_iflag_f32_e32 v6, v6
	v_nop
	v_mul_f32_e32 v6, 0x4f7ffffe, v6
	s_delay_alu instid0(VALU_DEP_1) | instskip(NEXT) | instid1(VALU_DEP_1)
	v_cvt_u32_f32_e32 v6, v6
	v_readfirstlane_b32 s3, v6
	s_mul_i32 s10, s10, s3
	s_delay_alu instid0(SALU_CYCLE_1) | instskip(NEXT) | instid1(SALU_CYCLE_1)
	s_mul_hi_u32 s10, s3, s10
	s_add_co_i32 s3, s3, s10
	s_delay_alu instid0(SALU_CYCLE_1) | instskip(NEXT) | instid1(SALU_CYCLE_1)
	s_mul_hi_u32 s3, s76, s3
	s_mul_i32 s3, s3, s56
	s_delay_alu instid0(SALU_CYCLE_1) | instskip(NEXT) | instid1(SALU_CYCLE_1)
	s_sub_co_i32 s3, s76, s3
	s_sub_co_i32 s10, s3, s56
	s_cmp_ge_u32 s3, s56
	s_cselect_b32 s3, s10, s3
	s_delay_alu instid0(SALU_CYCLE_1) | instskip(SKIP_2) | instid1(SALU_CYCLE_1)
	s_sub_co_i32 s10, s3, s56
	s_cmp_ge_u32 s3, s56
	s_cselect_b32 s28, s10, s3
	s_mov_b64 s[10:11], s[28:29]
.LBB222_252:                            ;   in Loop: Header=BB222_18 Depth=1
	s_delay_alu instid0(SALU_CYCLE_1)
	s_sub_nc_u64 s[10:11], s[76:77], s[10:11]
	s_mov_b32 s20, exec_lo
                                        ; implicit-def: $vgpr10
	v_cmpx_gt_u64_e64 s[10:11], v[0:1]
	s_cbranch_execz .LBB222_261
; %bb.253:                              ;   in Loop: Header=BB222_18 Depth=1
	v_mov_b64_e32 v[6:7], v[0:1]
	s_mov_b32 s21, 0
                                        ; implicit-def: $sgpr23
	s_branch .LBB222_256
.LBB222_254:                            ;   in Loop: Header=BB222_256 Depth=2
	s_or_b32 exec_lo, exec_lo, s28
	s_wait_dscnt 0x0
	s_barrier_signal -1
	s_barrier_wait -1
	ds_load_b32 v10, v3 offset:3072
	s_mov_b32 s62, -1
	s_mov_b32 s28, -1
	s_wait_dscnt 0x0
	s_barrier_signal -1
	s_barrier_wait -1
	v_and_b32_e32 v11, 0x7fff, v10
	s_delay_alu instid0(VALU_DEP_1)
	v_cmp_eq_u32_e32 vcc_lo, 0, v11
	s_cbranch_vccnz .LBB222_259
.LBB222_255:                            ;   in Loop: Header=BB222_256 Depth=2
	s_and_b32 s3, exec_lo, s62
	s_delay_alu instid0(SALU_CYCLE_1) | instskip(SKIP_2) | instid1(SALU_CYCLE_1)
	s_or_b32 s21, s3, s21
	s_and_not1_b32 s3, s23, exec_lo
	s_and_b32 s23, s28, exec_lo
	s_or_b32 s23, s3, s23
	s_and_not1_b32 exec_lo, exec_lo, s21
	s_cbranch_execz .LBB222_260
.LBB222_256:                            ;   Parent Loop BB222_18 Depth=1
                                        ; =>  This Inner Loop Header: Depth=2
	s_mov_b32 s28, exec_lo
	s_delay_alu instid0(VALU_DEP_1)
	v_cmpx_gt_u64_e64 s[36:37], v[6:7]
	s_cbranch_execz .LBB222_254
; %bb.257:                              ;   in Loop: Header=BB222_256 Depth=2
	v_mul_u64_e32 v[10:11], s[30:31], v[6:7]
	s_delay_alu instid0(VALU_DEP_1)
	v_lshl_add_u64 v[10:11], v[10:11], 1, s[34:35]
	global_load_u16 v10, v[10:11], off
	s_wait_loadcnt 0x0
	v_cmp_lt_i16_e32 vcc_lo, -1, v10
	v_and_b32_e32 v11, 0xffff, v10
	v_cndmask_b32_e32 v24, 0xffff, v34, vcc_lo
	s_delay_alu instid0(VALU_DEP_1) | instskip(NEXT) | instid1(VALU_DEP_1)
	v_dual_lshlrev_b32 v25, 16, v10 :: v_dual_bitop2_b32 v11, v24, v11 bitop3:0x14
	v_cmp_o_f32_e32 vcc_lo, v25, v25
	s_delay_alu instid0(VALU_DEP_2) | instskip(NEXT) | instid1(VALU_DEP_1)
	v_cndmask_b32_e32 v11, 0xffff, v11, vcc_lo
	v_and_b32_e32 v11, v11, v9
	s_delay_alu instid0(VALU_DEP_1)
	v_cmp_eq_u32_e32 vcc_lo, v11, v8
	s_and_b32 exec_lo, exec_lo, vcc_lo
	s_cbranch_execz .LBB222_254
; %bb.258:                              ;   in Loop: Header=BB222_256 Depth=2
	v_perm_b32 v10, v10, s73, 0x5040100
	ds_store_b32 v3, v10 offset:3072
	s_branch .LBB222_254
.LBB222_259:                            ;   in Loop: Header=BB222_256 Depth=2
	v_add_nc_u64_e32 v[6:7], s[56:57], v[6:7]
	s_mov_b32 s28, 0
	s_delay_alu instid0(VALU_DEP_1)
	v_cmp_le_u64_e32 vcc_lo, s[10:11], v[6:7]
	s_or_not1_b32 s62, vcc_lo, exec_lo
	s_branch .LBB222_255
.LBB222_260:                            ;   in Loop: Header=BB222_18 Depth=1
	s_or_b32 exec_lo, exec_lo, s21
	v_lshrrev_b32_e32 v10, 16, v10
	s_and_not1_b32 s3, s22, exec_lo
	s_and_b32 s10, s23, exec_lo
	s_delay_alu instid0(SALU_CYCLE_1)
	s_or_b32 s22, s3, s10
.LBB222_261:                            ;   in Loop: Header=BB222_18 Depth=1
	s_or_b32 exec_lo, exec_lo, s20
	s_mov_b32 s64, 0
	s_mov_b32 s65, -1
.LBB222_262:                            ;   in Loop: Header=BB222_18 Depth=1
	s_or_not1_b32 s11, s22, exec_lo
.LBB222_263:                            ;   in Loop: Header=BB222_18 Depth=1
	s_or_b32 exec_lo, exec_lo, s101
	s_mov_b32 s20, 0
	s_and_saveexec_b32 s10, s11
	s_cbranch_execz .LBB222_274
; %bb.264:                              ;   in Loop: Header=BB222_18 Depth=1
	v_mov_b64_e32 v[6:7], 1
	v_mov_b32_e32 v2, 1
	s_xor_b32 s3, s41, -1
	s_delay_alu instid0(SALU_CYCLE_1)
	s_and_saveexec_b32 s11, s3
	s_cbranch_execz .LBB222_273
; %bb.265:                              ;   in Loop: Header=BB222_18 Depth=1
	s_mov_b32 s3, exec_lo
	v_cmpx_ge_u64_e64 s[18:19], v[4:5]
	s_xor_b32 s20, exec_lo, s3
	s_cbranch_execz .LBB222_270
; %bb.266:                              ;   in Loop: Header=BB222_18 Depth=1
	ds_load_b64 v[6:7], v3 offset:5120
	v_or_b32_e32 v8, s24, v8
	v_or_b32_e32 v9, s24, v9
	s_wait_dscnt 0x0
	v_cmp_ne_u64_e32 vcc_lo, 0, v[6:7]
	s_cbranch_vccnz .LBB222_270
; %bb.267:                              ;   in Loop: Header=BB222_18 Depth=1
	s_and_saveexec_b32 s21, s5
; %bb.268:                              ;   in Loop: Header=BB222_18 Depth=1
	v_mov_b64_e32 v[6:7], s[18:19]
	ds_store_b64 v3, v[6:7] offset:5128
; %bb.269:                              ;   in Loop: Header=BB222_18 Depth=1
	s_or_b32 exec_lo, exec_lo, s21
	s_wait_dscnt 0x0
	s_barrier_signal -1
	s_barrier_wait -1
.LBB222_270:                            ;   in Loop: Header=BB222_18 Depth=1
	s_and_not1_saveexec_b32 s20, s20
; %bb.271:                              ;   in Loop: Header=BB222_18 Depth=1
	v_sub_nc_u64_e64 v[4:5], v[4:5], s[18:19]
; %bb.272:                              ;   in Loop: Header=BB222_18 Depth=1
	s_or_b32 exec_lo, exec_lo, s20
	s_delay_alu instid0(VALU_DEP_1)
	v_mov_b64_e32 v[6:7], v[4:5]
	v_mov_b32_e32 v2, 8
.LBB222_273:                            ;   in Loop: Header=BB222_18 Depth=1
	s_or_b32 exec_lo, exec_lo, s11
	s_delay_alu instid0(VALU_DEP_2)
	v_mov_b64_e32 v[4:5], v[6:7]
	s_mov_b32 s20, exec_lo
.LBB222_274:                            ;   in Loop: Header=BB222_18 Depth=1
	s_or_b32 exec_lo, exec_lo, s10
	s_delay_alu instid0(SALU_CYCLE_1)
	s_or_not1_b32 s10, s20, exec_lo
.LBB222_275:                            ;   in Loop: Header=BB222_18 Depth=1
	s_or_b32 exec_lo, exec_lo, s99
	s_delay_alu instid0(VALU_DEP_1)
	v_mov_b64_e32 v[6:7], v[4:5]
	s_and_not1_b32 s11, s97, exec_lo
	s_and_b32 s20, s65, exec_lo
	s_and_not1_b32 s21, s96, exec_lo
	s_and_b32 s22, s64, exec_lo
	s_or_b32 s97, s11, s20
	s_or_b32 s96, s21, s22
	s_and_b32 s11, s10, exec_lo
.LBB222_276:                            ;   in Loop: Header=BB222_18 Depth=1
	s_or_b32 exec_lo, exec_lo, s98
	s_delay_alu instid0(SALU_CYCLE_1)
	s_or_not1_b32 s10, s11, exec_lo
.LBB222_277:                            ;   in Loop: Header=BB222_18 Depth=1
	s_or_b32 exec_lo, exec_lo, s95
	v_mov_b64_e32 v[4:5], v[6:7]
	s_and_not1_b32 s11, s93, exec_lo
	s_and_b32 s20, s97, exec_lo
	s_and_not1_b32 s21, s88, exec_lo
	s_and_b32 s22, s96, exec_lo
	s_or_b32 s93, s11, s20
	s_or_b32 s88, s21, s22
	s_and_b32 s11, s10, exec_lo
.LBB222_278:                            ;   in Loop: Header=BB222_18 Depth=1
	s_or_b32 exec_lo, exec_lo, s94
	s_delay_alu instid0(SALU_CYCLE_1)
	s_or_not1_b32 s10, s11, exec_lo
.LBB222_279:                            ;   in Loop: Header=BB222_18 Depth=1
	s_or_b32 exec_lo, exec_lo, s27
	s_mov_b32 s11, 0
	s_mov_b32 s20, 0
	s_and_saveexec_b32 s21, s10
	s_delay_alu instid0(SALU_CYCLE_1)
	s_xor_b32 s21, exec_lo, s21
; %bb.280:                              ;   in Loop: Header=BB222_18 Depth=1
	v_cmp_ne_u32_e32 vcc_lo, 8, v2
	v_cmp_eq_u32_e64 s10, 8, v2
	s_and_b32 s20, vcc_lo, exec_lo
	s_and_b32 s11, s10, exec_lo
; %bb.281:                              ;   in Loop: Header=BB222_18 Depth=1
	s_or_b32 exec_lo, exec_lo, s21
	s_delay_alu instid0(SALU_CYCLE_1)
	s_and_not1_b32 s10, s90, exec_lo
	s_and_b32 s21, s93, exec_lo
	s_and_not1_b32 s22, s89, exec_lo
	s_and_b32 s23, s88, exec_lo
	s_or_b32 s90, s10, s21
	s_or_b32 s89, s22, s23
	s_and_b32 s27, s20, exec_lo
	s_and_b32 s88, s11, exec_lo
.LBB222_282:                            ;   in Loop: Header=BB222_18 Depth=1
	s_or_b32 exec_lo, exec_lo, s92
.LBB222_283:                            ;   in Loop: Header=BB222_18 Depth=1
	s_delay_alu instid0(SALU_CYCLE_1)
	s_and_b32 vcc_lo, exec_lo, s91
	s_cbranch_vccz .LBB222_299
; %bb.284:                              ;   in Loop: Header=BB222_18 Depth=1
	s_cmp_eq_u64 s[18:19], 1
                                        ; implicit-def: $sgpr91
                                        ; implicit-def: $sgpr26
	s_cselect_b32 s10, -1, 0
	s_delay_alu instid0(SALU_CYCLE_1)
	s_and_b32 s9, s10, s9
	s_mov_b32 s10, -1
	s_and_saveexec_b32 s89, s9
	s_cbranch_execz .LBB222_317
; %bb.285:                              ;   in Loop: Header=BB222_18 Depth=1
	ds_load_b64 v[4:5], v3 offset:5120
	s_wait_dscnt 0x0
	s_barrier_signal -1
	s_barrier_wait -1
	v_readfirstlane_b32 s10, v4
	v_readfirstlane_b32 s11, v5
	s_and_saveexec_b32 s20, s6
; %bb.286:                              ;   in Loop: Header=BB222_18 Depth=1
	ds_store_b16 v29, v3
; %bb.287:                              ;   in Loop: Header=BB222_18 Depth=1
	s_or_b32 exec_lo, exec_lo, s20
	v_or_b32_e32 v31, s24, v31
	v_or_b32_e32 v35, s24, v35
	s_mov_b32 s26, -1
	s_mov_b32 s91, 0
	s_cmp_eq_u64 s[10:11], 0
	s_mov_b32 s22, 0
	s_mov_b32 s23, -1
	s_wait_dscnt 0x0
	s_barrier_signal -1
	s_barrier_wait -1
                                        ; implicit-def: $vgpr36
	s_cbranch_scc1 .LBB222_302
; %bb.288:                              ;   in Loop: Header=BB222_18 Depth=1
	s_add_nc_u64 s[20:21], s[10:11], s[74:75]
	s_delay_alu instid0(SALU_CYCLE_1) | instskip(NEXT) | instid1(SALU_CYCLE_1)
	s_and_b64 s[22:23], s[20:21], 0xffffffff00000000
	s_cmp_lg_u64 s[22:23], 0
	s_cbranch_scc0 .LBB222_343
; %bb.289:                              ;   in Loop: Header=BB222_18 Depth=1
	s_cvt_f32_u32 s22, s56
	s_sub_nc_u64 s[62:63], 0, s[56:57]
	s_delay_alu instid0(SALU_CYCLE_2) | instskip(NEXT) | instid1(SALU_CYCLE_3)
	s_fmamk_f32 s22, s72, 0x0, s22
	v_s_rcp_f32 s22, s22
	s_delay_alu instid0(TRANS32_DEP_1) | instskip(NEXT) | instid1(SALU_CYCLE_3)
	s_mul_f32 s22, s22, 0x5f7ffffc
	s_mul_f32 s23, s22, 0x2f800000
	s_delay_alu instid0(SALU_CYCLE_3) | instskip(NEXT) | instid1(SALU_CYCLE_3)
	s_trunc_f32 s23, s23
	s_fmamk_f32 s22, s23, 0xcf800000, s22
	s_cvt_u32_f32 s23, s23
	s_delay_alu instid0(SALU_CYCLE_2) | instskip(NEXT) | instid1(SALU_CYCLE_3)
	s_cvt_u32_f32 s22, s22
	s_mul_u64 s[64:65], s[62:63], s[22:23]
	s_delay_alu instid0(SALU_CYCLE_1)
	s_mul_hi_u32 s67, s22, s65
	s_mul_i32 s66, s22, s65
	s_mul_hi_u32 s28, s22, s64
	s_mul_i32 s92, s23, s64
	s_add_nc_u64 s[66:67], s[28:29], s[66:67]
	s_mul_hi_u32 s90, s23, s64
	s_mul_hi_u32 s93, s23, s65
	s_add_co_u32 s28, s66, s92
	s_add_co_ci_u32 s28, s67, s90
	s_mul_i32 s64, s23, s65
	s_add_co_ci_u32 s65, s93, 0
	s_delay_alu instid0(SALU_CYCLE_1) | instskip(NEXT) | instid1(SALU_CYCLE_1)
	s_add_nc_u64 s[64:65], s[28:29], s[64:65]
	s_add_co_u32 s22, s22, s64
	s_cselect_b32 s28, -1, 0
	s_delay_alu instid0(SALU_CYCLE_1) | instskip(SKIP_1) | instid1(SALU_CYCLE_1)
	s_cmp_lg_u32 s28, 0
	s_add_co_ci_u32 s23, s23, s65
	s_mul_u64 s[62:63], s[62:63], s[22:23]
	s_delay_alu instid0(SALU_CYCLE_1)
	s_mul_hi_u32 s65, s22, s63
	s_mul_i32 s64, s22, s63
	s_mul_hi_u32 s28, s22, s62
	s_mul_i32 s67, s23, s62
	s_add_nc_u64 s[64:65], s[28:29], s[64:65]
	s_mul_hi_u32 s66, s23, s62
	s_mul_hi_u32 s90, s23, s63
	s_add_co_u32 s28, s64, s67
	s_add_co_ci_u32 s28, s65, s66
	s_mul_i32 s62, s23, s63
	s_add_co_ci_u32 s63, s90, 0
	s_delay_alu instid0(SALU_CYCLE_1) | instskip(NEXT) | instid1(SALU_CYCLE_1)
	s_add_nc_u64 s[62:63], s[28:29], s[62:63]
	s_add_co_u32 s22, s22, s62
	s_cselect_b32 s62, -1, 0
	s_mul_hi_u32 s28, s20, s22
	s_cmp_lg_u32 s62, 0
	s_mul_hi_u32 s64, s21, s22
	s_add_co_ci_u32 s62, s23, s63
	s_mul_i32 s63, s21, s22
	s_mul_hi_u32 s23, s20, s62
	s_mul_i32 s22, s20, s62
	s_mul_hi_u32 s65, s21, s62
	s_add_nc_u64 s[22:23], s[28:29], s[22:23]
	s_mul_i32 s62, s21, s62
	s_add_co_u32 s22, s22, s63
	s_add_co_ci_u32 s28, s23, s64
	s_add_co_ci_u32 s63, s65, 0
	s_delay_alu instid0(SALU_CYCLE_1) | instskip(NEXT) | instid1(SALU_CYCLE_1)
	s_add_nc_u64 s[22:23], s[28:29], s[62:63]
	s_and_b64 s[62:63], s[22:23], 0xffffffff00000000
	s_delay_alu instid0(SALU_CYCLE_1) | instskip(NEXT) | instid1(SALU_CYCLE_1)
	s_or_b32 s62, s62, s22
	s_mul_u64 s[22:23], s[56:57], s[62:63]
	s_delay_alu instid0(SALU_CYCLE_1) | instskip(SKIP_1) | instid1(SALU_CYCLE_1)
	s_sub_co_u32 s22, s20, s22
	s_cselect_b32 s28, -1, 0
	s_cmp_lg_u32 s28, 0
	s_sub_co_ci_u32 s23, s21, s23
	s_sub_co_u32 s28, s22, s56
	s_cselect_b32 s62, -1, 0
	s_delay_alu instid0(SALU_CYCLE_1) | instskip(SKIP_3) | instid1(SALU_CYCLE_1)
	s_cmp_lg_u32 s62, 0
	s_sub_co_ci_u32 s62, s23, 0
	s_sub_co_u32 s63, s28, s56
	s_cselect_b32 s64, -1, 0
	s_cmp_lg_u32 s64, 0
	s_sub_co_ci_u32 s64, s62, 0
	s_cmp_ge_u32 s28, s56
	s_cselect_b32 s65, -1, 0
	s_cmp_eq_u32 s62, 0
	s_cselect_b32 s65, s65, -1
	s_delay_alu instid0(SALU_CYCLE_1)
	s_cmp_lg_u32 s65, 0
	s_cselect_b32 s62, s64, s62
	s_cselect_b32 s28, s63, s28
	s_cmp_ge_u32 s22, s56
	s_cselect_b32 s63, -1, 0
	s_cmp_eq_u32 s23, 0
	s_cselect_b32 s63, s63, -1
	s_delay_alu instid0(SALU_CYCLE_1)
	s_cmp_lg_u32 s63, 0
	s_cselect_b32 s23, s62, s23
	s_cselect_b32 s22, s28, s22
	s_cbranch_execnz .LBB222_291
.LBB222_290:                            ;   in Loop: Header=BB222_18 Depth=1
	v_cvt_f32_u32_e32 v2, s56
	s_sub_co_i32 s23, 0, s56
	s_delay_alu instid0(VALU_DEP_1) | instskip(SKIP_1) | instid1(TRANS32_DEP_1)
	v_rcp_iflag_f32_e32 v2, v2
	v_nop
	v_mul_f32_e32 v2, 0x4f7ffffe, v2
	s_delay_alu instid0(VALU_DEP_1) | instskip(NEXT) | instid1(VALU_DEP_1)
	v_cvt_u32_f32_e32 v2, v2
	v_readfirstlane_b32 s22, v2
	s_mul_i32 s23, s23, s22
	s_delay_alu instid0(SALU_CYCLE_1) | instskip(NEXT) | instid1(SALU_CYCLE_1)
	s_mul_hi_u32 s23, s22, s23
	s_add_co_i32 s22, s22, s23
	s_delay_alu instid0(SALU_CYCLE_1) | instskip(NEXT) | instid1(SALU_CYCLE_1)
	s_mul_hi_u32 s22, s20, s22
	s_mul_i32 s22, s22, s56
	s_delay_alu instid0(SALU_CYCLE_1) | instskip(NEXT) | instid1(SALU_CYCLE_1)
	s_sub_co_i32 s22, s20, s22
	s_sub_co_i32 s23, s22, s56
	s_cmp_ge_u32 s22, s56
	s_cselect_b32 s22, s23, s22
	s_delay_alu instid0(SALU_CYCLE_1) | instskip(SKIP_2) | instid1(SALU_CYCLE_1)
	s_sub_co_i32 s23, s22, s56
	s_cmp_ge_u32 s22, s56
	s_cselect_b32 s28, s23, s22
	s_mov_b64 s[22:23], s[28:29]
.LBB222_291:                            ;   in Loop: Header=BB222_18 Depth=1
	s_delay_alu instid0(SALU_CYCLE_1)
	s_sub_nc_u64 s[20:21], s[20:21], s[22:23]
	s_mov_b32 s23, 0
	s_mov_b32 s22, 0
	s_mov_b32 s28, exec_lo
                                        ; implicit-def: $vgpr36
	v_cmpx_gt_u64_e64 s[20:21], v[0:1]
	s_cbranch_execz .LBB222_301
; %bb.292:                              ;   in Loop: Header=BB222_18 Depth=1
	v_mov_b64_e32 v[4:5], v[0:1]
	v_mov_b32_e32 v2, v28
                                        ; implicit-def: $sgpr62
	s_branch .LBB222_295
.LBB222_293:                            ;   in Loop: Header=BB222_295 Depth=2
	s_or_b32 exec_lo, exec_lo, s63
	s_wait_dscnt 0x0
	s_barrier_signal -1
	s_barrier_wait -1
	ds_load_b32 v6, v3 offset:3072
	s_mov_b32 s63, -1
	s_mov_b32 s64, -1
	s_wait_dscnt 0x0
	s_barrier_signal -1
	s_barrier_wait -1
	v_and_b32_e32 v7, 0x7fff, v6
	s_delay_alu instid0(VALU_DEP_1)
	v_cmp_ne_u32_e32 vcc_lo, 0, v7
	s_cbranch_vccz .LBB222_298
.LBB222_294:                            ;   in Loop: Header=BB222_295 Depth=2
	s_and_b32 s3, exec_lo, s63
	s_delay_alu instid0(SALU_CYCLE_1) | instskip(SKIP_2) | instid1(SALU_CYCLE_1)
	s_or_b32 s22, s3, s22
	s_and_not1_b32 s3, s62, exec_lo
	s_and_b32 s40, s64, exec_lo
	s_or_b32 s62, s3, s40
	s_and_not1_b32 exec_lo, exec_lo, s22
	s_cbranch_execz .LBB222_300
.LBB222_295:                            ;   Parent Loop BB222_18 Depth=1
                                        ; =>  This Inner Loop Header: Depth=2
	s_mov_b32 s63, exec_lo
	s_delay_alu instid0(VALU_DEP_2)
	v_cmpx_gt_u64_e64 s[10:11], v[4:5]
	s_cbranch_execz .LBB222_293
; %bb.296:                              ;   in Loop: Header=BB222_295 Depth=2
	ds_load_u16 v6, v2
	s_wait_dscnt 0x0
	v_cmp_lt_i16_e32 vcc_lo, -1, v6
	v_and_b32_e32 v7, 0xffff, v6
	v_cndmask_b32_e32 v8, 0xffff, v34, vcc_lo
	s_delay_alu instid0(VALU_DEP_1) | instskip(NEXT) | instid1(VALU_DEP_1)
	v_dual_lshlrev_b32 v9, 16, v6 :: v_dual_bitop2_b32 v7, v8, v7 bitop3:0x14
	v_cmp_o_f32_e32 vcc_lo, v9, v9
	s_delay_alu instid0(VALU_DEP_2) | instskip(NEXT) | instid1(VALU_DEP_1)
	v_cndmask_b32_e32 v7, 0xffff, v7, vcc_lo
	v_and_b32_e32 v7, v7, v35
	s_delay_alu instid0(VALU_DEP_1)
	v_cmp_eq_u32_e32 vcc_lo, v7, v31
	s_and_b32 exec_lo, exec_lo, vcc_lo
	s_cbranch_execz .LBB222_293
; %bb.297:                              ;   in Loop: Header=BB222_295 Depth=2
	v_perm_b32 v6, v6, s73, 0x5040100
	ds_store_b32 v3, v6 offset:3072
	s_branch .LBB222_293
.LBB222_298:                            ;   in Loop: Header=BB222_295 Depth=2
	v_add_nc_u64_e32 v[4:5], s[56:57], v[4:5]
	v_add_nc_u32_e32 v2, s71, v2
	s_mov_b32 s64, 0
	s_delay_alu instid0(VALU_DEP_2)
	v_cmp_le_u64_e32 vcc_lo, s[20:21], v[4:5]
	s_or_not1_b32 s63, vcc_lo, exec_lo
	s_branch .LBB222_294
.LBB222_299:                            ;   in Loop: Header=BB222_18 Depth=1
	v_dual_mov_b32 v31, v8 :: v_dual_mov_b32 v35, v9
	v_mov_b32_e32 v36, v10
	s_mov_b32 s91, 0
	s_and_saveexec_b32 s9, s88
	s_cbranch_execnz .LBB222_476
	s_branch .LBB222_477
.LBB222_300:                            ;   in Loop: Header=BB222_18 Depth=1
	s_or_b32 exec_lo, exec_lo, s22
	v_lshrrev_b32_e32 v36, 16, v6
	s_and_b32 s22, s62, exec_lo
.LBB222_301:                            ;   in Loop: Header=BB222_18 Depth=1
	s_or_b32 exec_lo, exec_lo, s28
.LBB222_302:                            ;   in Loop: Header=BB222_18 Depth=1
	s_delay_alu instid0(SALU_CYCLE_1)
	s_and_b32 vcc_lo, exec_lo, s23
	s_cbranch_vccz .LBB222_316
; %bb.303:                              ;   in Loop: Header=BB222_18 Depth=1
	s_and_b64 s[10:11], s[76:77], 0xffffffff00000000
	s_delay_alu instid0(SALU_CYCLE_1)
	s_cmp_lg_u64 s[10:11], 0
	s_cbranch_scc0 .LBB222_344
; %bb.304:                              ;   in Loop: Header=BB222_18 Depth=1
	s_cvt_f32_u32 s10, s56
	s_sub_nc_u64 s[20:21], 0, s[56:57]
	s_delay_alu instid0(SALU_CYCLE_2) | instskip(NEXT) | instid1(SALU_CYCLE_3)
	s_fmamk_f32 s10, s72, 0x0, s10
	v_s_rcp_f32 s10, s10
	s_delay_alu instid0(TRANS32_DEP_1) | instskip(NEXT) | instid1(SALU_CYCLE_3)
	s_mul_f32 s10, s10, 0x5f7ffffc
	s_mul_f32 s11, s10, 0x2f800000
	s_delay_alu instid0(SALU_CYCLE_3) | instskip(NEXT) | instid1(SALU_CYCLE_3)
	s_trunc_f32 s11, s11
	s_fmamk_f32 s10, s11, 0xcf800000, s10
	s_cvt_u32_f32 s11, s11
	s_delay_alu instid0(SALU_CYCLE_2) | instskip(NEXT) | instid1(SALU_CYCLE_3)
	s_cvt_u32_f32 s10, s10
	s_mul_u64 s[62:63], s[20:21], s[10:11]
	s_delay_alu instid0(SALU_CYCLE_1)
	s_mul_hi_u32 s65, s10, s63
	s_mul_i32 s64, s10, s63
	s_mul_hi_u32 s28, s10, s62
	s_mul_i32 s26, s11, s62
	s_add_nc_u64 s[64:65], s[28:29], s[64:65]
	s_mul_hi_u32 s23, s11, s62
	s_mul_hi_u32 s66, s11, s63
	s_add_co_u32 s26, s64, s26
	s_add_co_ci_u32 s28, s65, s23
	s_mul_i32 s62, s11, s63
	s_add_co_ci_u32 s63, s66, 0
	s_delay_alu instid0(SALU_CYCLE_1) | instskip(NEXT) | instid1(SALU_CYCLE_1)
	s_add_nc_u64 s[62:63], s[28:29], s[62:63]
	s_add_co_u32 s10, s10, s62
	s_cselect_b32 s23, -1, 0
	s_delay_alu instid0(SALU_CYCLE_1) | instskip(SKIP_1) | instid1(SALU_CYCLE_1)
	s_cmp_lg_u32 s23, 0
	s_add_co_ci_u32 s11, s11, s63
	s_mul_u64 s[20:21], s[20:21], s[10:11]
	s_delay_alu instid0(SALU_CYCLE_1)
	s_mul_hi_u32 s63, s10, s21
	s_mul_i32 s62, s10, s21
	s_mul_hi_u32 s28, s10, s20
	s_mul_i32 s26, s11, s20
	s_add_nc_u64 s[62:63], s[28:29], s[62:63]
	s_mul_hi_u32 s23, s11, s20
	s_mul_hi_u32 s64, s11, s21
	s_mul_i32 s20, s11, s21
	s_add_co_u32 s21, s62, s26
	s_add_co_ci_u32 s28, s63, s23
	s_add_co_ci_u32 s21, s64, 0
	s_delay_alu instid0(SALU_CYCLE_1) | instskip(NEXT) | instid1(SALU_CYCLE_1)
	s_add_nc_u64 s[20:21], s[28:29], s[20:21]
	s_add_co_u32 s10, s10, s20
	s_cselect_b32 s20, -1, 0
	s_mul_hi_u32 s28, s76, s10
	s_cmp_lg_u32 s20, 0
	s_mul_hi_u32 s23, s77, s10
	s_add_co_ci_u32 s20, s11, s21
	s_mul_i32 s21, s77, s10
	s_mul_hi_u32 s11, s76, s20
	s_mul_i32 s10, s76, s20
	s_mul_hi_u32 s26, s77, s20
	s_add_nc_u64 s[10:11], s[28:29], s[10:11]
	s_mul_i32 s20, s77, s20
	s_add_co_u32 s10, s10, s21
	s_add_co_ci_u32 s28, s11, s23
	s_add_co_ci_u32 s21, s26, 0
	s_delay_alu instid0(SALU_CYCLE_1) | instskip(NEXT) | instid1(SALU_CYCLE_1)
	s_add_nc_u64 s[10:11], s[28:29], s[20:21]
	s_and_b64 s[20:21], s[10:11], 0xffffffff00000000
	s_delay_alu instid0(SALU_CYCLE_1) | instskip(NEXT) | instid1(SALU_CYCLE_1)
	s_or_b32 s20, s20, s10
	s_mul_u64 s[10:11], s[56:57], s[20:21]
	s_delay_alu instid0(SALU_CYCLE_1) | instskip(SKIP_1) | instid1(SALU_CYCLE_1)
	s_sub_co_u32 s10, s76, s10
	s_cselect_b32 s20, -1, 0
	s_cmp_lg_u32 s20, 0
	s_sub_co_ci_u32 s11, s77, s11
	s_sub_co_u32 s20, s10, s56
	s_cselect_b32 s21, -1, 0
	s_delay_alu instid0(SALU_CYCLE_1) | instskip(SKIP_3) | instid1(SALU_CYCLE_1)
	s_cmp_lg_u32 s21, 0
	s_sub_co_ci_u32 s21, s11, 0
	s_sub_co_u32 s23, s20, s56
	s_cselect_b32 s26, -1, 0
	s_cmp_lg_u32 s26, 0
	s_sub_co_ci_u32 s26, s21, 0
	s_cmp_ge_u32 s20, s56
	s_cselect_b32 s28, -1, 0
	s_cmp_eq_u32 s21, 0
	s_cselect_b32 s28, s28, -1
	s_delay_alu instid0(SALU_CYCLE_1)
	s_cmp_lg_u32 s28, 0
	s_cselect_b32 s21, s26, s21
	s_cselect_b32 s20, s23, s20
	s_cmp_ge_u32 s10, s56
	s_cselect_b32 s23, -1, 0
	s_cmp_eq_u32 s11, 0
	s_cselect_b32 s23, s23, -1
	s_delay_alu instid0(SALU_CYCLE_1)
	s_cmp_lg_u32 s23, 0
	s_cselect_b32 s11, s21, s11
	s_cselect_b32 s10, s20, s10
	s_cbranch_execnz .LBB222_306
.LBB222_305:                            ;   in Loop: Header=BB222_18 Depth=1
	v_cvt_f32_u32_e32 v2, s56
	s_sub_co_i32 s11, 0, s56
	s_delay_alu instid0(VALU_DEP_1) | instskip(SKIP_1) | instid1(TRANS32_DEP_1)
	v_rcp_iflag_f32_e32 v2, v2
	v_nop
	v_mul_f32_e32 v2, 0x4f7ffffe, v2
	s_delay_alu instid0(VALU_DEP_1) | instskip(NEXT) | instid1(VALU_DEP_1)
	v_cvt_u32_f32_e32 v2, v2
	v_readfirstlane_b32 s10, v2
	s_mul_i32 s11, s11, s10
	s_delay_alu instid0(SALU_CYCLE_1) | instskip(NEXT) | instid1(SALU_CYCLE_1)
	s_mul_hi_u32 s11, s10, s11
	s_add_co_i32 s10, s10, s11
	s_delay_alu instid0(SALU_CYCLE_1) | instskip(NEXT) | instid1(SALU_CYCLE_1)
	s_mul_hi_u32 s10, s76, s10
	s_mul_i32 s10, s10, s56
	s_delay_alu instid0(SALU_CYCLE_1) | instskip(NEXT) | instid1(SALU_CYCLE_1)
	s_sub_co_i32 s10, s76, s10
	s_sub_co_i32 s11, s10, s56
	s_cmp_ge_u32 s10, s56
	s_cselect_b32 s10, s11, s10
	s_delay_alu instid0(SALU_CYCLE_1) | instskip(SKIP_2) | instid1(SALU_CYCLE_1)
	s_sub_co_i32 s11, s10, s56
	s_cmp_ge_u32 s10, s56
	s_cselect_b32 s28, s11, s10
	s_mov_b64 s[10:11], s[28:29]
.LBB222_306:                            ;   in Loop: Header=BB222_18 Depth=1
	s_delay_alu instid0(SALU_CYCLE_1)
	s_sub_nc_u64 s[10:11], s[76:77], s[10:11]
	s_mov_b32 s20, exec_lo
                                        ; implicit-def: $vgpr36
	v_nop
	v_cmpx_gt_u64_e64 s[10:11], v[0:1]
	s_cbranch_execz .LBB222_315
; %bb.307:                              ;   in Loop: Header=BB222_18 Depth=1
	v_mov_b64_e32 v[4:5], v[0:1]
	s_mov_b32 s21, 0
                                        ; implicit-def: $sgpr23
	s_branch .LBB222_310
.LBB222_308:                            ;   in Loop: Header=BB222_310 Depth=2
	s_or_b32 exec_lo, exec_lo, s26
	s_wait_dscnt 0x0
	s_barrier_signal -1
	s_barrier_wait -1
	ds_load_b32 v2, v3 offset:3072
	s_mov_b32 s28, -1
	s_mov_b32 s26, -1
	s_wait_dscnt 0x0
	s_barrier_signal -1
	s_barrier_wait -1
	v_and_b32_e32 v6, 0x7fff, v2
	s_delay_alu instid0(VALU_DEP_1)
	v_cmp_ne_u32_e32 vcc_lo, 0, v6
	s_cbranch_vccz .LBB222_313
.LBB222_309:                            ;   in Loop: Header=BB222_310 Depth=2
	s_and_b32 s3, exec_lo, s28
	s_delay_alu instid0(SALU_CYCLE_1) | instskip(SKIP_2) | instid1(SALU_CYCLE_1)
	s_or_b32 s21, s3, s21
	s_and_not1_b32 s3, s23, exec_lo
	s_and_b32 s23, s26, exec_lo
	s_or_b32 s23, s3, s23
	s_and_not1_b32 exec_lo, exec_lo, s21
	s_cbranch_execz .LBB222_314
.LBB222_310:                            ;   Parent Loop BB222_18 Depth=1
                                        ; =>  This Inner Loop Header: Depth=2
	s_mov_b32 s26, exec_lo
	s_delay_alu instid0(VALU_DEP_1)
	v_cmpx_gt_u64_e64 s[36:37], v[4:5]
	s_cbranch_execz .LBB222_308
; %bb.311:                              ;   in Loop: Header=BB222_310 Depth=2
	v_mul_u64_e32 v[6:7], s[30:31], v[4:5]
	s_delay_alu instid0(VALU_DEP_1)
	v_lshl_add_u64 v[6:7], v[6:7], 1, s[34:35]
	global_load_u16 v2, v[6:7], off
	s_wait_loadcnt 0x0
	v_cmp_lt_i16_e32 vcc_lo, -1, v2
	v_and_b32_e32 v6, 0xffff, v2
	v_lshlrev_b32_e32 v8, 16, v2
	v_cndmask_b32_e32 v7, 0xffff, v34, vcc_lo
	s_delay_alu instid0(VALU_DEP_2) | instskip(NEXT) | instid1(VALU_DEP_2)
	v_cmp_o_f32_e32 vcc_lo, v8, v8
	v_xor_b32_e32 v6, v7, v6
	s_delay_alu instid0(VALU_DEP_1) | instskip(NEXT) | instid1(VALU_DEP_1)
	v_cndmask_b32_e32 v6, 0xffff, v6, vcc_lo
	v_and_b32_e32 v6, v6, v35
	s_delay_alu instid0(VALU_DEP_1)
	v_cmp_eq_u32_e32 vcc_lo, v6, v31
	s_and_b32 exec_lo, exec_lo, vcc_lo
	s_cbranch_execz .LBB222_308
; %bb.312:                              ;   in Loop: Header=BB222_310 Depth=2
	v_perm_b32 v2, v2, s73, 0x5040100
	ds_store_b32 v3, v2 offset:3072
	s_branch .LBB222_308
.LBB222_313:                            ;   in Loop: Header=BB222_310 Depth=2
	v_add_nc_u64_e32 v[4:5], s[56:57], v[4:5]
	s_mov_b32 s26, 0
	s_delay_alu instid0(VALU_DEP_1)
	v_cmp_le_u64_e32 vcc_lo, s[10:11], v[4:5]
	s_or_not1_b32 s28, vcc_lo, exec_lo
	s_branch .LBB222_309
.LBB222_314:                            ;   in Loop: Header=BB222_18 Depth=1
	s_or_b32 exec_lo, exec_lo, s21
	v_lshrrev_b32_e32 v36, 16, v2
	s_and_not1_b32 s3, s22, exec_lo
	s_and_b32 s10, s23, exec_lo
	s_delay_alu instid0(SALU_CYCLE_1)
	s_or_b32 s22, s3, s10
.LBB222_315:                            ;   in Loop: Header=BB222_18 Depth=1
	s_or_b32 exec_lo, exec_lo, s20
	s_mov_b32 s26, 0
	s_mov_b32 s91, -1
.LBB222_316:                            ;   in Loop: Header=BB222_18 Depth=1
	s_or_not1_b32 s10, s22, exec_lo
.LBB222_317:                            ;   in Loop: Header=BB222_18 Depth=1
	s_or_b32 exec_lo, exec_lo, s89
                                        ; implicit-def: $vgpr4_vgpr5
                                        ; implicit-def: $vgpr2
	s_and_saveexec_b32 s22, s10
	s_cbranch_execz .LBB222_475
; %bb.318:                              ;   in Loop: Header=BB222_18 Depth=1
	v_mov_b64_e32 v[4:5], 1
	v_mov_b32_e32 v2, 1
	s_xor_b32 s10, s9, -1
	s_mov_b32 s11, 0
	s_and_saveexec_b32 s9, s10
	s_cbranch_execz .LBB222_327
; %bb.319:                              ;   in Loop: Header=BB222_18 Depth=1
	s_mov_b32 s10, exec_lo
	v_cmpx_ge_u64_e64 s[18:19], v[22:23]
	s_xor_b32 s10, exec_lo, s10
	s_cbranch_execz .LBB222_324
; %bb.320:                              ;   in Loop: Header=BB222_18 Depth=1
	ds_load_b64 v[4:5], v3 offset:5120
	v_or_b32_e32 v31, s24, v31
	v_or_b32_e32 v35, s24, v35
	s_wait_dscnt 0x0
	v_cmp_ne_u64_e32 vcc_lo, 0, v[4:5]
	s_cbranch_vccnz .LBB222_324
; %bb.321:                              ;   in Loop: Header=BB222_18 Depth=1
	s_and_saveexec_b32 s11, s5
; %bb.322:                              ;   in Loop: Header=BB222_18 Depth=1
	v_mov_b64_e32 v[4:5], s[18:19]
	ds_store_b64 v3, v[4:5] offset:5128
; %bb.323:                              ;   in Loop: Header=BB222_18 Depth=1
	s_or_b32 exec_lo, exec_lo, s11
	s_wait_dscnt 0x0
	s_barrier_signal -1
	s_barrier_wait -1
.LBB222_324:                            ;   in Loop: Header=BB222_18 Depth=1
	s_or_saveexec_b32 s10, s10
	v_mov_b32_e32 v2, 5
	s_mov_b32 s11, 0
	s_xor_b32 exec_lo, exec_lo, s10
; %bb.325:                              ;   in Loop: Header=BB222_18 Depth=1
	v_sub_nc_u64_e64 v[22:23], v[22:23], s[18:19]
	v_mov_b32_e32 v2, 0
	s_mov_b32 s11, exec_lo
; %bb.326:                              ;   in Loop: Header=BB222_18 Depth=1
	s_or_b32 exec_lo, exec_lo, s10
	s_delay_alu instid0(VALU_DEP_2)
	v_mov_b64_e32 v[4:5], v[22:23]
	s_and_b32 s11, s11, exec_lo
.LBB222_327:                            ;   in Loop: Header=BB222_18 Depth=1
	s_or_b32 exec_lo, exec_lo, s9
	s_mov_b32 s10, -1
                                        ; implicit-def: $sgpr23
                                        ; implicit-def: $sgpr89
	s_and_saveexec_b32 s9, s11
	s_delay_alu instid0(SALU_CYCLE_1)
	s_xor_b32 s9, exec_lo, s9
	s_cbranch_execz .LBB222_472
; %bb.328:                              ;   in Loop: Header=BB222_18 Depth=1
	v_cmp_eq_u64_e32 vcc_lo, 1, v[4:5]
	s_cmp_eq_u64 s[16:17], 1
                                        ; implicit-def: $sgpr89
                                        ; implicit-def: $sgpr23
	s_cselect_b32 s10, -1, 0
	s_delay_alu instid0(SALU_CYCLE_1)
	s_and_b32 s90, s10, vcc_lo
	s_mov_b32 s10, -1
	s_and_saveexec_b32 s92, s90
	s_cbranch_execz .LBB222_362
; %bb.329:                              ;   in Loop: Header=BB222_18 Depth=1
	ds_load_b64 v[6:7], v3 offset:5120
	s_wait_dscnt 0x0
	s_barrier_signal -1
	s_barrier_wait -1
	v_readfirstlane_b32 s10, v6
	v_readfirstlane_b32 s11, v7
	s_and_saveexec_b32 s18, s6
; %bb.330:                              ;   in Loop: Header=BB222_18 Depth=1
	ds_store_b16 v29, v3
; %bb.331:                              ;   in Loop: Header=BB222_18 Depth=1
	s_or_b32 exec_lo, exec_lo, s18
	s_lshl_b32 s18, 2, s48
	v_or_b32_e32 v35, s24, v35
	v_and_or_b32 v31, v31, s25, s18
	s_mov_b32 s23, -1
	s_mov_b32 s89, 0
	s_cmp_eq_u64 s[10:11], 0
	s_mov_b32 s20, 0
	s_mov_b32 s21, -1
	s_wait_dscnt 0x0
	s_barrier_signal -1
	s_barrier_wait -1
                                        ; implicit-def: $vgpr36
	s_cbranch_scc1 .LBB222_347
; %bb.332:                              ;   in Loop: Header=BB222_18 Depth=1
	s_add_nc_u64 s[18:19], s[10:11], s[74:75]
	s_delay_alu instid0(SALU_CYCLE_1) | instskip(NEXT) | instid1(SALU_CYCLE_1)
	s_and_b64 s[20:21], s[18:19], 0xffffffff00000000
	s_cmp_lg_u64 s[20:21], 0
	s_cbranch_scc0 .LBB222_388
; %bb.333:                              ;   in Loop: Header=BB222_18 Depth=1
	s_cvt_f32_u32 s20, s56
	s_sub_nc_u64 s[62:63], 0, s[56:57]
	s_delay_alu instid0(SALU_CYCLE_2) | instskip(NEXT) | instid1(SALU_CYCLE_3)
	s_fmamk_f32 s20, s72, 0x0, s20
	v_s_rcp_f32 s20, s20
	s_delay_alu instid0(TRANS32_DEP_1) | instskip(NEXT) | instid1(SALU_CYCLE_3)
	s_mul_f32 s20, s20, 0x5f7ffffc
	s_mul_f32 s21, s20, 0x2f800000
	s_delay_alu instid0(SALU_CYCLE_3) | instskip(NEXT) | instid1(SALU_CYCLE_3)
	s_trunc_f32 s21, s21
	s_fmamk_f32 s20, s21, 0xcf800000, s20
	s_cvt_u32_f32 s21, s21
	s_delay_alu instid0(SALU_CYCLE_2) | instskip(NEXT) | instid1(SALU_CYCLE_3)
	s_cvt_u32_f32 s20, s20
	s_mul_u64 s[64:65], s[62:63], s[20:21]
	s_delay_alu instid0(SALU_CYCLE_1)
	s_mul_hi_u32 s67, s20, s65
	s_mul_i32 s66, s20, s65
	s_mul_hi_u32 s28, s20, s64
	s_mul_i32 s94, s21, s64
	s_add_nc_u64 s[66:67], s[28:29], s[66:67]
	s_mul_hi_u32 s93, s21, s64
	s_mul_hi_u32 s95, s21, s65
	s_add_co_u32 s28, s66, s94
	s_add_co_ci_u32 s28, s67, s93
	s_mul_i32 s64, s21, s65
	s_add_co_ci_u32 s65, s95, 0
	s_delay_alu instid0(SALU_CYCLE_1) | instskip(NEXT) | instid1(SALU_CYCLE_1)
	s_add_nc_u64 s[64:65], s[28:29], s[64:65]
	s_add_co_u32 s20, s20, s64
	s_cselect_b32 s28, -1, 0
	s_delay_alu instid0(SALU_CYCLE_1) | instskip(SKIP_1) | instid1(SALU_CYCLE_1)
	s_cmp_lg_u32 s28, 0
	s_add_co_ci_u32 s21, s21, s65
	s_mul_u64 s[62:63], s[62:63], s[20:21]
	s_delay_alu instid0(SALU_CYCLE_1)
	s_mul_hi_u32 s65, s20, s63
	s_mul_i32 s64, s20, s63
	s_mul_hi_u32 s28, s20, s62
	s_mul_i32 s67, s21, s62
	s_add_nc_u64 s[64:65], s[28:29], s[64:65]
	s_mul_hi_u32 s66, s21, s62
	s_mul_hi_u32 s93, s21, s63
	s_add_co_u32 s28, s64, s67
	s_add_co_ci_u32 s28, s65, s66
	s_mul_i32 s62, s21, s63
	s_add_co_ci_u32 s63, s93, 0
	s_delay_alu instid0(SALU_CYCLE_1) | instskip(NEXT) | instid1(SALU_CYCLE_1)
	s_add_nc_u64 s[62:63], s[28:29], s[62:63]
	s_add_co_u32 s20, s20, s62
	s_cselect_b32 s62, -1, 0
	s_mul_hi_u32 s28, s18, s20
	s_cmp_lg_u32 s62, 0
	s_mul_hi_u32 s64, s19, s20
	s_add_co_ci_u32 s62, s21, s63
	s_mul_i32 s63, s19, s20
	s_mul_hi_u32 s21, s18, s62
	s_mul_i32 s20, s18, s62
	s_mul_hi_u32 s65, s19, s62
	s_add_nc_u64 s[20:21], s[28:29], s[20:21]
	s_mul_i32 s62, s19, s62
	s_add_co_u32 s20, s20, s63
	s_add_co_ci_u32 s28, s21, s64
	s_add_co_ci_u32 s63, s65, 0
	s_delay_alu instid0(SALU_CYCLE_1) | instskip(NEXT) | instid1(SALU_CYCLE_1)
	s_add_nc_u64 s[20:21], s[28:29], s[62:63]
	s_and_b64 s[62:63], s[20:21], 0xffffffff00000000
	s_delay_alu instid0(SALU_CYCLE_1) | instskip(NEXT) | instid1(SALU_CYCLE_1)
	s_or_b32 s62, s62, s20
	s_mul_u64 s[20:21], s[56:57], s[62:63]
	s_delay_alu instid0(SALU_CYCLE_1) | instskip(SKIP_1) | instid1(SALU_CYCLE_1)
	s_sub_co_u32 s20, s18, s20
	s_cselect_b32 s28, -1, 0
	s_cmp_lg_u32 s28, 0
	s_sub_co_ci_u32 s21, s19, s21
	s_sub_co_u32 s28, s20, s56
	s_cselect_b32 s62, -1, 0
	s_delay_alu instid0(SALU_CYCLE_1) | instskip(SKIP_3) | instid1(SALU_CYCLE_1)
	s_cmp_lg_u32 s62, 0
	s_sub_co_ci_u32 s62, s21, 0
	s_sub_co_u32 s63, s28, s56
	s_cselect_b32 s64, -1, 0
	s_cmp_lg_u32 s64, 0
	s_sub_co_ci_u32 s64, s62, 0
	s_cmp_ge_u32 s28, s56
	s_cselect_b32 s65, -1, 0
	s_cmp_eq_u32 s62, 0
	s_cselect_b32 s65, s65, -1
	s_delay_alu instid0(SALU_CYCLE_1)
	s_cmp_lg_u32 s65, 0
	s_cselect_b32 s62, s64, s62
	s_cselect_b32 s28, s63, s28
	s_cmp_ge_u32 s20, s56
	s_cselect_b32 s63, -1, 0
	s_cmp_eq_u32 s21, 0
	s_cselect_b32 s63, s63, -1
	s_delay_alu instid0(SALU_CYCLE_1)
	s_cmp_lg_u32 s63, 0
	s_cselect_b32 s21, s62, s21
	s_cselect_b32 s20, s28, s20
	s_cbranch_execnz .LBB222_335
.LBB222_334:                            ;   in Loop: Header=BB222_18 Depth=1
	v_cvt_f32_u32_e32 v6, s56
	s_sub_co_i32 s21, 0, s56
	s_delay_alu instid0(VALU_DEP_1) | instskip(SKIP_1) | instid1(TRANS32_DEP_1)
	v_rcp_iflag_f32_e32 v6, v6
	v_nop
	v_mul_f32_e32 v6, 0x4f7ffffe, v6
	s_delay_alu instid0(VALU_DEP_1) | instskip(NEXT) | instid1(VALU_DEP_1)
	v_cvt_u32_f32_e32 v6, v6
	v_readfirstlane_b32 s20, v6
	s_mul_i32 s21, s21, s20
	s_delay_alu instid0(SALU_CYCLE_1) | instskip(NEXT) | instid1(SALU_CYCLE_1)
	s_mul_hi_u32 s21, s20, s21
	s_add_co_i32 s20, s20, s21
	s_delay_alu instid0(SALU_CYCLE_1) | instskip(NEXT) | instid1(SALU_CYCLE_1)
	s_mul_hi_u32 s20, s18, s20
	s_mul_i32 s20, s20, s56
	s_delay_alu instid0(SALU_CYCLE_1) | instskip(NEXT) | instid1(SALU_CYCLE_1)
	s_sub_co_i32 s20, s18, s20
	s_sub_co_i32 s21, s20, s56
	s_cmp_ge_u32 s20, s56
	s_cselect_b32 s20, s21, s20
	s_delay_alu instid0(SALU_CYCLE_1) | instskip(SKIP_2) | instid1(SALU_CYCLE_1)
	s_sub_co_i32 s21, s20, s56
	s_cmp_ge_u32 s20, s56
	s_cselect_b32 s28, s21, s20
	s_mov_b64 s[20:21], s[28:29]
.LBB222_335:                            ;   in Loop: Header=BB222_18 Depth=1
	s_delay_alu instid0(SALU_CYCLE_1)
	s_sub_nc_u64 s[18:19], s[18:19], s[20:21]
	s_mov_b32 s21, 0
	s_mov_b32 s20, 0
	s_mov_b32 s28, exec_lo
                                        ; implicit-def: $vgpr36
	v_cmpx_gt_u64_e64 s[18:19], v[0:1]
	s_cbranch_execz .LBB222_346
; %bb.336:                              ;   in Loop: Header=BB222_18 Depth=1
	v_mov_b64_e32 v[6:7], v[0:1]
	v_mov_b32_e32 v8, v28
                                        ; implicit-def: $sgpr62
	s_branch .LBB222_339
.LBB222_337:                            ;   in Loop: Header=BB222_339 Depth=2
	s_or_b32 exec_lo, exec_lo, s63
	s_wait_dscnt 0x0
	s_barrier_signal -1
	s_barrier_wait -1
	ds_load_b32 v9, v3 offset:3072
	s_mov_b32 s63, -1
	s_mov_b32 s64, -1
	s_wait_dscnt 0x0
	s_barrier_signal -1
	s_barrier_wait -1
	v_and_b32_e32 v10, 0x7fff, v9
	s_delay_alu instid0(VALU_DEP_1)
	v_cmp_ne_u32_e32 vcc_lo, 0, v10
	s_cbranch_vccz .LBB222_342
.LBB222_338:                            ;   in Loop: Header=BB222_339 Depth=2
	s_and_b32 s3, exec_lo, s63
	s_delay_alu instid0(SALU_CYCLE_1) | instskip(SKIP_2) | instid1(SALU_CYCLE_1)
	s_or_b32 s20, s3, s20
	s_and_not1_b32 s3, s62, exec_lo
	s_and_b32 s40, s64, exec_lo
	s_or_b32 s62, s3, s40
	s_and_not1_b32 exec_lo, exec_lo, s20
	s_cbranch_execz .LBB222_345
.LBB222_339:                            ;   Parent Loop BB222_18 Depth=1
                                        ; =>  This Inner Loop Header: Depth=2
	s_mov_b32 s63, exec_lo
	s_delay_alu instid0(VALU_DEP_2)
	v_cmpx_gt_u64_e64 s[10:11], v[6:7]
	s_cbranch_execz .LBB222_337
; %bb.340:                              ;   in Loop: Header=BB222_339 Depth=2
	ds_load_u16 v9, v8
	s_wait_dscnt 0x0
	v_cmp_lt_i16_e32 vcc_lo, -1, v9
	v_and_b32_e32 v10, 0xffff, v9
	v_dual_cndmask_b32 v11, 0xffff, v34 :: v_dual_lshlrev_b32 v22, 16, v9
	s_delay_alu instid0(VALU_DEP_1) | instskip(NEXT) | instid1(VALU_DEP_2)
	v_cmp_o_f32_e32 vcc_lo, v22, v22
	v_xor_b32_e32 v10, v11, v10
	s_delay_alu instid0(VALU_DEP_1) | instskip(NEXT) | instid1(VALU_DEP_1)
	v_cndmask_b32_e32 v10, 0xffff, v10, vcc_lo
	v_and_b32_e32 v10, v10, v35
	s_delay_alu instid0(VALU_DEP_1)
	v_cmp_eq_u32_e32 vcc_lo, v10, v31
	s_and_b32 exec_lo, exec_lo, vcc_lo
	s_cbranch_execz .LBB222_337
; %bb.341:                              ;   in Loop: Header=BB222_339 Depth=2
	v_perm_b32 v9, v9, s73, 0x5040100
	ds_store_b32 v3, v9 offset:3072
	s_branch .LBB222_337
.LBB222_342:                            ;   in Loop: Header=BB222_339 Depth=2
	v_add_nc_u64_e32 v[6:7], s[56:57], v[6:7]
	v_add_nc_u32_e32 v8, s71, v8
	s_mov_b32 s64, 0
	s_delay_alu instid0(VALU_DEP_2)
	v_cmp_le_u64_e32 vcc_lo, s[18:19], v[6:7]
	s_or_not1_b32 s63, vcc_lo, exec_lo
	s_branch .LBB222_338
.LBB222_343:                            ;   in Loop: Header=BB222_18 Depth=1
                                        ; implicit-def: $sgpr22_sgpr23
	s_branch .LBB222_290
.LBB222_344:                            ;   in Loop: Header=BB222_18 Depth=1
                                        ; implicit-def: $sgpr10_sgpr11
	s_branch .LBB222_305
.LBB222_345:                            ;   in Loop: Header=BB222_18 Depth=1
	s_or_b32 exec_lo, exec_lo, s20
	v_lshrrev_b32_e32 v36, 16, v9
	s_and_b32 s20, s62, exec_lo
.LBB222_346:                            ;   in Loop: Header=BB222_18 Depth=1
	s_or_b32 exec_lo, exec_lo, s28
.LBB222_347:                            ;   in Loop: Header=BB222_18 Depth=1
	s_delay_alu instid0(SALU_CYCLE_1)
	s_and_b32 vcc_lo, exec_lo, s21
	s_cbranch_vccz .LBB222_361
; %bb.348:                              ;   in Loop: Header=BB222_18 Depth=1
	s_and_b64 s[10:11], s[76:77], 0xffffffff00000000
	s_delay_alu instid0(SALU_CYCLE_1)
	s_cmp_lg_u64 s[10:11], 0
	s_cbranch_scc0 .LBB222_389
; %bb.349:                              ;   in Loop: Header=BB222_18 Depth=1
	s_cvt_f32_u32 s10, s56
	s_sub_nc_u64 s[18:19], 0, s[56:57]
	s_delay_alu instid0(SALU_CYCLE_2) | instskip(NEXT) | instid1(SALU_CYCLE_3)
	s_fmamk_f32 s10, s72, 0x0, s10
	v_s_rcp_f32 s10, s10
	s_delay_alu instid0(TRANS32_DEP_1) | instskip(NEXT) | instid1(SALU_CYCLE_3)
	s_mul_f32 s10, s10, 0x5f7ffffc
	s_mul_f32 s11, s10, 0x2f800000
	s_delay_alu instid0(SALU_CYCLE_3) | instskip(NEXT) | instid1(SALU_CYCLE_3)
	s_trunc_f32 s11, s11
	s_fmamk_f32 s10, s11, 0xcf800000, s10
	s_cvt_u32_f32 s11, s11
	s_delay_alu instid0(SALU_CYCLE_2) | instskip(NEXT) | instid1(SALU_CYCLE_3)
	s_cvt_u32_f32 s10, s10
	s_mul_u64 s[62:63], s[18:19], s[10:11]
	s_delay_alu instid0(SALU_CYCLE_1)
	s_mul_hi_u32 s65, s10, s63
	s_mul_i32 s64, s10, s63
	s_mul_hi_u32 s28, s10, s62
	s_mul_i32 s23, s11, s62
	s_add_nc_u64 s[64:65], s[28:29], s[64:65]
	s_mul_hi_u32 s21, s11, s62
	s_mul_hi_u32 s66, s11, s63
	s_add_co_u32 s23, s64, s23
	s_add_co_ci_u32 s28, s65, s21
	s_mul_i32 s62, s11, s63
	s_add_co_ci_u32 s63, s66, 0
	s_delay_alu instid0(SALU_CYCLE_1) | instskip(NEXT) | instid1(SALU_CYCLE_1)
	s_add_nc_u64 s[62:63], s[28:29], s[62:63]
	s_add_co_u32 s10, s10, s62
	s_cselect_b32 s21, -1, 0
	s_delay_alu instid0(SALU_CYCLE_1) | instskip(SKIP_1) | instid1(SALU_CYCLE_1)
	s_cmp_lg_u32 s21, 0
	s_add_co_ci_u32 s11, s11, s63
	s_mul_u64 s[18:19], s[18:19], s[10:11]
	s_delay_alu instid0(SALU_CYCLE_1)
	s_mul_hi_u32 s63, s10, s19
	s_mul_i32 s62, s10, s19
	s_mul_hi_u32 s28, s10, s18
	s_mul_i32 s23, s11, s18
	s_add_nc_u64 s[62:63], s[28:29], s[62:63]
	s_mul_hi_u32 s21, s11, s18
	s_mul_hi_u32 s64, s11, s19
	s_mul_i32 s18, s11, s19
	s_add_co_u32 s19, s62, s23
	s_add_co_ci_u32 s28, s63, s21
	s_add_co_ci_u32 s19, s64, 0
	s_delay_alu instid0(SALU_CYCLE_1) | instskip(NEXT) | instid1(SALU_CYCLE_1)
	s_add_nc_u64 s[18:19], s[28:29], s[18:19]
	s_add_co_u32 s10, s10, s18
	s_cselect_b32 s18, -1, 0
	s_mul_hi_u32 s28, s76, s10
	s_cmp_lg_u32 s18, 0
	s_mul_hi_u32 s21, s77, s10
	s_add_co_ci_u32 s18, s11, s19
	s_mul_i32 s19, s77, s10
	s_mul_hi_u32 s11, s76, s18
	s_mul_i32 s10, s76, s18
	s_mul_hi_u32 s23, s77, s18
	s_add_nc_u64 s[10:11], s[28:29], s[10:11]
	s_mul_i32 s18, s77, s18
	s_add_co_u32 s10, s10, s19
	s_add_co_ci_u32 s28, s11, s21
	s_add_co_ci_u32 s19, s23, 0
	s_delay_alu instid0(SALU_CYCLE_1) | instskip(NEXT) | instid1(SALU_CYCLE_1)
	s_add_nc_u64 s[10:11], s[28:29], s[18:19]
	s_and_b64 s[18:19], s[10:11], 0xffffffff00000000
	s_delay_alu instid0(SALU_CYCLE_1) | instskip(NEXT) | instid1(SALU_CYCLE_1)
	s_or_b32 s18, s18, s10
	s_mul_u64 s[10:11], s[56:57], s[18:19]
	s_delay_alu instid0(SALU_CYCLE_1) | instskip(SKIP_1) | instid1(SALU_CYCLE_1)
	s_sub_co_u32 s10, s76, s10
	s_cselect_b32 s18, -1, 0
	s_cmp_lg_u32 s18, 0
	s_sub_co_ci_u32 s11, s77, s11
	s_sub_co_u32 s18, s10, s56
	s_cselect_b32 s19, -1, 0
	s_delay_alu instid0(SALU_CYCLE_1) | instskip(SKIP_3) | instid1(SALU_CYCLE_1)
	s_cmp_lg_u32 s19, 0
	s_sub_co_ci_u32 s19, s11, 0
	s_sub_co_u32 s21, s18, s56
	s_cselect_b32 s23, -1, 0
	s_cmp_lg_u32 s23, 0
	s_sub_co_ci_u32 s23, s19, 0
	s_cmp_ge_u32 s18, s56
	s_cselect_b32 s28, -1, 0
	s_cmp_eq_u32 s19, 0
	s_cselect_b32 s28, s28, -1
	s_delay_alu instid0(SALU_CYCLE_1)
	s_cmp_lg_u32 s28, 0
	s_cselect_b32 s19, s23, s19
	s_cselect_b32 s18, s21, s18
	s_cmp_ge_u32 s10, s56
	s_cselect_b32 s21, -1, 0
	s_cmp_eq_u32 s11, 0
	s_cselect_b32 s21, s21, -1
	s_delay_alu instid0(SALU_CYCLE_1)
	s_cmp_lg_u32 s21, 0
	s_cselect_b32 s11, s19, s11
	s_cselect_b32 s10, s18, s10
	s_cbranch_execnz .LBB222_351
.LBB222_350:                            ;   in Loop: Header=BB222_18 Depth=1
	v_cvt_f32_u32_e32 v6, s56
	s_sub_co_i32 s11, 0, s56
	s_delay_alu instid0(VALU_DEP_1) | instskip(SKIP_1) | instid1(TRANS32_DEP_1)
	v_rcp_iflag_f32_e32 v6, v6
	v_nop
	v_mul_f32_e32 v6, 0x4f7ffffe, v6
	s_delay_alu instid0(VALU_DEP_1) | instskip(NEXT) | instid1(VALU_DEP_1)
	v_cvt_u32_f32_e32 v6, v6
	v_readfirstlane_b32 s10, v6
	s_mul_i32 s11, s11, s10
	s_delay_alu instid0(SALU_CYCLE_1) | instskip(NEXT) | instid1(SALU_CYCLE_1)
	s_mul_hi_u32 s11, s10, s11
	s_add_co_i32 s10, s10, s11
	s_delay_alu instid0(SALU_CYCLE_1) | instskip(NEXT) | instid1(SALU_CYCLE_1)
	s_mul_hi_u32 s10, s76, s10
	s_mul_i32 s10, s10, s56
	s_delay_alu instid0(SALU_CYCLE_1) | instskip(NEXT) | instid1(SALU_CYCLE_1)
	s_sub_co_i32 s10, s76, s10
	s_sub_co_i32 s11, s10, s56
	s_cmp_ge_u32 s10, s56
	s_cselect_b32 s10, s11, s10
	s_delay_alu instid0(SALU_CYCLE_1) | instskip(SKIP_2) | instid1(SALU_CYCLE_1)
	s_sub_co_i32 s11, s10, s56
	s_cmp_ge_u32 s10, s56
	s_cselect_b32 s28, s11, s10
	s_mov_b64 s[10:11], s[28:29]
.LBB222_351:                            ;   in Loop: Header=BB222_18 Depth=1
	s_delay_alu instid0(SALU_CYCLE_1)
	s_sub_nc_u64 s[10:11], s[76:77], s[10:11]
	s_mov_b32 s18, exec_lo
                                        ; implicit-def: $vgpr36
	v_nop
	v_cmpx_gt_u64_e64 s[10:11], v[0:1]
	s_cbranch_execz .LBB222_360
; %bb.352:                              ;   in Loop: Header=BB222_18 Depth=1
	v_mov_b64_e32 v[6:7], v[0:1]
	s_mov_b32 s19, 0
                                        ; implicit-def: $sgpr21
	s_branch .LBB222_355
.LBB222_353:                            ;   in Loop: Header=BB222_355 Depth=2
	s_or_b32 exec_lo, exec_lo, s23
	s_wait_dscnt 0x0
	s_barrier_signal -1
	s_barrier_wait -1
	ds_load_b32 v8, v3 offset:3072
	s_mov_b32 s28, -1
	s_mov_b32 s23, -1
	s_wait_dscnt 0x0
	s_barrier_signal -1
	s_barrier_wait -1
	v_and_b32_e32 v9, 0x7fff, v8
	s_delay_alu instid0(VALU_DEP_1)
	v_cmp_eq_u32_e32 vcc_lo, 0, v9
	s_cbranch_vccnz .LBB222_358
.LBB222_354:                            ;   in Loop: Header=BB222_355 Depth=2
	s_and_b32 s3, exec_lo, s28
	s_delay_alu instid0(SALU_CYCLE_1) | instskip(SKIP_2) | instid1(SALU_CYCLE_1)
	s_or_b32 s19, s3, s19
	s_and_not1_b32 s3, s21, exec_lo
	s_and_b32 s21, s23, exec_lo
	s_or_b32 s21, s3, s21
	s_and_not1_b32 exec_lo, exec_lo, s19
	s_cbranch_execz .LBB222_359
.LBB222_355:                            ;   Parent Loop BB222_18 Depth=1
                                        ; =>  This Inner Loop Header: Depth=2
	s_mov_b32 s23, exec_lo
	s_delay_alu instid0(VALU_DEP_1)
	v_cmpx_gt_u64_e64 s[36:37], v[6:7]
	s_cbranch_execz .LBB222_353
; %bb.356:                              ;   in Loop: Header=BB222_355 Depth=2
	v_mul_u64_e32 v[8:9], s[30:31], v[6:7]
	s_delay_alu instid0(VALU_DEP_1)
	v_lshl_add_u64 v[8:9], v[8:9], 1, s[34:35]
	global_load_u16 v8, v[8:9], off
	s_wait_loadcnt 0x0
	v_cmp_lt_i16_e32 vcc_lo, -1, v8
	v_and_b32_e32 v9, 0xffff, v8
	v_dual_cndmask_b32 v10, 0xffff, v34 :: v_dual_lshlrev_b32 v11, 16, v8
	s_delay_alu instid0(VALU_DEP_1) | instskip(NEXT) | instid1(VALU_DEP_2)
	v_cmp_o_f32_e32 vcc_lo, v11, v11
	v_xor_b32_e32 v9, v10, v9
	s_delay_alu instid0(VALU_DEP_1) | instskip(NEXT) | instid1(VALU_DEP_1)
	v_cndmask_b32_e32 v9, 0xffff, v9, vcc_lo
	v_and_b32_e32 v9, v9, v35
	s_delay_alu instid0(VALU_DEP_1)
	v_cmp_eq_u32_e32 vcc_lo, v9, v31
	s_and_b32 exec_lo, exec_lo, vcc_lo
	s_cbranch_execz .LBB222_353
; %bb.357:                              ;   in Loop: Header=BB222_355 Depth=2
	v_perm_b32 v8, v8, s73, 0x5040100
	ds_store_b32 v3, v8 offset:3072
	s_branch .LBB222_353
.LBB222_358:                            ;   in Loop: Header=BB222_355 Depth=2
	v_add_nc_u64_e32 v[6:7], s[56:57], v[6:7]
	s_mov_b32 s23, 0
	s_delay_alu instid0(VALU_DEP_1)
	v_cmp_le_u64_e32 vcc_lo, s[10:11], v[6:7]
	s_or_not1_b32 s28, vcc_lo, exec_lo
	s_branch .LBB222_354
.LBB222_359:                            ;   in Loop: Header=BB222_18 Depth=1
	s_or_b32 exec_lo, exec_lo, s19
	v_lshrrev_b32_e32 v36, 16, v8
	s_and_not1_b32 s3, s20, exec_lo
	s_and_b32 s10, s21, exec_lo
	s_delay_alu instid0(SALU_CYCLE_1)
	s_or_b32 s20, s3, s10
.LBB222_360:                            ;   in Loop: Header=BB222_18 Depth=1
	s_or_b32 exec_lo, exec_lo, s18
	s_mov_b32 s23, 0
	s_mov_b32 s89, -1
.LBB222_361:                            ;   in Loop: Header=BB222_18 Depth=1
	s_or_not1_b32 s10, s20, exec_lo
.LBB222_362:                            ;   in Loop: Header=BB222_18 Depth=1
	s_or_b32 exec_lo, exec_lo, s92
	s_mov_b32 s11, 0
	s_and_saveexec_b32 s20, s10
	s_cbranch_execz .LBB222_471
; %bb.363:                              ;   in Loop: Header=BB222_18 Depth=1
	v_mov_b64_e32 v[6:7], 1
	v_mov_b32_e32 v2, 1
	s_xor_b32 s18, s90, -1
	s_delay_alu instid0(SALU_CYCLE_1)
	s_and_saveexec_b32 s10, s18
	s_cbranch_execz .LBB222_372
; %bb.364:                              ;   in Loop: Header=BB222_18 Depth=1
	s_mov_b32 s11, exec_lo
	v_cmpx_ge_u64_e64 s[16:17], v[4:5]
	s_xor_b32 s11, exec_lo, s11
	s_cbranch_execz .LBB222_369
; %bb.365:                              ;   in Loop: Header=BB222_18 Depth=1
	ds_load_b64 v[6:7], v3 offset:5120
	s_lshl_b32 s18, 2, s48
	v_or_b32_e32 v35, s24, v35
	v_and_or_b32 v31, v31, s25, s18
	s_wait_dscnt 0x0
	v_cmp_ne_u64_e32 vcc_lo, 0, v[6:7]
	s_cbranch_vccnz .LBB222_369
; %bb.366:                              ;   in Loop: Header=BB222_18 Depth=1
	s_and_saveexec_b32 s18, s5
; %bb.367:                              ;   in Loop: Header=BB222_18 Depth=1
	v_mov_b64_e32 v[6:7], s[16:17]
	ds_store_b64 v3, v[6:7] offset:5128
; %bb.368:                              ;   in Loop: Header=BB222_18 Depth=1
	s_or_b32 exec_lo, exec_lo, s18
	s_wait_dscnt 0x0
	s_barrier_signal -1
	s_barrier_wait -1
.LBB222_369:                            ;   in Loop: Header=BB222_18 Depth=1
	s_or_saveexec_b32 s11, s11
	v_mov_b32_e32 v2, 5
	s_mov_b32 s18, 0
	s_xor_b32 exec_lo, exec_lo, s11
; %bb.370:                              ;   in Loop: Header=BB222_18 Depth=1
	v_sub_nc_u64_e64 v[4:5], v[4:5], s[16:17]
	v_mov_b32_e32 v2, 0
	s_mov_b32 s18, exec_lo
; %bb.371:                              ;   in Loop: Header=BB222_18 Depth=1
	s_or_b32 exec_lo, exec_lo, s11
	s_delay_alu instid0(VALU_DEP_2)
	v_mov_b64_e32 v[6:7], v[4:5]
	s_and_b32 s11, s18, exec_lo
.LBB222_372:                            ;   in Loop: Header=BB222_18 Depth=1
	s_or_b32 exec_lo, exec_lo, s10
	s_mov_b32 s10, -1
                                        ; implicit-def: $sgpr90
                                        ; implicit-def: $sgpr92
	s_and_saveexec_b32 s21, s11
	s_cbranch_execz .LBB222_470
; %bb.373:                              ;   in Loop: Header=BB222_18 Depth=1
	s_delay_alu instid0(VALU_DEP_1) | instskip(SKIP_2) | instid1(SALU_CYCLE_1)
	v_cmp_eq_u64_e32 vcc_lo, 1, v[6:7]
	s_cmp_eq_u64 s[14:15], 1
                                        ; implicit-def: $sgpr92
                                        ; implicit-def: $sgpr90
	s_cselect_b32 s10, -1, 0
	s_and_b32 s93, s10, vcc_lo
	s_mov_b32 s10, -1
	s_and_saveexec_b32 s94, s93
	s_cbranch_execz .LBB222_407
; %bb.374:                              ;   in Loop: Header=BB222_18 Depth=1
	ds_load_b64 v[4:5], v3 offset:5120
	s_wait_dscnt 0x0
	s_barrier_signal -1
	s_barrier_wait -1
	v_readfirstlane_b32 s10, v4
	v_readfirstlane_b32 s11, v5
	s_and_saveexec_b32 s16, s6
; %bb.375:                              ;   in Loop: Header=BB222_18 Depth=1
	ds_store_b16 v29, v3
; %bb.376:                              ;   in Loop: Header=BB222_18 Depth=1
	s_or_b32 exec_lo, exec_lo, s16
	s_lshl_b32 s16, 1, s48
	v_or_b32_e32 v35, s24, v35
	v_and_or_b32 v31, v31, s25, s16
	s_mov_b32 s90, -1
	s_mov_b32 s92, 0
	s_cmp_eq_u64 s[10:11], 0
	s_mov_b32 s18, 0
	s_mov_b32 s19, -1
	s_wait_dscnt 0x0
	s_barrier_signal -1
	s_barrier_wait -1
                                        ; implicit-def: $vgpr36
	s_cbranch_scc1 .LBB222_392
; %bb.377:                              ;   in Loop: Header=BB222_18 Depth=1
	s_add_nc_u64 s[16:17], s[10:11], s[74:75]
	s_delay_alu instid0(SALU_CYCLE_1) | instskip(NEXT) | instid1(SALU_CYCLE_1)
	s_and_b64 s[18:19], s[16:17], 0xffffffff00000000
	s_cmp_lg_u64 s[18:19], 0
	s_cbranch_scc0 .LBB222_424
; %bb.378:                              ;   in Loop: Header=BB222_18 Depth=1
	s_cvt_f32_u32 s18, s56
	s_sub_nc_u64 s[62:63], 0, s[56:57]
	s_delay_alu instid0(SALU_CYCLE_2) | instskip(NEXT) | instid1(SALU_CYCLE_3)
	s_fmamk_f32 s18, s72, 0x0, s18
	v_s_rcp_f32 s18, s18
	s_delay_alu instid0(TRANS32_DEP_1) | instskip(NEXT) | instid1(SALU_CYCLE_3)
	s_mul_f32 s18, s18, 0x5f7ffffc
	s_mul_f32 s19, s18, 0x2f800000
	s_delay_alu instid0(SALU_CYCLE_3) | instskip(NEXT) | instid1(SALU_CYCLE_3)
	s_trunc_f32 s19, s19
	s_fmamk_f32 s18, s19, 0xcf800000, s18
	s_cvt_u32_f32 s19, s19
	s_delay_alu instid0(SALU_CYCLE_2) | instskip(NEXT) | instid1(SALU_CYCLE_3)
	s_cvt_u32_f32 s18, s18
	s_mul_u64 s[64:65], s[62:63], s[18:19]
	s_delay_alu instid0(SALU_CYCLE_1)
	s_mul_hi_u32 s67, s18, s65
	s_mul_i32 s66, s18, s65
	s_mul_hi_u32 s28, s18, s64
	s_mul_i32 s96, s19, s64
	s_add_nc_u64 s[66:67], s[28:29], s[66:67]
	s_mul_hi_u32 s95, s19, s64
	s_mul_hi_u32 s97, s19, s65
	s_add_co_u32 s28, s66, s96
	s_add_co_ci_u32 s28, s67, s95
	s_mul_i32 s64, s19, s65
	s_add_co_ci_u32 s65, s97, 0
	s_delay_alu instid0(SALU_CYCLE_1) | instskip(NEXT) | instid1(SALU_CYCLE_1)
	s_add_nc_u64 s[64:65], s[28:29], s[64:65]
	s_add_co_u32 s18, s18, s64
	s_cselect_b32 s28, -1, 0
	s_delay_alu instid0(SALU_CYCLE_1) | instskip(SKIP_1) | instid1(SALU_CYCLE_1)
	s_cmp_lg_u32 s28, 0
	s_add_co_ci_u32 s19, s19, s65
	s_mul_u64 s[62:63], s[62:63], s[18:19]
	s_delay_alu instid0(SALU_CYCLE_1)
	s_mul_hi_u32 s65, s18, s63
	s_mul_i32 s64, s18, s63
	s_mul_hi_u32 s28, s18, s62
	s_mul_i32 s67, s19, s62
	s_add_nc_u64 s[64:65], s[28:29], s[64:65]
	s_mul_hi_u32 s66, s19, s62
	s_mul_hi_u32 s95, s19, s63
	s_add_co_u32 s28, s64, s67
	s_add_co_ci_u32 s28, s65, s66
	s_mul_i32 s62, s19, s63
	s_add_co_ci_u32 s63, s95, 0
	s_delay_alu instid0(SALU_CYCLE_1) | instskip(NEXT) | instid1(SALU_CYCLE_1)
	s_add_nc_u64 s[62:63], s[28:29], s[62:63]
	s_add_co_u32 s18, s18, s62
	s_cselect_b32 s62, -1, 0
	s_mul_hi_u32 s28, s16, s18
	s_cmp_lg_u32 s62, 0
	s_mul_hi_u32 s64, s17, s18
	s_add_co_ci_u32 s62, s19, s63
	s_mul_i32 s63, s17, s18
	s_mul_hi_u32 s19, s16, s62
	s_mul_i32 s18, s16, s62
	s_mul_hi_u32 s65, s17, s62
	s_add_nc_u64 s[18:19], s[28:29], s[18:19]
	s_mul_i32 s62, s17, s62
	s_add_co_u32 s18, s18, s63
	s_add_co_ci_u32 s28, s19, s64
	s_add_co_ci_u32 s63, s65, 0
	s_delay_alu instid0(SALU_CYCLE_1) | instskip(NEXT) | instid1(SALU_CYCLE_1)
	s_add_nc_u64 s[18:19], s[28:29], s[62:63]
	s_and_b64 s[62:63], s[18:19], 0xffffffff00000000
	s_delay_alu instid0(SALU_CYCLE_1) | instskip(NEXT) | instid1(SALU_CYCLE_1)
	s_or_b32 s62, s62, s18
	s_mul_u64 s[18:19], s[56:57], s[62:63]
	s_delay_alu instid0(SALU_CYCLE_1) | instskip(SKIP_1) | instid1(SALU_CYCLE_1)
	s_sub_co_u32 s18, s16, s18
	s_cselect_b32 s28, -1, 0
	s_cmp_lg_u32 s28, 0
	s_sub_co_ci_u32 s19, s17, s19
	s_sub_co_u32 s28, s18, s56
	s_cselect_b32 s62, -1, 0
	s_delay_alu instid0(SALU_CYCLE_1) | instskip(SKIP_3) | instid1(SALU_CYCLE_1)
	s_cmp_lg_u32 s62, 0
	s_sub_co_ci_u32 s62, s19, 0
	s_sub_co_u32 s63, s28, s56
	s_cselect_b32 s64, -1, 0
	s_cmp_lg_u32 s64, 0
	s_sub_co_ci_u32 s64, s62, 0
	s_cmp_ge_u32 s28, s56
	s_cselect_b32 s65, -1, 0
	s_cmp_eq_u32 s62, 0
	s_cselect_b32 s65, s65, -1
	s_delay_alu instid0(SALU_CYCLE_1)
	s_cmp_lg_u32 s65, 0
	s_cselect_b32 s62, s64, s62
	s_cselect_b32 s28, s63, s28
	s_cmp_ge_u32 s18, s56
	s_cselect_b32 s63, -1, 0
	s_cmp_eq_u32 s19, 0
	s_cselect_b32 s63, s63, -1
	s_delay_alu instid0(SALU_CYCLE_1)
	s_cmp_lg_u32 s63, 0
	s_cselect_b32 s19, s62, s19
	s_cselect_b32 s18, s28, s18
	s_cbranch_execnz .LBB222_380
.LBB222_379:                            ;   in Loop: Header=BB222_18 Depth=1
	v_cvt_f32_u32_e32 v4, s56
	s_sub_co_i32 s19, 0, s56
	s_delay_alu instid0(VALU_DEP_1) | instskip(SKIP_1) | instid1(TRANS32_DEP_1)
	v_rcp_iflag_f32_e32 v4, v4
	v_nop
	v_mul_f32_e32 v4, 0x4f7ffffe, v4
	s_delay_alu instid0(VALU_DEP_1) | instskip(NEXT) | instid1(VALU_DEP_1)
	v_cvt_u32_f32_e32 v4, v4
	v_readfirstlane_b32 s18, v4
	s_mul_i32 s19, s19, s18
	s_delay_alu instid0(SALU_CYCLE_1) | instskip(NEXT) | instid1(SALU_CYCLE_1)
	s_mul_hi_u32 s19, s18, s19
	s_add_co_i32 s18, s18, s19
	s_delay_alu instid0(SALU_CYCLE_1) | instskip(NEXT) | instid1(SALU_CYCLE_1)
	s_mul_hi_u32 s18, s16, s18
	s_mul_i32 s18, s18, s56
	s_delay_alu instid0(SALU_CYCLE_1) | instskip(NEXT) | instid1(SALU_CYCLE_1)
	s_sub_co_i32 s18, s16, s18
	s_sub_co_i32 s19, s18, s56
	s_cmp_ge_u32 s18, s56
	s_cselect_b32 s18, s19, s18
	s_delay_alu instid0(SALU_CYCLE_1) | instskip(SKIP_2) | instid1(SALU_CYCLE_1)
	s_sub_co_i32 s19, s18, s56
	s_cmp_ge_u32 s18, s56
	s_cselect_b32 s28, s19, s18
	s_mov_b64 s[18:19], s[28:29]
.LBB222_380:                            ;   in Loop: Header=BB222_18 Depth=1
	s_delay_alu instid0(SALU_CYCLE_1)
	s_sub_nc_u64 s[16:17], s[16:17], s[18:19]
	s_mov_b32 s19, 0
	s_mov_b32 s18, 0
	s_mov_b32 s28, exec_lo
                                        ; implicit-def: $vgpr36
	v_cmpx_gt_u64_e64 s[16:17], v[0:1]
	s_cbranch_execz .LBB222_391
; %bb.381:                              ;   in Loop: Header=BB222_18 Depth=1
	v_mov_b64_e32 v[4:5], v[0:1]
	v_mov_b32_e32 v8, v28
                                        ; implicit-def: $sgpr62
	s_branch .LBB222_384
.LBB222_382:                            ;   in Loop: Header=BB222_384 Depth=2
	s_or_b32 exec_lo, exec_lo, s63
	s_wait_dscnt 0x0
	s_barrier_signal -1
	s_barrier_wait -1
	ds_load_b32 v9, v3 offset:3072
	s_mov_b32 s63, -1
	s_mov_b32 s64, -1
	s_wait_dscnt 0x0
	s_barrier_signal -1
	s_barrier_wait -1
	v_and_b32_e32 v10, 0x7fff, v9
	s_delay_alu instid0(VALU_DEP_1)
	v_cmp_ne_u32_e32 vcc_lo, 0, v10
	s_cbranch_vccz .LBB222_387
.LBB222_383:                            ;   in Loop: Header=BB222_384 Depth=2
	s_and_b32 s3, exec_lo, s63
	s_delay_alu instid0(SALU_CYCLE_1) | instskip(SKIP_2) | instid1(SALU_CYCLE_1)
	s_or_b32 s18, s3, s18
	s_and_not1_b32 s3, s62, exec_lo
	s_and_b32 s40, s64, exec_lo
	s_or_b32 s62, s3, s40
	s_and_not1_b32 exec_lo, exec_lo, s18
	s_cbranch_execz .LBB222_390
.LBB222_384:                            ;   Parent Loop BB222_18 Depth=1
                                        ; =>  This Inner Loop Header: Depth=2
	s_mov_b32 s63, exec_lo
	s_delay_alu instid0(VALU_DEP_2)
	v_cmpx_gt_u64_e64 s[10:11], v[4:5]
	s_cbranch_execz .LBB222_382
; %bb.385:                              ;   in Loop: Header=BB222_384 Depth=2
	ds_load_u16 v9, v8
	s_wait_dscnt 0x0
	v_cmp_lt_i16_e32 vcc_lo, -1, v9
	v_and_b32_e32 v10, 0xffff, v9
	v_dual_cndmask_b32 v11, 0xffff, v34 :: v_dual_lshlrev_b32 v22, 16, v9
	s_delay_alu instid0(VALU_DEP_1) | instskip(NEXT) | instid1(VALU_DEP_2)
	v_cmp_o_f32_e32 vcc_lo, v22, v22
	v_xor_b32_e32 v10, v11, v10
	s_delay_alu instid0(VALU_DEP_1) | instskip(NEXT) | instid1(VALU_DEP_1)
	v_cndmask_b32_e32 v10, 0xffff, v10, vcc_lo
	v_and_b32_e32 v10, v10, v35
	s_delay_alu instid0(VALU_DEP_1)
	v_cmp_eq_u32_e32 vcc_lo, v10, v31
	s_and_b32 exec_lo, exec_lo, vcc_lo
	s_cbranch_execz .LBB222_382
; %bb.386:                              ;   in Loop: Header=BB222_384 Depth=2
	v_perm_b32 v9, v9, s73, 0x5040100
	ds_store_b32 v3, v9 offset:3072
	s_branch .LBB222_382
.LBB222_387:                            ;   in Loop: Header=BB222_384 Depth=2
	v_add_nc_u64_e32 v[4:5], s[56:57], v[4:5]
	v_add_nc_u32_e32 v8, s71, v8
	s_mov_b32 s64, 0
	s_delay_alu instid0(VALU_DEP_2)
	v_cmp_le_u64_e32 vcc_lo, s[16:17], v[4:5]
	s_or_not1_b32 s63, vcc_lo, exec_lo
	s_branch .LBB222_383
.LBB222_388:                            ;   in Loop: Header=BB222_18 Depth=1
                                        ; implicit-def: $sgpr20_sgpr21
	s_branch .LBB222_334
.LBB222_389:                            ;   in Loop: Header=BB222_18 Depth=1
                                        ; implicit-def: $sgpr10_sgpr11
	s_branch .LBB222_350
.LBB222_390:                            ;   in Loop: Header=BB222_18 Depth=1
	s_or_b32 exec_lo, exec_lo, s18
	v_lshrrev_b32_e32 v36, 16, v9
	s_and_b32 s18, s62, exec_lo
.LBB222_391:                            ;   in Loop: Header=BB222_18 Depth=1
	s_or_b32 exec_lo, exec_lo, s28
.LBB222_392:                            ;   in Loop: Header=BB222_18 Depth=1
	s_delay_alu instid0(SALU_CYCLE_1)
	s_and_b32 vcc_lo, exec_lo, s19
	s_cbranch_vccz .LBB222_406
; %bb.393:                              ;   in Loop: Header=BB222_18 Depth=1
	s_and_b64 s[10:11], s[76:77], 0xffffffff00000000
	s_delay_alu instid0(SALU_CYCLE_1)
	s_cmp_lg_u64 s[10:11], 0
	s_cbranch_scc0 .LBB222_425
; %bb.394:                              ;   in Loop: Header=BB222_18 Depth=1
	s_cvt_f32_u32 s10, s56
	s_sub_nc_u64 s[16:17], 0, s[56:57]
	s_delay_alu instid0(SALU_CYCLE_2) | instskip(NEXT) | instid1(SALU_CYCLE_3)
	s_fmamk_f32 s10, s72, 0x0, s10
	v_s_rcp_f32 s10, s10
	s_delay_alu instid0(TRANS32_DEP_1) | instskip(NEXT) | instid1(SALU_CYCLE_3)
	s_mul_f32 s10, s10, 0x5f7ffffc
	s_mul_f32 s11, s10, 0x2f800000
	s_delay_alu instid0(SALU_CYCLE_3) | instskip(NEXT) | instid1(SALU_CYCLE_3)
	s_trunc_f32 s11, s11
	s_fmamk_f32 s10, s11, 0xcf800000, s10
	s_cvt_u32_f32 s11, s11
	s_delay_alu instid0(SALU_CYCLE_2) | instskip(NEXT) | instid1(SALU_CYCLE_3)
	s_cvt_u32_f32 s10, s10
	s_mul_u64 s[62:63], s[16:17], s[10:11]
	s_delay_alu instid0(SALU_CYCLE_1)
	s_mul_hi_u32 s65, s10, s63
	s_mul_i32 s64, s10, s63
	s_mul_hi_u32 s28, s10, s62
	s_mul_i32 s66, s11, s62
	s_add_nc_u64 s[64:65], s[28:29], s[64:65]
	s_mul_hi_u32 s19, s11, s62
	s_mul_hi_u32 s67, s11, s63
	s_add_co_u32 s28, s64, s66
	s_add_co_ci_u32 s28, s65, s19
	s_mul_i32 s62, s11, s63
	s_add_co_ci_u32 s63, s67, 0
	s_delay_alu instid0(SALU_CYCLE_1) | instskip(NEXT) | instid1(SALU_CYCLE_1)
	s_add_nc_u64 s[62:63], s[28:29], s[62:63]
	s_add_co_u32 s10, s10, s62
	s_cselect_b32 s19, -1, 0
	s_delay_alu instid0(SALU_CYCLE_1) | instskip(SKIP_1) | instid1(SALU_CYCLE_1)
	s_cmp_lg_u32 s19, 0
	s_add_co_ci_u32 s11, s11, s63
	s_mul_u64 s[16:17], s[16:17], s[10:11]
	s_delay_alu instid0(SALU_CYCLE_1)
	s_mul_hi_u32 s63, s10, s17
	s_mul_i32 s62, s10, s17
	s_mul_hi_u32 s28, s10, s16
	s_mul_i32 s64, s11, s16
	s_add_nc_u64 s[62:63], s[28:29], s[62:63]
	s_mul_hi_u32 s19, s11, s16
	s_mul_hi_u32 s65, s11, s17
	s_mul_i32 s16, s11, s17
	s_add_co_u32 s17, s62, s64
	s_add_co_ci_u32 s28, s63, s19
	s_add_co_ci_u32 s17, s65, 0
	s_delay_alu instid0(SALU_CYCLE_1) | instskip(NEXT) | instid1(SALU_CYCLE_1)
	s_add_nc_u64 s[16:17], s[28:29], s[16:17]
	s_add_co_u32 s10, s10, s16
	s_cselect_b32 s16, -1, 0
	s_mul_hi_u32 s28, s76, s10
	s_cmp_lg_u32 s16, 0
	s_mul_hi_u32 s19, s77, s10
	s_add_co_ci_u32 s16, s11, s17
	s_mul_i32 s17, s77, s10
	s_mul_hi_u32 s11, s76, s16
	s_mul_i32 s10, s76, s16
	s_mul_hi_u32 s62, s77, s16
	s_add_nc_u64 s[10:11], s[28:29], s[10:11]
	s_mul_i32 s16, s77, s16
	s_add_co_u32 s10, s10, s17
	s_add_co_ci_u32 s28, s11, s19
	s_add_co_ci_u32 s17, s62, 0
	s_delay_alu instid0(SALU_CYCLE_1) | instskip(NEXT) | instid1(SALU_CYCLE_1)
	s_add_nc_u64 s[10:11], s[28:29], s[16:17]
	s_and_b64 s[16:17], s[10:11], 0xffffffff00000000
	s_delay_alu instid0(SALU_CYCLE_1) | instskip(NEXT) | instid1(SALU_CYCLE_1)
	s_or_b32 s16, s16, s10
	s_mul_u64 s[10:11], s[56:57], s[16:17]
	s_delay_alu instid0(SALU_CYCLE_1) | instskip(SKIP_1) | instid1(SALU_CYCLE_1)
	s_sub_co_u32 s10, s76, s10
	s_cselect_b32 s16, -1, 0
	s_cmp_lg_u32 s16, 0
	s_sub_co_ci_u32 s11, s77, s11
	s_sub_co_u32 s16, s10, s56
	s_cselect_b32 s17, -1, 0
	s_delay_alu instid0(SALU_CYCLE_1) | instskip(SKIP_3) | instid1(SALU_CYCLE_1)
	s_cmp_lg_u32 s17, 0
	s_sub_co_ci_u32 s17, s11, 0
	s_sub_co_u32 s19, s16, s56
	s_cselect_b32 s28, -1, 0
	s_cmp_lg_u32 s28, 0
	s_sub_co_ci_u32 s28, s17, 0
	s_cmp_ge_u32 s16, s56
	s_cselect_b32 s62, -1, 0
	s_cmp_eq_u32 s17, 0
	s_cselect_b32 s62, s62, -1
	s_delay_alu instid0(SALU_CYCLE_1)
	s_cmp_lg_u32 s62, 0
	s_cselect_b32 s17, s28, s17
	s_cselect_b32 s16, s19, s16
	s_cmp_ge_u32 s10, s56
	s_cselect_b32 s19, -1, 0
	s_cmp_eq_u32 s11, 0
	s_cselect_b32 s19, s19, -1
	s_delay_alu instid0(SALU_CYCLE_1)
	s_cmp_lg_u32 s19, 0
	s_cselect_b32 s11, s17, s11
	s_cselect_b32 s10, s16, s10
	s_cbranch_execnz .LBB222_396
.LBB222_395:                            ;   in Loop: Header=BB222_18 Depth=1
	v_cvt_f32_u32_e32 v4, s56
	s_sub_co_i32 s11, 0, s56
	s_delay_alu instid0(VALU_DEP_1) | instskip(SKIP_1) | instid1(TRANS32_DEP_1)
	v_rcp_iflag_f32_e32 v4, v4
	v_nop
	v_mul_f32_e32 v4, 0x4f7ffffe, v4
	s_delay_alu instid0(VALU_DEP_1) | instskip(NEXT) | instid1(VALU_DEP_1)
	v_cvt_u32_f32_e32 v4, v4
	v_readfirstlane_b32 s10, v4
	s_mul_i32 s11, s11, s10
	s_delay_alu instid0(SALU_CYCLE_1) | instskip(NEXT) | instid1(SALU_CYCLE_1)
	s_mul_hi_u32 s11, s10, s11
	s_add_co_i32 s10, s10, s11
	s_delay_alu instid0(SALU_CYCLE_1) | instskip(NEXT) | instid1(SALU_CYCLE_1)
	s_mul_hi_u32 s10, s76, s10
	s_mul_i32 s10, s10, s56
	s_delay_alu instid0(SALU_CYCLE_1) | instskip(NEXT) | instid1(SALU_CYCLE_1)
	s_sub_co_i32 s10, s76, s10
	s_sub_co_i32 s11, s10, s56
	s_cmp_ge_u32 s10, s56
	s_cselect_b32 s10, s11, s10
	s_delay_alu instid0(SALU_CYCLE_1) | instskip(SKIP_2) | instid1(SALU_CYCLE_1)
	s_sub_co_i32 s11, s10, s56
	s_cmp_ge_u32 s10, s56
	s_cselect_b32 s28, s11, s10
	s_mov_b64 s[10:11], s[28:29]
.LBB222_396:                            ;   in Loop: Header=BB222_18 Depth=1
	s_delay_alu instid0(SALU_CYCLE_1)
	s_sub_nc_u64 s[10:11], s[76:77], s[10:11]
	s_mov_b32 s16, exec_lo
                                        ; implicit-def: $vgpr36
	v_nop
	v_cmpx_gt_u64_e64 s[10:11], v[0:1]
	s_cbranch_execz .LBB222_405
; %bb.397:                              ;   in Loop: Header=BB222_18 Depth=1
	v_mov_b64_e32 v[4:5], v[0:1]
	s_mov_b32 s17, 0
                                        ; implicit-def: $sgpr19
	s_branch .LBB222_400
.LBB222_398:                            ;   in Loop: Header=BB222_400 Depth=2
	s_or_b32 exec_lo, exec_lo, s28
	s_wait_dscnt 0x0
	s_barrier_signal -1
	s_barrier_wait -1
	ds_load_b32 v8, v3 offset:3072
	s_mov_b32 s62, -1
	s_mov_b32 s28, -1
	s_wait_dscnt 0x0
	s_barrier_signal -1
	s_barrier_wait -1
	v_and_b32_e32 v9, 0x7fff, v8
	s_delay_alu instid0(VALU_DEP_1)
	v_cmp_eq_u32_e32 vcc_lo, 0, v9
	s_cbranch_vccnz .LBB222_403
.LBB222_399:                            ;   in Loop: Header=BB222_400 Depth=2
	s_and_b32 s3, exec_lo, s62
	s_delay_alu instid0(SALU_CYCLE_1) | instskip(SKIP_2) | instid1(SALU_CYCLE_1)
	s_or_b32 s17, s3, s17
	s_and_not1_b32 s3, s19, exec_lo
	s_and_b32 s19, s28, exec_lo
	s_or_b32 s19, s3, s19
	s_and_not1_b32 exec_lo, exec_lo, s17
	s_cbranch_execz .LBB222_404
.LBB222_400:                            ;   Parent Loop BB222_18 Depth=1
                                        ; =>  This Inner Loop Header: Depth=2
	s_mov_b32 s28, exec_lo
	s_delay_alu instid0(VALU_DEP_1)
	v_cmpx_gt_u64_e64 s[36:37], v[4:5]
	s_cbranch_execz .LBB222_398
; %bb.401:                              ;   in Loop: Header=BB222_400 Depth=2
	v_mul_u64_e32 v[8:9], s[30:31], v[4:5]
	s_delay_alu instid0(VALU_DEP_1)
	v_lshl_add_u64 v[8:9], v[8:9], 1, s[34:35]
	global_load_u16 v8, v[8:9], off
	s_wait_loadcnt 0x0
	v_cmp_lt_i16_e32 vcc_lo, -1, v8
	v_and_b32_e32 v9, 0xffff, v8
	v_dual_cndmask_b32 v10, 0xffff, v34 :: v_dual_lshlrev_b32 v11, 16, v8
	s_delay_alu instid0(VALU_DEP_1) | instskip(NEXT) | instid1(VALU_DEP_2)
	v_cmp_o_f32_e32 vcc_lo, v11, v11
	v_xor_b32_e32 v9, v10, v9
	s_delay_alu instid0(VALU_DEP_1) | instskip(NEXT) | instid1(VALU_DEP_1)
	v_cndmask_b32_e32 v9, 0xffff, v9, vcc_lo
	v_and_b32_e32 v9, v9, v35
	s_delay_alu instid0(VALU_DEP_1)
	v_cmp_eq_u32_e32 vcc_lo, v9, v31
	s_and_b32 exec_lo, exec_lo, vcc_lo
	s_cbranch_execz .LBB222_398
; %bb.402:                              ;   in Loop: Header=BB222_400 Depth=2
	v_perm_b32 v8, v8, s73, 0x5040100
	ds_store_b32 v3, v8 offset:3072
	s_branch .LBB222_398
.LBB222_403:                            ;   in Loop: Header=BB222_400 Depth=2
	v_add_nc_u64_e32 v[4:5], s[56:57], v[4:5]
	s_mov_b32 s28, 0
	s_delay_alu instid0(VALU_DEP_1)
	v_cmp_le_u64_e32 vcc_lo, s[10:11], v[4:5]
	s_or_not1_b32 s62, vcc_lo, exec_lo
	s_branch .LBB222_399
.LBB222_404:                            ;   in Loop: Header=BB222_18 Depth=1
	s_or_b32 exec_lo, exec_lo, s17
	v_lshrrev_b32_e32 v36, 16, v8
	s_and_not1_b32 s3, s18, exec_lo
	s_and_b32 s10, s19, exec_lo
	s_delay_alu instid0(SALU_CYCLE_1)
	s_or_b32 s18, s3, s10
.LBB222_405:                            ;   in Loop: Header=BB222_18 Depth=1
	s_or_b32 exec_lo, exec_lo, s16
	s_mov_b32 s90, 0
	s_mov_b32 s92, -1
.LBB222_406:                            ;   in Loop: Header=BB222_18 Depth=1
	s_or_not1_b32 s10, s18, exec_lo
.LBB222_407:                            ;   in Loop: Header=BB222_18 Depth=1
	s_or_b32 exec_lo, exec_lo, s94
	s_mov_b32 s11, 0
	s_and_saveexec_b32 s18, s10
	s_cbranch_execz .LBB222_469
; %bb.408:                              ;   in Loop: Header=BB222_18 Depth=1
	v_mov_b64_e32 v[4:5], 1
	v_mov_b32_e32 v2, 1
	s_xor_b32 s16, s93, -1
	s_delay_alu instid0(SALU_CYCLE_1)
	s_and_saveexec_b32 s10, s16
	s_cbranch_execz .LBB222_417
; %bb.409:                              ;   in Loop: Header=BB222_18 Depth=1
	s_mov_b32 s11, exec_lo
	v_cmpx_ge_u64_e64 s[14:15], v[6:7]
	s_xor_b32 s11, exec_lo, s11
	s_cbranch_execz .LBB222_414
; %bb.410:                              ;   in Loop: Header=BB222_18 Depth=1
	ds_load_b64 v[4:5], v3 offset:5120
	s_lshl_b32 s16, 1, s48
	v_or_b32_e32 v35, s24, v35
	v_and_or_b32 v31, v31, s25, s16
	s_wait_dscnt 0x0
	v_cmp_ne_u64_e32 vcc_lo, 0, v[4:5]
	s_cbranch_vccnz .LBB222_414
; %bb.411:                              ;   in Loop: Header=BB222_18 Depth=1
	s_and_saveexec_b32 s16, s5
; %bb.412:                              ;   in Loop: Header=BB222_18 Depth=1
	v_mov_b64_e32 v[4:5], s[14:15]
	ds_store_b64 v3, v[4:5] offset:5128
; %bb.413:                              ;   in Loop: Header=BB222_18 Depth=1
	s_or_b32 exec_lo, exec_lo, s16
	s_wait_dscnt 0x0
	s_barrier_signal -1
	s_barrier_wait -1
.LBB222_414:                            ;   in Loop: Header=BB222_18 Depth=1
	s_or_saveexec_b32 s11, s11
	v_mov_b32_e32 v2, 5
	s_mov_b32 s16, 0
	s_xor_b32 exec_lo, exec_lo, s11
; %bb.415:                              ;   in Loop: Header=BB222_18 Depth=1
	v_sub_nc_u64_e64 v[6:7], v[6:7], s[14:15]
	v_mov_b32_e32 v2, 0
	s_mov_b32 s16, exec_lo
; %bb.416:                              ;   in Loop: Header=BB222_18 Depth=1
	s_or_b32 exec_lo, exec_lo, s11
	s_delay_alu instid0(VALU_DEP_2)
	v_mov_b64_e32 v[4:5], v[6:7]
	s_and_b32 s11, s16, exec_lo
.LBB222_417:                            ;   in Loop: Header=BB222_18 Depth=1
	s_or_b32 exec_lo, exec_lo, s10
	s_mov_b32 s10, -1
                                        ; implicit-def: $sgpr64
                                        ; implicit-def: $sgpr95
	s_and_saveexec_b32 s19, s11
	s_cbranch_execz .LBB222_468
; %bb.418:                              ;   in Loop: Header=BB222_18 Depth=1
	s_delay_alu instid0(VALU_DEP_1) | instskip(SKIP_3) | instid1(SALU_CYCLE_1)
	v_cmp_eq_u64_e32 vcc_lo, 1, v[4:5]
	s_cmp_eq_u64 s[12:13], 1
	s_mov_b32 s11, -1
	s_cselect_b32 s10, -1, 0
                                        ; implicit-def: $sgpr64
                                        ; implicit-def: $sgpr95
	s_and_b32 s93, s10, vcc_lo
	s_delay_alu instid0(SALU_CYCLE_1)
	s_and_saveexec_b32 s94, s93
	s_cbranch_execz .LBB222_456
; %bb.419:                              ;   in Loop: Header=BB222_18 Depth=1
	ds_load_b64 v[6:7], v3 offset:5120
	s_wait_dscnt 0x0
	s_barrier_signal -1
	s_barrier_wait -1
	v_readfirstlane_b32 s10, v6
	v_readfirstlane_b32 s11, v7
	s_and_saveexec_b32 s14, s6
; %bb.420:                              ;   in Loop: Header=BB222_18 Depth=1
	ds_store_b16 v29, v3
; %bb.421:                              ;   in Loop: Header=BB222_18 Depth=1
	s_or_b32 exec_lo, exec_lo, s14
	v_and_b32_e32 v31, s25, v31
	v_or_b32_e32 v35, s24, v35
	s_mov_b32 s95, -1
	s_mov_b32 s64, 0
	s_cmp_eq_u64 s[10:11], 0
	s_mov_b32 s16, 0
	s_mov_b32 s17, -1
	s_wait_dscnt 0x0
	s_barrier_signal -1
	s_barrier_wait -1
                                        ; implicit-def: $vgpr36
	s_cbranch_scc1 .LBB222_439
; %bb.422:                              ;   in Loop: Header=BB222_18 Depth=1
	s_add_nc_u64 s[14:15], s[10:11], s[74:75]
	s_delay_alu instid0(SALU_CYCLE_1) | instskip(NEXT) | instid1(SALU_CYCLE_1)
	s_and_b64 s[16:17], s[14:15], 0xffffffff00000000
	s_cmp_lg_u64 s[16:17], 0
	s_cbranch_scc0 .LBB222_426
; %bb.423:                              ;   in Loop: Header=BB222_18 Depth=1
	s_cvt_f32_u32 s16, s56
	s_sub_nc_u64 s[62:63], 0, s[56:57]
	s_delay_alu instid0(SALU_CYCLE_2) | instskip(NEXT) | instid1(SALU_CYCLE_3)
	s_fmamk_f32 s16, s72, 0x0, s16
	v_s_rcp_f32 s16, s16
	s_delay_alu instid0(TRANS32_DEP_1) | instskip(NEXT) | instid1(SALU_CYCLE_3)
	s_mul_f32 s16, s16, 0x5f7ffffc
	s_mul_f32 s17, s16, 0x2f800000
	s_delay_alu instid0(SALU_CYCLE_3) | instskip(NEXT) | instid1(SALU_CYCLE_3)
	s_trunc_f32 s17, s17
	s_fmamk_f32 s16, s17, 0xcf800000, s16
	s_cvt_u32_f32 s17, s17
	s_delay_alu instid0(SALU_CYCLE_2) | instskip(NEXT) | instid1(SALU_CYCLE_3)
	s_cvt_u32_f32 s16, s16
	s_mul_u64 s[66:67], s[62:63], s[16:17]
	s_delay_alu instid0(SALU_CYCLE_1)
	s_mul_hi_u32 s97, s16, s67
	s_mul_i32 s96, s16, s67
	s_mul_hi_u32 s28, s16, s66
	s_mul_i32 s98, s17, s66
	s_add_nc_u64 s[96:97], s[28:29], s[96:97]
	s_mul_hi_u32 s65, s17, s66
	s_mul_hi_u32 s99, s17, s67
	s_add_co_u32 s28, s96, s98
	s_add_co_ci_u32 s28, s97, s65
	s_mul_i32 s66, s17, s67
	s_add_co_ci_u32 s67, s99, 0
	s_delay_alu instid0(SALU_CYCLE_1) | instskip(NEXT) | instid1(SALU_CYCLE_1)
	s_add_nc_u64 s[66:67], s[28:29], s[66:67]
	s_add_co_u32 s16, s16, s66
	s_cselect_b32 s28, -1, 0
	s_delay_alu instid0(SALU_CYCLE_1) | instskip(SKIP_1) | instid1(SALU_CYCLE_1)
	s_cmp_lg_u32 s28, 0
	s_add_co_ci_u32 s17, s17, s67
	s_mul_u64 s[62:63], s[62:63], s[16:17]
	s_delay_alu instid0(SALU_CYCLE_1)
	s_mul_hi_u32 s67, s16, s63
	s_mul_i32 s66, s16, s63
	s_mul_hi_u32 s28, s16, s62
	s_mul_i32 s96, s17, s62
	s_add_nc_u64 s[66:67], s[28:29], s[66:67]
	s_mul_hi_u32 s65, s17, s62
	s_mul_hi_u32 s97, s17, s63
	s_add_co_u32 s28, s66, s96
	s_add_co_ci_u32 s28, s67, s65
	s_mul_i32 s62, s17, s63
	s_add_co_ci_u32 s63, s97, 0
	s_delay_alu instid0(SALU_CYCLE_1) | instskip(NEXT) | instid1(SALU_CYCLE_1)
	s_add_nc_u64 s[62:63], s[28:29], s[62:63]
	s_add_co_u32 s16, s16, s62
	s_cselect_b32 s62, -1, 0
	s_mul_hi_u32 s28, s14, s16
	s_cmp_lg_u32 s62, 0
	s_mul_hi_u32 s65, s15, s16
	s_add_co_ci_u32 s62, s17, s63
	s_mul_i32 s63, s15, s16
	s_mul_hi_u32 s17, s14, s62
	s_mul_i32 s16, s14, s62
	s_mul_hi_u32 s66, s15, s62
	s_add_nc_u64 s[16:17], s[28:29], s[16:17]
	s_mul_i32 s62, s15, s62
	s_add_co_u32 s16, s16, s63
	s_add_co_ci_u32 s28, s17, s65
	s_add_co_ci_u32 s63, s66, 0
	s_delay_alu instid0(SALU_CYCLE_1) | instskip(NEXT) | instid1(SALU_CYCLE_1)
	s_add_nc_u64 s[16:17], s[28:29], s[62:63]
	s_and_b64 s[62:63], s[16:17], 0xffffffff00000000
	s_delay_alu instid0(SALU_CYCLE_1) | instskip(NEXT) | instid1(SALU_CYCLE_1)
	s_or_b32 s62, s62, s16
	s_mul_u64 s[16:17], s[56:57], s[62:63]
	s_delay_alu instid0(SALU_CYCLE_1) | instskip(SKIP_1) | instid1(SALU_CYCLE_1)
	s_sub_co_u32 s16, s14, s16
	s_cselect_b32 s28, -1, 0
	s_cmp_lg_u32 s28, 0
	s_sub_co_ci_u32 s17, s15, s17
	s_sub_co_u32 s28, s16, s56
	s_cselect_b32 s62, -1, 0
	s_delay_alu instid0(SALU_CYCLE_1) | instskip(SKIP_3) | instid1(SALU_CYCLE_1)
	s_cmp_lg_u32 s62, 0
	s_sub_co_ci_u32 s62, s17, 0
	s_sub_co_u32 s63, s28, s56
	s_cselect_b32 s65, -1, 0
	s_cmp_lg_u32 s65, 0
	s_sub_co_ci_u32 s65, s62, 0
	s_cmp_ge_u32 s28, s56
	s_cselect_b32 s66, -1, 0
	s_cmp_eq_u32 s62, 0
	s_cselect_b32 s66, s66, -1
	s_delay_alu instid0(SALU_CYCLE_1)
	s_cmp_lg_u32 s66, 0
	s_cselect_b32 s62, s65, s62
	s_cselect_b32 s28, s63, s28
	s_cmp_ge_u32 s16, s56
	s_cselect_b32 s63, -1, 0
	s_cmp_eq_u32 s17, 0
	s_cselect_b32 s63, s63, -1
	s_delay_alu instid0(SALU_CYCLE_1)
	s_cmp_lg_u32 s63, 0
	s_cselect_b32 s17, s62, s17
	s_cselect_b32 s16, s28, s16
	s_mov_b32 s28, 0
	s_branch .LBB222_427
.LBB222_424:                            ;   in Loop: Header=BB222_18 Depth=1
                                        ; implicit-def: $sgpr18_sgpr19
	s_branch .LBB222_379
.LBB222_425:                            ;   in Loop: Header=BB222_18 Depth=1
                                        ; implicit-def: $sgpr10_sgpr11
	s_branch .LBB222_395
.LBB222_426:                            ;   in Loop: Header=BB222_18 Depth=1
	s_mov_b32 s28, -1
                                        ; implicit-def: $sgpr16_sgpr17
.LBB222_427:                            ;   in Loop: Header=BB222_18 Depth=1
	s_delay_alu instid0(SALU_CYCLE_1)
	s_and_not1_b32 vcc_lo, exec_lo, s28
	s_cbranch_vccnz .LBB222_429
; %bb.428:                              ;   in Loop: Header=BB222_18 Depth=1
	v_cvt_f32_u32_e32 v6, s56
	s_sub_co_i32 s17, 0, s56
	s_delay_alu instid0(VALU_DEP_1) | instskip(SKIP_1) | instid1(TRANS32_DEP_1)
	v_rcp_iflag_f32_e32 v6, v6
	v_nop
	v_mul_f32_e32 v6, 0x4f7ffffe, v6
	s_delay_alu instid0(VALU_DEP_1) | instskip(NEXT) | instid1(VALU_DEP_1)
	v_cvt_u32_f32_e32 v6, v6
	v_readfirstlane_b32 s16, v6
	s_mul_i32 s17, s17, s16
	s_delay_alu instid0(SALU_CYCLE_1) | instskip(NEXT) | instid1(SALU_CYCLE_1)
	s_mul_hi_u32 s17, s16, s17
	s_add_co_i32 s16, s16, s17
	s_delay_alu instid0(SALU_CYCLE_1) | instskip(NEXT) | instid1(SALU_CYCLE_1)
	s_mul_hi_u32 s16, s14, s16
	s_mul_i32 s16, s16, s56
	s_delay_alu instid0(SALU_CYCLE_1) | instskip(NEXT) | instid1(SALU_CYCLE_1)
	s_sub_co_i32 s16, s14, s16
	s_sub_co_i32 s17, s16, s56
	s_cmp_ge_u32 s16, s56
	s_cselect_b32 s16, s17, s16
	s_delay_alu instid0(SALU_CYCLE_1) | instskip(SKIP_2) | instid1(SALU_CYCLE_1)
	s_sub_co_i32 s17, s16, s56
	s_cmp_ge_u32 s16, s56
	s_cselect_b32 s28, s17, s16
	s_mov_b64 s[16:17], s[28:29]
.LBB222_429:                            ;   in Loop: Header=BB222_18 Depth=1
	s_delay_alu instid0(SALU_CYCLE_1)
	s_sub_nc_u64 s[14:15], s[14:15], s[16:17]
	s_mov_b32 s17, 0
	s_mov_b32 s16, 0
	s_mov_b32 s28, exec_lo
                                        ; implicit-def: $vgpr36
	v_cmpx_gt_u64_e64 s[14:15], v[0:1]
	s_cbranch_execz .LBB222_438
; %bb.430:                              ;   in Loop: Header=BB222_18 Depth=1
	v_mov_b64_e32 v[6:7], v[0:1]
	v_mov_b32_e32 v8, v28
                                        ; implicit-def: $sgpr62
	s_branch .LBB222_433
.LBB222_431:                            ;   in Loop: Header=BB222_433 Depth=2
	s_or_b32 exec_lo, exec_lo, s63
	s_wait_dscnt 0x0
	s_barrier_signal -1
	s_barrier_wait -1
	ds_load_b32 v9, v3 offset:3072
	s_mov_b32 s63, -1
	s_mov_b32 s65, -1
	s_wait_dscnt 0x0
	s_barrier_signal -1
	s_barrier_wait -1
	v_and_b32_e32 v10, 0x7fff, v9
	s_delay_alu instid0(VALU_DEP_1)
	v_cmp_ne_u32_e32 vcc_lo, 0, v10
	s_cbranch_vccz .LBB222_436
.LBB222_432:                            ;   in Loop: Header=BB222_433 Depth=2
	s_and_b32 s3, exec_lo, s63
	s_delay_alu instid0(SALU_CYCLE_1) | instskip(SKIP_2) | instid1(SALU_CYCLE_1)
	s_or_b32 s16, s3, s16
	s_and_not1_b32 s3, s62, exec_lo
	s_and_b32 s40, s65, exec_lo
	s_or_b32 s62, s3, s40
	s_and_not1_b32 exec_lo, exec_lo, s16
	s_cbranch_execz .LBB222_437
.LBB222_433:                            ;   Parent Loop BB222_18 Depth=1
                                        ; =>  This Inner Loop Header: Depth=2
	s_mov_b32 s63, exec_lo
	s_delay_alu instid0(VALU_DEP_2)
	v_cmpx_gt_u64_e64 s[10:11], v[6:7]
	s_cbranch_execz .LBB222_431
; %bb.434:                              ;   in Loop: Header=BB222_433 Depth=2
	ds_load_u16 v9, v8
	s_wait_dscnt 0x0
	v_cmp_lt_i16_e32 vcc_lo, -1, v9
	v_and_b32_e32 v10, 0xffff, v9
	v_dual_cndmask_b32 v11, 0xffff, v34 :: v_dual_lshlrev_b32 v22, 16, v9
	s_delay_alu instid0(VALU_DEP_1) | instskip(NEXT) | instid1(VALU_DEP_2)
	v_cmp_o_f32_e32 vcc_lo, v22, v22
	v_xor_b32_e32 v10, v11, v10
	s_delay_alu instid0(VALU_DEP_1) | instskip(NEXT) | instid1(VALU_DEP_1)
	v_cndmask_b32_e32 v10, 0xffff, v10, vcc_lo
	v_and_b32_e32 v10, v10, v35
	s_delay_alu instid0(VALU_DEP_1)
	v_cmp_eq_u32_e32 vcc_lo, v10, v31
	s_and_b32 exec_lo, exec_lo, vcc_lo
	s_cbranch_execz .LBB222_431
; %bb.435:                              ;   in Loop: Header=BB222_433 Depth=2
	v_perm_b32 v9, v9, s73, 0x5040100
	ds_store_b32 v3, v9 offset:3072
	s_branch .LBB222_431
.LBB222_436:                            ;   in Loop: Header=BB222_433 Depth=2
	v_add_nc_u64_e32 v[6:7], s[56:57], v[6:7]
	v_add_nc_u32_e32 v8, s71, v8
	s_mov_b32 s65, 0
	s_delay_alu instid0(VALU_DEP_2)
	v_cmp_le_u64_e32 vcc_lo, s[14:15], v[6:7]
	s_or_not1_b32 s63, vcc_lo, exec_lo
	s_branch .LBB222_432
.LBB222_437:                            ;   in Loop: Header=BB222_18 Depth=1
	s_or_b32 exec_lo, exec_lo, s16
	v_lshrrev_b32_e32 v36, 16, v9
	s_and_b32 s16, s62, exec_lo
.LBB222_438:                            ;   in Loop: Header=BB222_18 Depth=1
	s_or_b32 exec_lo, exec_lo, s28
.LBB222_439:                            ;   in Loop: Header=BB222_18 Depth=1
	s_delay_alu instid0(SALU_CYCLE_1)
	s_and_b32 vcc_lo, exec_lo, s17
	s_cbranch_vccz .LBB222_455
; %bb.440:                              ;   in Loop: Header=BB222_18 Depth=1
	s_and_b64 s[10:11], s[76:77], 0xffffffff00000000
	s_delay_alu instid0(SALU_CYCLE_1)
	s_cmp_lg_u64 s[10:11], 0
	s_cbranch_scc0 .LBB222_442
; %bb.441:                              ;   in Loop: Header=BB222_18 Depth=1
	s_cvt_f32_u32 s10, s56
	s_sub_nc_u64 s[14:15], 0, s[56:57]
	s_delay_alu instid0(SALU_CYCLE_2) | instskip(NEXT) | instid1(SALU_CYCLE_3)
	s_fmamk_f32 s10, s72, 0x0, s10
	v_s_rcp_f32 s10, s10
	s_delay_alu instid0(TRANS32_DEP_1) | instskip(NEXT) | instid1(SALU_CYCLE_3)
	s_mul_f32 s10, s10, 0x5f7ffffc
	s_mul_f32 s11, s10, 0x2f800000
	s_delay_alu instid0(SALU_CYCLE_3) | instskip(NEXT) | instid1(SALU_CYCLE_3)
	s_trunc_f32 s11, s11
	s_fmamk_f32 s10, s11, 0xcf800000, s10
	s_cvt_u32_f32 s11, s11
	s_delay_alu instid0(SALU_CYCLE_2) | instskip(NEXT) | instid1(SALU_CYCLE_3)
	s_cvt_u32_f32 s10, s10
	s_mul_u64 s[62:63], s[14:15], s[10:11]
	s_delay_alu instid0(SALU_CYCLE_1)
	s_mul_hi_u32 s65, s10, s63
	s_mul_i32 s64, s10, s63
	s_mul_hi_u32 s28, s10, s62
	s_mul_i32 s66, s11, s62
	s_add_nc_u64 s[64:65], s[28:29], s[64:65]
	s_mul_hi_u32 s17, s11, s62
	s_mul_hi_u32 s67, s11, s63
	s_add_co_u32 s28, s64, s66
	s_add_co_ci_u32 s28, s65, s17
	s_mul_i32 s62, s11, s63
	s_add_co_ci_u32 s63, s67, 0
	s_delay_alu instid0(SALU_CYCLE_1) | instskip(NEXT) | instid1(SALU_CYCLE_1)
	s_add_nc_u64 s[62:63], s[28:29], s[62:63]
	s_add_co_u32 s10, s10, s62
	s_cselect_b32 s17, -1, 0
	s_delay_alu instid0(SALU_CYCLE_1) | instskip(SKIP_1) | instid1(SALU_CYCLE_1)
	s_cmp_lg_u32 s17, 0
	s_add_co_ci_u32 s11, s11, s63
	s_mul_u64 s[14:15], s[14:15], s[10:11]
	s_delay_alu instid0(SALU_CYCLE_1)
	s_mul_hi_u32 s63, s10, s15
	s_mul_i32 s62, s10, s15
	s_mul_hi_u32 s28, s10, s14
	s_mul_i32 s64, s11, s14
	s_add_nc_u64 s[62:63], s[28:29], s[62:63]
	s_mul_hi_u32 s17, s11, s14
	s_mul_hi_u32 s65, s11, s15
	s_mul_i32 s14, s11, s15
	s_add_co_u32 s15, s62, s64
	s_add_co_ci_u32 s28, s63, s17
	s_add_co_ci_u32 s15, s65, 0
	s_delay_alu instid0(SALU_CYCLE_1) | instskip(NEXT) | instid1(SALU_CYCLE_1)
	s_add_nc_u64 s[14:15], s[28:29], s[14:15]
	s_add_co_u32 s10, s10, s14
	s_cselect_b32 s14, -1, 0
	s_mul_hi_u32 s28, s76, s10
	s_cmp_lg_u32 s14, 0
	s_mul_hi_u32 s17, s77, s10
	s_add_co_ci_u32 s14, s11, s15
	s_mul_i32 s15, s77, s10
	s_mul_hi_u32 s11, s76, s14
	s_mul_i32 s10, s76, s14
	s_mul_hi_u32 s62, s77, s14
	s_add_nc_u64 s[10:11], s[28:29], s[10:11]
	s_mul_i32 s14, s77, s14
	s_add_co_u32 s10, s10, s15
	s_add_co_ci_u32 s28, s11, s17
	s_add_co_ci_u32 s15, s62, 0
	s_delay_alu instid0(SALU_CYCLE_1) | instskip(NEXT) | instid1(SALU_CYCLE_1)
	s_add_nc_u64 s[10:11], s[28:29], s[14:15]
	s_and_b64 s[14:15], s[10:11], 0xffffffff00000000
	s_delay_alu instid0(SALU_CYCLE_1) | instskip(NEXT) | instid1(SALU_CYCLE_1)
	s_or_b32 s14, s14, s10
	s_mul_u64 s[10:11], s[56:57], s[14:15]
	s_delay_alu instid0(SALU_CYCLE_1) | instskip(SKIP_1) | instid1(SALU_CYCLE_1)
	s_sub_co_u32 s10, s76, s10
	s_cselect_b32 s14, -1, 0
	s_cmp_lg_u32 s14, 0
	s_sub_co_ci_u32 s11, s77, s11
	s_sub_co_u32 s14, s10, s56
	s_cselect_b32 s15, -1, 0
	s_delay_alu instid0(SALU_CYCLE_1) | instskip(SKIP_3) | instid1(SALU_CYCLE_1)
	s_cmp_lg_u32 s15, 0
	s_sub_co_ci_u32 s15, s11, 0
	s_sub_co_u32 s17, s14, s56
	s_cselect_b32 s28, -1, 0
	s_cmp_lg_u32 s28, 0
	s_sub_co_ci_u32 s28, s15, 0
	s_cmp_ge_u32 s14, s56
	s_cselect_b32 s62, -1, 0
	s_cmp_eq_u32 s15, 0
	s_cselect_b32 s62, s62, -1
	s_delay_alu instid0(SALU_CYCLE_1)
	s_cmp_lg_u32 s62, 0
	s_cselect_b32 s15, s28, s15
	s_cselect_b32 s14, s17, s14
	s_cmp_ge_u32 s10, s56
	s_cselect_b32 s17, -1, 0
	s_cmp_eq_u32 s11, 0
	s_cselect_b32 s17, s17, -1
	s_delay_alu instid0(SALU_CYCLE_1)
	s_cmp_lg_u32 s17, 0
	s_cselect_b32 s11, s15, s11
	s_cselect_b32 s10, s14, s10
	s_mov_b32 s14, 0
	s_branch .LBB222_443
.LBB222_442:                            ;   in Loop: Header=BB222_18 Depth=1
	s_mov_b32 s14, -1
                                        ; implicit-def: $sgpr10_sgpr11
.LBB222_443:                            ;   in Loop: Header=BB222_18 Depth=1
	s_delay_alu instid0(SALU_CYCLE_1)
	s_and_not1_b32 vcc_lo, exec_lo, s14
	s_cbranch_vccnz .LBB222_445
; %bb.444:                              ;   in Loop: Header=BB222_18 Depth=1
	v_cvt_f32_u32_e32 v6, s56
	s_sub_co_i32 s11, 0, s56
	s_delay_alu instid0(VALU_DEP_1) | instskip(SKIP_1) | instid1(TRANS32_DEP_1)
	v_rcp_iflag_f32_e32 v6, v6
	v_nop
	v_mul_f32_e32 v6, 0x4f7ffffe, v6
	s_delay_alu instid0(VALU_DEP_1) | instskip(NEXT) | instid1(VALU_DEP_1)
	v_cvt_u32_f32_e32 v6, v6
	v_readfirstlane_b32 s10, v6
	s_mul_i32 s11, s11, s10
	s_delay_alu instid0(SALU_CYCLE_1) | instskip(NEXT) | instid1(SALU_CYCLE_1)
	s_mul_hi_u32 s11, s10, s11
	s_add_co_i32 s10, s10, s11
	s_delay_alu instid0(SALU_CYCLE_1) | instskip(NEXT) | instid1(SALU_CYCLE_1)
	s_mul_hi_u32 s10, s76, s10
	s_mul_i32 s10, s10, s56
	s_delay_alu instid0(SALU_CYCLE_1) | instskip(NEXT) | instid1(SALU_CYCLE_1)
	s_sub_co_i32 s10, s76, s10
	s_sub_co_i32 s11, s10, s56
	s_cmp_ge_u32 s10, s56
	s_cselect_b32 s10, s11, s10
	s_delay_alu instid0(SALU_CYCLE_1) | instskip(SKIP_2) | instid1(SALU_CYCLE_1)
	s_sub_co_i32 s11, s10, s56
	s_cmp_ge_u32 s10, s56
	s_cselect_b32 s28, s11, s10
	s_mov_b64 s[10:11], s[28:29]
.LBB222_445:                            ;   in Loop: Header=BB222_18 Depth=1
	s_delay_alu instid0(SALU_CYCLE_1)
	s_sub_nc_u64 s[10:11], s[76:77], s[10:11]
	s_mov_b32 s14, exec_lo
                                        ; implicit-def: $vgpr36
	v_nop
	v_cmpx_gt_u64_e64 s[10:11], v[0:1]
	s_cbranch_execz .LBB222_454
; %bb.446:                              ;   in Loop: Header=BB222_18 Depth=1
	v_mov_b64_e32 v[6:7], v[0:1]
	s_mov_b32 s15, 0
                                        ; implicit-def: $sgpr17
	s_branch .LBB222_449
.LBB222_447:                            ;   in Loop: Header=BB222_449 Depth=2
	s_or_b32 exec_lo, exec_lo, s28
	s_wait_dscnt 0x0
	s_barrier_signal -1
	s_barrier_wait -1
	ds_load_b32 v8, v3 offset:3072
	s_mov_b32 s62, -1
	s_mov_b32 s28, -1
	s_wait_dscnt 0x0
	s_barrier_signal -1
	s_barrier_wait -1
	v_and_b32_e32 v9, 0x7fff, v8
	s_delay_alu instid0(VALU_DEP_1)
	v_cmp_eq_u32_e32 vcc_lo, 0, v9
	s_cbranch_vccnz .LBB222_452
.LBB222_448:                            ;   in Loop: Header=BB222_449 Depth=2
	s_and_b32 s3, exec_lo, s62
	s_delay_alu instid0(SALU_CYCLE_1) | instskip(SKIP_2) | instid1(SALU_CYCLE_1)
	s_or_b32 s15, s3, s15
	s_and_not1_b32 s3, s17, exec_lo
	s_and_b32 s17, s28, exec_lo
	s_or_b32 s17, s3, s17
	s_and_not1_b32 exec_lo, exec_lo, s15
	s_cbranch_execz .LBB222_453
.LBB222_449:                            ;   Parent Loop BB222_18 Depth=1
                                        ; =>  This Inner Loop Header: Depth=2
	s_mov_b32 s28, exec_lo
	s_delay_alu instid0(VALU_DEP_1)
	v_cmpx_gt_u64_e64 s[36:37], v[6:7]
	s_cbranch_execz .LBB222_447
; %bb.450:                              ;   in Loop: Header=BB222_449 Depth=2
	v_mul_u64_e32 v[8:9], s[30:31], v[6:7]
	s_delay_alu instid0(VALU_DEP_1)
	v_lshl_add_u64 v[8:9], v[8:9], 1, s[34:35]
	global_load_u16 v8, v[8:9], off
	s_wait_loadcnt 0x0
	v_cmp_lt_i16_e32 vcc_lo, -1, v8
	v_and_b32_e32 v9, 0xffff, v8
	v_dual_cndmask_b32 v10, 0xffff, v34 :: v_dual_lshlrev_b32 v11, 16, v8
	s_delay_alu instid0(VALU_DEP_1) | instskip(NEXT) | instid1(VALU_DEP_2)
	v_cmp_o_f32_e32 vcc_lo, v11, v11
	v_xor_b32_e32 v9, v10, v9
	s_delay_alu instid0(VALU_DEP_1) | instskip(NEXT) | instid1(VALU_DEP_1)
	v_cndmask_b32_e32 v9, 0xffff, v9, vcc_lo
	v_and_b32_e32 v9, v9, v35
	s_delay_alu instid0(VALU_DEP_1)
	v_cmp_eq_u32_e32 vcc_lo, v9, v31
	s_and_b32 exec_lo, exec_lo, vcc_lo
	s_cbranch_execz .LBB222_447
; %bb.451:                              ;   in Loop: Header=BB222_449 Depth=2
	v_perm_b32 v8, v8, s73, 0x5040100
	ds_store_b32 v3, v8 offset:3072
	s_branch .LBB222_447
.LBB222_452:                            ;   in Loop: Header=BB222_449 Depth=2
	v_add_nc_u64_e32 v[6:7], s[56:57], v[6:7]
	s_mov_b32 s28, 0
	s_delay_alu instid0(VALU_DEP_1)
	v_cmp_le_u64_e32 vcc_lo, s[10:11], v[6:7]
	s_or_not1_b32 s62, vcc_lo, exec_lo
	s_branch .LBB222_448
.LBB222_453:                            ;   in Loop: Header=BB222_18 Depth=1
	s_or_b32 exec_lo, exec_lo, s15
	v_lshrrev_b32_e32 v36, 16, v8
	s_and_not1_b32 s3, s16, exec_lo
	s_and_b32 s10, s17, exec_lo
	s_delay_alu instid0(SALU_CYCLE_1)
	s_or_b32 s16, s3, s10
.LBB222_454:                            ;   in Loop: Header=BB222_18 Depth=1
	s_or_b32 exec_lo, exec_lo, s14
	s_mov_b32 s95, 0
	s_mov_b32 s64, -1
.LBB222_455:                            ;   in Loop: Header=BB222_18 Depth=1
	s_or_not1_b32 s11, s16, exec_lo
.LBB222_456:                            ;   in Loop: Header=BB222_18 Depth=1
	s_or_b32 exec_lo, exec_lo, s94
	s_mov_b32 s14, 0
	s_and_saveexec_b32 s10, s11
	s_cbranch_execz .LBB222_467
; %bb.457:                              ;   in Loop: Header=BB222_18 Depth=1
	v_mov_b64_e32 v[6:7], 1
	v_mov_b32_e32 v2, 1
	s_xor_b32 s14, s93, -1
	s_delay_alu instid0(SALU_CYCLE_1)
	s_and_saveexec_b32 s11, s14
	s_cbranch_execz .LBB222_466
; %bb.458:                              ;   in Loop: Header=BB222_18 Depth=1
	s_mov_b32 s14, exec_lo
	v_cmpx_ge_u64_e64 s[12:13], v[4:5]
	s_xor_b32 s14, exec_lo, s14
	s_cbranch_execz .LBB222_463
; %bb.459:                              ;   in Loop: Header=BB222_18 Depth=1
	ds_load_b64 v[6:7], v3 offset:5120
	v_and_b32_e32 v31, s25, v31
	v_or_b32_e32 v35, s24, v35
	s_wait_dscnt 0x0
	v_cmp_ne_u64_e32 vcc_lo, 0, v[6:7]
	s_cbranch_vccnz .LBB222_463
; %bb.460:                              ;   in Loop: Header=BB222_18 Depth=1
	s_and_saveexec_b32 s15, s5
; %bb.461:                              ;   in Loop: Header=BB222_18 Depth=1
	v_mov_b64_e32 v[6:7], s[12:13]
	ds_store_b64 v3, v[6:7] offset:5128
; %bb.462:                              ;   in Loop: Header=BB222_18 Depth=1
	s_or_b32 exec_lo, exec_lo, s15
	s_wait_dscnt 0x0
	s_barrier_signal -1
	s_barrier_wait -1
.LBB222_463:                            ;   in Loop: Header=BB222_18 Depth=1
	s_and_not1_saveexec_b32 s14, s14
; %bb.464:                              ;   in Loop: Header=BB222_18 Depth=1
	v_sub_nc_u64_e64 v[4:5], v[4:5], s[12:13]
; %bb.465:                              ;   in Loop: Header=BB222_18 Depth=1
	s_or_b32 exec_lo, exec_lo, s14
	s_delay_alu instid0(VALU_DEP_1)
	v_mov_b64_e32 v[6:7], v[4:5]
	v_mov_b32_e32 v2, 5
.LBB222_466:                            ;   in Loop: Header=BB222_18 Depth=1
	s_or_b32 exec_lo, exec_lo, s11
	s_delay_alu instid0(VALU_DEP_2)
	v_mov_b64_e32 v[4:5], v[6:7]
	s_mov_b32 s14, exec_lo
.LBB222_467:                            ;   in Loop: Header=BB222_18 Depth=1
	s_or_b32 exec_lo, exec_lo, s10
	s_delay_alu instid0(SALU_CYCLE_1)
	s_or_not1_b32 s10, s14, exec_lo
.LBB222_468:                            ;   in Loop: Header=BB222_18 Depth=1
	s_or_b32 exec_lo, exec_lo, s19
	s_delay_alu instid0(VALU_DEP_1)
	v_mov_b64_e32 v[6:7], v[4:5]
	s_and_not1_b32 s11, s92, exec_lo
	s_and_b32 s12, s64, exec_lo
	s_and_not1_b32 s13, s90, exec_lo
	s_and_b32 s14, s95, exec_lo
	s_or_b32 s92, s11, s12
	s_or_b32 s90, s13, s14
	s_and_b32 s11, s10, exec_lo
.LBB222_469:                            ;   in Loop: Header=BB222_18 Depth=1
	s_or_b32 exec_lo, exec_lo, s18
	s_delay_alu instid0(SALU_CYCLE_1)
	s_or_not1_b32 s10, s11, exec_lo
.LBB222_470:                            ;   in Loop: Header=BB222_18 Depth=1
	s_or_b32 exec_lo, exec_lo, s21
	v_mov_b64_e32 v[4:5], v[6:7]
	s_and_not1_b32 s11, s89, exec_lo
	s_and_b32 s12, s92, exec_lo
	s_and_not1_b32 s13, s23, exec_lo
	s_and_b32 s14, s90, exec_lo
	s_or_b32 s89, s11, s12
	s_or_b32 s23, s13, s14
	s_and_b32 s11, s10, exec_lo
.LBB222_471:                            ;   in Loop: Header=BB222_18 Depth=1
	s_or_b32 exec_lo, exec_lo, s20
	s_delay_alu instid0(SALU_CYCLE_1)
	s_or_not1_b32 s10, s11, exec_lo
.LBB222_472:                            ;   in Loop: Header=BB222_18 Depth=1
	s_or_b32 exec_lo, exec_lo, s9
	s_mov_b32 s9, s88
	s_mov_b32 s11, s27
	s_and_saveexec_b32 s12, s10
; %bb.473:                              ;   in Loop: Header=BB222_18 Depth=1
	v_cmp_ne_u32_e32 vcc_lo, 5, v2
	v_cmp_eq_u32_e64 s9, 5, v2
	s_and_not1_b32 s10, s27, exec_lo
	s_and_not1_b32 s13, s88, exec_lo
	s_and_b32 s11, vcc_lo, exec_lo
	s_and_b32 s9, s9, exec_lo
	s_or_b32 s11, s10, s11
	s_or_b32 s9, s13, s9
; %bb.474:                              ;   in Loop: Header=BB222_18 Depth=1
	s_or_b32 exec_lo, exec_lo, s12
	s_delay_alu instid0(SALU_CYCLE_1)
	s_and_not1_b32 s3, s91, exec_lo
	s_and_b32 s10, s89, exec_lo
	s_and_not1_b32 s12, s26, exec_lo
	s_and_b32 s13, s23, exec_lo
	s_or_b32 s91, s3, s10
	s_and_not1_b32 s3, s27, exec_lo
	s_and_b32 s10, s11, exec_lo
	s_and_not1_b32 s11, s88, exec_lo
	s_and_b32 s9, s9, exec_lo
	s_or_b32 s26, s12, s13
	s_or_b32 s27, s3, s10
	;; [unrolled: 1-line block ×3, first 2 shown]
.LBB222_475:                            ;   in Loop: Header=BB222_18 Depth=1
	s_or_b32 exec_lo, exec_lo, s22
	s_mov_b32 s89, 0
	s_mov_b32 s90, 0
	s_and_saveexec_b32 s9, s88
.LBB222_476:                            ;   in Loop: Header=BB222_18 Depth=1
	v_mov_b32_e32 v2, 0
	s_or_b32 s27, s27, exec_lo
.LBB222_477:                            ;   in Loop: Header=BB222_18 Depth=1
	s_or_b32 exec_lo, exec_lo, s9
	v_mov_b64_e32 v[22:23], v[4:5]
	s_and_not1_b32 s3, s60, exec_lo
	s_and_b32 s9, s91, exec_lo
	s_and_not1_b32 s8, s8, exec_lo
	s_and_b32 s11, s26, exec_lo
	s_or_b32 s60, s3, s9
	s_or_b32 s8, s8, s11
	s_and_not1_b32 s3, s7, exec_lo
	s_and_b32 s7, s90, exec_lo
	s_and_not1_b32 s9, s61, exec_lo
	s_and_b32 s11, s89, exec_lo
	s_mov_b32 s10, -1
	s_and_not1_b32 s4, s4, exec_lo
	s_or_b32 s7, s3, s7
	s_or_b32 s61, s9, s11
	s_and_saveexec_b32 s3, s27
	s_delay_alu instid0(SALU_CYCLE_1)
	s_xor_b32 s9, exec_lo, s3
	s_cbranch_execz .LBB222_17
; %bb.478:                              ;   in Loop: Header=BB222_18 Depth=1
	s_mov_b32 s11, -1
	s_mov_b32 s12, exec_lo
	v_cmpx_eq_u32_e32 0, v2
	s_cbranch_execz .LBB222_16
; %bb.479:                              ;   in Loop: Header=BB222_18 Depth=1
	s_xor_b32 s51, s51, 1
	s_add_co_i32 s13, s48, -2
	s_cmp_eq_u32 s48, 0
	s_mov_b32 s48, s13
	s_cselect_b32 s10, -1, 0
	s_xor_b32 s11, exec_lo, -1
	s_or_not1_b32 s10, s10, exec_lo
	s_branch .LBB222_16
.LBB222_480:
	s_or_b32 exec_lo, exec_lo, s49
	s_xor_b32 s7, s55, -1
	s_xor_b32 s9, s53, -1
	;; [unrolled: 1-line block ×5, first 2 shown]
	s_mov_b32 s8, 0
	s_and_saveexec_b32 s4, s3
	s_delay_alu instid0(SALU_CYCLE_1)
	s_xor_b32 s4, exec_lo, s4
	s_cbranch_execnz .LBB222_485
; %bb.481:
	s_and_not1_saveexec_b32 s0, s4
	s_cbranch_execnz .LBB222_504
.LBB222_482:
	s_or_b32 exec_lo, exec_lo, s0
	s_and_saveexec_b32 s0, s8
.LBB222_483:
	; divergent unreachable
.LBB222_484:
	s_endpgm
.LBB222_485:
	s_and_saveexec_b32 s3, s10
	s_delay_alu instid0(SALU_CYCLE_1)
	s_xor_b32 s16, exec_lo, s3
	s_cbranch_execz .LBB222_502
; %bb.486:
	s_and_saveexec_b32 s3, s9
	s_delay_alu instid0(SALU_CYCLE_1)
	s_xor_b32 s17, exec_lo, s3
	s_cbranch_execz .LBB222_500
; %bb.487:
	;; [unrolled: 5-line block ×3, first 2 shown]
	s_and_saveexec_b32 s3, s6
	s_delay_alu instid0(SALU_CYCLE_1)
	s_xor_b32 s6, exec_lo, s3
; %bb.489:
	v_and_b32_e32 v2, 0x8000, v31
	v_mov_b32_e32 v3, 0xffff
	s_delay_alu instid0(VALU_DEP_2) | instskip(NEXT) | instid1(VALU_DEP_2)
	v_cmp_eq_u32_e32 vcc_lo, 0, v2
	v_cndmask_b32_e32 v2, 0x8000, v3, vcc_lo
	s_delay_alu instid0(VALU_DEP_1)
	v_xor_b32_e32 v36, v2, v31
; %bb.490:
	s_or_b32 exec_lo, exec_lo, s6
	s_and_saveexec_b32 s6, s5
	v_readlane_b32 s8, v46, 14
	v_readlane_b32 s9, v46, 15
; %bb.491:
	v_mov_b64_e32 v[2:3], 0
	v_mov_b32_e32 v4, 0
	ds_store_b64 v4, v[2:3] offset:5136
; %bb.492:
	s_or_b32 exec_lo, exec_lo, s6
	v_mov_b32_e32 v16, 0
	s_wait_dscnt 0x0
	s_barrier_signal -1
	s_barrier_wait -1
	s_and_saveexec_b32 s5, s43
	s_cbranch_execz .LBB222_494
; %bb.493:
	global_load_u16 v16, v[14:15], off
.LBB222_494:
	s_wait_xcnt 0x0
	s_or_b32 exec_lo, exec_lo, s5
	s_clause 0x2
	s_load_b128 s[24:27], s[0:1], 0x1d8
	s_load_b64 s[12:13], s[0:1], 0x450
	s_load_b64 s[6:7], s[0:1], 0x510
	s_mul_u64 s[22:23], s[8:9], s[46:47]
	v_readlane_b32 s28, v46, 0
	v_readlane_b32 s29, v46, 1
	s_mov_b64 s[40:41], s[8:9]
	s_load_b64 s[8:9], s[0:1], 0x368
	s_wait_xcnt 0x0
	s_sub_nc_u64 s[0:1], s[58:59], s[22:23]
	v_readlane_b32 s22, v46, 2
	v_readlane_b32 s23, v46, 3
	;; [unrolled: 1-line block ×6, first 2 shown]
	s_add_nc_u64 s[10:11], s[36:37], 31
	s_mov_b64 s[14:15], 0xffffffffffffffe0
	v_mov_b32_e32 v17, 0x8000
	s_and_b64 s[10:11], s[10:11], s[14:15]
	v_cmp_lt_i16_e32 vcc_lo, -1, v36
	s_wait_kmcnt 0x0
	s_mul_u64 s[24:25], s[28:29], s[24:25]
	s_mul_u64 s[0:1], s[0:1], s[12:13]
	s_sub_nc_u64 s[14:15], s[22:23], s[24:25]
	s_mul_u64 s[22:23], s[22:23], s[26:27]
	s_mul_u64 s[12:13], s[14:15], s[50:51]
	;; [unrolled: 1-line block ×3, first 2 shown]
	v_readlane_b32 s28, v46, 8
	v_readlane_b32 s29, v46, 9
	;; [unrolled: 1-line block ×3, first 2 shown]
	s_sub_nc_u64 s[22:23], s[58:59], s[22:23]
	v_readlane_b32 s27, v46, 17
	v_and_b32_e32 v2, 0xffff, v36
	s_mul_u64 s[22:23], s[22:23], s[28:29]
	v_readlane_b32 s28, v46, 20
	v_readlane_b32 s29, v46, 21
	v_dual_cndmask_b32 v4, 0xffff, v17 :: v_dual_lshlrev_b32 v3, 16, v36
	s_mul_u64 s[24:25], s[26:27], s[44:45]
	v_readlane_b32 s44, v46, 4
	s_lshl_b64 s[14:15], s[14:15], 1
	v_readlane_b32 s45, v46, 5
	s_add_nc_u64 s[14:15], s[28:29], s[14:15]
	s_lshl_b64 s[12:13], s[12:13], 1
	v_readlane_b32 s46, v46, 6
	v_readlane_b32 s47, v46, 7
	v_xor_b32_e32 v2, v4, v2
	v_cmp_o_f32_e32 vcc_lo, v3, v3
	s_add_nc_u64 s[12:13], s[14:15], s[12:13]
	v_readlane_b32 s14, v46, 18
	v_readlane_b32 s15, v46, 19
	s_sub_nc_u64 s[24:25], s[40:41], s[24:25]
	s_mul_u64 s[26:27], s[26:27], s[44:45]
	s_mul_u64 s[24:25], s[24:25], s[46:47]
	s_lshl_b64 s[26:27], s[26:27], 3
	v_cndmask_b32_e32 v13, 0xffff, v2, vcc_lo
	v_cmp_gt_u64_e32 vcc_lo, s[10:11], v[0:1]
	s_add_nc_u64 s[14:15], s[14:15], s[26:27]
	s_lshl_b64 s[24:25], s[24:25], 3
	s_lshl_b64 s[22:23], s[22:23], 1
	s_add_nc_u64 s[14:15], s[14:15], s[24:25]
	s_lshl_b64 s[0:1], s[0:1], 3
	s_mov_b32 s20, -1
	s_add_nc_u64 s[12:13], s[12:13], s[22:23]
	s_add_nc_u64 s[14:15], s[14:15], s[0:1]
	s_mov_b32 s19, 0
	s_mov_b32 s1, 0
	s_and_saveexec_b32 s5, vcc_lo
	s_cbranch_execnz .LBB222_505
; %bb.495:
	s_or_b32 exec_lo, exec_lo, s5
	s_and_saveexec_b32 s5, s20
	s_cbranch_execnz .LBB222_522
.LBB222_496:
	s_or_b32 exec_lo, exec_lo, s5
	s_and_saveexec_b32 s0, s1
	s_delay_alu instid0(SALU_CYCLE_1)
	s_xor_b32 s0, exec_lo, s0
	s_cbranch_execnz .LBB222_547
.LBB222_497:
	s_or_b32 exec_lo, exec_lo, s0
	s_delay_alu instid0(SALU_CYCLE_1)
	s_and_b32 s8, s19, exec_lo
.LBB222_498:
	s_and_not1_saveexec_b32 s0, s18
	s_cbranch_execnz .LBB222_549
.LBB222_499:
	s_or_b32 exec_lo, exec_lo, s0
	s_delay_alu instid0(SALU_CYCLE_1)
	s_and_b32 s8, s8, exec_lo
.LBB222_500:
	s_and_not1_saveexec_b32 s0, s17
	s_cbranch_execnz .LBB222_548
.LBB222_501:
	s_or_b32 exec_lo, exec_lo, s0
	s_delay_alu instid0(SALU_CYCLE_1)
	s_and_b32 s8, s8, exec_lo
.LBB222_502:
	s_and_not1_saveexec_b32 s0, s16
	s_cbranch_execnz .LBB222_543
.LBB222_503:
	s_or_b32 exec_lo, exec_lo, s0
	s_delay_alu instid0(SALU_CYCLE_1)
	s_and_b32 s8, s8, exec_lo
	s_and_not1_saveexec_b32 s0, s4
	s_cbranch_execz .LBB222_482
.LBB222_504:
	s_or_b32 s8, s8, exec_lo
	s_trap 2
	s_or_b32 exec_lo, exec_lo, s0
	s_and_saveexec_b32 s0, s8
	s_cbranch_execnz .LBB222_483
	s_branch .LBB222_484
.LBB222_505:
	v_mov_b64_e32 v[8:9], v[0:1]
	v_mov_b32_e32 v3, 0
	s_mov_b32 s20, 0
                                        ; implicit-def: $sgpr21
                                        ; implicit-def: $vgpr6_vgpr7
	s_branch .LBB222_507
.LBB222_506:                            ;   in Loop: Header=BB222_507 Depth=1
	s_or_b32 exec_lo, exec_lo, s23
	s_xor_b32 s0, s22, -1
	s_and_b32 s1, exec_lo, s1
	v_mov_b64_e32 v[8:9], v[4:5]
	s_or_b32 s20, s1, s20
	s_wait_loadcnt 0x0
	v_mov_b32_e32 v16, v18
	s_and_not1_b32 s1, s21, exec_lo
	s_and_b32 s0, s0, exec_lo
	s_delay_alu instid0(SALU_CYCLE_1)
	s_or_b32 s21, s1, s0
	s_and_not1_b32 exec_lo, exec_lo, s20
	s_cbranch_execz .LBB222_521
.LBB222_507:                            ; =>This Inner Loop Header: Depth=1
	s_delay_alu instid0(VALU_DEP_2) | instskip(SKIP_2) | instid1(VALU_DEP_2)
	v_add_nc_u64_e32 v[4:5], s[56:57], v[8:9]
	v_mov_b32_e32 v18, 0
	s_mov_b32 s1, exec_lo
	v_cmpx_gt_u64_e64 s[36:37], v[4:5]
	s_cbranch_execz .LBB222_509
; %bb.508:                              ;   in Loop: Header=BB222_507 Depth=1
	v_mul_u64_e32 v[10:11], s[30:31], v[4:5]
	s_delay_alu instid0(VALU_DEP_1)
	v_lshl_add_u64 v[10:11], v[10:11], 1, s[34:35]
	global_load_u16 v18, v[10:11], off
.LBB222_509:                            ;   in Loop: Header=BB222_507 Depth=1
	s_wait_xcnt 0x0
	s_or_b32 exec_lo, exec_lo, s1
	s_mov_b32 s22, 0
	s_mov_b32 s1, exec_lo
	v_cmpx_gt_u64_e64 s[36:37], v[8:9]
	s_cbranch_execz .LBB222_511
; %bb.510:                              ;   in Loop: Header=BB222_507 Depth=1
	s_wait_loadcnt 0x0
	v_cmp_lt_i16_e64 s0, -1, v16
	v_and_b32_e32 v2, 0xffff, v16
	s_delay_alu instid0(VALU_DEP_2) | instskip(NEXT) | instid1(VALU_DEP_1)
	v_cndmask_b32_e64 v10, 0xffff, v17, s0
	v_dual_lshlrev_b32 v11, 16, v16 :: v_dual_bitop2_b32 v2, v10, v2 bitop3:0x14
	s_delay_alu instid0(VALU_DEP_1) | instskip(NEXT) | instid1(VALU_DEP_1)
	v_cmp_o_f32_e64 s0, v11, v11
	v_cndmask_b32_e64 v2, 0xffff, v2, s0
	s_delay_alu instid0(VALU_DEP_1) | instskip(NEXT) | instid1(VALU_DEP_1)
	v_cmp_gt_u32_e64 s0, v2, v13
	v_cndmask_b32_e64 v10, 0, 1, s0
	v_cmp_lt_u32_e64 s0, v2, v13
	s_delay_alu instid0(VALU_DEP_1) | instskip(NEXT) | instid1(VALU_DEP_1)
	v_cndmask_b32_e64 v2, 0, 1, s0
	v_cndmask_b32_e64 v2, v2, v10, vcc_hi
	s_delay_alu instid0(VALU_DEP_1) | instskip(NEXT) | instid1(VALU_DEP_1)
	v_and_b32_e32 v2, 1, v2
	v_cmp_eq_u32_e64 s0, 1, v2
	s_and_b32 s22, s0, exec_lo
.LBB222_511:                            ;   in Loop: Header=BB222_507 Depth=1
	s_or_b32 exec_lo, exec_lo, s1
	v_cndmask_b32_e64 v2, 0, 1, s22
	s_delay_alu instid0(VALU_DEP_1) | instskip(SKIP_2) | instid1(SALU_CYCLE_1)
	v_cmp_ne_u32_e64 s0, 0, v2
	s_cmp_lg_u32 s0, 0
	s_cselect_b32 s1, -1, 0
	s_and_b32 s1, s2, s1
	s_delay_alu instid0(SALU_CYCLE_1)
	s_and_saveexec_b32 s23, s1
	s_cbranch_execz .LBB222_515
; %bb.512:                              ;   in Loop: Header=BB222_507 Depth=1
	s_mov_b32 s26, exec_lo
	s_bcnt1_i32_b32 s24, s0
	v_mbcnt_lo_u32_b32 v10, s26, 0
	s_mov_b32 s25, exec_lo
                                        ; implicit-def: $vgpr6_vgpr7
	s_delay_alu instid0(VALU_DEP_1)
	v_cmpx_eq_u32_e32 0, v10
	s_cbranch_execz .LBB222_514
; %bb.513:                              ;   in Loop: Header=BB222_507 Depth=1
	s_bcnt1_i32_b32 s1, s26
	s_delay_alu instid0(SALU_CYCLE_1) | instskip(NEXT) | instid1(SALU_CYCLE_1)
	s_mul_i32 s1, s24, s1
	v_mov_b32_e32 v2, s1
	s_wait_dscnt 0x0
	ds_add_rtn_u64 v[6:7], v3, v[2:3] offset:5136
.LBB222_514:                            ;   in Loop: Header=BB222_507 Depth=1
	s_or_b32 exec_lo, exec_lo, s25
	s_wait_dscnt 0x0
	v_readfirstlane_b32 s27, v7
	v_readfirstlane_b32 s26, v6
	s_delay_alu instid0(VALU_DEP_1)
	v_mad_nc_u64_u32 v[6:7], s24, v10, s[26:27]
.LBB222_515:                            ;   in Loop: Header=BB222_507 Depth=1
	s_or_b32 exec_lo, exec_lo, s23
	s_wait_dscnt 0x1
	ds_bpermute_b32 v6, v3, v6
	s_wait_dscnt 0x1
	ds_bpermute_b32 v7, v3, v7
	s_mov_b32 s1, -1
	s_mov_b32 s24, -1
	s_and_saveexec_b32 s23, s22
	s_cbranch_execz .LBB222_519
; %bb.516:                              ;   in Loop: Header=BB222_507 Depth=1
	v_and_b32_e32 v2, s0, v12
	s_mov_b32 s22, 0
	s_mov_b32 s24, exec_lo
	s_delay_alu instid0(VALU_DEP_1) | instskip(SKIP_1) | instid1(VALU_DEP_1)
	v_bcnt_u32_b32 v2, v2, 0
	s_wait_dscnt 0x0
	v_add_nc_u64_e32 v[10:11], v[6:7], v[2:3]
	s_delay_alu instid0(VALU_DEP_1)
	v_cmpx_gt_u64_e64 s[38:39], v[10:11]
	s_cbranch_execz .LBB222_518
; %bb.517:                              ;   in Loop: Header=BB222_507 Depth=1
	v_mul_u64_e32 v[20:21], s[8:9], v[10:11]
	v_mul_u64_e32 v[10:11], s[6:7], v[10:11]
	s_mov_b32 s22, exec_lo
	s_delay_alu instid0(VALU_DEP_2) | instskip(NEXT) | instid1(VALU_DEP_2)
	v_lshl_add_u64 v[20:21], v[20:21], 1, s[12:13]
	v_lshl_add_u64 v[10:11], v[10:11], 3, s[14:15]
	s_wait_loadcnt 0x0
	global_store_b16 v[20:21], v16, off
	global_store_b64 v[10:11], v[8:9], off
.LBB222_518:                            ;   in Loop: Header=BB222_507 Depth=1
	s_wait_xcnt 0x0
	s_or_b32 exec_lo, exec_lo, s24
	s_delay_alu instid0(SALU_CYCLE_1)
	s_or_not1_b32 s24, s22, exec_lo
.LBB222_519:                            ;   in Loop: Header=BB222_507 Depth=1
	s_or_b32 exec_lo, exec_lo, s23
	s_mov_b32 s22, -1
	s_and_saveexec_b32 s23, s24
	s_cbranch_execz .LBB222_506
; %bb.520:                              ;   in Loop: Header=BB222_507 Depth=1
	v_cmp_le_u64_e64 s0, s[10:11], v[4:5]
	s_xor_b32 s22, exec_lo, -1
	s_or_not1_b32 s1, s0, exec_lo
	s_branch .LBB222_506
.LBB222_521:
	s_or_b32 exec_lo, exec_lo, s20
	s_delay_alu instid0(SALU_CYCLE_1)
	s_mov_b32 s1, exec_lo
	s_or_not1_b32 s20, s21, exec_lo
	s_or_b32 exec_lo, exec_lo, s5
	s_and_saveexec_b32 s5, s20
	s_cbranch_execz .LBB222_496
.LBB222_522:
	s_wait_loadcnt 0x0
	v_mov_b32_e32 v16, 0
	s_wait_storecnt_dscnt 0x0
	s_barrier_signal -1
	s_barrier_wait -1
	s_and_saveexec_b32 s0, s43
	s_cbranch_execz .LBB222_524
; %bb.523:
	global_load_u16 v16, v[14:15], off
.LBB222_524:
	s_wait_xcnt 0x0
	s_or_b32 exec_lo, exec_lo, s0
	s_mov_b32 s0, 0
	s_and_saveexec_b32 s3, vcc_lo
	s_cbranch_execz .LBB222_546
; %bb.525:
	v_dual_mov_b32 v3, 0 :: v_dual_mov_b32 v10, 0x8000
	s_mov_b32 s19, 0
                                        ; implicit-def: $sgpr20
                                        ; implicit-def: $vgpr6_vgpr7
	s_branch .LBB222_528
.LBB222_526:                            ;   in Loop: Header=BB222_528 Depth=1
	s_or_b32 exec_lo, exec_lo, s21
	s_delay_alu instid0(SALU_CYCLE_1)
	s_or_not1_b32 s23, s23, exec_lo
	s_or_not1_b32 s22, s22, exec_lo
.LBB222_527:                            ;   in Loop: Header=BB222_528 Depth=1
	s_or_b32 exec_lo, exec_lo, s0
	s_xor_b32 s0, s23, -1
	s_and_b32 s21, exec_lo, s22
	v_mov_b64_e32 v[0:1], v[4:5]
	s_or_b32 s19, s21, s19
	s_wait_loadcnt 0x0
	v_mov_b32_e32 v16, v11
	s_and_not1_b32 s20, s20, exec_lo
	s_and_b32 s0, s0, exec_lo
	s_delay_alu instid0(SALU_CYCLE_1)
	s_or_b32 s20, s20, s0
	s_and_not1_b32 exec_lo, exec_lo, s19
	s_cbranch_execz .LBB222_544
.LBB222_528:                            ; =>This Inner Loop Header: Depth=1
	v_add_nc_u64_e32 v[4:5], s[56:57], v[0:1]
	v_mov_b32_e32 v11, 0
	s_mov_b32 s0, exec_lo
	s_delay_alu instid0(VALU_DEP_2)
	v_cmpx_gt_u64_e64 s[36:37], v[4:5]
	s_cbranch_execz .LBB222_530
; %bb.529:                              ;   in Loop: Header=BB222_528 Depth=1
	v_mul_u64_e32 v[8:9], s[30:31], v[4:5]
	s_delay_alu instid0(VALU_DEP_1)
	v_lshl_add_u64 v[8:9], v[8:9], 1, s[34:35]
	global_load_u16 v11, v[8:9], off
.LBB222_530:                            ;   in Loop: Header=BB222_528 Depth=1
	s_wait_xcnt 0x0
	s_or_b32 exec_lo, exec_lo, s0
	s_mov_b32 s21, 0
	s_mov_b32 s0, exec_lo
	v_cmpx_gt_u64_e64 s[36:37], v[0:1]
	s_cbranch_execz .LBB222_532
; %bb.531:                              ;   in Loop: Header=BB222_528 Depth=1
	s_wait_loadcnt 0x0
	v_cmp_lt_i16_e32 vcc_lo, -1, v16
	v_and_b32_e32 v2, 0xffff, v16
	v_dual_cndmask_b32 v8, 0xffff, v10 :: v_dual_lshlrev_b32 v9, 16, v16
	s_delay_alu instid0(VALU_DEP_1) | instskip(NEXT) | instid1(VALU_DEP_2)
	v_cmp_o_f32_e32 vcc_lo, v9, v9
	v_xor_b32_e32 v2, v8, v2
	s_delay_alu instid0(VALU_DEP_1) | instskip(NEXT) | instid1(VALU_DEP_1)
	v_cndmask_b32_e32 v2, 0xffff, v2, vcc_lo
	v_cmp_eq_u32_e32 vcc_lo, v2, v13
	s_and_b32 s21, vcc_lo, exec_lo
.LBB222_532:                            ;   in Loop: Header=BB222_528 Depth=1
	s_or_b32 exec_lo, exec_lo, s0
	v_cndmask_b32_e64 v2, 0, 1, s21
	s_delay_alu instid0(VALU_DEP_1) | instskip(SKIP_2) | instid1(SALU_CYCLE_1)
	v_cmp_ne_u32_e32 vcc_lo, 0, v2
	s_cmp_lg_u32 vcc_lo, 0
	s_cselect_b32 s0, -1, 0
	s_and_b32 s0, s2, s0
	s_delay_alu instid0(SALU_CYCLE_1)
	s_and_saveexec_b32 s22, s0
	s_cbranch_execz .LBB222_536
; %bb.533:                              ;   in Loop: Header=BB222_528 Depth=1
	s_mov_b32 s25, exec_lo
	s_bcnt1_i32_b32 s23, vcc_lo
	v_mbcnt_lo_u32_b32 v8, s25, 0
	s_mov_b32 s24, exec_lo
                                        ; implicit-def: $vgpr6_vgpr7
	s_delay_alu instid0(VALU_DEP_1)
	v_cmpx_eq_u32_e32 0, v8
; %bb.534:                              ;   in Loop: Header=BB222_528 Depth=1
	s_bcnt1_i32_b32 s0, s25
	s_delay_alu instid0(SALU_CYCLE_1) | instskip(NEXT) | instid1(SALU_CYCLE_1)
	s_mul_i32 s0, s23, s0
	v_mov_b32_e32 v2, s0
	ds_add_rtn_u64 v[6:7], v3, v[2:3] offset:5136
; %bb.535:                              ;   in Loop: Header=BB222_528 Depth=1
	s_or_b32 exec_lo, exec_lo, s24
	s_wait_dscnt 0x0
	v_readfirstlane_b32 s25, v7
	v_readfirstlane_b32 s24, v6
	s_delay_alu instid0(VALU_DEP_1)
	v_mad_nc_u64_u32 v[6:7], s23, v8, s[24:25]
.LBB222_536:                            ;   in Loop: Header=BB222_528 Depth=1
	s_or_b32 exec_lo, exec_lo, s22
	ds_bpermute_b32 v6, v3, v6
	ds_bpermute_b32 v7, v3, v7
	s_cmp_eq_u32 vcc_lo, 0
	s_mov_b32 s22, -1
	s_cselect_b32 s23, -1, 0
	s_wait_dscnt 0x0
	v_cmp_gt_u64_e64 s0, s[38:39], v[6:7]
	s_or_b32 s24, s23, s0
	s_mov_b32 s23, -1
	s_and_saveexec_b32 s0, s24
	s_cbranch_execz .LBB222_527
; %bb.537:                              ;   in Loop: Header=BB222_528 Depth=1
	v_and_b32_e32 v2, vcc_lo, v12
	v_sub_nc_u64_e32 v[8:9], s[38:39], v[6:7]
	s_mov_b32 s24, -1
	s_delay_alu instid0(VALU_DEP_2) | instskip(NEXT) | instid1(VALU_DEP_1)
	v_bcnt_u32_b32 v2, v2, 0
	v_bcnt_u32_b32 v2, 0, v2
	s_delay_alu instid0(VALU_DEP_1) | instskip(SKIP_1) | instid1(SALU_CYCLE_1)
	v_cmp_gt_u64_e32 vcc_lo, v[8:9], v[2:3]
	s_and_b32 s25, s21, vcc_lo
	s_and_saveexec_b32 s21, s25
	s_cbranch_execz .LBB222_541
; %bb.538:                              ;   in Loop: Header=BB222_528 Depth=1
	v_add_nc_u64_e32 v[8:9], v[6:7], v[2:3]
	s_mov_b32 s24, 0
	s_mov_b32 s23, exec_lo
	s_delay_alu instid0(VALU_DEP_1)
	v_cmpx_gt_u64_e64 s[38:39], v[8:9]
	s_cbranch_execz .LBB222_540
; %bb.539:                              ;   in Loop: Header=BB222_528 Depth=1
	v_mul_u64_e32 v[14:15], s[8:9], v[8:9]
	v_mul_u64_e32 v[8:9], s[6:7], v[8:9]
	s_mov_b32 s24, exec_lo
	s_delay_alu instid0(VALU_DEP_2) | instskip(NEXT) | instid1(VALU_DEP_2)
	v_lshl_add_u64 v[14:15], v[14:15], 1, s[12:13]
	v_lshl_add_u64 v[8:9], v[8:9], 3, s[14:15]
	s_wait_loadcnt 0x0
	global_store_b16 v[14:15], v16, off
	global_store_b64 v[8:9], v[0:1], off
.LBB222_540:                            ;   in Loop: Header=BB222_528 Depth=1
	s_wait_xcnt 0x0
	s_or_b32 exec_lo, exec_lo, s23
	s_delay_alu instid0(SALU_CYCLE_1)
	s_xor_b32 s23, exec_lo, -1
	s_or_not1_b32 s24, s24, exec_lo
.LBB222_541:                            ;   in Loop: Header=BB222_528 Depth=1
	s_or_b32 exec_lo, exec_lo, s21
	s_and_saveexec_b32 s21, s24
	s_cbranch_execz .LBB222_526
; %bb.542:                              ;   in Loop: Header=BB222_528 Depth=1
	v_cmp_le_u64_e32 vcc_lo, s[10:11], v[4:5]
	s_or_b32 s23, s23, exec_lo
	s_or_not1_b32 s22, vcc_lo, exec_lo
	s_branch .LBB222_526
.LBB222_543:
	s_or_b32 s8, s8, exec_lo
	s_trap 2
	s_branch .LBB222_503
.LBB222_544:
	s_or_b32 exec_lo, exec_lo, s19
	s_mov_b32 s0, 0
	s_and_saveexec_b32 s2, s20
	s_delay_alu instid0(SALU_CYCLE_1)
	s_xor_b32 s2, exec_lo, s2
	s_cbranch_execnz .LBB222_550
.LBB222_545:
	s_or_b32 exec_lo, exec_lo, s2
	s_delay_alu instid0(SALU_CYCLE_1)
	s_and_b32 s0, s0, exec_lo
.LBB222_546:
	s_or_b32 exec_lo, exec_lo, s3
	s_delay_alu instid0(SALU_CYCLE_1) | instskip(SKIP_3) | instid1(SALU_CYCLE_1)
	s_and_b32 s19, s0, exec_lo
	s_and_not1_b32 s1, s1, exec_lo
	s_or_b32 exec_lo, exec_lo, s5
	s_and_saveexec_b32 s0, s1
	s_xor_b32 s0, exec_lo, s0
	s_cbranch_execz .LBB222_497
.LBB222_547:
	s_or_b32 s19, s19, exec_lo
	s_trap 2
	s_branch .LBB222_497
.LBB222_548:
	s_or_b32 s8, s8, exec_lo
	s_trap 2
	s_branch .LBB222_501
.LBB222_549:
	s_or_b32 s8, s8, exec_lo
	s_trap 2
	s_branch .LBB222_499
.LBB222_550:
	s_mov_b32 s0, exec_lo
	s_trap 2
	s_branch .LBB222_545
	.section	.rodata,"a",@progbits
	.p2align	6, 0x0
	.amdhsa_kernel _ZN2at6native6sbtopk10gatherTopKIN3c108BFloat16EmLi3ELb0EEEvNS_4cuda6detail10TensorInfoIKT_T0_EESA_SA_bSA_SA_NS7_IS8_SA_EESA_NS7_IlSA_EESA_PS8_
		.amdhsa_group_segment_fixed_size 5152
		.amdhsa_private_segment_fixed_size 0
		.amdhsa_kernarg_size 1568
		.amdhsa_user_sgpr_count 2
		.amdhsa_user_sgpr_dispatch_ptr 0
		.amdhsa_user_sgpr_queue_ptr 0
		.amdhsa_user_sgpr_kernarg_segment_ptr 1
		.amdhsa_user_sgpr_dispatch_id 0
		.amdhsa_user_sgpr_kernarg_preload_length 0
		.amdhsa_user_sgpr_kernarg_preload_offset 0
		.amdhsa_user_sgpr_private_segment_size 0
		.amdhsa_wavefront_size32 1
		.amdhsa_uses_dynamic_stack 0
		.amdhsa_enable_private_segment 0
		.amdhsa_system_sgpr_workgroup_id_x 1
		.amdhsa_system_sgpr_workgroup_id_y 1
		.amdhsa_system_sgpr_workgroup_id_z 1
		.amdhsa_system_sgpr_workgroup_info 0
		.amdhsa_system_vgpr_workitem_id 0
		.amdhsa_next_free_vgpr 47
		.amdhsa_next_free_sgpr 105
		.amdhsa_named_barrier_count 0
		.amdhsa_reserve_vcc 1
		.amdhsa_float_round_mode_32 0
		.amdhsa_float_round_mode_16_64 0
		.amdhsa_float_denorm_mode_32 3
		.amdhsa_float_denorm_mode_16_64 3
		.amdhsa_fp16_overflow 0
		.amdhsa_memory_ordered 1
		.amdhsa_forward_progress 1
		.amdhsa_inst_pref_size 214
		.amdhsa_round_robin_scheduling 0
		.amdhsa_exception_fp_ieee_invalid_op 0
		.amdhsa_exception_fp_denorm_src 0
		.amdhsa_exception_fp_ieee_div_zero 0
		.amdhsa_exception_fp_ieee_overflow 0
		.amdhsa_exception_fp_ieee_underflow 0
		.amdhsa_exception_fp_ieee_inexact 0
		.amdhsa_exception_int_div_zero 0
	.end_amdhsa_kernel
	.section	.text._ZN2at6native6sbtopk10gatherTopKIN3c108BFloat16EmLi3ELb0EEEvNS_4cuda6detail10TensorInfoIKT_T0_EESA_SA_bSA_SA_NS7_IS8_SA_EESA_NS7_IlSA_EESA_PS8_,"axG",@progbits,_ZN2at6native6sbtopk10gatherTopKIN3c108BFloat16EmLi3ELb0EEEvNS_4cuda6detail10TensorInfoIKT_T0_EESA_SA_bSA_SA_NS7_IS8_SA_EESA_NS7_IlSA_EESA_PS8_,comdat
.Lfunc_end222:
	.size	_ZN2at6native6sbtopk10gatherTopKIN3c108BFloat16EmLi3ELb0EEEvNS_4cuda6detail10TensorInfoIKT_T0_EESA_SA_bSA_SA_NS7_IS8_SA_EESA_NS7_IlSA_EESA_PS8_, .Lfunc_end222-_ZN2at6native6sbtopk10gatherTopKIN3c108BFloat16EmLi3ELb0EEEvNS_4cuda6detail10TensorInfoIKT_T0_EESA_SA_bSA_SA_NS7_IS8_SA_EESA_NS7_IlSA_EESA_PS8_
                                        ; -- End function
	.set _ZN2at6native6sbtopk10gatherTopKIN3c108BFloat16EmLi3ELb0EEEvNS_4cuda6detail10TensorInfoIKT_T0_EESA_SA_bSA_SA_NS7_IS8_SA_EESA_NS7_IlSA_EESA_PS8_.num_vgpr, 47
	.set _ZN2at6native6sbtopk10gatherTopKIN3c108BFloat16EmLi3ELb0EEEvNS_4cuda6detail10TensorInfoIKT_T0_EESA_SA_bSA_SA_NS7_IS8_SA_EESA_NS7_IlSA_EESA_PS8_.num_agpr, 0
	.set _ZN2at6native6sbtopk10gatherTopKIN3c108BFloat16EmLi3ELb0EEEvNS_4cuda6detail10TensorInfoIKT_T0_EESA_SA_bSA_SA_NS7_IS8_SA_EESA_NS7_IlSA_EESA_PS8_.numbered_sgpr, 105
	.set _ZN2at6native6sbtopk10gatherTopKIN3c108BFloat16EmLi3ELb0EEEvNS_4cuda6detail10TensorInfoIKT_T0_EESA_SA_bSA_SA_NS7_IS8_SA_EESA_NS7_IlSA_EESA_PS8_.num_named_barrier, 0
	.set _ZN2at6native6sbtopk10gatherTopKIN3c108BFloat16EmLi3ELb0EEEvNS_4cuda6detail10TensorInfoIKT_T0_EESA_SA_bSA_SA_NS7_IS8_SA_EESA_NS7_IlSA_EESA_PS8_.private_seg_size, 0
	.set _ZN2at6native6sbtopk10gatherTopKIN3c108BFloat16EmLi3ELb0EEEvNS_4cuda6detail10TensorInfoIKT_T0_EESA_SA_bSA_SA_NS7_IS8_SA_EESA_NS7_IlSA_EESA_PS8_.uses_vcc, 1
	.set _ZN2at6native6sbtopk10gatherTopKIN3c108BFloat16EmLi3ELb0EEEvNS_4cuda6detail10TensorInfoIKT_T0_EESA_SA_bSA_SA_NS7_IS8_SA_EESA_NS7_IlSA_EESA_PS8_.uses_flat_scratch, 0
	.set _ZN2at6native6sbtopk10gatherTopKIN3c108BFloat16EmLi3ELb0EEEvNS_4cuda6detail10TensorInfoIKT_T0_EESA_SA_bSA_SA_NS7_IS8_SA_EESA_NS7_IlSA_EESA_PS8_.has_dyn_sized_stack, 0
	.set _ZN2at6native6sbtopk10gatherTopKIN3c108BFloat16EmLi3ELb0EEEvNS_4cuda6detail10TensorInfoIKT_T0_EESA_SA_bSA_SA_NS7_IS8_SA_EESA_NS7_IlSA_EESA_PS8_.has_recursion, 0
	.set _ZN2at6native6sbtopk10gatherTopKIN3c108BFloat16EmLi3ELb0EEEvNS_4cuda6detail10TensorInfoIKT_T0_EESA_SA_bSA_SA_NS7_IS8_SA_EESA_NS7_IlSA_EESA_PS8_.has_indirect_call, 0
	.section	.AMDGPU.csdata,"",@progbits
; Kernel info:
; codeLenInByte = 27288
; TotalNumSgprs: 107
; NumVgprs: 47
; ScratchSize: 0
; MemoryBound: 0
; FloatMode: 240
; IeeeMode: 1
; LDSByteSize: 5152 bytes/workgroup (compile time only)
; SGPRBlocks: 0
; VGPRBlocks: 2
; NumSGPRsForWavesPerEU: 107
; NumVGPRsForWavesPerEU: 47
; NamedBarCnt: 0
; Occupancy: 16
; WaveLimiterHint : 1
; COMPUTE_PGM_RSRC2:SCRATCH_EN: 0
; COMPUTE_PGM_RSRC2:USER_SGPR: 2
; COMPUTE_PGM_RSRC2:TRAP_HANDLER: 0
; COMPUTE_PGM_RSRC2:TGID_X_EN: 1
; COMPUTE_PGM_RSRC2:TGID_Y_EN: 1
; COMPUTE_PGM_RSRC2:TGID_Z_EN: 1
; COMPUTE_PGM_RSRC2:TIDIG_COMP_CNT: 0
	.section	.text._ZN2at6native6mbtopk23computeBlockDigitCountsIN3c108BFloat16EmjLin1EEEvNS_4cuda6detail10TensorInfoIKT_T0_EEjPjjSA_iijT1_PSD_Ps,"axG",@progbits,_ZN2at6native6mbtopk23computeBlockDigitCountsIN3c108BFloat16EmjLin1EEEvNS_4cuda6detail10TensorInfoIKT_T0_EEjPjjSA_iijT1_PSD_Ps,comdat
	.protected	_ZN2at6native6mbtopk23computeBlockDigitCountsIN3c108BFloat16EmjLin1EEEvNS_4cuda6detail10TensorInfoIKT_T0_EEjPjjSA_iijT1_PSD_Ps ; -- Begin function _ZN2at6native6mbtopk23computeBlockDigitCountsIN3c108BFloat16EmjLin1EEEvNS_4cuda6detail10TensorInfoIKT_T0_EEjPjjSA_iijT1_PSD_Ps
	.globl	_ZN2at6native6mbtopk23computeBlockDigitCountsIN3c108BFloat16EmjLin1EEEvNS_4cuda6detail10TensorInfoIKT_T0_EEjPjjSA_iijT1_PSD_Ps
	.p2align	8
	.type	_ZN2at6native6mbtopk23computeBlockDigitCountsIN3c108BFloat16EmjLin1EEEvNS_4cuda6detail10TensorInfoIKT_T0_EEjPjjSA_iijT1_PSD_Ps,@function
_ZN2at6native6mbtopk23computeBlockDigitCountsIN3c108BFloat16EmjLin1EEEvNS_4cuda6detail10TensorInfoIKT_T0_EEjPjjSA_iijT1_PSD_Ps: ; @_ZN2at6native6mbtopk23computeBlockDigitCountsIN3c108BFloat16EmjLin1EEEvNS_4cuda6detail10TensorInfoIKT_T0_EEjPjjSA_iijT1_PSD_Ps
; %bb.0:
	s_load_b128 s[4:7], s[0:1], 0x1c0
	s_bfe_u32 s2, ttmp6, 0x40010
	s_and_b32 s8, ttmp7, 0xffff
	s_add_co_i32 s9, s2, 1
	s_bfe_u32 s10, ttmp6, 0x40004
	s_mul_i32 s9, s8, s9
	s_load_b64 s[2:3], s[0:1], 0x1e0
	s_add_co_i32 s10, s10, s9
	s_bfe_u32 s11, ttmp6, 0x4000c
	s_bfe_u32 s13, ttmp6, 0x40014
	s_add_co_i32 s11, s11, 1
	s_and_b32 s12, ttmp6, 15
	s_mul_i32 s11, ttmp9, s11
	s_add_co_i32 s13, s13, 1
	s_add_co_i32 s12, s12, s11
	s_getreg_b32 s14, hwreg(HW_REG_IB_STS2, 6, 4)
	s_wait_kmcnt 0x0
	s_cvt_f32_u32 s9, s6
	s_delay_alu instid0(SALU_CYCLE_3) | instskip(SKIP_1) | instid1(SALU_CYCLE_1)
	v_rcp_iflag_f32_e32 v1, s9
	s_lshr_b32 s9, ttmp7, 16
	s_mul_i32 s11, s9, s13
	s_bfe_u32 s13, ttmp6, 0x40008
	s_delay_alu instid0(SALU_CYCLE_1) | instskip(SKIP_1) | instid1(TRANS32_DEP_1)
	s_add_co_i32 s13, s13, s11
	v_nop
	v_readfirstlane_b32 s15, v1
	s_cmp_eq_u32 s14, 0
	s_cselect_b32 s9, s9, s13
	s_load_b32 s13, s[0:1], 0x1b0
	s_mul_f32 s11, s15, 0x4f7ffffe
	s_mul_i32 s3, s3, s9
	s_cselect_b32 s9, ttmp9, s12
	s_cselect_b32 s8, s8, s10
	s_cvt_u32_f32 s11, s11
	s_sub_co_i32 s10, 0, s6
	s_add_co_i32 s3, s3, s8
	s_delay_alu instid0(SALU_CYCLE_1) | instskip(SKIP_3) | instid1(SALU_CYCLE_1)
	s_mul_i32 s24, s3, s2
	s_mul_i32 s10, s10, s11
	s_add_co_i32 s24, s24, s9
	s_mul_hi_u32 s2, s11, s10
	s_add_co_i32 s11, s11, s2
	s_delay_alu instid0(SALU_CYCLE_1) | instskip(NEXT) | instid1(SALU_CYCLE_1)
	s_mul_hi_u32 s2, s24, s11
	s_mul_i32 s3, s2, s6
	s_add_co_i32 s8, s2, 1
	s_sub_co_i32 s3, s24, s3
	s_delay_alu instid0(SALU_CYCLE_1)
	s_sub_co_i32 s9, s3, s6
	s_cmp_ge_u32 s3, s6
	s_cselect_b32 s2, s8, s2
	s_cselect_b32 s3, s9, s3
	s_add_co_i32 s8, s2, 1
	s_cmp_ge_u32 s3, s6
	s_cselect_b32 s12, s8, s2
	s_wait_kmcnt 0x0
	s_cmp_ge_u32 s12, s13
	s_mov_b32 s13, 0
	s_cbranch_scc1 .LBB223_28
; %bb.1:
	s_clause 0x1
	s_load_b32 s14, s[0:1], 0x198
	s_load_b128 s[8:11], s[0:1], 0x1d0
	s_mov_b64 s[2:3], 0
	s_wait_kmcnt 0x0
	s_cmp_lt_i32 s14, 2
	s_cbranch_scc1 .LBB223_7
; %bb.2:
	s_add_co_i32 s16, s14, -1
	s_mov_b32 s17, 0
	s_add_co_i32 s25, s14, 1
	s_lshl_b64 s[2:3], s[16:17], 3
	s_mov_b64 s[20:21], s[12:13]
	s_add_nc_u64 s[14:15], s[0:1], s[2:3]
	s_mov_b64 s[2:3], 0
	s_add_nc_u64 s[18:19], s[14:15], 8
.LBB223_3:                              ; =>This Inner Loop Header: Depth=1
	s_load_b64 s[22:23], s[18:19], 0x0
	s_mov_b64 s[14:15], 0
	s_wait_kmcnt 0x0
	v_cmp_lt_u64_e64 s13, s[20:21], s[22:23]
	s_and_b32 vcc_lo, exec_lo, s13
	s_cbranch_vccnz .LBB223_5
; %bb.4:                                ;   in Loop: Header=BB223_3 Depth=1
	v_cvt_f32_u32_e32 v1, s22
	s_sub_co_i32 s14, 0, s22
	s_delay_alu instid0(VALU_DEP_1) | instskip(SKIP_1) | instid1(TRANS32_DEP_1)
	v_rcp_iflag_f32_e32 v1, v1
	v_nop
	v_mul_f32_e32 v1, 0x4f7ffffe, v1
	s_delay_alu instid0(VALU_DEP_1) | instskip(NEXT) | instid1(VALU_DEP_1)
	v_cvt_u32_f32_e32 v1, v1
	v_readfirstlane_b32 s13, v1
	s_mul_i32 s14, s14, s13
	s_delay_alu instid0(SALU_CYCLE_1) | instskip(NEXT) | instid1(SALU_CYCLE_1)
	s_mul_hi_u32 s14, s13, s14
	s_add_co_i32 s13, s13, s14
	s_delay_alu instid0(SALU_CYCLE_1) | instskip(NEXT) | instid1(SALU_CYCLE_1)
	s_mul_hi_u32 s13, s20, s13
	s_mul_i32 s14, s13, s22
	s_add_co_i32 s15, s13, 1
	s_sub_co_i32 s14, s20, s14
	s_delay_alu instid0(SALU_CYCLE_1)
	s_sub_co_i32 s16, s14, s22
	s_cmp_ge_u32 s14, s22
	s_cselect_b32 s13, s15, s13
	s_cselect_b32 s14, s16, s14
	s_add_co_i32 s15, s13, 1
	s_cmp_ge_u32 s14, s22
	s_cselect_b32 s16, s15, s13
	s_delay_alu instid0(SALU_CYCLE_1)
	s_mov_b64 s[14:15], s[16:17]
.LBB223_5:                              ;   in Loop: Header=BB223_3 Depth=1
	s_load_b64 s[26:27], s[18:19], 0xc8
	s_mul_u64 s[22:23], s[14:15], s[22:23]
	s_add_co_i32 s25, s25, -1
	s_sub_nc_u64 s[20:21], s[20:21], s[22:23]
	s_cmp_gt_u32 s25, 2
	s_wait_xcnt 0x0
	s_add_nc_u64 s[18:19], s[18:19], -8
	s_wait_kmcnt 0x0
	s_mul_u64 s[20:21], s[26:27], s[20:21]
	s_delay_alu instid0(SALU_CYCLE_1)
	s_add_nc_u64 s[2:3], s[20:21], s[2:3]
	s_cbranch_scc0 .LBB223_8
; %bb.6:                                ;   in Loop: Header=BB223_3 Depth=1
	s_mov_b64 s[20:21], s[14:15]
	s_branch .LBB223_3
.LBB223_7:
	s_mov_b64 s[14:15], s[12:13]
.LBB223_8:
	s_load_b32 s16, s[8:9], s12 offset:0x0 scale_offset
	v_cmp_gt_u32_e32 vcc_lo, 0x100, v0
	v_lshlrev_b32_e32 v1, 2, v0
	s_wait_xcnt 0x0
	s_and_saveexec_b32 s8, vcc_lo
; %bb.9:
	v_mov_b32_e32 v2, 0
	ds_store_b32 v1, v2
; %bb.10:
	s_or_b32 exec_lo, exec_lo, s8
	s_load_b32 s17, s[0:1], 0x1a0
	s_mul_i32 s8, s12, s6
	s_mov_b32 s13, 0
	s_sub_co_i32 s19, s24, s8
	s_wait_dscnt 0x0
	s_mul_i32 s8, s5, s19
	s_add_co_i32 s19, s19, 1
	s_lshl_b32 s18, s8, 8
	s_barrier_signal -1
	s_barrier_wait -1
	s_wait_kmcnt 0x0
	s_sub_co_i32 s12, s17, s18
	s_delay_alu instid0(SALU_CYCLE_1) | instskip(NEXT) | instid1(SALU_CYCLE_1)
	s_add_nc_u64 s[8:9], s[12:13], 0xff
	s_lshr_b64 s[8:9], s[8:9], 8
	s_cmp_lt_u32 s19, s6
	s_cselect_b32 s5, s5, s8
	s_delay_alu instid0(SALU_CYCLE_1)
	s_cmp_lt_i32 s5, 1
	s_cbranch_scc1 .LBB223_26
; %bb.11:
	s_clause 0x2
	s_load_b64 s[20:21], s[0:1], 0xd0
	s_load_b64 s[8:9], s[0:1], 0x1b8
	;; [unrolled: 1-line block ×3, first 2 shown]
	v_add_nc_u32_e32 v6, s18, v0
	s_lshl_b64 s[2:3], s[2:3], 1
	s_wait_kmcnt 0x0
	s_mul_u64 s[0:1], s[20:21], s[14:15]
	s_delay_alu instid0(SALU_CYCLE_1) | instskip(NEXT) | instid1(SALU_CYCLE_1)
	s_lshl_b64 s[0:1], s[0:1], 1
	s_add_nc_u64 s[14:15], s[22:23], s[0:1]
	s_and_b32 s1, s4, 0xff
	s_cmp_eq_u32 s5, 1
	s_add_nc_u64 s[2:3], s[14:15], s[2:3]
	s_cbranch_scc1 .LBB223_21
; %bb.12:
	v_dual_mov_b32 v3, 0 :: v_dual_mov_b32 v7, 1
	v_mov_b32_e32 v8, 0x8000
	v_mov_b32_e32 v2, v6
	s_and_b32 s4, s5, 0x7ffffffe
	s_mov_b32 s6, 0
	s_branch .LBB223_14
.LBB223_13:                             ;   in Loop: Header=BB223_14 Depth=1
	s_or_b32 exec_lo, exec_lo, s12
	v_add_nc_u32_e32 v2, 0x200, v2
	s_add_co_i32 s6, s6, 2
	s_delay_alu instid0(SALU_CYCLE_1)
	s_cmp_eq_u32 s4, s6
	s_cbranch_scc1 .LBB223_20
.LBB223_14:                             ; =>This Inner Loop Header: Depth=1
	s_mov_b32 s12, exec_lo
	v_cmpx_gt_u32_e64 s17, v2
	s_cbranch_execz .LBB223_17
; %bb.15:                               ;   in Loop: Header=BB223_14 Depth=1
	v_mul_u64_e32 v[4:5], s[8:9], v[2:3]
	s_delay_alu instid0(VALU_DEP_1)
	v_lshl_add_u64 v[4:5], v[4:5], 1, s[2:3]
	global_load_u16 v4, v[4:5], off
	s_wait_loadcnt 0x0
	v_cmp_lt_i16_e64 s0, -1, v4
	s_wait_xcnt 0x0
	v_and_b32_e32 v5, 0xffff, v4
	s_delay_alu instid0(VALU_DEP_2) | instskip(NEXT) | instid1(VALU_DEP_1)
	v_cndmask_b32_e64 v9, 0xffff, v8, s0
	v_dual_lshlrev_b32 v4, 16, v4 :: v_dual_bitop2_b32 v5, v9, v5 bitop3:0x14
	s_delay_alu instid0(VALU_DEP_1) | instskip(NEXT) | instid1(VALU_DEP_1)
	v_cmp_o_f32_e64 s0, v4, v4
	v_cndmask_b32_e64 v4, 0xffff, v5, s0
	s_delay_alu instid0(VALU_DEP_1) | instskip(NEXT) | instid1(VALU_DEP_1)
	v_bitop3_b32 v5, v4, s7, s16 bitop3:0x48
	v_cmp_eq_u32_e64 s0, 0, v5
	s_and_b32 exec_lo, exec_lo, s0
; %bb.16:                               ;   in Loop: Header=BB223_14 Depth=1
	v_bfe_u32 v4, v4, s1, 8
	s_delay_alu instid0(VALU_DEP_1)
	v_lshlrev_b32_e32 v4, 2, v4
	ds_add_u32 v4, v7
.LBB223_17:                             ;   in Loop: Header=BB223_14 Depth=1
	s_or_b32 exec_lo, exec_lo, s12
	v_add_nc_u32_e32 v4, 0x100, v2
	s_mov_b32 s12, exec_lo
	s_delay_alu instid0(VALU_DEP_1)
	v_cmpx_gt_u32_e64 s17, v4
	s_cbranch_execz .LBB223_13
; %bb.18:                               ;   in Loop: Header=BB223_14 Depth=1
	v_mov_b32_e32 v5, v3
	s_delay_alu instid0(VALU_DEP_1) | instskip(NEXT) | instid1(VALU_DEP_1)
	v_mul_u64_e32 v[4:5], s[8:9], v[4:5]
	v_lshl_add_u64 v[4:5], v[4:5], 1, s[2:3]
	global_load_u16 v4, v[4:5], off
	s_wait_loadcnt 0x0
	v_cmp_lt_i16_e64 s0, -1, v4
	v_and_b32_e32 v5, 0xffff, v4
	v_lshlrev_b32_e32 v4, 16, v4
	s_delay_alu instid0(VALU_DEP_3) | instskip(NEXT) | instid1(VALU_DEP_2)
	v_cndmask_b32_e64 v9, 0xffff, v8, s0
	v_cmp_o_f32_e64 s0, v4, v4
	s_delay_alu instid0(VALU_DEP_2) | instskip(NEXT) | instid1(VALU_DEP_1)
	v_xor_b32_e32 v5, v9, v5
	v_cndmask_b32_e64 v4, 0xffff, v5, s0
	s_delay_alu instid0(VALU_DEP_1) | instskip(NEXT) | instid1(VALU_DEP_1)
	v_bitop3_b32 v5, v4, s7, s16 bitop3:0x48
	v_cmp_eq_u32_e64 s0, 0, v5
	s_and_b32 exec_lo, exec_lo, s0
	s_cbranch_execz .LBB223_13
; %bb.19:                               ;   in Loop: Header=BB223_14 Depth=1
	v_bfe_u32 v4, v4, s1, 8
	s_delay_alu instid0(VALU_DEP_1)
	v_lshlrev_b32_e32 v4, 2, v4
	ds_add_u32 v4, v7
	s_branch .LBB223_13
.LBB223_20:
	s_lshl_b32 s13, s4, 8
.LBB223_21:
	s_bitcmp0_b32 s5, 0
	s_cbranch_scc1 .LBB223_26
; %bb.22:
	v_add_nc_u32_e32 v2, s13, v6
	s_mov_b32 s4, exec_lo
	s_delay_alu instid0(VALU_DEP_1)
	v_cmpx_gt_u32_e64 s17, v2
	s_cbranch_execz .LBB223_25
; %bb.23:
	v_mov_b32_e32 v3, 0
	s_delay_alu instid0(VALU_DEP_1) | instskip(NEXT) | instid1(VALU_DEP_1)
	v_mul_u64_e32 v[2:3], s[8:9], v[2:3]
	v_lshl_add_u64 v[2:3], v[2:3], 1, s[2:3]
	global_load_u16 v2, v[2:3], off
	s_wait_xcnt 0x0
	v_mov_b32_e32 v3, 0x8000
	s_wait_loadcnt 0x0
	v_cmp_lt_i16_e64 s0, -1, v2
	v_and_b32_e32 v4, 0xffff, v2
	v_lshlrev_b32_e32 v2, 16, v2
	s_delay_alu instid0(VALU_DEP_3) | instskip(NEXT) | instid1(VALU_DEP_2)
	v_cndmask_b32_e64 v3, 0xffff, v3, s0
	v_cmp_o_f32_e64 s0, v2, v2
	s_delay_alu instid0(VALU_DEP_2) | instskip(NEXT) | instid1(VALU_DEP_1)
	v_xor_b32_e32 v3, v3, v4
	v_cndmask_b32_e64 v2, 0xffff, v3, s0
	s_delay_alu instid0(VALU_DEP_1) | instskip(NEXT) | instid1(VALU_DEP_1)
	v_bitop3_b32 v3, v2, s7, s16 bitop3:0x48
	v_cmp_eq_u32_e64 s0, 0, v3
	s_and_b32 exec_lo, exec_lo, s0
; %bb.24:
	v_bfe_u32 v2, v2, s1, 8
	s_delay_alu instid0(VALU_DEP_1)
	v_dual_mov_b32 v3, 1 :: v_dual_lshlrev_b32 v2, 2, v2
	ds_add_u32 v2, v3
.LBB223_25:
	s_or_b32 exec_lo, exec_lo, s4
.LBB223_26:
	s_wait_dscnt 0x0
	s_barrier_signal -1
	s_barrier_wait -1
	s_and_saveexec_b32 s0, vcc_lo
	s_cbranch_execz .LBB223_28
; %bb.27:
	ds_load_b32 v1, v1
	v_lshl_or_b32 v0, s24, 8, v0
	s_wait_dscnt 0x0
	global_store_b16 v0, v1, s[10:11] scale_offset
.LBB223_28:
	s_endpgm
	.section	.rodata,"a",@progbits
	.p2align	6, 0x0
	.amdhsa_kernel _ZN2at6native6mbtopk23computeBlockDigitCountsIN3c108BFloat16EmjLin1EEEvNS_4cuda6detail10TensorInfoIKT_T0_EEjPjjSA_iijT1_PSD_Ps
		.amdhsa_group_segment_fixed_size 1024
		.amdhsa_private_segment_fixed_size 0
		.amdhsa_kernarg_size 736
		.amdhsa_user_sgpr_count 2
		.amdhsa_user_sgpr_dispatch_ptr 0
		.amdhsa_user_sgpr_queue_ptr 0
		.amdhsa_user_sgpr_kernarg_segment_ptr 1
		.amdhsa_user_sgpr_dispatch_id 0
		.amdhsa_user_sgpr_kernarg_preload_length 0
		.amdhsa_user_sgpr_kernarg_preload_offset 0
		.amdhsa_user_sgpr_private_segment_size 0
		.amdhsa_wavefront_size32 1
		.amdhsa_uses_dynamic_stack 0
		.amdhsa_enable_private_segment 0
		.amdhsa_system_sgpr_workgroup_id_x 1
		.amdhsa_system_sgpr_workgroup_id_y 1
		.amdhsa_system_sgpr_workgroup_id_z 1
		.amdhsa_system_sgpr_workgroup_info 0
		.amdhsa_system_vgpr_workitem_id 0
		.amdhsa_next_free_vgpr 10
		.amdhsa_next_free_sgpr 28
		.amdhsa_named_barrier_count 0
		.amdhsa_reserve_vcc 1
		.amdhsa_float_round_mode_32 0
		.amdhsa_float_round_mode_16_64 0
		.amdhsa_float_denorm_mode_32 3
		.amdhsa_float_denorm_mode_16_64 3
		.amdhsa_fp16_overflow 0
		.amdhsa_memory_ordered 1
		.amdhsa_forward_progress 1
		.amdhsa_inst_pref_size 12
		.amdhsa_round_robin_scheduling 0
		.amdhsa_exception_fp_ieee_invalid_op 0
		.amdhsa_exception_fp_denorm_src 0
		.amdhsa_exception_fp_ieee_div_zero 0
		.amdhsa_exception_fp_ieee_overflow 0
		.amdhsa_exception_fp_ieee_underflow 0
		.amdhsa_exception_fp_ieee_inexact 0
		.amdhsa_exception_int_div_zero 0
	.end_amdhsa_kernel
	.section	.text._ZN2at6native6mbtopk23computeBlockDigitCountsIN3c108BFloat16EmjLin1EEEvNS_4cuda6detail10TensorInfoIKT_T0_EEjPjjSA_iijT1_PSD_Ps,"axG",@progbits,_ZN2at6native6mbtopk23computeBlockDigitCountsIN3c108BFloat16EmjLin1EEEvNS_4cuda6detail10TensorInfoIKT_T0_EEjPjjSA_iijT1_PSD_Ps,comdat
.Lfunc_end223:
	.size	_ZN2at6native6mbtopk23computeBlockDigitCountsIN3c108BFloat16EmjLin1EEEvNS_4cuda6detail10TensorInfoIKT_T0_EEjPjjSA_iijT1_PSD_Ps, .Lfunc_end223-_ZN2at6native6mbtopk23computeBlockDigitCountsIN3c108BFloat16EmjLin1EEEvNS_4cuda6detail10TensorInfoIKT_T0_EEjPjjSA_iijT1_PSD_Ps
                                        ; -- End function
	.set _ZN2at6native6mbtopk23computeBlockDigitCountsIN3c108BFloat16EmjLin1EEEvNS_4cuda6detail10TensorInfoIKT_T0_EEjPjjSA_iijT1_PSD_Ps.num_vgpr, 10
	.set _ZN2at6native6mbtopk23computeBlockDigitCountsIN3c108BFloat16EmjLin1EEEvNS_4cuda6detail10TensorInfoIKT_T0_EEjPjjSA_iijT1_PSD_Ps.num_agpr, 0
	.set _ZN2at6native6mbtopk23computeBlockDigitCountsIN3c108BFloat16EmjLin1EEEvNS_4cuda6detail10TensorInfoIKT_T0_EEjPjjSA_iijT1_PSD_Ps.numbered_sgpr, 28
	.set _ZN2at6native6mbtopk23computeBlockDigitCountsIN3c108BFloat16EmjLin1EEEvNS_4cuda6detail10TensorInfoIKT_T0_EEjPjjSA_iijT1_PSD_Ps.num_named_barrier, 0
	.set _ZN2at6native6mbtopk23computeBlockDigitCountsIN3c108BFloat16EmjLin1EEEvNS_4cuda6detail10TensorInfoIKT_T0_EEjPjjSA_iijT1_PSD_Ps.private_seg_size, 0
	.set _ZN2at6native6mbtopk23computeBlockDigitCountsIN3c108BFloat16EmjLin1EEEvNS_4cuda6detail10TensorInfoIKT_T0_EEjPjjSA_iijT1_PSD_Ps.uses_vcc, 1
	.set _ZN2at6native6mbtopk23computeBlockDigitCountsIN3c108BFloat16EmjLin1EEEvNS_4cuda6detail10TensorInfoIKT_T0_EEjPjjSA_iijT1_PSD_Ps.uses_flat_scratch, 0
	.set _ZN2at6native6mbtopk23computeBlockDigitCountsIN3c108BFloat16EmjLin1EEEvNS_4cuda6detail10TensorInfoIKT_T0_EEjPjjSA_iijT1_PSD_Ps.has_dyn_sized_stack, 0
	.set _ZN2at6native6mbtopk23computeBlockDigitCountsIN3c108BFloat16EmjLin1EEEvNS_4cuda6detail10TensorInfoIKT_T0_EEjPjjSA_iijT1_PSD_Ps.has_recursion, 0
	.set _ZN2at6native6mbtopk23computeBlockDigitCountsIN3c108BFloat16EmjLin1EEEvNS_4cuda6detail10TensorInfoIKT_T0_EEjPjjSA_iijT1_PSD_Ps.has_indirect_call, 0
	.section	.AMDGPU.csdata,"",@progbits
; Kernel info:
; codeLenInByte = 1452
; TotalNumSgprs: 30
; NumVgprs: 10
; ScratchSize: 0
; MemoryBound: 0
; FloatMode: 240
; IeeeMode: 1
; LDSByteSize: 1024 bytes/workgroup (compile time only)
; SGPRBlocks: 0
; VGPRBlocks: 0
; NumSGPRsForWavesPerEU: 30
; NumVGPRsForWavesPerEU: 10
; NamedBarCnt: 0
; Occupancy: 16
; WaveLimiterHint : 0
; COMPUTE_PGM_RSRC2:SCRATCH_EN: 0
; COMPUTE_PGM_RSRC2:USER_SGPR: 2
; COMPUTE_PGM_RSRC2:TRAP_HANDLER: 0
; COMPUTE_PGM_RSRC2:TGID_X_EN: 1
; COMPUTE_PGM_RSRC2:TGID_Y_EN: 1
; COMPUTE_PGM_RSRC2:TGID_Z_EN: 1
; COMPUTE_PGM_RSRC2:TIDIG_COMP_CNT: 0
	.section	.text._ZN2at6native6mbtopk10gatherTopKIN3c108BFloat16EmLin1EEEvNS_4cuda6detail10TensorInfoIKT_T0_EESA_SA_bjSA_NS7_IS8_SA_EESA_NS7_IlSA_EESA_jjPS8_PjSF_j,"axG",@progbits,_ZN2at6native6mbtopk10gatherTopKIN3c108BFloat16EmLin1EEEvNS_4cuda6detail10TensorInfoIKT_T0_EESA_SA_bjSA_NS7_IS8_SA_EESA_NS7_IlSA_EESA_jjPS8_PjSF_j,comdat
	.protected	_ZN2at6native6mbtopk10gatherTopKIN3c108BFloat16EmLin1EEEvNS_4cuda6detail10TensorInfoIKT_T0_EESA_SA_bjSA_NS7_IS8_SA_EESA_NS7_IlSA_EESA_jjPS8_PjSF_j ; -- Begin function _ZN2at6native6mbtopk10gatherTopKIN3c108BFloat16EmLin1EEEvNS_4cuda6detail10TensorInfoIKT_T0_EESA_SA_bjSA_NS7_IS8_SA_EESA_NS7_IlSA_EESA_jjPS8_PjSF_j
	.globl	_ZN2at6native6mbtopk10gatherTopKIN3c108BFloat16EmLin1EEEvNS_4cuda6detail10TensorInfoIKT_T0_EESA_SA_bjSA_NS7_IS8_SA_EESA_NS7_IlSA_EESA_jjPS8_PjSF_j
	.p2align	8
	.type	_ZN2at6native6mbtopk10gatherTopKIN3c108BFloat16EmLin1EEEvNS_4cuda6detail10TensorInfoIKT_T0_EESA_SA_bjSA_NS7_IS8_SA_EESA_NS7_IlSA_EESA_jjPS8_PjSF_j,@function
_ZN2at6native6mbtopk10gatherTopKIN3c108BFloat16EmLin1EEEvNS_4cuda6detail10TensorInfoIKT_T0_EESA_SA_bjSA_NS7_IS8_SA_EESA_NS7_IlSA_EESA_jjPS8_PjSF_j: ; @_ZN2at6native6mbtopk10gatherTopKIN3c108BFloat16EmLin1EEEvNS_4cuda6detail10TensorInfoIKT_T0_EESA_SA_bjSA_NS7_IS8_SA_EESA_NS7_IlSA_EESA_jjPS8_PjSF_j
; %bb.0:
	s_bfe_u32 s2, ttmp6, 0x40010
	s_and_b32 s4, ttmp7, 0xffff
	s_add_co_i32 s5, s2, 1
	s_clause 0x1
	s_load_b32 s6, s[0:1], 0x530
	s_load_b64 s[2:3], s[0:1], 0x538
	s_bfe_u32 s8, ttmp6, 0x4000c
	s_mul_i32 s5, s4, s5
	s_bfe_u32 s7, ttmp6, 0x40004
	s_add_co_i32 s8, s8, 1
	s_bfe_u32 s9, ttmp6, 0x40014
	s_add_co_i32 s7, s7, s5
	s_and_b32 s5, ttmp6, 15
	s_mul_i32 s8, ttmp9, s8
	s_lshr_b32 s10, ttmp7, 16
	s_add_co_i32 s9, s9, 1
	s_add_co_i32 s5, s5, s8
	s_mul_i32 s8, s10, s9
	s_bfe_u32 s9, ttmp6, 0x40008
	s_getreg_b32 s11, hwreg(HW_REG_IB_STS2, 6, 4)
	s_add_co_i32 s9, s9, s8
	s_cmp_eq_u32 s11, 0
	s_cselect_b32 s8, s10, s9
	s_cselect_b32 s4, s4, s7
	s_wait_kmcnt 0x0
	s_mul_i32 s3, s3, s8
	s_cselect_b32 s5, ttmp9, s5
	s_add_co_i32 s3, s3, s4
	s_delay_alu instid0(SALU_CYCLE_1) | instskip(NEXT) | instid1(SALU_CYCLE_1)
	s_mul_i32 s3, s3, s2
	s_add_co_i32 s3, s3, s5
	s_delay_alu instid0(SALU_CYCLE_1)
	s_cmp_ge_u32 s3, s6
	s_cbranch_scc1 .LBB224_61
; %bb.1:
	s_load_b64 s[16:17], s[0:1], 0x510
	s_wait_kmcnt 0x0
	s_cvt_f32_u32 s2, s17
	s_sub_co_i32 s4, 0, s17
	s_lshl_b32 s33, s16, 8
	s_delay_alu instid0(SALU_CYCLE_1) | instskip(SKIP_1) | instid1(TRANS32_DEP_1)
	v_rcp_iflag_f32_e32 v1, s2
	v_nop
	v_readfirstlane_b32 s2, v1
	s_mul_f32 s2, s2, 0x4f7ffffe
	s_delay_alu instid0(SALU_CYCLE_3) | instskip(NEXT) | instid1(SALU_CYCLE_3)
	s_cvt_u32_f32 s2, s2
	s_mul_i32 s4, s4, s2
	s_delay_alu instid0(SALU_CYCLE_1) | instskip(NEXT) | instid1(SALU_CYCLE_1)
	s_mul_hi_u32 s4, s2, s4
	s_add_co_i32 s2, s2, s4
	s_load_b128 s[4:7], s[0:1], 0x1a0
	s_mul_hi_u32 s2, s3, s2
	s_delay_alu instid0(SALU_CYCLE_1) | instskip(SKIP_2) | instid1(SALU_CYCLE_1)
	s_mul_i32 s8, s2, s17
	s_add_co_i32 s9, s2, 1
	s_sub_co_i32 s8, s3, s8
	s_sub_co_i32 s10, s8, s17
	s_cmp_ge_u32 s8, s17
	s_cselect_b32 s2, s9, s2
	s_cselect_b32 s8, s10, s8
	s_add_co_i32 s9, s2, 1
	s_cmp_ge_u32 s8, s17
	s_cselect_b32 s2, s9, s2
	s_delay_alu instid0(SALU_CYCLE_1) | instskip(NEXT) | instid1(SALU_CYCLE_1)
	s_mul_i32 s20, s2, s17
	s_sub_co_i32 s44, s3, s20
	s_delay_alu instid0(SALU_CYCLE_1) | instskip(NEXT) | instid1(SALU_CYCLE_1)
	s_add_co_i32 s3, s44, 1
	s_cmp_lt_u32 s3, s17
	s_cbranch_scc1 .LBB224_3
; %bb.2:
	s_mul_i32 s8, s44, s33
	s_mov_b32 s9, 0
	s_wait_kmcnt 0x0
	s_sub_nc_u64 s[10:11], s[4:5], s[8:9]
	s_delay_alu instid0(SALU_CYCLE_1) | instskip(NEXT) | instid1(SALU_CYCLE_1)
	s_add_nc_u64 s[10:11], s[10:11], 0xff
	s_ashr_i32 s3, s11, 31
	s_delay_alu instid0(SALU_CYCLE_1) | instskip(NEXT) | instid1(SALU_CYCLE_1)
	s_lshr_b32 s8, s3, 24
	s_add_nc_u64 s[8:9], s[10:11], s[8:9]
	s_delay_alu instid0(SALU_CYCLE_1) | instskip(NEXT) | instid1(SALU_CYCLE_1)
	s_lshr_b64 s[8:9], s[8:9], 8
	s_mov_b32 s16, s8
.LBB224_3:
	s_load_b32 s10, s[0:1], 0x198
	s_mov_b32 s9, 0
	s_mov_b64 s[18:19], 0
	s_mov_b32 s3, s9
	s_delay_alu instid0(SALU_CYCLE_1)
	s_mov_b64 s[22:23], s[2:3]
	s_wait_kmcnt 0x0
	s_cmp_lt_i32 s10, 2
	s_cbranch_scc1 .LBB224_9
; %bb.4:
	s_add_co_i32 s8, s10, -1
	s_add_co_i32 s21, s10, 1
	s_lshl_b64 s[12:13], s[8:9], 3
	s_delay_alu instid0(SALU_CYCLE_1)
	s_add_nc_u64 s[10:11], s[0:1], s[12:13]
	s_mov_b64 s[12:13], s[2:3]
	s_add_nc_u64 s[10:11], s[10:11], 8
.LBB224_5:                              ; =>This Inner Loop Header: Depth=1
	s_load_b64 s[14:15], s[10:11], 0x0
	s_mov_b64 s[22:23], 0
	s_wait_kmcnt 0x0
	v_cmp_lt_u64_e64 s8, s[12:13], s[14:15]
	s_and_b32 vcc_lo, exec_lo, s8
	s_cbranch_vccnz .LBB224_7
; %bb.6:                                ;   in Loop: Header=BB224_5 Depth=1
	v_cvt_f32_u32_e32 v1, s14
	s_sub_co_i32 s22, 0, s14
	s_delay_alu instid0(VALU_DEP_1) | instskip(SKIP_1) | instid1(TRANS32_DEP_1)
	v_rcp_iflag_f32_e32 v1, v1
	v_nop
	v_mul_f32_e32 v1, 0x4f7ffffe, v1
	s_delay_alu instid0(VALU_DEP_1) | instskip(NEXT) | instid1(VALU_DEP_1)
	v_cvt_u32_f32_e32 v1, v1
	v_readfirstlane_b32 s8, v1
	s_mul_i32 s22, s22, s8
	s_delay_alu instid0(SALU_CYCLE_1) | instskip(NEXT) | instid1(SALU_CYCLE_1)
	s_mul_hi_u32 s22, s8, s22
	s_add_co_i32 s8, s8, s22
	s_delay_alu instid0(SALU_CYCLE_1) | instskip(NEXT) | instid1(SALU_CYCLE_1)
	s_mul_hi_u32 s8, s12, s8
	s_mul_i32 s22, s8, s14
	s_add_co_i32 s23, s8, 1
	s_sub_co_i32 s22, s12, s22
	s_delay_alu instid0(SALU_CYCLE_1)
	s_sub_co_i32 s24, s22, s14
	s_cmp_ge_u32 s22, s14
	s_cselect_b32 s8, s23, s8
	s_cselect_b32 s22, s24, s22
	s_add_co_i32 s23, s8, 1
	s_cmp_ge_u32 s22, s14
	s_cselect_b32 s8, s23, s8
	s_delay_alu instid0(SALU_CYCLE_1)
	s_mov_b64 s[22:23], s[8:9]
.LBB224_7:                              ;   in Loop: Header=BB224_5 Depth=1
	s_load_b64 s[24:25], s[10:11], 0xc8
	s_mul_u64 s[14:15], s[22:23], s[14:15]
	s_add_co_i32 s21, s21, -1
	s_sub_nc_u64 s[12:13], s[12:13], s[14:15]
	s_cmp_gt_u32 s21, 2
	s_wait_xcnt 0x0
	s_add_nc_u64 s[10:11], s[10:11], -8
	s_wait_kmcnt 0x0
	s_mul_u64 s[12:13], s[24:25], s[12:13]
	s_delay_alu instid0(SALU_CYCLE_1)
	s_add_nc_u64 s[18:19], s[12:13], s[18:19]
	s_cbranch_scc0 .LBB224_9
; %bb.8:                                ;   in Loop: Header=BB224_5 Depth=1
	s_mov_b64 s[12:13], s[22:23]
	s_branch .LBB224_5
.LBB224_9:
	s_load_b32 s12, s[0:1], 0x358
	s_add_nc_u64 s[8:9], s[0:1], 0x1c0
	s_mov_b64 s[24:25], 0
	s_mov_b64 s[26:27], s[2:3]
	s_wait_kmcnt 0x0
	s_cmp_lt_i32 s12, 2
	s_cbranch_scc1 .LBB224_15
; %bb.10:
	s_add_co_i32 s10, s12, -1
	s_mov_b32 s11, 0
	s_add_co_i32 s21, s12, 1
	s_lshl_b64 s[14:15], s[10:11], 3
	s_delay_alu instid0(SALU_CYCLE_1)
	s_add_nc_u64 s[12:13], s[8:9], s[14:15]
	s_mov_b64 s[14:15], s[2:3]
	s_add_nc_u64 s[12:13], s[12:13], 8
.LBB224_11:                             ; =>This Inner Loop Header: Depth=1
	s_load_b64 s[28:29], s[12:13], 0x0
	s_mov_b64 s[26:27], 0
	s_wait_kmcnt 0x0
	v_cmp_lt_u64_e64 s10, s[14:15], s[28:29]
	s_and_b32 vcc_lo, exec_lo, s10
	s_cbranch_vccnz .LBB224_13
; %bb.12:                               ;   in Loop: Header=BB224_11 Depth=1
	v_cvt_f32_u32_e32 v1, s28
	s_sub_co_i32 s26, 0, s28
	s_delay_alu instid0(VALU_DEP_1) | instskip(SKIP_1) | instid1(TRANS32_DEP_1)
	v_rcp_iflag_f32_e32 v1, v1
	v_nop
	v_mul_f32_e32 v1, 0x4f7ffffe, v1
	s_delay_alu instid0(VALU_DEP_1) | instskip(NEXT) | instid1(VALU_DEP_1)
	v_cvt_u32_f32_e32 v1, v1
	v_readfirstlane_b32 s10, v1
	s_mul_i32 s26, s26, s10
	s_delay_alu instid0(SALU_CYCLE_1) | instskip(NEXT) | instid1(SALU_CYCLE_1)
	s_mul_hi_u32 s26, s10, s26
	s_add_co_i32 s10, s10, s26
	s_delay_alu instid0(SALU_CYCLE_1) | instskip(NEXT) | instid1(SALU_CYCLE_1)
	s_mul_hi_u32 s10, s14, s10
	s_mul_i32 s26, s10, s28
	s_add_co_i32 s27, s10, 1
	s_sub_co_i32 s26, s14, s26
	s_delay_alu instid0(SALU_CYCLE_1)
	s_sub_co_i32 s30, s26, s28
	s_cmp_ge_u32 s26, s28
	s_cselect_b32 s10, s27, s10
	s_cselect_b32 s26, s30, s26
	s_add_co_i32 s27, s10, 1
	s_cmp_ge_u32 s26, s28
	s_cselect_b32 s10, s27, s10
	s_delay_alu instid0(SALU_CYCLE_1)
	s_mov_b64 s[26:27], s[10:11]
.LBB224_13:                             ;   in Loop: Header=BB224_11 Depth=1
	s_load_b64 s[30:31], s[12:13], 0xc8
	s_mul_u64 s[28:29], s[26:27], s[28:29]
	s_add_co_i32 s21, s21, -1
	s_sub_nc_u64 s[14:15], s[14:15], s[28:29]
	s_cmp_gt_u32 s21, 2
	s_wait_xcnt 0x0
	s_add_nc_u64 s[12:13], s[12:13], -8
	s_wait_kmcnt 0x0
	s_mul_u64 s[14:15], s[30:31], s[14:15]
	s_delay_alu instid0(SALU_CYCLE_1)
	s_add_nc_u64 s[24:25], s[14:15], s[24:25]
	s_cbranch_scc0 .LBB224_15
; %bb.14:                               ;   in Loop: Header=BB224_11 Depth=1
	s_mov_b64 s[14:15], s[26:27]
	s_branch .LBB224_11
.LBB224_15:
	s_clause 0x1
	s_load_b64 s[30:31], s[0:1], 0xd0
	s_load_b32 s12, s[0:1], 0x500
	s_mov_b64 s[28:29], 0
	s_wait_kmcnt 0x0
	s_cmp_lt_i32 s12, 2
	s_cbranch_scc1 .LBB224_21
; %bb.16:
	s_add_co_i32 s10, s12, -1
	s_mov_b32 s11, 0
	s_add_nc_u64 s[14:15], s[0:1], 0x368
	s_lshl_b64 s[28:29], s[10:11], 3
	s_add_co_i32 s21, s12, 1
	s_add_nc_u64 s[14:15], s[14:15], s[28:29]
	s_mov_b64 s[28:29], 0
	s_add_nc_u64 s[12:13], s[14:15], 8
	s_mov_b64 s[14:15], s[2:3]
.LBB224_17:                             ; =>This Inner Loop Header: Depth=1
	s_load_b64 s[36:37], s[12:13], 0x0
	s_mov_b64 s[34:35], 0
	s_wait_kmcnt 0x0
	v_cmp_lt_u64_e64 s10, s[14:15], s[36:37]
	s_and_b32 vcc_lo, exec_lo, s10
	s_cbranch_vccnz .LBB224_19
; %bb.18:                               ;   in Loop: Header=BB224_17 Depth=1
	v_cvt_f32_u32_e32 v1, s36
	s_sub_co_i32 s34, 0, s36
	s_delay_alu instid0(VALU_DEP_1) | instskip(SKIP_1) | instid1(TRANS32_DEP_1)
	v_rcp_iflag_f32_e32 v1, v1
	v_nop
	v_mul_f32_e32 v1, 0x4f7ffffe, v1
	s_delay_alu instid0(VALU_DEP_1) | instskip(NEXT) | instid1(VALU_DEP_1)
	v_cvt_u32_f32_e32 v1, v1
	v_readfirstlane_b32 s10, v1
	s_mul_i32 s34, s34, s10
	s_delay_alu instid0(SALU_CYCLE_1) | instskip(NEXT) | instid1(SALU_CYCLE_1)
	s_mul_hi_u32 s34, s10, s34
	s_add_co_i32 s10, s10, s34
	s_delay_alu instid0(SALU_CYCLE_1) | instskip(NEXT) | instid1(SALU_CYCLE_1)
	s_mul_hi_u32 s10, s14, s10
	s_mul_i32 s34, s10, s36
	s_add_co_i32 s35, s10, 1
	s_sub_co_i32 s34, s14, s34
	s_delay_alu instid0(SALU_CYCLE_1)
	s_sub_co_i32 s38, s34, s36
	s_cmp_ge_u32 s34, s36
	s_cselect_b32 s10, s35, s10
	s_cselect_b32 s34, s38, s34
	s_add_co_i32 s35, s10, 1
	s_cmp_ge_u32 s34, s36
	s_cselect_b32 s10, s35, s10
	s_delay_alu instid0(SALU_CYCLE_1)
	s_mov_b64 s[34:35], s[10:11]
.LBB224_19:                             ;   in Loop: Header=BB224_17 Depth=1
	s_load_b64 s[38:39], s[12:13], 0xc8
	s_mul_u64 s[36:37], s[34:35], s[36:37]
	s_add_co_i32 s21, s21, -1
	s_sub_nc_u64 s[14:15], s[14:15], s[36:37]
	s_cmp_gt_u32 s21, 2
	s_wait_xcnt 0x0
	s_add_nc_u64 s[12:13], s[12:13], -8
	s_wait_kmcnt 0x0
	s_mul_u64 s[14:15], s[38:39], s[14:15]
	s_delay_alu instid0(SALU_CYCLE_1)
	s_add_nc_u64 s[28:29], s[14:15], s[28:29]
	s_cbranch_scc0 .LBB224_22
; %bb.20:                               ;   in Loop: Header=BB224_17 Depth=1
	s_mov_b64 s[14:15], s[34:35]
	s_branch .LBB224_17
.LBB224_21:
	s_mov_b64 s[34:35], s[2:3]
.LBB224_22:
	s_load_b64 s[36:37], s[8:9], 0xd0
	s_wait_xcnt 0x0
	s_load_b128 s[8:11], s[0:1], 0x518
	v_mov_b32_e32 v1, 0
	s_lshl_b64 s[2:3], s[2:3], 1
	s_mov_b32 s21, 0
	s_wait_kmcnt 0x0
	s_add_nc_u64 s[2:3], s[8:9], s[2:3]
	global_load_u16 v1, v1, s[2:3]
	s_wait_xcnt 0x0
	v_cmp_ne_u32_e64 s2, 0, v0
	v_cmp_eq_u32_e64 s3, 0, v0
	s_wait_loadcnt 0x0
	v_readfirstlane_b32 s45, v1
	s_and_saveexec_b32 s46, s3
	s_cbranch_execz .LBB224_38
; %bb.23:
	s_load_b64 s[38:39], s[0:1], 0x528
	s_lshl_b64 s[40:41], s[20:21], 2
	s_cmp_lt_u32 s17, 4
	s_cbranch_scc1 .LBB224_35
; %bb.24:
	s_mov_b64 s[8:9], 0
	s_mov_b32 s20, 0
.LBB224_25:                             ; =>This Inner Loop Header: Depth=1
	s_add_nc_u64 s[42:43], s[10:11], s[40:41]
	s_cmp_ge_u32 s20, s44
	s_load_b128 s[12:15], s[42:43], 0x0
	s_wait_kmcnt 0x0
	s_add_nc_u64 s[42:43], s[38:39], s[40:41]
	s_cbranch_scc0 .LBB224_32
; %bb.26:                               ;   in Loop: Header=BB224_25 Depth=1
	s_add_co_i32 s47, s20, 1
	s_delay_alu instid0(SALU_CYCLE_1)
	s_cmp_ge_u32 s47, s44
	s_cbranch_scc0 .LBB224_33
.LBB224_27:                             ;   in Loop: Header=BB224_25 Depth=1
	s_add_co_i32 s47, s47, 1
	s_delay_alu instid0(SALU_CYCLE_1)
	s_cmp_ge_u32 s47, s44
	s_cbranch_scc0 .LBB224_34
.LBB224_28:                             ;   in Loop: Header=BB224_25 Depth=1
	s_add_co_i32 s47, s47, 1
	s_delay_alu instid0(SALU_CYCLE_1)
	s_cmp_ge_u32 s47, s44
	s_cbranch_scc1 .LBB224_30
.LBB224_29:                             ;   in Loop: Header=BB224_25 Depth=1
	s_load_b32 s42, s[42:43], 0xc
	s_add_co_i32 s9, s15, s9
	s_wait_kmcnt 0x0
	s_add_co_i32 s8, s42, s8
.LBB224_30:                             ;   in Loop: Header=BB224_25 Depth=1
	s_add_co_i32 s12, s12, s21
	s_add_nc_u64 s[10:11], s[10:11], 16
	s_add_co_i32 s12, s12, s13
	s_add_co_i32 s13, s47, 4
	s_add_co_i32 s12, s12, s14
	s_add_nc_u64 s[38:39], s[38:39], 16
	s_add_co_i32 s21, s12, s15
	s_add_co_i32 s12, s47, 1
	s_cmp_ge_u32 s13, s17
	s_cbranch_scc1 .LBB224_36
; %bb.31:                               ;   in Loop: Header=BB224_25 Depth=1
	s_mov_b32 s20, s12
	s_branch .LBB224_25
.LBB224_32:                             ;   in Loop: Header=BB224_25 Depth=1
	s_load_b32 s47, s[42:43], 0x0
	s_add_co_i32 s9, s12, s9
	s_wait_kmcnt 0x0
	s_add_co_i32 s8, s47, s8
	s_add_co_i32 s47, s20, 1
	s_delay_alu instid0(SALU_CYCLE_1)
	s_cmp_ge_u32 s47, s44
	s_cbranch_scc1 .LBB224_27
.LBB224_33:                             ;   in Loop: Header=BB224_25 Depth=1
	s_load_b32 s48, s[42:43], 0x4
	s_add_co_i32 s9, s13, s9
	s_wait_kmcnt 0x0
	s_add_co_i32 s8, s48, s8
	s_add_co_i32 s47, s47, 1
	s_delay_alu instid0(SALU_CYCLE_1)
	s_cmp_ge_u32 s47, s44
	s_cbranch_scc1 .LBB224_28
.LBB224_34:                             ;   in Loop: Header=BB224_25 Depth=1
	s_load_b32 s48, s[42:43], 0x8
	s_add_co_i32 s9, s14, s9
	s_wait_kmcnt 0x0
	s_add_co_i32 s8, s48, s8
	s_add_co_i32 s47, s47, 1
	s_delay_alu instid0(SALU_CYCLE_1)
	s_cmp_ge_u32 s47, s44
	s_cbranch_scc0 .LBB224_29
	s_branch .LBB224_30
.LBB224_35:
	s_mov_b64 s[8:9], 0
	s_add_nc_u64 s[10:11], s[10:11], s[40:41]
	s_wait_kmcnt 0x0
	s_add_nc_u64 s[12:13], s[38:39], s[40:41]
	s_mov_b32 s14, 0
	s_delay_alu instid0(SALU_CYCLE_1)
	s_cmp_ge_u32 s14, s17
	s_cbranch_scc0 .LBB224_59
	s_branch .LBB224_37
.LBB224_36:
	s_add_co_i32 s14, s20, 4
	s_add_nc_u64 s[12:13], s[38:39], s[40:41]
	s_add_nc_u64 s[10:11], s[10:11], s[40:41]
	s_cmp_ge_u32 s14, s17
	s_cbranch_scc0 .LBB224_59
.LBB224_37:
	v_dual_mov_b32 v2, s8 :: v_dual_mov_b32 v3, s21
	v_dual_mov_b32 v4, s9 :: v_dual_mov_b32 v1, 0
	ds_store_b96 v1, v[2:4] offset:1056
.LBB224_38:
	s_or_b32 exec_lo, exec_lo, s46
	s_clause 0x3
	s_load_b64 s[10:11], s[0:1], 0x438
	s_load_b64 s[14:15], s[0:1], 0x0
	;; [unrolled: 1-line block ×4, first 2 shown]
	s_cmp_eq_u32 s16, 0
	s_wait_dscnt 0x0
	s_barrier_signal -1
	s_barrier_wait -1
	s_cbranch_scc1 .LBB224_61
; %bb.39:
	s_mul_u64 s[20:21], s[30:31], s[22:23]
	s_mul_u64 s[22:23], s[36:37], s[26:27]
	s_lshl_b64 s[20:21], s[20:21], 1
	v_dual_mov_b32 v1, 0 :: v_dual_lshrrev_b32 v5, 3, v0
	s_wait_kmcnt 0x0
	s_mul_u64 s[26:27], s[10:11], s[34:35]
	s_add_nc_u64 s[10:11], s[14:15], s[20:21]
	s_lshl_b64 s[14:15], s[22:23], 1
	s_lshl_b64 s[18:19], s[18:19], 1
	s_add_nc_u64 s[14:15], s[8:9], s[14:15]
	s_lshl_b64 s[20:21], s[24:25], 1
	ds_load_b96 v[2:4], v1 offset:1056
	s_add_nc_u64 s[8:9], s[10:11], s[18:19]
	s_add_nc_u64 s[10:11], s[14:15], s[20:21]
	s_lshl_b64 s[14:15], s[26:27], 3
	s_lshl_b64 s[22:23], s[28:29], 3
	s_add_nc_u64 s[20:21], s[12:13], s[14:15]
	s_sext_i32_i16 s12, s45
	s_and_b32 s13, 0xffff, s45
	s_cmp_gt_i32 s12, -1
	s_mov_b32 s12, 0x8000
	v_dual_add_nc_u32 v6, -1, v0 :: v_dual_bitop2_b32 v5, 28, v5 bitop3:0x40
	s_cselect_b32 s12, s12, 0xffff
	s_lshl_b32 s14, s45, 16
	s_xor_b32 s17, s12, s13
	s_cmp_o_f32 s14, s14
	s_clause 0x3
	s_load_b32 s24, s[0:1], 0x1b0
	s_load_b64 s[12:13], s[0:1], 0x1b8
	s_load_b64 s[14:15], s[0:1], 0x360
	;; [unrolled: 1-line block ×3, first 2 shown]
	v_lshrrev_b32_e32 v7, 3, v6
	v_lshl_add_u32 v5, v0, 2, v5
	s_wait_dscnt 0x0
	v_dual_lshlrev_b32 v10, 5, v0 :: v_dual_add_nc_u32 v2, v2, v3
	v_and_b32_e32 v3, 0xfc, v0
	s_wait_xcnt 0x0
	v_cmp_gt_u32_e64 s0, 32, v0
	v_mad_u32 v0, s44, s33, v0
	v_and_b32_e32 v7, 0x1ffffffc, v7
	v_mbcnt_lo_u32_b32 v8, -1, 0
	v_add_nc_u32_e32 v10, v3, v10
	v_mov_b32_e32 v14, 0x8000
	s_cselect_b32 s17, s17, 0xffff
	v_lshl_add_u32 v9, v6, 2, v7
	v_and_b32_e32 v11, 15, v8
	v_bfe_i32 v12, v8, 4, 1
	v_add_nc_u32_e32 v13, -1, v8
	s_wait_kmcnt 0x0
	s_bitcmp1_b32 s24, 0
	s_add_nc_u64 s[20:21], s[20:21], s[22:23]
	s_cselect_b32 s1, -1, 0
                                        ; implicit-def: $vgpr15
	s_branch .LBB224_42
.LBB224_40:                             ;   in Loop: Header=BB224_42 Depth=1
	s_wait_xcnt 0x0
	s_or_b32 exec_lo, exec_lo, s22
	v_add_nc_u32_e32 v2, v3, v2
.LBB224_41:                             ;   in Loop: Header=BB224_42 Depth=1
	v_add_nc_u32_e32 v4, v16, v4
	v_add_nc_u32_e32 v0, 0x100, v0
	s_add_co_i32 s16, s16, -1
	s_delay_alu instid0(SALU_CYCLE_1)
	s_cmp_lg_u32 s16, 0
	s_cbranch_scc0 .LBB224_61
.LBB224_42:                             ; =>This Inner Loop Header: Depth=1
	v_dual_mov_b32 v3, v1 :: v_dual_mov_b32 v6, v1
	s_mov_b32 s22, exec_lo
	v_cmpx_gt_u64_e64 s[4:5], v[0:1]
	s_cbranch_execz .LBB224_44
; %bb.43:                               ;   in Loop: Header=BB224_42 Depth=1
	v_mul_u64_e32 v[6:7], s[12:13], v[0:1]
	s_delay_alu instid0(VALU_DEP_1)
	v_lshl_add_u64 v[6:7], v[6:7], 1, s[8:9]
	global_load_u16 v15, v[6:7], off
	s_wait_loadcnt 0x0
	v_cmp_lt_i16_e32 vcc_lo, -1, v15
	v_and_b32_e32 v3, 0xffff, v15
	s_wait_xcnt 0x0
	v_dual_cndmask_b32 v6, 0xffff, v14 :: v_dual_lshlrev_b32 v7, 16, v15
	s_delay_alu instid0(VALU_DEP_1) | instskip(NEXT) | instid1(VALU_DEP_2)
	v_cmp_o_f32_e32 vcc_lo, v7, v7
	v_xor_b32_e32 v3, v6, v3
	s_delay_alu instid0(VALU_DEP_1) | instskip(NEXT) | instid1(VALU_DEP_1)
	v_cndmask_b32_e32 v6, 0xffff, v3, vcc_lo
	v_cmp_lt_u32_e32 vcc_lo, s17, v6
	v_cndmask_b32_e64 v3, 0, 1, vcc_lo
	v_cmp_gt_u32_e32 vcc_lo, s17, v6
	v_cndmask_b32_e64 v7, 0, 1, vcc_lo
	v_cmp_eq_u32_e32 vcc_lo, s17, v6
	s_delay_alu instid0(VALU_DEP_2) | instskip(SKIP_1) | instid1(VALU_DEP_2)
	v_cndmask_b32_e64 v3, v7, v3, s1
	v_cndmask_b32_e64 v6, 0, 1, vcc_lo
	v_and_b32_e32 v3, 1, v3
.LBB224_44:                             ;   in Loop: Header=BB224_42 Depth=1
	s_or_b32 exec_lo, exec_lo, s22
	ds_store_b32 v5, v3
	s_wait_dscnt 0x0
	s_barrier_signal -1
	s_barrier_wait -1
	s_and_saveexec_b32 s22, s0
	s_cbranch_execz .LBB224_46
; %bb.45:                               ;   in Loop: Header=BB224_42 Depth=1
	ds_load_2addr_b32 v[16:17], v10 offset1:1
	ds_load_2addr_b32 v[18:19], v10 offset0:2 offset1:3
	ds_load_2addr_b32 v[20:21], v10 offset0:4 offset1:5
	;; [unrolled: 1-line block ×3, first 2 shown]
	v_cmp_ne_u32_e32 vcc_lo, 0, v11
	; wave barrier
	s_wait_dscnt 0x3
	v_add_nc_u32_e32 v7, v17, v16
	s_wait_dscnt 0x2
	s_delay_alu instid0(VALU_DEP_1) | instskip(SKIP_1) | instid1(VALU_DEP_1)
	v_add3_u32 v7, v7, v18, v19
	s_wait_dscnt 0x1
	v_add3_u32 v7, v7, v20, v21
	s_wait_dscnt 0x0
	s_delay_alu instid0(VALU_DEP_1) | instskip(NEXT) | instid1(VALU_DEP_1)
	v_add3_u32 v7, v7, v22, v23
	v_mov_b32_dpp v17, v7 row_shr:1 row_mask:0xf bank_mask:0xf
	s_delay_alu instid0(VALU_DEP_1) | instskip(SKIP_1) | instid1(VALU_DEP_2)
	v_cndmask_b32_e32 v17, 0, v17, vcc_lo
	v_cmp_lt_u32_e32 vcc_lo, 1, v11
	v_add_nc_u32_e32 v7, v17, v7
	s_delay_alu instid0(VALU_DEP_1) | instskip(NEXT) | instid1(VALU_DEP_1)
	v_mov_b32_dpp v17, v7 row_shr:2 row_mask:0xf bank_mask:0xf
	v_cndmask_b32_e32 v17, 0, v17, vcc_lo
	v_cmp_lt_u32_e32 vcc_lo, 3, v11
	s_delay_alu instid0(VALU_DEP_2) | instskip(NEXT) | instid1(VALU_DEP_1)
	v_add_nc_u32_e32 v7, v7, v17
	v_mov_b32_dpp v17, v7 row_shr:4 row_mask:0xf bank_mask:0xf
	s_delay_alu instid0(VALU_DEP_1) | instskip(SKIP_1) | instid1(VALU_DEP_2)
	v_cndmask_b32_e32 v17, 0, v17, vcc_lo
	v_cmp_lt_u32_e32 vcc_lo, 7, v11
	v_add_nc_u32_e32 v7, v7, v17
	s_delay_alu instid0(VALU_DEP_1) | instskip(NEXT) | instid1(VALU_DEP_1)
	v_mov_b32_dpp v17, v7 row_shr:8 row_mask:0xf bank_mask:0xf
	v_cndmask_b32_e32 v17, 0, v17, vcc_lo
	v_cmp_gt_i32_e32 vcc_lo, 0, v13
	s_delay_alu instid0(VALU_DEP_2) | instskip(SKIP_3) | instid1(VALU_DEP_1)
	v_dual_cndmask_b32 v18, v13, v8 :: v_dual_add_nc_u32 v7, v7, v17
	ds_swizzle_b32 v17, v7 offset:swizzle(BROADCAST,32,15)
	s_wait_dscnt 0x0
	v_dual_lshlrev_b32 v18, 2, v18 :: v_dual_bitop2_b32 v17, v12, v17 bitop3:0x40
	v_add_nc_u32_e32 v7, v7, v17
	ds_bpermute_b32 v7, v18, v7
	s_wait_dscnt 0x0
	v_add_nc_u32_e32 v7, v7, v16
	s_delay_alu instid0(VALU_DEP_1)
	v_cndmask_b32_e64 v7, v7, v3, s3
	ds_store_b32 v10, v7
	; wave barrier
	ds_load_2addr_b32 v[16:17], v10 offset0:1 offset1:2
	ds_load_2addr_b32 v[18:19], v10 offset0:3 offset1:4
	;; [unrolled: 1-line block ×3, first 2 shown]
	ds_load_b32 v22, v10 offset:28
	s_wait_dscnt 0x3
	v_add_nc_u32_e32 v7, v16, v7
	s_delay_alu instid0(VALU_DEP_1) | instskip(SKIP_1) | instid1(VALU_DEP_1)
	v_add_nc_u32_e32 v16, v17, v7
	s_wait_dscnt 0x2
	v_add_nc_u32_e32 v17, v18, v16
	s_delay_alu instid0(VALU_DEP_1) | instskip(SKIP_1) | instid1(VALU_DEP_1)
	v_add_nc_u32_e32 v18, v19, v17
	;; [unrolled: 4-line block ×3, first 2 shown]
	s_wait_dscnt 0x0
	v_add_nc_u32_e32 v21, v22, v20
	ds_store_2addr_b32 v10, v7, v16 offset0:1 offset1:2
	ds_store_2addr_b32 v10, v17, v18 offset0:3 offset1:4
	;; [unrolled: 1-line block ×3, first 2 shown]
	ds_store_b32 v10, v21 offset:28
.LBB224_46:                             ;   in Loop: Header=BB224_42 Depth=1
	s_or_b32 exec_lo, exec_lo, s22
	v_mov_b32_e32 v7, 0
	s_wait_dscnt 0x0
	s_barrier_signal -1
	s_barrier_wait -1
	s_and_saveexec_b32 s22, s2
; %bb.47:                               ;   in Loop: Header=BB224_42 Depth=1
	ds_load_b32 v7, v9
; %bb.48:                               ;   in Loop: Header=BB224_42 Depth=1
	s_or_b32 exec_lo, exec_lo, s22
	ds_load_b32 v16, v1 offset:1048
	s_mov_b32 s22, exec_lo
	s_wait_dscnt 0x0
	s_barrier_signal -1
	s_barrier_wait -1
	v_cmpx_ne_u32_e32 0, v3
	s_cbranch_execz .LBB224_50
; %bb.49:                               ;   in Loop: Header=BB224_42 Depth=1
	v_dual_mov_b32 v19, v1 :: v_dual_add_nc_u32 v18, v7, v4
	s_delay_alu instid0(VALU_DEP_1) | instskip(SKIP_1) | instid1(VALU_DEP_2)
	v_mul_u64_e32 v[20:21], s[14:15], v[18:19]
	v_mul_u64_e32 v[18:19], s[18:19], v[18:19]
	v_lshl_add_u64 v[20:21], v[20:21], 1, s[10:11]
	s_delay_alu instid0(VALU_DEP_2)
	v_lshl_add_u64 v[18:19], v[18:19], 3, s[20:21]
	global_store_b16 v[20:21], v15, off
	global_store_b64 v[18:19], v[0:1], off
.LBB224_50:                             ;   in Loop: Header=BB224_42 Depth=1
	s_wait_xcnt 0x0
	s_or_b32 exec_lo, exec_lo, s22
	v_mov_b32_e32 v3, v1
	s_delay_alu instid0(VALU_DEP_1)
	v_cmp_le_u64_e32 vcc_lo, s[6:7], v[2:3]
	s_cbranch_vccnz .LBB224_41
; %bb.51:                               ;   in Loop: Header=BB224_42 Depth=1
	ds_store_b32 v5, v6
	s_wait_storecnt_dscnt 0x0
	s_barrier_signal -1
	s_barrier_wait -1
	s_and_saveexec_b32 s22, s0
	s_cbranch_execz .LBB224_53
; %bb.52:                               ;   in Loop: Header=BB224_42 Depth=1
	ds_load_2addr_b32 v[18:19], v10 offset1:1
	ds_load_2addr_b32 v[20:21], v10 offset0:2 offset1:3
	ds_load_2addr_b32 v[22:23], v10 offset0:4 offset1:5
	;; [unrolled: 1-line block ×3, first 2 shown]
	v_cmp_ne_u32_e32 vcc_lo, 0, v11
	; wave barrier
	s_wait_dscnt 0x3
	v_add_nc_u32_e32 v3, v19, v18
	s_wait_dscnt 0x2
	s_delay_alu instid0(VALU_DEP_1) | instskip(SKIP_1) | instid1(VALU_DEP_1)
	v_add3_u32 v3, v3, v20, v21
	s_wait_dscnt 0x1
	v_add3_u32 v3, v3, v22, v23
	s_wait_dscnt 0x0
	s_delay_alu instid0(VALU_DEP_1) | instskip(NEXT) | instid1(VALU_DEP_1)
	v_add3_u32 v3, v3, v24, v25
	v_mov_b32_dpp v7, v3 row_shr:1 row_mask:0xf bank_mask:0xf
	s_delay_alu instid0(VALU_DEP_1) | instskip(SKIP_1) | instid1(VALU_DEP_2)
	v_cndmask_b32_e32 v7, 0, v7, vcc_lo
	v_cmp_lt_u32_e32 vcc_lo, 1, v11
	v_add_nc_u32_e32 v3, v7, v3
	s_delay_alu instid0(VALU_DEP_1) | instskip(NEXT) | instid1(VALU_DEP_1)
	v_mov_b32_dpp v7, v3 row_shr:2 row_mask:0xf bank_mask:0xf
	v_cndmask_b32_e32 v7, 0, v7, vcc_lo
	v_cmp_lt_u32_e32 vcc_lo, 3, v11
	s_delay_alu instid0(VALU_DEP_2) | instskip(NEXT) | instid1(VALU_DEP_1)
	v_add_nc_u32_e32 v3, v3, v7
	v_mov_b32_dpp v7, v3 row_shr:4 row_mask:0xf bank_mask:0xf
	s_delay_alu instid0(VALU_DEP_1) | instskip(SKIP_1) | instid1(VALU_DEP_2)
	v_cndmask_b32_e32 v7, 0, v7, vcc_lo
	v_cmp_lt_u32_e32 vcc_lo, 7, v11
	v_add_nc_u32_e32 v3, v3, v7
	s_delay_alu instid0(VALU_DEP_1) | instskip(NEXT) | instid1(VALU_DEP_1)
	v_mov_b32_dpp v7, v3 row_shr:8 row_mask:0xf bank_mask:0xf
	v_cndmask_b32_e32 v7, 0, v7, vcc_lo
	v_cmp_gt_i32_e32 vcc_lo, 0, v13
	s_delay_alu instid0(VALU_DEP_2) | instskip(SKIP_3) | instid1(VALU_DEP_1)
	v_dual_add_nc_u32 v3, v3, v7 :: v_dual_cndmask_b32 v17, v13, v8, vcc_lo
	ds_swizzle_b32 v7, v3 offset:swizzle(BROADCAST,32,15)
	s_wait_dscnt 0x0
	v_dual_lshlrev_b32 v17, 2, v17 :: v_dual_bitop2_b32 v7, v12, v7 bitop3:0x40
	v_add_nc_u32_e32 v3, v3, v7
	ds_bpermute_b32 v3, v17, v3
	s_wait_dscnt 0x0
	v_add_nc_u32_e32 v3, v3, v18
	s_delay_alu instid0(VALU_DEP_1)
	v_cndmask_b32_e64 v3, v3, v6, s3
	ds_store_b32 v10, v3
	; wave barrier
	ds_load_2addr_b32 v[18:19], v10 offset0:1 offset1:2
	ds_load_2addr_b32 v[20:21], v10 offset0:3 offset1:4
	;; [unrolled: 1-line block ×3, first 2 shown]
	ds_load_b32 v7, v10 offset:28
	s_wait_dscnt 0x3
	v_add_nc_u32_e32 v3, v18, v3
	s_delay_alu instid0(VALU_DEP_1) | instskip(SKIP_1) | instid1(VALU_DEP_1)
	v_add_nc_u32_e32 v17, v19, v3
	s_wait_dscnt 0x2
	v_add_nc_u32_e32 v18, v20, v17
	s_delay_alu instid0(VALU_DEP_1) | instskip(SKIP_1) | instid1(VALU_DEP_1)
	v_add_nc_u32_e32 v19, v21, v18
	;; [unrolled: 4-line block ×3, first 2 shown]
	s_wait_dscnt 0x0
	v_add_nc_u32_e32 v7, v7, v21
	ds_store_2addr_b32 v10, v3, v17 offset0:1 offset1:2
	ds_store_2addr_b32 v10, v18, v19 offset0:3 offset1:4
	;; [unrolled: 1-line block ×3, first 2 shown]
	ds_store_b32 v10, v7 offset:28
.LBB224_53:                             ;   in Loop: Header=BB224_42 Depth=1
	s_or_b32 exec_lo, exec_lo, s22
	v_mov_b32_e32 v7, 0
	s_wait_dscnt 0x0
	s_barrier_signal -1
	s_barrier_wait -1
	s_and_saveexec_b32 s22, s2
; %bb.54:                               ;   in Loop: Header=BB224_42 Depth=1
	ds_load_b32 v7, v9
; %bb.55:                               ;   in Loop: Header=BB224_42 Depth=1
	s_or_b32 exec_lo, exec_lo, s22
	ds_load_b32 v3, v1 offset:1048
	s_mov_b32 s22, exec_lo
	s_wait_dscnt 0x0
	s_barrier_signal -1
	s_barrier_wait -1
	v_cmpx_ne_u32_e32 0, v6
	s_cbranch_execz .LBB224_40
; %bb.56:                               ;   in Loop: Header=BB224_42 Depth=1
	v_dual_mov_b32 v7, v1 :: v_dual_add_nc_u32 v6, v7, v2
	s_delay_alu instid0(VALU_DEP_1)
	v_cmp_gt_u64_e32 vcc_lo, s[6:7], v[6:7]
	s_and_b32 exec_lo, exec_lo, vcc_lo
	s_cbranch_execz .LBB224_40
; %bb.57:                               ;   in Loop: Header=BB224_42 Depth=1
	v_mul_u64_e32 v[18:19], s[14:15], v[6:7]
	v_mul_u64_e32 v[6:7], s[18:19], v[6:7]
	s_delay_alu instid0(VALU_DEP_2) | instskip(NEXT) | instid1(VALU_DEP_2)
	v_lshl_add_u64 v[18:19], v[18:19], 1, s[10:11]
	v_lshl_add_u64 v[6:7], v[6:7], 3, s[20:21]
	global_store_b16 v[18:19], v15, off
	global_store_b64 v[6:7], v[0:1], off
	s_branch .LBB224_40
.LBB224_58:                             ;   in Loop: Header=BB224_59 Depth=1
	s_add_co_i32 s14, s14, 1
	s_wait_kmcnt 0x0
	s_add_co_i32 s21, s15, s21
	s_add_nc_u64 s[10:11], s[10:11], 4
	s_cmp_lt_u32 s14, s17
	s_add_nc_u64 s[12:13], s[12:13], 4
	s_cbranch_scc0 .LBB224_37
.LBB224_59:                             ; =>This Inner Loop Header: Depth=1
	s_load_b32 s15, s[10:11], 0x0
	s_cmp_ge_u32 s14, s44
	s_cbranch_scc1 .LBB224_58
; %bb.60:                               ;   in Loop: Header=BB224_59 Depth=1
	s_load_b32 s20, s[12:13], 0x0
	s_wait_kmcnt 0x0
	s_add_co_i32 s9, s15, s9
	s_add_co_i32 s8, s20, s8
	s_branch .LBB224_58
.LBB224_61:
	s_endpgm
	.section	.rodata,"a",@progbits
	.p2align	6, 0x0
	.amdhsa_kernel _ZN2at6native6mbtopk10gatherTopKIN3c108BFloat16EmLin1EEEvNS_4cuda6detail10TensorInfoIKT_T0_EESA_SA_bjSA_NS7_IS8_SA_EESA_NS7_IlSA_EESA_jjPS8_PjSF_j
		.amdhsa_group_segment_fixed_size 1068
		.amdhsa_private_segment_fixed_size 0
		.amdhsa_kernarg_size 1592
		.amdhsa_user_sgpr_count 2
		.amdhsa_user_sgpr_dispatch_ptr 0
		.amdhsa_user_sgpr_queue_ptr 0
		.amdhsa_user_sgpr_kernarg_segment_ptr 1
		.amdhsa_user_sgpr_dispatch_id 0
		.amdhsa_user_sgpr_kernarg_preload_length 0
		.amdhsa_user_sgpr_kernarg_preload_offset 0
		.amdhsa_user_sgpr_private_segment_size 0
		.amdhsa_wavefront_size32 1
		.amdhsa_uses_dynamic_stack 0
		.amdhsa_enable_private_segment 0
		.amdhsa_system_sgpr_workgroup_id_x 1
		.amdhsa_system_sgpr_workgroup_id_y 1
		.amdhsa_system_sgpr_workgroup_id_z 1
		.amdhsa_system_sgpr_workgroup_info 0
		.amdhsa_system_vgpr_workitem_id 0
		.amdhsa_next_free_vgpr 26
		.amdhsa_next_free_sgpr 49
		.amdhsa_named_barrier_count 0
		.amdhsa_reserve_vcc 1
		.amdhsa_float_round_mode_32 0
		.amdhsa_float_round_mode_16_64 0
		.amdhsa_float_denorm_mode_32 3
		.amdhsa_float_denorm_mode_16_64 3
		.amdhsa_fp16_overflow 0
		.amdhsa_memory_ordered 1
		.amdhsa_forward_progress 1
		.amdhsa_inst_pref_size 27
		.amdhsa_round_robin_scheduling 0
		.amdhsa_exception_fp_ieee_invalid_op 0
		.amdhsa_exception_fp_denorm_src 0
		.amdhsa_exception_fp_ieee_div_zero 0
		.amdhsa_exception_fp_ieee_overflow 0
		.amdhsa_exception_fp_ieee_underflow 0
		.amdhsa_exception_fp_ieee_inexact 0
		.amdhsa_exception_int_div_zero 0
	.end_amdhsa_kernel
	.section	.text._ZN2at6native6mbtopk10gatherTopKIN3c108BFloat16EmLin1EEEvNS_4cuda6detail10TensorInfoIKT_T0_EESA_SA_bjSA_NS7_IS8_SA_EESA_NS7_IlSA_EESA_jjPS8_PjSF_j,"axG",@progbits,_ZN2at6native6mbtopk10gatherTopKIN3c108BFloat16EmLin1EEEvNS_4cuda6detail10TensorInfoIKT_T0_EESA_SA_bjSA_NS7_IS8_SA_EESA_NS7_IlSA_EESA_jjPS8_PjSF_j,comdat
.Lfunc_end224:
	.size	_ZN2at6native6mbtopk10gatherTopKIN3c108BFloat16EmLin1EEEvNS_4cuda6detail10TensorInfoIKT_T0_EESA_SA_bjSA_NS7_IS8_SA_EESA_NS7_IlSA_EESA_jjPS8_PjSF_j, .Lfunc_end224-_ZN2at6native6mbtopk10gatherTopKIN3c108BFloat16EmLin1EEEvNS_4cuda6detail10TensorInfoIKT_T0_EESA_SA_bjSA_NS7_IS8_SA_EESA_NS7_IlSA_EESA_jjPS8_PjSF_j
                                        ; -- End function
	.set _ZN2at6native6mbtopk10gatherTopKIN3c108BFloat16EmLin1EEEvNS_4cuda6detail10TensorInfoIKT_T0_EESA_SA_bjSA_NS7_IS8_SA_EESA_NS7_IlSA_EESA_jjPS8_PjSF_j.num_vgpr, 26
	.set _ZN2at6native6mbtopk10gatherTopKIN3c108BFloat16EmLin1EEEvNS_4cuda6detail10TensorInfoIKT_T0_EESA_SA_bjSA_NS7_IS8_SA_EESA_NS7_IlSA_EESA_jjPS8_PjSF_j.num_agpr, 0
	.set _ZN2at6native6mbtopk10gatherTopKIN3c108BFloat16EmLin1EEEvNS_4cuda6detail10TensorInfoIKT_T0_EESA_SA_bjSA_NS7_IS8_SA_EESA_NS7_IlSA_EESA_jjPS8_PjSF_j.numbered_sgpr, 49
	.set _ZN2at6native6mbtopk10gatherTopKIN3c108BFloat16EmLin1EEEvNS_4cuda6detail10TensorInfoIKT_T0_EESA_SA_bjSA_NS7_IS8_SA_EESA_NS7_IlSA_EESA_jjPS8_PjSF_j.num_named_barrier, 0
	.set _ZN2at6native6mbtopk10gatherTopKIN3c108BFloat16EmLin1EEEvNS_4cuda6detail10TensorInfoIKT_T0_EESA_SA_bjSA_NS7_IS8_SA_EESA_NS7_IlSA_EESA_jjPS8_PjSF_j.private_seg_size, 0
	.set _ZN2at6native6mbtopk10gatherTopKIN3c108BFloat16EmLin1EEEvNS_4cuda6detail10TensorInfoIKT_T0_EESA_SA_bjSA_NS7_IS8_SA_EESA_NS7_IlSA_EESA_jjPS8_PjSF_j.uses_vcc, 1
	.set _ZN2at6native6mbtopk10gatherTopKIN3c108BFloat16EmLin1EEEvNS_4cuda6detail10TensorInfoIKT_T0_EESA_SA_bjSA_NS7_IS8_SA_EESA_NS7_IlSA_EESA_jjPS8_PjSF_j.uses_flat_scratch, 0
	.set _ZN2at6native6mbtopk10gatherTopKIN3c108BFloat16EmLin1EEEvNS_4cuda6detail10TensorInfoIKT_T0_EESA_SA_bjSA_NS7_IS8_SA_EESA_NS7_IlSA_EESA_jjPS8_PjSF_j.has_dyn_sized_stack, 0
	.set _ZN2at6native6mbtopk10gatherTopKIN3c108BFloat16EmLin1EEEvNS_4cuda6detail10TensorInfoIKT_T0_EESA_SA_bjSA_NS7_IS8_SA_EESA_NS7_IlSA_EESA_jjPS8_PjSF_j.has_recursion, 0
	.set _ZN2at6native6mbtopk10gatherTopKIN3c108BFloat16EmLin1EEEvNS_4cuda6detail10TensorInfoIKT_T0_EESA_SA_bjSA_NS7_IS8_SA_EESA_NS7_IlSA_EESA_jjPS8_PjSF_j.has_indirect_call, 0
	.section	.AMDGPU.csdata,"",@progbits
; Kernel info:
; codeLenInByte = 3440
; TotalNumSgprs: 51
; NumVgprs: 26
; ScratchSize: 0
; MemoryBound: 0
; FloatMode: 240
; IeeeMode: 1
; LDSByteSize: 1068 bytes/workgroup (compile time only)
; SGPRBlocks: 0
; VGPRBlocks: 1
; NumSGPRsForWavesPerEU: 51
; NumVGPRsForWavesPerEU: 26
; NamedBarCnt: 0
; Occupancy: 16
; WaveLimiterHint : 1
; COMPUTE_PGM_RSRC2:SCRATCH_EN: 0
; COMPUTE_PGM_RSRC2:USER_SGPR: 2
; COMPUTE_PGM_RSRC2:TRAP_HANDLER: 0
; COMPUTE_PGM_RSRC2:TGID_X_EN: 1
; COMPUTE_PGM_RSRC2:TGID_Y_EN: 1
; COMPUTE_PGM_RSRC2:TGID_Z_EN: 1
; COMPUTE_PGM_RSRC2:TIDIG_COMP_CNT: 0
	.section	.text._ZN2at6native6sbtopk10gatherTopKIN3c108BFloat16EmLin1ELb0EEEvNS_4cuda6detail10TensorInfoIKT_T0_EESA_SA_bSA_SA_NS7_IS8_SA_EESA_NS7_IlSA_EESA_PS8_,"axG",@progbits,_ZN2at6native6sbtopk10gatherTopKIN3c108BFloat16EmLin1ELb0EEEvNS_4cuda6detail10TensorInfoIKT_T0_EESA_SA_bSA_SA_NS7_IS8_SA_EESA_NS7_IlSA_EESA_PS8_,comdat
	.protected	_ZN2at6native6sbtopk10gatherTopKIN3c108BFloat16EmLin1ELb0EEEvNS_4cuda6detail10TensorInfoIKT_T0_EESA_SA_bSA_SA_NS7_IS8_SA_EESA_NS7_IlSA_EESA_PS8_ ; -- Begin function _ZN2at6native6sbtopk10gatherTopKIN3c108BFloat16EmLin1ELb0EEEvNS_4cuda6detail10TensorInfoIKT_T0_EESA_SA_bSA_SA_NS7_IS8_SA_EESA_NS7_IlSA_EESA_PS8_
	.globl	_ZN2at6native6sbtopk10gatherTopKIN3c108BFloat16EmLin1ELb0EEEvNS_4cuda6detail10TensorInfoIKT_T0_EESA_SA_bSA_SA_NS7_IS8_SA_EESA_NS7_IlSA_EESA_PS8_
	.p2align	8
	.type	_ZN2at6native6sbtopk10gatherTopKIN3c108BFloat16EmLin1ELb0EEEvNS_4cuda6detail10TensorInfoIKT_T0_EESA_SA_bSA_SA_NS7_IS8_SA_EESA_NS7_IlSA_EESA_PS8_,@function
_ZN2at6native6sbtopk10gatherTopKIN3c108BFloat16EmLin1ELb0EEEvNS_4cuda6detail10TensorInfoIKT_T0_EESA_SA_bSA_SA_NS7_IS8_SA_EESA_NS7_IlSA_EESA_PS8_: ; @_ZN2at6native6sbtopk10gatherTopKIN3c108BFloat16EmLin1ELb0EEEvNS_4cuda6detail10TensorInfoIKT_T0_EESA_SA_bSA_SA_NS7_IS8_SA_EESA_NS7_IlSA_EESA_PS8_
; %bb.0:
	s_clause 0x1
	s_load_b128 s[28:31], s[0:1], 0x1b8
	s_load_b64 s[8:9], s[0:1], 0x520
	s_bfe_u32 s2, ttmp6, 0x40010
	s_and_b32 s3, ttmp7, 0xffff
	s_add_co_i32 s2, s2, 1
	s_bfe_u32 s5, ttmp6, 0x4000c
	s_mul_i32 s2, s3, s2
	s_bfe_u32 s4, ttmp6, 0x40004
	s_add_co_i32 s5, s5, 1
	s_bfe_u32 s6, ttmp6, 0x40014
	s_add_co_i32 s4, s4, s2
	s_and_b32 s2, ttmp6, 15
	s_mul_i32 s5, ttmp9, s5
	s_lshr_b32 s7, ttmp7, 16
	s_add_co_i32 s6, s6, 1
	s_add_co_i32 s2, s2, s5
	s_mul_i32 s5, s7, s6
	s_bfe_u32 s6, ttmp6, 0x40008
	s_getreg_b32 s10, hwreg(HW_REG_IB_STS2, 6, 4)
	s_add_co_i32 s6, s6, s5
	s_cmp_eq_u32 s10, 0
	s_cselect_b32 s5, s7, s6
	s_cselect_b32 s3, s3, s4
	s_wait_kmcnt 0x0
	s_mul_i32 s5, s9, s5
	s_cselect_b32 s9, ttmp9, s2
	s_add_co_i32 s2, s5, s3
	s_mov_b32 s5, 0
	s_mul_i32 s2, s2, s8
	s_delay_alu instid0(SALU_CYCLE_1) | instskip(NEXT) | instid1(SALU_CYCLE_1)
	s_add_co_i32 s4, s2, s9
	v_cmp_le_u64_e64 s2, s[28:29], s[4:5]
	s_and_b32 vcc_lo, exec_lo, s2
	s_cbranch_vccnz .LBB225_498
; %bb.1:
	s_load_b32 s12, s[0:1], 0x198
	s_mov_b64 s[2:3], 0
	s_mov_b64 s[6:7], s[4:5]
	s_wait_kmcnt 0x0
	s_cmp_lt_i32 s12, 2
	s_cbranch_scc1 .LBB225_9
; %bb.2:
	s_add_co_i32 s10, s12, -1
	s_mov_b32 s11, 0
	s_add_co_i32 s18, s12, 1
	s_lshl_b64 s[2:3], s[10:11], 3
	s_mov_b64 s[14:15], s[4:5]
	s_add_nc_u64 s[6:7], s[0:1], s[2:3]
	s_mov_b64 s[2:3], 0
	s_add_nc_u64 s[12:13], s[6:7], 8
.LBB225_3:                              ; =>This Inner Loop Header: Depth=1
	s_load_b64 s[16:17], s[12:13], 0x0
	s_mov_b32 s10, -1
	s_wait_kmcnt 0x0
	s_or_b64 s[6:7], s[14:15], s[16:17]
	s_delay_alu instid0(SALU_CYCLE_1) | instskip(NEXT) | instid1(SALU_CYCLE_1)
	s_and_b64 s[6:7], s[6:7], 0xffffffff00000000
	s_cmp_lg_u64 s[6:7], 0
                                        ; implicit-def: $sgpr6_sgpr7
	s_cbranch_scc0 .LBB225_5
; %bb.4:                                ;   in Loop: Header=BB225_3 Depth=1
	s_cvt_f32_u32 s6, s16
	s_cvt_f32_u32 s7, s17
	s_sub_nc_u64 s[20:21], 0, s[16:17]
	s_delay_alu instid0(SALU_CYCLE_2) | instskip(NEXT) | instid1(SALU_CYCLE_3)
	s_fmamk_f32 s6, s7, 0x4f800000, s6
	v_s_rcp_f32 s6, s6
	s_delay_alu instid0(TRANS32_DEP_1) | instskip(NEXT) | instid1(SALU_CYCLE_3)
	s_mul_f32 s6, s6, 0x5f7ffffc
	s_mul_f32 s7, s6, 0x2f800000
	s_delay_alu instid0(SALU_CYCLE_3) | instskip(NEXT) | instid1(SALU_CYCLE_3)
	s_trunc_f32 s7, s7
	s_fmamk_f32 s6, s7, 0xcf800000, s6
	s_cvt_u32_f32 s7, s7
	s_delay_alu instid0(SALU_CYCLE_2) | instskip(NEXT) | instid1(SALU_CYCLE_3)
	s_cvt_u32_f32 s6, s6
	s_mul_u64 s[22:23], s[20:21], s[6:7]
	s_delay_alu instid0(SALU_CYCLE_1)
	s_mul_hi_u32 s25, s6, s23
	s_mul_i32 s24, s6, s23
	s_mul_hi_u32 s10, s6, s22
	s_mul_i32 s26, s7, s22
	s_add_nc_u64 s[24:25], s[10:11], s[24:25]
	s_mul_hi_u32 s19, s7, s22
	s_mul_hi_u32 s27, s7, s23
	s_add_co_u32 s10, s24, s26
	s_add_co_ci_u32 s10, s25, s19
	s_mul_i32 s22, s7, s23
	s_add_co_ci_u32 s23, s27, 0
	s_delay_alu instid0(SALU_CYCLE_1) | instskip(NEXT) | instid1(SALU_CYCLE_1)
	s_add_nc_u64 s[22:23], s[10:11], s[22:23]
	s_add_co_u32 s6, s6, s22
	s_cselect_b32 s10, -1, 0
	s_delay_alu instid0(SALU_CYCLE_1) | instskip(SKIP_1) | instid1(SALU_CYCLE_1)
	s_cmp_lg_u32 s10, 0
	s_add_co_ci_u32 s7, s7, s23
	s_mul_u64 s[20:21], s[20:21], s[6:7]
	s_delay_alu instid0(SALU_CYCLE_1)
	s_mul_hi_u32 s23, s6, s21
	s_mul_i32 s22, s6, s21
	s_mul_hi_u32 s10, s6, s20
	s_mul_i32 s24, s7, s20
	s_add_nc_u64 s[22:23], s[10:11], s[22:23]
	s_mul_hi_u32 s19, s7, s20
	s_mul_hi_u32 s25, s7, s21
	s_add_co_u32 s10, s22, s24
	s_add_co_ci_u32 s10, s23, s19
	s_mul_i32 s20, s7, s21
	s_add_co_ci_u32 s21, s25, 0
	s_delay_alu instid0(SALU_CYCLE_1) | instskip(NEXT) | instid1(SALU_CYCLE_1)
	s_add_nc_u64 s[20:21], s[10:11], s[20:21]
	s_add_co_u32 s6, s6, s20
	s_cselect_b32 s19, -1, 0
	s_mul_hi_u32 s10, s14, s6
	s_cmp_lg_u32 s19, 0
	s_mul_hi_u32 s19, s15, s6
	s_add_co_ci_u32 s20, s7, s21
	s_mul_i32 s21, s15, s6
	s_mul_hi_u32 s7, s14, s20
	s_mul_i32 s6, s14, s20
	s_mul_hi_u32 s22, s15, s20
	s_add_nc_u64 s[6:7], s[10:11], s[6:7]
	s_mul_i32 s20, s15, s20
	s_add_co_u32 s6, s6, s21
	s_add_co_ci_u32 s10, s7, s19
	s_add_co_ci_u32 s21, s22, 0
	s_delay_alu instid0(SALU_CYCLE_1) | instskip(NEXT) | instid1(SALU_CYCLE_1)
	s_add_nc_u64 s[6:7], s[10:11], s[20:21]
	s_and_b64 s[20:21], s[6:7], 0xffffffff00000000
	s_delay_alu instid0(SALU_CYCLE_1) | instskip(NEXT) | instid1(SALU_CYCLE_1)
	s_or_b32 s20, s20, s6
	s_mul_u64 s[6:7], s[16:17], s[20:21]
	s_delay_alu instid0(SALU_CYCLE_1)
	s_sub_co_u32 s6, s14, s6
	s_cselect_b32 s10, -1, 0
	s_sub_co_i32 s19, s15, s7
	s_cmp_lg_u32 s10, 0
	s_sub_co_ci_u32 s19, s19, s17
	s_sub_co_u32 s22, s6, s16
	s_cselect_b32 s23, -1, 0
	s_delay_alu instid0(SALU_CYCLE_1) | instskip(SKIP_1) | instid1(SALU_CYCLE_1)
	s_cmp_lg_u32 s23, 0
	s_sub_co_ci_u32 s19, s19, 0
	s_cmp_ge_u32 s19, s17
	s_cselect_b32 s24, -1, 0
	s_cmp_ge_u32 s22, s16
	s_add_nc_u64 s[22:23], s[20:21], 1
	s_cselect_b32 s25, -1, 0
	s_cmp_eq_u32 s19, s17
	s_cselect_b32 s19, s25, s24
	s_add_nc_u64 s[24:25], s[20:21], 2
	s_cmp_lg_u32 s19, 0
	s_cselect_b32 s19, s24, s22
	s_cselect_b32 s22, s25, s23
	s_cmp_lg_u32 s10, 0
	s_sub_co_ci_u32 s7, s15, s7
	s_delay_alu instid0(SALU_CYCLE_1)
	s_cmp_ge_u32 s7, s17
	s_cselect_b32 s10, -1, 0
	s_cmp_ge_u32 s6, s16
	s_cselect_b32 s6, -1, 0
	s_cmp_eq_u32 s7, s17
	s_cselect_b32 s6, s6, s10
	s_mov_b32 s10, 0
	s_cmp_lg_u32 s6, 0
	s_cselect_b32 s7, s22, s21
	s_cselect_b32 s6, s19, s20
.LBB225_5:                              ;   in Loop: Header=BB225_3 Depth=1
	s_and_not1_b32 vcc_lo, exec_lo, s10
	s_cbranch_vccnz .LBB225_7
; %bb.6:                                ;   in Loop: Header=BB225_3 Depth=1
	v_cvt_f32_u32_e32 v1, s16
	s_sub_co_i32 s7, 0, s16
	s_delay_alu instid0(VALU_DEP_1) | instskip(SKIP_1) | instid1(TRANS32_DEP_1)
	v_rcp_iflag_f32_e32 v1, v1
	v_nop
	v_mul_f32_e32 v1, 0x4f7ffffe, v1
	s_delay_alu instid0(VALU_DEP_1) | instskip(NEXT) | instid1(VALU_DEP_1)
	v_cvt_u32_f32_e32 v1, v1
	v_readfirstlane_b32 s6, v1
	s_mul_i32 s7, s7, s6
	s_delay_alu instid0(SALU_CYCLE_1) | instskip(NEXT) | instid1(SALU_CYCLE_1)
	s_mul_hi_u32 s7, s6, s7
	s_add_co_i32 s6, s6, s7
	s_delay_alu instid0(SALU_CYCLE_1) | instskip(NEXT) | instid1(SALU_CYCLE_1)
	s_mul_hi_u32 s6, s14, s6
	s_mul_i32 s7, s6, s16
	s_add_co_i32 s10, s6, 1
	s_sub_co_i32 s7, s14, s7
	s_delay_alu instid0(SALU_CYCLE_1)
	s_sub_co_i32 s19, s7, s16
	s_cmp_ge_u32 s7, s16
	s_cselect_b32 s6, s10, s6
	s_cselect_b32 s7, s19, s7
	s_add_co_i32 s10, s6, 1
	s_cmp_ge_u32 s7, s16
	s_cselect_b32 s10, s10, s6
	s_delay_alu instid0(SALU_CYCLE_1)
	s_mov_b64 s[6:7], s[10:11]
.LBB225_7:                              ;   in Loop: Header=BB225_3 Depth=1
	s_load_b64 s[20:21], s[12:13], 0xc8
	s_mul_u64 s[16:17], s[6:7], s[16:17]
	s_add_co_i32 s18, s18, -1
	s_sub_nc_u64 s[14:15], s[14:15], s[16:17]
	s_cmp_gt_u32 s18, 2
	s_wait_xcnt 0x0
	s_add_nc_u64 s[12:13], s[12:13], -8
	s_wait_kmcnt 0x0
	s_mul_u64 s[14:15], s[20:21], s[14:15]
	s_delay_alu instid0(SALU_CYCLE_1)
	s_add_nc_u64 s[2:3], s[14:15], s[2:3]
	s_cbranch_scc0 .LBB225_9
; %bb.8:                                ;   in Loop: Header=BB225_3 Depth=1
	s_mov_b64 s[14:15], s[6:7]
	s_branch .LBB225_3
.LBB225_9:
	s_load_b32 s16, s[0:1], 0x360
	s_add_nc_u64 s[10:11], s[0:1], 0x520
	s_add_nc_u64 s[12:13], s[0:1], 0x1c8
	s_mov_b64 s[34:35], 0
	s_mov_b64 s[42:43], s[4:5]
	s_wait_kmcnt 0x0
	s_cmp_lt_i32 s16, 2
	s_cbranch_scc1 .LBB225_17
; %bb.10:
	s_add_co_i32 s14, s16, -1
	s_mov_b32 s15, 0
	s_add_co_i32 s22, s16, 1
	s_lshl_b64 s[18:19], s[14:15], 3
	s_delay_alu instid0(SALU_CYCLE_1)
	s_add_nc_u64 s[16:17], s[12:13], s[18:19]
	s_mov_b64 s[18:19], s[4:5]
	s_add_nc_u64 s[16:17], s[16:17], 8
.LBB225_11:                             ; =>This Inner Loop Header: Depth=1
	s_load_b64 s[20:21], s[16:17], 0x0
	s_mov_b32 s14, -1
                                        ; implicit-def: $sgpr42_sgpr43
	s_wait_kmcnt 0x0
	s_or_b64 s[24:25], s[18:19], s[20:21]
	s_delay_alu instid0(SALU_CYCLE_1) | instskip(NEXT) | instid1(SALU_CYCLE_1)
	s_and_b64 s[24:25], s[24:25], 0xffffffff00000000
	s_cmp_lg_u64 s[24:25], 0
	s_cbranch_scc0 .LBB225_13
; %bb.12:                               ;   in Loop: Header=BB225_11 Depth=1
	s_cvt_f32_u32 s14, s20
	s_cvt_f32_u32 s23, s21
	s_sub_nc_u64 s[26:27], 0, s[20:21]
	s_delay_alu instid0(SALU_CYCLE_2) | instskip(NEXT) | instid1(SALU_CYCLE_3)
	s_fmamk_f32 s14, s23, 0x4f800000, s14
	v_s_rcp_f32 s14, s14
	s_delay_alu instid0(TRANS32_DEP_1) | instskip(NEXT) | instid1(SALU_CYCLE_3)
	s_mul_f32 s14, s14, 0x5f7ffffc
	s_mul_f32 s23, s14, 0x2f800000
	s_delay_alu instid0(SALU_CYCLE_3) | instskip(NEXT) | instid1(SALU_CYCLE_3)
	s_trunc_f32 s23, s23
	s_fmamk_f32 s14, s23, 0xcf800000, s14
	s_cvt_u32_f32 s25, s23
	s_delay_alu instid0(SALU_CYCLE_2) | instskip(NEXT) | instid1(SALU_CYCLE_3)
	s_cvt_u32_f32 s24, s14
	s_mul_u64 s[28:29], s[26:27], s[24:25]
	s_delay_alu instid0(SALU_CYCLE_1)
	s_mul_hi_u32 s37, s24, s29
	s_mul_i32 s36, s24, s29
	s_mul_hi_u32 s14, s24, s28
	s_mul_i32 s33, s25, s28
	s_add_nc_u64 s[36:37], s[14:15], s[36:37]
	s_mul_hi_u32 s23, s25, s28
	s_mul_hi_u32 s38, s25, s29
	s_add_co_u32 s14, s36, s33
	s_add_co_ci_u32 s14, s37, s23
	s_mul_i32 s28, s25, s29
	s_add_co_ci_u32 s29, s38, 0
	s_delay_alu instid0(SALU_CYCLE_1) | instskip(NEXT) | instid1(SALU_CYCLE_1)
	s_add_nc_u64 s[28:29], s[14:15], s[28:29]
	s_add_co_u32 s24, s24, s28
	s_cselect_b32 s14, -1, 0
	s_delay_alu instid0(SALU_CYCLE_1) | instskip(SKIP_1) | instid1(SALU_CYCLE_1)
	s_cmp_lg_u32 s14, 0
	s_add_co_ci_u32 s25, s25, s29
	s_mul_u64 s[26:27], s[26:27], s[24:25]
	s_delay_alu instid0(SALU_CYCLE_1)
	s_mul_hi_u32 s29, s24, s27
	s_mul_i32 s28, s24, s27
	s_mul_hi_u32 s14, s24, s26
	s_mul_i32 s33, s25, s26
	s_add_nc_u64 s[28:29], s[14:15], s[28:29]
	s_mul_hi_u32 s23, s25, s26
	s_mul_hi_u32 s36, s25, s27
	s_add_co_u32 s14, s28, s33
	s_add_co_ci_u32 s14, s29, s23
	s_mul_i32 s26, s25, s27
	s_add_co_ci_u32 s27, s36, 0
	s_delay_alu instid0(SALU_CYCLE_1) | instskip(NEXT) | instid1(SALU_CYCLE_1)
	s_add_nc_u64 s[26:27], s[14:15], s[26:27]
	s_add_co_u32 s23, s24, s26
	s_cselect_b32 s24, -1, 0
	s_mul_hi_u32 s14, s18, s23
	s_cmp_lg_u32 s24, 0
	s_mul_hi_u32 s28, s19, s23
	s_add_co_ci_u32 s26, s25, s27
	s_mul_i32 s23, s19, s23
	s_mul_hi_u32 s25, s18, s26
	s_mul_i32 s24, s18, s26
	s_mul_hi_u32 s27, s19, s26
	s_add_nc_u64 s[24:25], s[14:15], s[24:25]
	s_mul_i32 s26, s19, s26
	s_add_co_u32 s14, s24, s23
	s_add_co_ci_u32 s14, s25, s28
	s_add_co_ci_u32 s27, s27, 0
	s_delay_alu instid0(SALU_CYCLE_1) | instskip(NEXT) | instid1(SALU_CYCLE_1)
	s_add_nc_u64 s[24:25], s[14:15], s[26:27]
	s_and_b64 s[26:27], s[24:25], 0xffffffff00000000
	s_delay_alu instid0(SALU_CYCLE_1) | instskip(NEXT) | instid1(SALU_CYCLE_1)
	s_or_b32 s26, s26, s24
	s_mul_u64 s[24:25], s[20:21], s[26:27]
	s_delay_alu instid0(SALU_CYCLE_1)
	s_sub_co_u32 s14, s18, s24
	s_cselect_b32 s23, -1, 0
	s_sub_co_i32 s24, s19, s25
	s_cmp_lg_u32 s23, 0
	s_sub_co_ci_u32 s24, s24, s21
	s_sub_co_u32 s28, s14, s20
	s_cselect_b32 s29, -1, 0
	s_delay_alu instid0(SALU_CYCLE_1) | instskip(SKIP_1) | instid1(SALU_CYCLE_1)
	s_cmp_lg_u32 s29, 0
	s_sub_co_ci_u32 s24, s24, 0
	s_cmp_ge_u32 s24, s21
	s_cselect_b32 s33, -1, 0
	s_cmp_ge_u32 s28, s20
	s_add_nc_u64 s[28:29], s[26:27], 1
	s_cselect_b32 s36, -1, 0
	s_cmp_eq_u32 s24, s21
	s_cselect_b32 s24, s36, s33
	s_add_nc_u64 s[36:37], s[26:27], 2
	s_cmp_lg_u32 s24, 0
	s_cselect_b32 s24, s36, s28
	s_cselect_b32 s28, s37, s29
	s_cmp_lg_u32 s23, 0
	s_sub_co_ci_u32 s23, s19, s25
	s_delay_alu instid0(SALU_CYCLE_1)
	s_cmp_ge_u32 s23, s21
	s_cselect_b32 s25, -1, 0
	s_cmp_ge_u32 s14, s20
	s_cselect_b32 s14, -1, 0
	s_cmp_eq_u32 s23, s21
	s_cselect_b32 s14, s14, s25
	s_delay_alu instid0(SALU_CYCLE_1)
	s_cmp_lg_u32 s14, 0
	s_mov_b32 s14, 0
	s_cselect_b32 s43, s28, s27
	s_cselect_b32 s42, s24, s26
.LBB225_13:                             ;   in Loop: Header=BB225_11 Depth=1
	s_and_not1_b32 vcc_lo, exec_lo, s14
	s_cbranch_vccnz .LBB225_15
; %bb.14:                               ;   in Loop: Header=BB225_11 Depth=1
	v_cvt_f32_u32_e32 v1, s20
	s_sub_co_i32 s23, 0, s20
	s_delay_alu instid0(VALU_DEP_1) | instskip(SKIP_1) | instid1(TRANS32_DEP_1)
	v_rcp_iflag_f32_e32 v1, v1
	v_nop
	v_mul_f32_e32 v1, 0x4f7ffffe, v1
	s_delay_alu instid0(VALU_DEP_1) | instskip(NEXT) | instid1(VALU_DEP_1)
	v_cvt_u32_f32_e32 v1, v1
	v_readfirstlane_b32 s14, v1
	s_mul_i32 s23, s23, s14
	s_delay_alu instid0(SALU_CYCLE_1) | instskip(NEXT) | instid1(SALU_CYCLE_1)
	s_mul_hi_u32 s23, s14, s23
	s_add_co_i32 s14, s14, s23
	s_delay_alu instid0(SALU_CYCLE_1) | instskip(NEXT) | instid1(SALU_CYCLE_1)
	s_mul_hi_u32 s14, s18, s14
	s_mul_i32 s23, s14, s20
	s_add_co_i32 s24, s14, 1
	s_sub_co_i32 s23, s18, s23
	s_delay_alu instid0(SALU_CYCLE_1)
	s_sub_co_i32 s25, s23, s20
	s_cmp_ge_u32 s23, s20
	s_cselect_b32 s14, s24, s14
	s_cselect_b32 s23, s25, s23
	s_add_co_i32 s24, s14, 1
	s_cmp_ge_u32 s23, s20
	s_cselect_b32 s14, s24, s14
	s_delay_alu instid0(SALU_CYCLE_1)
	s_mov_b64 s[42:43], s[14:15]
.LBB225_15:                             ;   in Loop: Header=BB225_11 Depth=1
	s_load_b64 s[24:25], s[16:17], 0xc8
	s_mul_u64 s[20:21], s[42:43], s[20:21]
	s_add_co_i32 s22, s22, -1
	s_sub_nc_u64 s[18:19], s[18:19], s[20:21]
	s_cmp_gt_u32 s22, 2
	s_wait_xcnt 0x0
	s_add_nc_u64 s[16:17], s[16:17], -8
	s_wait_kmcnt 0x0
	s_mul_u64 s[18:19], s[24:25], s[18:19]
	s_delay_alu instid0(SALU_CYCLE_1)
	s_add_nc_u64 s[34:35], s[18:19], s[34:35]
	s_cbranch_scc0 .LBB225_17
; %bb.16:                               ;   in Loop: Header=BB225_11 Depth=1
	s_mov_b64 s[18:19], s[42:43]
	s_branch .LBB225_11
.LBB225_17:
	s_clause 0x1
	s_load_b64 s[14:15], s[0:1], 0xd0
	s_load_b32 s18, s[0:1], 0x508
	s_mov_b64 s[46:47], 0
	s_wait_kmcnt 0x0
	s_cmp_lt_i32 s18, 2
	s_cbranch_scc1 .LBB225_25
; %bb.18:
	s_add_co_i32 s16, s18, -1
	s_mov_b32 s17, 0
	s_add_nc_u64 s[20:21], s[0:1], 0x370
	s_lshl_b64 s[22:23], s[16:17], 3
	s_delay_alu instid0(SALU_CYCLE_1)
	s_add_nc_u64 s[20:21], s[20:21], s[22:23]
	s_add_co_i32 s22, s18, 1
	s_add_nc_u64 s[18:19], s[20:21], 8
.LBB225_19:                             ; =>This Inner Loop Header: Depth=1
	s_load_b64 s[20:21], s[18:19], 0x0
	s_mov_b32 s16, -1
                                        ; implicit-def: $sgpr50_sgpr51
	s_wait_kmcnt 0x0
	s_or_b64 s[24:25], s[4:5], s[20:21]
	s_delay_alu instid0(SALU_CYCLE_1) | instskip(NEXT) | instid1(SALU_CYCLE_1)
	s_and_b64 s[24:25], s[24:25], 0xffffffff00000000
	s_cmp_lg_u64 s[24:25], 0
	s_cbranch_scc0 .LBB225_21
; %bb.20:                               ;   in Loop: Header=BB225_19 Depth=1
	s_cvt_f32_u32 s16, s20
	s_cvt_f32_u32 s23, s21
	s_sub_nc_u64 s[26:27], 0, s[20:21]
	s_delay_alu instid0(SALU_CYCLE_2) | instskip(NEXT) | instid1(SALU_CYCLE_3)
	s_fmamk_f32 s16, s23, 0x4f800000, s16
	v_s_rcp_f32 s16, s16
	s_delay_alu instid0(TRANS32_DEP_1) | instskip(NEXT) | instid1(SALU_CYCLE_3)
	s_mul_f32 s16, s16, 0x5f7ffffc
	s_mul_f32 s23, s16, 0x2f800000
	s_delay_alu instid0(SALU_CYCLE_3) | instskip(NEXT) | instid1(SALU_CYCLE_3)
	s_trunc_f32 s23, s23
	s_fmamk_f32 s16, s23, 0xcf800000, s16
	s_cvt_u32_f32 s25, s23
	s_delay_alu instid0(SALU_CYCLE_2) | instskip(NEXT) | instid1(SALU_CYCLE_3)
	s_cvt_u32_f32 s24, s16
	s_mul_u64 s[28:29], s[26:27], s[24:25]
	s_delay_alu instid0(SALU_CYCLE_1)
	s_mul_hi_u32 s37, s24, s29
	s_mul_i32 s36, s24, s29
	s_mul_hi_u32 s16, s24, s28
	s_mul_i32 s33, s25, s28
	s_add_nc_u64 s[36:37], s[16:17], s[36:37]
	s_mul_hi_u32 s23, s25, s28
	s_mul_hi_u32 s38, s25, s29
	s_add_co_u32 s16, s36, s33
	s_add_co_ci_u32 s16, s37, s23
	s_mul_i32 s28, s25, s29
	s_add_co_ci_u32 s29, s38, 0
	s_delay_alu instid0(SALU_CYCLE_1) | instskip(NEXT) | instid1(SALU_CYCLE_1)
	s_add_nc_u64 s[28:29], s[16:17], s[28:29]
	s_add_co_u32 s24, s24, s28
	s_cselect_b32 s16, -1, 0
	s_delay_alu instid0(SALU_CYCLE_1) | instskip(SKIP_1) | instid1(SALU_CYCLE_1)
	s_cmp_lg_u32 s16, 0
	s_add_co_ci_u32 s25, s25, s29
	s_mul_u64 s[26:27], s[26:27], s[24:25]
	s_delay_alu instid0(SALU_CYCLE_1)
	s_mul_hi_u32 s29, s24, s27
	s_mul_i32 s28, s24, s27
	s_mul_hi_u32 s16, s24, s26
	s_mul_i32 s33, s25, s26
	s_add_nc_u64 s[28:29], s[16:17], s[28:29]
	s_mul_hi_u32 s23, s25, s26
	s_mul_hi_u32 s36, s25, s27
	s_add_co_u32 s16, s28, s33
	s_add_co_ci_u32 s16, s29, s23
	s_mul_i32 s26, s25, s27
	s_add_co_ci_u32 s27, s36, 0
	s_delay_alu instid0(SALU_CYCLE_1) | instskip(NEXT) | instid1(SALU_CYCLE_1)
	s_add_nc_u64 s[26:27], s[16:17], s[26:27]
	s_add_co_u32 s23, s24, s26
	s_cselect_b32 s24, -1, 0
	s_mul_hi_u32 s16, s4, s23
	s_cmp_lg_u32 s24, 0
	s_mul_hi_u32 s28, s5, s23
	s_add_co_ci_u32 s26, s25, s27
	s_mul_i32 s23, s5, s23
	s_mul_hi_u32 s25, s4, s26
	s_mul_i32 s24, s4, s26
	s_mul_hi_u32 s27, s5, s26
	s_add_nc_u64 s[24:25], s[16:17], s[24:25]
	s_mul_i32 s26, s5, s26
	s_add_co_u32 s16, s24, s23
	s_add_co_ci_u32 s16, s25, s28
	s_add_co_ci_u32 s27, s27, 0
	s_delay_alu instid0(SALU_CYCLE_1) | instskip(NEXT) | instid1(SALU_CYCLE_1)
	s_add_nc_u64 s[24:25], s[16:17], s[26:27]
	s_and_b64 s[26:27], s[24:25], 0xffffffff00000000
	s_delay_alu instid0(SALU_CYCLE_1) | instskip(NEXT) | instid1(SALU_CYCLE_1)
	s_or_b32 s26, s26, s24
	s_mul_u64 s[24:25], s[20:21], s[26:27]
	s_delay_alu instid0(SALU_CYCLE_1)
	s_sub_co_u32 s16, s4, s24
	s_cselect_b32 s23, -1, 0
	s_sub_co_i32 s24, s5, s25
	s_cmp_lg_u32 s23, 0
	s_sub_co_ci_u32 s24, s24, s21
	s_sub_co_u32 s28, s16, s20
	s_cselect_b32 s29, -1, 0
	s_delay_alu instid0(SALU_CYCLE_1) | instskip(SKIP_1) | instid1(SALU_CYCLE_1)
	s_cmp_lg_u32 s29, 0
	s_sub_co_ci_u32 s24, s24, 0
	s_cmp_ge_u32 s24, s21
	s_cselect_b32 s33, -1, 0
	s_cmp_ge_u32 s28, s20
	s_add_nc_u64 s[28:29], s[26:27], 1
	s_cselect_b32 s36, -1, 0
	s_cmp_eq_u32 s24, s21
	s_cselect_b32 s24, s36, s33
	s_add_nc_u64 s[36:37], s[26:27], 2
	s_cmp_lg_u32 s24, 0
	s_cselect_b32 s24, s36, s28
	s_cselect_b32 s28, s37, s29
	s_cmp_lg_u32 s23, 0
	s_sub_co_ci_u32 s23, s5, s25
	s_delay_alu instid0(SALU_CYCLE_1)
	s_cmp_ge_u32 s23, s21
	s_cselect_b32 s25, -1, 0
	s_cmp_ge_u32 s16, s20
	s_cselect_b32 s16, -1, 0
	s_cmp_eq_u32 s23, s21
	s_cselect_b32 s16, s16, s25
	s_delay_alu instid0(SALU_CYCLE_1)
	s_cmp_lg_u32 s16, 0
	s_mov_b32 s16, 0
	s_cselect_b32 s51, s28, s27
	s_cselect_b32 s50, s24, s26
.LBB225_21:                             ;   in Loop: Header=BB225_19 Depth=1
	s_and_not1_b32 vcc_lo, exec_lo, s16
	s_cbranch_vccnz .LBB225_23
; %bb.22:                               ;   in Loop: Header=BB225_19 Depth=1
	v_cvt_f32_u32_e32 v1, s20
	s_sub_co_i32 s23, 0, s20
	s_delay_alu instid0(VALU_DEP_1) | instskip(SKIP_1) | instid1(TRANS32_DEP_1)
	v_rcp_iflag_f32_e32 v1, v1
	v_nop
	v_mul_f32_e32 v1, 0x4f7ffffe, v1
	s_delay_alu instid0(VALU_DEP_1) | instskip(NEXT) | instid1(VALU_DEP_1)
	v_cvt_u32_f32_e32 v1, v1
	v_readfirstlane_b32 s16, v1
	s_mul_i32 s23, s23, s16
	s_delay_alu instid0(SALU_CYCLE_1) | instskip(NEXT) | instid1(SALU_CYCLE_1)
	s_mul_hi_u32 s23, s16, s23
	s_add_co_i32 s16, s16, s23
	s_delay_alu instid0(SALU_CYCLE_1) | instskip(NEXT) | instid1(SALU_CYCLE_1)
	s_mul_hi_u32 s16, s4, s16
	s_mul_i32 s23, s16, s20
	s_add_co_i32 s24, s16, 1
	s_sub_co_i32 s23, s4, s23
	s_delay_alu instid0(SALU_CYCLE_1)
	s_sub_co_i32 s25, s23, s20
	s_cmp_ge_u32 s23, s20
	s_cselect_b32 s16, s24, s16
	s_cselect_b32 s23, s25, s23
	s_add_co_i32 s24, s16, 1
	s_cmp_ge_u32 s23, s20
	s_cselect_b32 s16, s24, s16
	s_delay_alu instid0(SALU_CYCLE_1)
	s_mov_b64 s[50:51], s[16:17]
.LBB225_23:                             ;   in Loop: Header=BB225_19 Depth=1
	s_load_b64 s[24:25], s[18:19], 0xc8
	s_mul_u64 s[20:21], s[50:51], s[20:21]
	s_add_co_i32 s22, s22, -1
	s_sub_nc_u64 s[4:5], s[4:5], s[20:21]
	s_cmp_gt_u32 s22, 2
	s_wait_xcnt 0x0
	s_add_nc_u64 s[18:19], s[18:19], -8
	s_wait_kmcnt 0x0
	s_mul_u64 s[4:5], s[24:25], s[4:5]
	s_delay_alu instid0(SALU_CYCLE_1)
	s_add_nc_u64 s[46:47], s[4:5], s[46:47]
	s_cbranch_scc0 .LBB225_26
; %bb.24:                               ;   in Loop: Header=BB225_19 Depth=1
	s_mov_b64 s[4:5], s[50:51]
	s_branch .LBB225_19
.LBB225_25:
	s_mov_b64 s[50:51], s[4:5]
.LBB225_26:
	s_clause 0x1
	s_load_b64 s[4:5], s[12:13], 0xd0
	s_load_b128 s[36:39], s[0:1], 0x1a0
	s_wait_xcnt 0x0
	s_load_b64 s[12:13], s[0:1], 0x0
                                        ; implicit-def: $vgpr63 : SGPR spill to VGPR lane
	s_mov_b32 s29, 0
	s_wait_kmcnt 0x0
	v_writelane_b32 v63, s4, 0
	v_writelane_b32 v63, s5, 1
	v_cmp_eq_u32_e64 s5, 0, v0
	s_and_saveexec_b32 s4, s5
	s_cbranch_execz .LBB225_28
; %bb.27:
	v_dual_mov_b32 v2, 0 :: v_dual_mov_b32 v4, s36
	s_delay_alu instid0(VALU_DEP_1)
	v_dual_mov_b32 v5, s37 :: v_dual_mov_b32 v3, v2
	ds_store_b32 v2, v2 offset:5144
	ds_store_b128 v2, v[2:5] offset:5120
.LBB225_28:
	s_or_b32 exec_lo, exec_lo, s4
	s_lshl_b64 s[60:61], s[2:3], 1
	s_load_b64 s[2:3], s[0:1], 0x440
	v_dual_mov_b32 v3, 0 :: v_dual_add_nc_u32 v2, 2, v0
	s_wait_dscnt 0x0
	s_barrier_signal -1
	s_barrier_wait -1
	s_delay_alu instid0(VALU_DEP_1)
	v_max_u64 v[4:5], s[36:37], v[2:3]
	s_load_b32 s4, s[10:11], 0xc
	v_dual_mov_b32 v9, -1 :: v_dual_lshlrev_b32 v46, 1, v0
	v_not_b32_e32 v8, v0
	s_mul_u64 s[14:15], s[14:15], s[6:7]
	v_mbcnt_lo_u32_b32 v13, -1, 0
	s_lshl_b64 s[14:15], s[14:15], 1
	v_cmp_gt_u32_e32 vcc_lo, 32, v0
	v_dual_mov_b32 v1, v3 :: v_dual_lshlrev_b32 v16, 2, v0
	s_delay_alu instid0(VALU_DEP_3)
	v_cmp_gt_i32_e64 s7, 4, v13
	s_add_nc_u64 s[16:17], s[12:13], s[14:15]
	s_wait_kmcnt 0x0
	v_writelane_b32 v63, s2, 2
	v_mul_u64_e32 v[6:7], s[30:31], v[0:1]
	v_lshlrev_b64_e64 v[10:11], v13, -1
	s_add_nc_u64 s[62:63], s[16:17], s[60:61]
	v_cmp_lt_u64_e64 s33, 0x600, s[36:37]
	v_writelane_b32 v63, s3, 3
	s_load_b64 s[2:3], s[0:1], 0x1c8
	s_movk_i32 s18, 0x3e0
	v_cmp_gt_u64_e64 s102, s[36:37], v[0:1]
	v_mov_b64_e32 v[32:33], s[38:39]
	s_mov_b32 s41, s29
	v_cmp_gt_u32_e64 s6, 2, v0
	v_dual_mov_b32 v54, 0 :: v_dual_add_nc_u32 v47, 0xc00, v46
	v_not_b32_e32 v12, v10
	v_and_or_b32 v48, v0, s18, 0xc00
	v_lshl_or_b32 v51, v13, 3, 0xc00
	v_mov_b32_e32 v52, 0x8000
	s_mov_b32 s68, s30
	v_add_nc_u64_e32 v[4:5], v[4:5], v[8:9]
	v_mov_b32_e32 v17, v3
	s_mov_b32 s69, s31
	s_mov_b32 s70, s30
	v_lshlrev_b32_e32 v49, 3, v0
	s_mov_b32 s71, s31
	s_mov_b32 s72, s30
	s_wait_kmcnt 0x0
	v_writelane_b32 v63, s2, 4
	v_dual_mov_b32 v19, v5 :: v_dual_bitop2_b32 v18, -4, v4 bitop3:0x40
	v_dual_mov_b32 v50, 0 :: v_dual_bitop2_b32 v2, 6, v49 bitop3:0x54
	v_writelane_b32 v63, s3, 5
	s_load_b64 s[2:3], s[0:1], 0x370
	v_lshlrev_b64_e32 v[8:9], 1, v[6:7]
	s_delay_alu instid0(VALU_DEP_3)
	v_mad_nc_u64_u32 v[22:23], s30, v2, s[16:17]
	v_add_nc_u64_e32 v[20:21], v[18:19], v[0:1]
	v_lshl_add_u64 v[28:29], v[6:7], 3, s[16:17]
	s_mov_b32 s73, s31
	s_mov_b32 s54, 14
	;; [unrolled: 1-line block ×3, first 2 shown]
	v_add_nc_u64_e32 v[14:15], s[62:63], v[8:9]
	s_movk_i32 s53, 0x3f80
	s_mov_b32 s55, 0
	s_mov_b32 s57, 0
                                        ; implicit-def: $sgpr56
                                        ; implicit-def: $sgpr59
                                        ; implicit-def: $sgpr48
                                        ; implicit-def: $sgpr58
                                        ; implicit-def: $sgpr74
                                        ; implicit-def: $sgpr75
                                        ; implicit-def: $sgpr49
	v_mov_b32_e32 v53, 0
	v_mad_u32 v23, s31, v2, v23
	s_wait_kmcnt 0x0
	v_writelane_b32 v63, s2, 6
	v_writelane_b32 v63, s3, 7
	s_load_b32 s3, s[0:1], 0x1b0
	v_cmp_eq_u32_e64 s2, 0, v13
	s_wait_kmcnt 0x0
	s_bitcmp1_b32 s3, 0
	s_cselect_b32 s19, -1, 0
	s_and_b32 s40, s4, 0xffff
	s_bfe_u32 s3, s4, 0xb0005
	v_cmp_lt_u64_e64 s4, 3, v[4:5]
	v_writelane_b32 v63, s19, 8
	s_and_b32 s98, vcc_lo, s7
	s_xor_b32 s99, s19, -1
	s_cmp_gt_u32 s40, 31
	s_add_nc_u64 s[64:65], s[40:41], -1
	s_cselect_b32 s100, -1, 0
	v_writelane_b32 v63, s4, 9
	v_cmp_ne_u64_e64 s4, v[4:5], v[18:19]
	s_cmp_lt_u32 s9, s8
	s_add_nc_u64 s[8:9], s[14:15], s[60:61]
	s_cselect_b32 s28, 12, 18
	s_bfe_u32 s7, s40, 0x30005
	s_add_nc_u64 s[8:9], s[12:13], s[8:9]
	v_or_b32_e32 v4, 4, v49
	v_writelane_b32 v63, s4, 10
	s_add_co_i32 s4, s3, -1
	v_or_b32_e32 v5, 2, v49
	s_and_b32 s4, s4, 0xffff
	v_mad_nc_u64_u32 v[24:25], s30, v4, s[16:17]
	s_cmp_gt_u32 s4, 6
	s_add_nc_u64 s[66:67], s[64:65], s[36:37]
	s_cselect_b32 s4, -1, 0
	s_and_b32 s103, s3, 0x7f8
	v_writelane_b32 v63, s4, 11
	s_cmp_lg_u32 s7, 0
	v_mad_nc_u64_u32 v[26:27], s30, v5, s[16:17]
	s_cselect_b32 s3, -1, 0
	s_lshl_b32 vcc_hi, s40, 1
	v_writelane_b32 v63, s7, 12
	v_mad_u32 v25, s31, v4, v25
	s_and_b64 s[80:81], s[36:37], 0xffffffff00000000
	s_add_nc_u64 s[82:83], s[10:11], s[28:29]
                                        ; implicit-def: $sgpr7
                                        ; implicit-def: $sgpr4
	v_writelane_b32 v63, s3, 13
	s_delay_alu instid0(VALU_DEP_4) | instskip(SKIP_3) | instid1(SALU_CYCLE_1)
	v_mad_u32 v27, s31, v5, v27
	v_writelane_b32 v63, s8, 14
	v_writelane_b32 v63, s9, 15
	s_lshl_b64 s[8:9], s[30:31], 1
	v_writelane_b32 v63, s8, 16
	v_writelane_b32 v63, s9, 17
	s_lshl_b64 s[8:9], s[30:31], 3
	s_delay_alu instid0(SALU_CYCLE_1) | instskip(SKIP_2) | instid1(SALU_CYCLE_1)
	v_writelane_b32 v63, s8, 18
	v_writelane_b32 v63, s9, 19
	s_add_nc_u64 s[8:9], s[12:13], s[60:61]
	s_add_nc_u64 s[12:13], s[8:9], s[14:15]
	s_mul_u64 s[8:9], s[30:31], s[40:41]
	v_writelane_b32 v63, s12, 20
	v_add_nc_u64_e32 v[30:31], s[12:13], v[8:9]
	s_lshl_b64 s[44:45], s[8:9], 1
                                        ; implicit-def: $sgpr8
	v_writelane_b32 v63, s13, 21
	s_branch .LBB225_31
.LBB225_29:                             ;   in Loop: Header=BB225_31 Depth=1
	s_or_b32 exec_lo, exec_lo, s11
	v_mov_b64_e32 v[32:33], v[4:5]
	s_and_not1_b32 s4, s4, exec_lo
	s_and_b32 s10, s10, exec_lo
	s_and_not1_b32 s7, s7, exec_lo
	s_or_b32 s4, s4, s10
	s_and_not1_b32 s49, s49, exec_lo
	s_and_not1_b32 s75, s75, exec_lo
	s_and_not1_b32 s74, s74, exec_lo
	s_or_not1_b32 s9, s9, exec_lo
.LBB225_30:                             ;   in Loop: Header=BB225_31 Depth=1
	s_or_b32 exec_lo, exec_lo, s3
	s_delay_alu instid0(SALU_CYCLE_1) | instskip(NEXT) | instid1(SALU_CYCLE_1)
	s_and_b32 s3, exec_lo, s9
	s_or_b32 s55, s3, s55
	s_and_not1_b32 s3, s58, exec_lo
	s_and_b32 s9, s4, exec_lo
	s_and_not1_b32 s10, s48, exec_lo
	s_or_b32 s58, s3, s9
	s_and_b32 s3, s7, exec_lo
	s_and_not1_b32 s9, s59, exec_lo
	s_and_b32 s11, s49, exec_lo
	s_or_b32 s48, s10, s3
	s_or_b32 s59, s9, s11
	s_and_not1_b32 s3, s8, exec_lo
	s_and_b32 s8, s75, exec_lo
	s_and_not1_b32 s9, s56, exec_lo
	s_and_b32 s10, s74, exec_lo
	s_or_b32 s8, s3, s8
	s_or_b32 s56, s9, s10
	s_and_not1_b32 exec_lo, exec_lo, s55
	s_cbranch_execz .LBB225_494
.LBB225_31:                             ; =>This Loop Header: Depth=1
                                        ;     Child Loop BB225_36 Depth 2
                                        ;     Child Loop BB225_50 Depth 2
	;; [unrolled: 1-line block ×25, first 2 shown]
	ds_load_b128 v[4:7], v3 offset:5120
	s_wait_dscnt 0x0
	v_readfirstlane_b32 s85, v5
	v_readfirstlane_b32 s84, v4
	s_cmp_lg_u64 s[84:85], 0
	s_cbranch_scc1 .LBB225_63
; %bb.32:                               ;   in Loop: Header=BB225_31 Depth=1
	s_and_b32 vcc_lo, exec_lo, s33
	s_cbranch_vccz .LBB225_44
; %bb.33:                               ;   in Loop: Header=BB225_31 Depth=1
	v_cmp_gt_u64_e32 vcc_lo, 0x601, v[6:7]
	s_mov_b32 s3, 0
	s_mov_b32 s9, 0
	s_cbranch_vccz .LBB225_45
; %bb.34:                               ;   in Loop: Header=BB225_31 Depth=1
	global_load_u16 v2, v3, s[82:83]
	global_load_u16 v10, v[14:15], off
	v_readlane_b32 s12, v63, 16
	v_readlane_b32 s13, v63, 17
	;; [unrolled: 1-line block ×4, first 2 shown]
	s_wait_loadcnt 0x1
	v_and_b32_e32 v2, 0xffff, v2
	s_delay_alu instid0(VALU_DEP_1) | instskip(SKIP_1) | instid1(VALU_DEP_1)
	v_mul_u64_e32 v[4:5], s[12:13], v[2:3]
	v_add_nc_u32_e32 v8, v0, v2
	v_mad_nc_u64_u32 v[6:7], s12, v8, s[10:11]
	s_mov_b32 s11, 0
	s_delay_alu instid0(VALU_DEP_1)
	v_mad_u32 v7, s13, v8, v7
	v_mov_b64_e32 v[8:9], v[0:1]
	s_branch .LBB225_36
.LBB225_35:                             ;   in Loop: Header=BB225_36 Depth=2
	s_or_b32 exec_lo, exec_lo, s10
	v_add_nc_u64_e32 v[6:7], v[6:7], v[4:5]
	v_mov_b32_e32 v10, v11
	s_and_not1_b32 exec_lo, exec_lo, s11
	s_cbranch_execz .LBB225_118
.LBB225_36:                             ;   Parent Loop BB225_31 Depth=1
                                        ; =>  This Inner Loop Header: Depth=2
	s_delay_alu instid0(VALU_DEP_1) | instskip(SKIP_3) | instid1(VALU_DEP_2)
	v_add_nc_u64_e32 v[8:9], v[8:9], v[2:3]
	s_wait_dscnt 0x0
	v_dual_mov_b32 v34, 0 :: v_dual_mov_b32 v11, 0
	s_mov_b32 s10, exec_lo
	v_cmp_le_u64_e32 vcc_lo, s[36:37], v[8:9]
	s_wait_xcnt 0x0
	v_cmpx_gt_u64_e64 s[36:37], v[8:9]
	s_cbranch_execz .LBB225_38
; %bb.37:                               ;   in Loop: Header=BB225_36 Depth=2
	global_load_u16 v11, v[6:7], off
.LBB225_38:                             ;   in Loop: Header=BB225_36 Depth=2
	s_wait_xcnt 0x0
	s_or_b32 exec_lo, exec_lo, s10
	s_wait_loadcnt 0x0
	v_cmp_lt_i16_e64 s9, -1, v10
	v_and_b32_e32 v35, 0xffff, v10
	s_delay_alu instid0(VALU_DEP_2) | instskip(NEXT) | instid1(VALU_DEP_1)
	v_cndmask_b32_e64 v36, 0xffff, v52, s9
	v_dual_lshlrev_b32 v37, 16, v10 :: v_dual_bitop2_b32 v35, v36, v35 bitop3:0x14
	s_delay_alu instid0(VALU_DEP_1) | instskip(NEXT) | instid1(VALU_DEP_1)
	v_cmp_o_f32_e64 s9, v37, v37
	v_cndmask_b32_e64 v35, 0xffff, v35, s9
	s_delay_alu instid0(VALU_DEP_1) | instskip(NEXT) | instid1(VALU_DEP_1)
	v_and_b32_e32 v35, v35, v53
	v_cmp_eq_u32_e64 s9, v35, v50
	s_cmp_lg_u32 s9, 0
	s_cselect_b32 s10, -1, 0
	s_delay_alu instid0(SALU_CYCLE_1) | instskip(NEXT) | instid1(SALU_CYCLE_1)
	s_and_b32 s10, s2, s10
	s_and_saveexec_b32 s12, s10
	s_cbranch_execz .LBB225_42
; %bb.39:                               ;   in Loop: Header=BB225_36 Depth=2
	s_mov_b32 s15, exec_lo
	s_bcnt1_i32_b32 s13, s9
	v_mbcnt_lo_u32_b32 v34, s15, 0
	s_mov_b32 s14, exec_lo
                                        ; implicit-def: $vgpr35
	s_delay_alu instid0(VALU_DEP_1)
	v_cmpx_eq_u32_e32 0, v34
; %bb.40:                               ;   in Loop: Header=BB225_36 Depth=2
	s_bcnt1_i32_b32 s10, s15
	s_delay_alu instid0(SALU_CYCLE_1) | instskip(NEXT) | instid1(SALU_CYCLE_1)
	s_mul_i32 s10, s13, s10
	v_mov_b32_e32 v35, s10
	ds_add_rtn_u32 v35, v3, v35 offset:5144
; %bb.41:                               ;   in Loop: Header=BB225_36 Depth=2
	s_or_b32 exec_lo, exec_lo, s14
	s_wait_dscnt 0x0
	v_readfirstlane_b32 s10, v35
	s_delay_alu instid0(VALU_DEP_1)
	v_mad_u32_u24 v34, s13, v34, s10
.LBB225_42:                             ;   in Loop: Header=BB225_36 Depth=2
	s_or_b32 exec_lo, exec_lo, s12
	ds_bpermute_b32 v34, v3, v34
	s_and_b32 s10, exec_lo, vcc_lo
	s_delay_alu instid0(SALU_CYCLE_1)
	s_or_b32 s11, s10, s11
	s_and_saveexec_b32 s10, s9
	s_cbranch_execz .LBB225_35
; %bb.43:                               ;   in Loop: Header=BB225_36 Depth=2
	v_and_b32_e32 v35, s9, v12
	s_delay_alu instid0(VALU_DEP_1) | instskip(NEXT) | instid1(VALU_DEP_1)
	v_bcnt_u32_b32 v35, v35, 0
	v_lshlrev_b32_e32 v35, 1, v35
	s_wait_dscnt 0x0
	s_delay_alu instid0(VALU_DEP_1)
	v_lshl_add_u32 v34, v34, 1, v35
	ds_store_b16 v34, v10
	s_branch .LBB225_35
.LBB225_44:                             ;   in Loop: Header=BB225_31 Depth=1
	s_mov_b32 s3, -1
	s_mov_b32 s9, 0
.LBB225_45:                             ;   in Loop: Header=BB225_31 Depth=1
	s_and_b32 vcc_lo, exec_lo, s3
	s_cbranch_vccz .LBB225_61
.LBB225_46:                             ;   in Loop: Header=BB225_31 Depth=1
	s_and_saveexec_b32 s3, s102
	s_cbranch_execz .LBB225_58
; %bb.47:                               ;   in Loop: Header=BB225_31 Depth=1
	global_load_u16 v4, v3, s[82:83]
	global_load_u16 v36, v[14:15], off
	s_mov_b32 s9, exec_lo
	v_mov_b32_e32 v8, v0
	s_wait_loadcnt 0x1
	v_and_b32_e32 v2, 0xffff, v4
	v_readfirstlane_b32 s10, v4
	s_delay_alu instid0(VALU_DEP_2) | instskip(SKIP_1) | instid1(VALU_DEP_1)
	v_add_nc_u32_e32 v2, v2, v0
	s_wait_xcnt 0x0
	v_cmpx_gt_u64_e64 s[36:37], v[2:3]
	s_cbranch_execz .LBB225_57
; %bb.48:                               ;   in Loop: Header=BB225_31 Depth=1
	s_and_b32 s28, s10, 0xffff
	v_mov_b64_e32 v[6:7], v[0:1]
	v_mov_b64_e32 v[4:5], v[2:3]
	v_readlane_b32 s11, v63, 9
	s_cmp_eq_u32 s28, 1
                                        ; implicit-def: $vgpr8_vgpr9
	s_cselect_b32 s10, -1, 0
	s_delay_alu instid0(SALU_CYCLE_1)
	s_and_b32 s12, s11, s10
	s_mov_b32 s11, -1
	s_and_saveexec_b32 s10, s12
	s_cbranch_execz .LBB225_52
; %bb.49:                               ;   in Loop: Header=BB225_31 Depth=1
	v_add_nc_u64_e32 v[8:9], 3, v[2:3]
	v_add_nc_u64_e32 v[6:7], 2, v[2:3]
	v_add_nc_u64_e32 v[4:5], 1, v[2:3]
	v_mov_b64_e32 v[34:35], v[18:19]
	s_wait_loadcnt 0x0
	v_dual_mov_b32 v37, v46 :: v_dual_lshlrev_b32 v38, 16, v36
	s_mov_b32 s11, 0
	v_mov_b64_e32 v[10:11], v[8:9]
	v_mov_b64_e32 v[8:9], v[6:7]
	;; [unrolled: 1-line block ×4, first 2 shown]
.LBB225_50:                             ;   Parent Loop BB225_31 Depth=1
                                        ; =>  This Inner Loop Header: Depth=2
	s_delay_alu instid0(VALU_DEP_2) | instskip(NEXT) | instid1(VALU_DEP_4)
	v_mul_u64_e32 v[40:41], s[30:31], v[6:7]
	v_mul_u64_e32 v[42:43], s[70:71], v[8:9]
	s_delay_alu instid0(VALU_DEP_3)
	v_mul_u64_e32 v[44:45], s[68:69], v[4:5]
	v_mul_u64_e32 v[56:57], s[72:73], v[10:11]
	v_add_nc_u64_e32 v[34:35], -4, v[34:35]
	v_add_nc_u64_e32 v[10:11], 4, v[10:11]
	v_add_nc_u64_e32 v[8:9], 4, v[8:9]
	;; [unrolled: 1-line block ×4, first 2 shown]
	v_cmp_eq_u64_e32 vcc_lo, 0, v[34:35]
	s_or_b32 s11, vcc_lo, s11
	v_lshl_add_u64 v[40:41], v[40:41], 1, s[62:63]
	v_lshl_add_u64 v[42:43], v[42:43], 1, s[62:63]
	;; [unrolled: 1-line block ×4, first 2 shown]
	s_clause 0x3
	global_load_u16 v39, v[40:41], off
	global_load_u16 v40, v[42:43], off
	;; [unrolled: 1-line block ×4, first 2 shown]
	s_wait_loadcnt 0x2
	v_perm_b32 v39, v40, v39, 0x5040100
	s_wait_loadcnt 0x1
	v_alignbit_b32 v38, v41, v38, 16
	s_wait_loadcnt 0x0
	v_perm_b32 v40, v36, v40, 0x5040100
	ds_store_b64 v37, v[38:39]
	v_dual_mov_b32 v38, v40 :: v_dual_add_nc_u32 v37, 8, v37
	s_wait_xcnt 0x0
	s_and_not1_b32 exec_lo, exec_lo, s11
	s_cbranch_execnz .LBB225_50
; %bb.51:                               ;   in Loop: Header=BB225_31 Depth=1
	s_or_b32 exec_lo, exec_lo, s11
	v_add_nc_u64_e32 v[4:5], v[2:3], v[18:19]
	v_mov_b64_e32 v[6:7], v[20:21]
	v_readlane_b32 s11, v63, 10
	s_or_not1_b32 s11, s11, exec_lo
	v_add_nc_u64_e32 v[8:9], -1, v[4:5]
.LBB225_52:                             ;   in Loop: Header=BB225_31 Depth=1
	s_or_b32 exec_lo, exec_lo, s10
	s_and_saveexec_b32 s14, s11
	s_cbranch_execz .LBB225_56
; %bb.53:                               ;   in Loop: Header=BB225_31 Depth=1
	v_readlane_b32 s10, v63, 14
	v_readlane_b32 s11, v63, 15
	v_readlane_b32 s12, v63, 16
	v_readlane_b32 s13, v63, 17
	s_mov_b32 s15, 0
	v_mad_nc_u64_u32 v[8:9], s12, v4, s[10:11]
	s_sub_nc_u64 s[10:11], 0, s[28:29]
	s_delay_alu instid0(VALU_DEP_1) | instskip(NEXT) | instid1(VALU_DEP_1)
	v_mad_u32 v2, s13, v4, v9
	v_mad_u32 v9, s12, v5, v2
	s_mul_u64 s[12:13], s[12:13], s[28:29]
.LBB225_54:                             ;   Parent Loop BB225_31 Depth=1
                                        ; =>  This Inner Loop Header: Depth=2
	s_wait_loadcnt 0x0
	s_delay_alu instid0(VALU_DEP_2)
	v_dual_mov_b32 v2, v36 :: v_dual_lshlrev_b32 v34, 1, v6
	global_load_u16 v36, v[8:9], off
	v_mov_b64_e32 v[10:11], v[4:5]
	s_wait_xcnt 0x0
	v_add_nc_u64_e32 v[8:9], s[12:13], v[8:9]
	ds_store_b16 v34, v2
	v_add_nc_u64_e32 v[4:5], s[28:29], v[10:11]
	v_mov_b64_e32 v[6:7], v[10:11]
	s_delay_alu instid0(VALU_DEP_2) | instskip(SKIP_1) | instid1(SALU_CYCLE_1)
	v_cmp_le_u64_e32 vcc_lo, s[36:37], v[4:5]
	s_or_b32 s15, vcc_lo, s15
	s_and_not1_b32 exec_lo, exec_lo, s15
	s_cbranch_execnz .LBB225_54
; %bb.55:                               ;   in Loop: Header=BB225_31 Depth=1
	s_or_b32 exec_lo, exec_lo, s15
	v_add_nc_u64_e32 v[8:9], s[10:11], v[4:5]
.LBB225_56:                             ;   in Loop: Header=BB225_31 Depth=1
	s_or_b32 exec_lo, exec_lo, s14
.LBB225_57:                             ;   in Loop: Header=BB225_31 Depth=1
	s_delay_alu instid0(SALU_CYCLE_1) | instskip(NEXT) | instid1(VALU_DEP_1)
	s_or_b32 exec_lo, exec_lo, s9
	v_lshlrev_b32_e32 v2, 1, v8
	s_wait_loadcnt 0x0
	ds_store_b16 v2, v36
.LBB225_58:                             ;   in Loop: Header=BB225_31 Depth=1
	s_or_b32 exec_lo, exec_lo, s3
	s_wait_dscnt 0x0
	s_barrier_signal -1
	s_barrier_wait -1
	s_and_saveexec_b32 s3, s5
; %bb.59:                               ;   in Loop: Header=BB225_31 Depth=1
	v_mov_b64_e32 v[4:5], s[36:37]
	ds_store_b64 v3, v[4:5] offset:5120
; %bb.60:                               ;   in Loop: Header=BB225_31 Depth=1
	s_or_b32 exec_lo, exec_lo, s3
	s_wait_dscnt 0x0
	s_barrier_signal -1
	s_mov_b32 s9, -1
	s_barrier_wait -1
.LBB225_61:                             ;   in Loop: Header=BB225_31 Depth=1
	s_and_b32 vcc_lo, exec_lo, s9
	s_mov_b64 s[84:85], 0
	s_cbranch_vccz .LBB225_63
; %bb.62:                               ;   in Loop: Header=BB225_31 Depth=1
	ds_load_b64 v[4:5], v3 offset:5120
	s_wait_dscnt 0x0
	v_readfirstlane_b32 s84, v4
	v_readfirstlane_b32 s85, v5
.LBB225_63:                             ;   in Loop: Header=BB225_31 Depth=1
	s_delay_alu instid0(VALU_DEP_2)
	s_cmp_lt_i32 s84, 1
	s_mov_b32 s3, -1
                                        ; implicit-def: $vgpr4_vgpr5
                                        ; implicit-def: $vgpr8_vgpr9
	s_cbranch_scc1 .LBB225_73
; %bb.64:                               ;   in Loop: Header=BB225_31 Depth=1
	s_and_b32 vcc_lo, exec_lo, s3
	s_cbranch_vccnz .LBB225_87
.LBB225_65:                             ;   in Loop: Header=BB225_31 Depth=1
	s_lshl_b32 s3, s57, 7
	s_and_saveexec_b32 s9, s2
	s_cbranch_execz .LBB225_67
.LBB225_66:                             ;   in Loop: Header=BB225_31 Depth=1
	v_lshl_add_u32 v2, s3, 3, v48
	ds_store_b128 v2, v[4:7]
	ds_store_b128 v2, v[8:11] offset:16
.LBB225_67:                             ;   in Loop: Header=BB225_31 Depth=1
	s_or_b32 exec_lo, exec_lo, s9
	s_wait_dscnt 0x0
	s_barrier_signal -1
	s_barrier_wait -1
	s_and_saveexec_b32 s9, s98
	s_cbranch_execz .LBB225_102
; %bb.68:                               ;   in Loop: Header=BB225_31 Depth=1
	v_mov_b64_e32 v[4:5], 0
	s_and_not1_b32 vcc_lo, exec_lo, s100
	s_cbranch_vccnz .LBB225_101
; %bb.69:                               ;   in Loop: Header=BB225_31 Depth=1
	v_readlane_b32 s10, v63, 11
	v_mov_b64_e32 v[4:5], 0
	s_and_not1_b32 vcc_lo, exec_lo, s10
	s_cbranch_vccnz .LBB225_97
; %bb.70:                               ;   in Loop: Header=BB225_31 Depth=1
	v_lshl_add_u32 v2, s57, 10, v51
	s_mov_b32 s10, 0
.LBB225_71:                             ;   Parent Loop BB225_31 Depth=1
                                        ; =>  This Inner Loop Header: Depth=2
	ds_load_2addr_b64 v[6:9], v2 offset1:4
	ds_load_2addr_b64 v[34:37], v2 offset0:8 offset1:12
	s_add_co_i32 s10, s10, 8
	s_delay_alu instid0(SALU_CYCLE_1) | instskip(SKIP_2) | instid1(VALU_DEP_1)
	s_cmp_eq_u32 s103, s10
	s_wait_dscnt 0x1
	v_add_nc_u64_e32 v[4:5], v[6:7], v[4:5]
	v_add_nc_u64_e32 v[8:9], v[8:9], v[4:5]
	ds_load_2addr_b64 v[4:7], v2 offset0:16 offset1:20
	s_wait_dscnt 0x1
	v_add_nc_u64_e32 v[8:9], v[34:35], v[8:9]
	s_delay_alu instid0(VALU_DEP_1) | instskip(SKIP_4) | instid1(VALU_DEP_1)
	v_add_nc_u64_e32 v[34:35], v[36:37], v[8:9]
	ds_load_2addr_b64 v[8:11], v2 offset0:24 offset1:28
	v_add_nc_u32_e32 v2, 0x100, v2
	s_wait_dscnt 0x1
	v_add_nc_u64_e32 v[4:5], v[4:5], v[34:35]
	v_add_nc_u64_e32 v[4:5], v[6:7], v[4:5]
	s_wait_dscnt 0x0
	s_delay_alu instid0(VALU_DEP_1) | instskip(NEXT) | instid1(VALU_DEP_1)
	v_add_nc_u64_e32 v[4:5], v[8:9], v[4:5]
	v_add_nc_u64_e32 v[4:5], v[10:11], v[4:5]
	s_cbranch_scc0 .LBB225_71
; %bb.72:                               ;   in Loop: Header=BB225_31 Depth=1
	s_mov_b32 s10, s103
	s_branch .LBB225_98
.LBB225_73:                             ;   in Loop: Header=BB225_31 Depth=1
	global_load_u16 v2, v3, s[82:83]
	s_mov_b32 s87, s29
	s_wait_loadcnt 0x0
	v_readfirstlane_b32 s3, v2
	s_and_b32 s3, 0xffff, s3
	s_delay_alu instid0(SALU_CYCLE_1)
	s_lshl_b32 s86, s3, 2
	s_cmp_lg_u64 s[80:81], 0
	s_cbranch_scc0 .LBB225_96
; %bb.74:                               ;   in Loop: Header=BB225_31 Depth=1
	s_cvt_f32_u32 s3, s86
	s_sub_nc_u64 s[12:13], 0, s[86:87]
	s_delay_alu instid0(SALU_CYCLE_2) | instskip(NEXT) | instid1(SALU_CYCLE_3)
	s_fmamk_f32 s3, s52, 0x0, s3
	v_s_rcp_f32 s3, s3
	s_delay_alu instid0(TRANS32_DEP_1) | instskip(NEXT) | instid1(SALU_CYCLE_3)
	s_mul_f32 s3, s3, 0x5f7ffffc
	s_mul_f32 s9, s3, 0x2f800000
	s_delay_alu instid0(SALU_CYCLE_3) | instskip(NEXT) | instid1(SALU_CYCLE_3)
	s_trunc_f32 s9, s9
	s_fmamk_f32 s3, s9, 0xcf800000, s3
	s_cvt_u32_f32 s11, s9
	s_delay_alu instid0(SALU_CYCLE_2) | instskip(NEXT) | instid1(SALU_CYCLE_3)
	s_cvt_u32_f32 s10, s3
	s_mul_u64 s[14:15], s[12:13], s[10:11]
	s_delay_alu instid0(SALU_CYCLE_1)
	s_mul_hi_u32 s17, s10, s15
	s_mul_i32 s16, s10, s15
	s_mul_hi_u32 s28, s10, s14
	s_mul_i32 s9, s11, s14
	s_add_nc_u64 s[16:17], s[28:29], s[16:17]
	s_mul_hi_u32 s3, s11, s14
	s_mul_hi_u32 s18, s11, s15
	s_add_co_u32 s9, s16, s9
	s_add_co_ci_u32 s28, s17, s3
	s_mul_i32 s14, s11, s15
	s_add_co_ci_u32 s15, s18, 0
	s_delay_alu instid0(SALU_CYCLE_1) | instskip(NEXT) | instid1(SALU_CYCLE_1)
	s_add_nc_u64 s[14:15], s[28:29], s[14:15]
	s_add_co_u32 s10, s10, s14
	s_cselect_b32 s3, -1, 0
	s_delay_alu instid0(SALU_CYCLE_1) | instskip(SKIP_1) | instid1(SALU_CYCLE_1)
	s_cmp_lg_u32 s3, 0
	s_add_co_ci_u32 s11, s11, s15
	s_mul_u64 s[12:13], s[12:13], s[10:11]
	s_delay_alu instid0(SALU_CYCLE_1)
	s_mul_hi_u32 s15, s10, s13
	s_mul_i32 s14, s10, s13
	s_mul_hi_u32 s28, s10, s12
	s_mul_i32 s9, s11, s12
	s_add_nc_u64 s[14:15], s[28:29], s[14:15]
	s_mul_hi_u32 s3, s11, s12
	s_mul_hi_u32 s16, s11, s13
	s_add_co_u32 s9, s14, s9
	s_add_co_ci_u32 s28, s15, s3
	s_mul_i32 s12, s11, s13
	s_add_co_ci_u32 s13, s16, 0
	s_delay_alu instid0(SALU_CYCLE_1) | instskip(NEXT) | instid1(SALU_CYCLE_1)
	s_add_nc_u64 s[12:13], s[28:29], s[12:13]
	s_add_co_u32 s3, s10, s12
	s_cselect_b32 s9, -1, 0
	s_mul_hi_u32 s28, s36, s3
	s_cmp_lg_u32 s9, 0
	s_mul_hi_u32 s9, s37, s3
	s_add_co_ci_u32 s12, s11, s13
	s_mul_i32 s3, s37, s3
	s_mul_hi_u32 s11, s36, s12
	s_mul_i32 s10, s36, s12
	s_mul_hi_u32 s13, s37, s12
	s_add_nc_u64 s[10:11], s[28:29], s[10:11]
	s_mul_i32 s12, s37, s12
	s_add_co_u32 s3, s10, s3
	s_add_co_ci_u32 s28, s11, s9
	s_add_co_ci_u32 s13, s13, 0
	s_delay_alu instid0(SALU_CYCLE_1) | instskip(NEXT) | instid1(SALU_CYCLE_1)
	s_add_nc_u64 s[10:11], s[28:29], s[12:13]
	s_and_b64 s[12:13], s[10:11], 0xffffffff00000000
	s_delay_alu instid0(SALU_CYCLE_1) | instskip(NEXT) | instid1(SALU_CYCLE_1)
	s_or_b32 s12, s12, s10
	s_mul_u64 s[10:11], s[86:87], s[12:13]
	s_delay_alu instid0(SALU_CYCLE_1) | instskip(SKIP_1) | instid1(SALU_CYCLE_1)
	s_sub_co_u32 s3, s36, s10
	s_cselect_b32 s9, -1, 0
	s_cmp_lg_u32 s9, 0
	s_sub_co_ci_u32 s9, s37, s11
	s_sub_co_u32 s10, s3, s86
	s_cselect_b32 s11, -1, 0
	s_delay_alu instid0(SALU_CYCLE_1) | instskip(SKIP_3) | instid1(SALU_CYCLE_1)
	s_cmp_lg_u32 s11, 0
	s_sub_co_ci_u32 s11, s9, 0
	s_sub_co_u32 s12, s10, s86
	s_cselect_b32 s13, -1, 0
	s_cmp_lg_u32 s13, 0
	s_sub_co_ci_u32 s13, s11, 0
	s_cmp_ge_u32 s10, s86
	s_cselect_b32 s14, -1, 0
	s_cmp_eq_u32 s11, 0
	s_cselect_b32 s14, s14, -1
	s_delay_alu instid0(SALU_CYCLE_1)
	s_cmp_lg_u32 s14, 0
	s_cselect_b32 s11, s13, s11
	s_cselect_b32 s10, s12, s10
	s_cmp_ge_u32 s3, s86
	s_cselect_b32 s12, -1, 0
	s_cmp_eq_u32 s9, 0
	s_cselect_b32 s12, s12, -1
	s_delay_alu instid0(SALU_CYCLE_1)
	s_cmp_lg_u32 s12, 0
	s_cselect_b32 s11, s11, s9
	s_cselect_b32 s10, s10, s3
	s_cbranch_execnz .LBB225_76
.LBB225_75:                             ;   in Loop: Header=BB225_31 Depth=1
	v_cvt_f32_u32_e32 v4, s86
	s_sub_co_i32 s9, 0, s86
	s_delay_alu instid0(VALU_DEP_1) | instskip(SKIP_1) | instid1(TRANS32_DEP_1)
	v_rcp_iflag_f32_e32 v4, v4
	v_nop
	v_mul_f32_e32 v4, 0x4f7ffffe, v4
	s_delay_alu instid0(VALU_DEP_1) | instskip(NEXT) | instid1(VALU_DEP_1)
	v_cvt_u32_f32_e32 v4, v4
	v_readfirstlane_b32 s3, v4
	s_mul_i32 s9, s9, s3
	s_delay_alu instid0(SALU_CYCLE_1) | instskip(NEXT) | instid1(SALU_CYCLE_1)
	s_mul_hi_u32 s9, s3, s9
	s_add_co_i32 s3, s3, s9
	s_delay_alu instid0(SALU_CYCLE_1) | instskip(NEXT) | instid1(SALU_CYCLE_1)
	s_mul_hi_u32 s3, s36, s3
	s_mul_i32 s3, s3, s86
	s_delay_alu instid0(SALU_CYCLE_1) | instskip(NEXT) | instid1(SALU_CYCLE_1)
	s_sub_co_i32 s3, s36, s3
	s_sub_co_i32 s9, s3, s86
	s_cmp_ge_u32 s3, s86
	s_cselect_b32 s3, s9, s3
	s_delay_alu instid0(SALU_CYCLE_1) | instskip(SKIP_2) | instid1(SALU_CYCLE_1)
	s_sub_co_i32 s9, s3, s86
	s_cmp_ge_u32 s3, s86
	s_cselect_b32 s28, s9, s3
	s_mov_b64 s[10:11], s[28:29]
.LBB225_76:                             ;   in Loop: Header=BB225_31 Depth=1
	v_mov_b64_e32 v[4:5], 0
	v_mov_b64_e32 v[6:7], 0
	;; [unrolled: 1-line block ×4, first 2 shown]
	v_and_b32_e32 v2, 0xffff, v2
	s_sub_nc_u64 s[88:89], s[36:37], s[10:11]
	s_mov_b32 s3, exec_lo
	v_cmpx_gt_u64_e64 s[88:89], v[16:17]
	s_cbranch_execz .LBB225_80
; %bb.77:                               ;   in Loop: Header=BB225_31 Depth=1
	v_readlane_b32 s10, v63, 18
	v_readlane_b32 s11, v63, 19
	v_mov_b64_e32 v[36:37], v[28:29]
	v_mov_b64_e32 v[38:39], v[26:27]
	;; [unrolled: 1-line block ×4, first 2 shown]
	v_mul_u64_e32 v[34:35], s[10:11], v[2:3]
	v_mov_b64_e32 v[44:45], v[16:17]
	s_mov_b64 s[90:91], 0
	s_mov_b32 s101, 0
	s_mov_b64 s[92:93], 0
	s_mov_b64 s[94:95], 0
	;; [unrolled: 1-line block ×3, first 2 shown]
.LBB225_78:                             ;   Parent Loop BB225_31 Depth=1
                                        ; =>  This Inner Loop Header: Depth=2
	v_add_nc_u64_e32 v[4:5], s[60:61], v[36:37]
	v_add_nc_u64_e32 v[6:7], s[60:61], v[38:39]
	;; [unrolled: 1-line block ×7, first 2 shown]
	global_load_u16 v4, v[4:5], off
	global_load_u16 v5, v[6:7], off
	;; [unrolled: 1-line block ×4, first 2 shown]
	v_add_nc_u64_e32 v[38:39], v[38:39], v[34:35]
	v_add_nc_u64_e32 v[36:37], v[36:37], v[34:35]
	v_cmp_le_u64_e32 vcc_lo, s[88:89], v[44:45]
	s_wait_loadcnt 0x3
	v_cmp_lt_i16_e64 s9, -1, v4
	s_wait_loadcnt 0x2
	v_cmp_lt_i16_e64 s10, -1, v5
	;; [unrolled: 2-line block ×4, first 2 shown]
	v_and_b32_e32 v8, 0xffff, v4
	v_lshlrev_b32_e32 v4, 16, v4
	v_and_b32_e32 v9, 0xffff, v5
	v_lshlrev_b32_e32 v5, 16, v5
	v_cndmask_b32_e64 v55, 0xffff, v52, s9
	v_cndmask_b32_e64 v56, 0xffff, v52, s10
	v_and_b32_e32 v10, 0xffff, v6
	v_lshlrev_b32_e32 v6, 16, v6
	v_cndmask_b32_e64 v57, 0xffff, v52, s11
	v_and_b32_e32 v11, 0xffff, v7
	v_lshlrev_b32_e32 v7, 16, v7
	v_cndmask_b32_e64 v58, 0xffff, v52, s12
	v_cmp_o_f32_e64 s9, v5, v5
	v_cmp_o_f32_e64 s12, v4, v4
	v_xor_b32_e32 v4, v55, v8
	v_xor_b32_e32 v5, v56, v9
	v_cmp_o_f32_e64 s10, v6, v6
	v_xor_b32_e32 v6, v57, v10
	v_cmp_o_f32_e64 s11, v7, v7
	v_xor_b32_e32 v7, v58, v11
	v_cndmask_b32_e64 v4, 0xffff, v4, s12
	v_cndmask_b32_e64 v5, 0xffff, v5, s9
	;; [unrolled: 1-line block ×3, first 2 shown]
	s_delay_alu instid0(VALU_DEP_4) | instskip(NEXT) | instid1(VALU_DEP_4)
	v_cndmask_b32_e64 v7, 0xffff, v7, s11
	v_and_b32_e32 v8, v4, v53
	s_delay_alu instid0(VALU_DEP_4)
	v_and_b32_e32 v9, v5, v53
	v_bfe_u32 v4, v4, s54, 2
	v_bfe_u32 v5, v5, s54, 2
	v_and_b32_e32 v10, v6, v53
	v_bfe_u32 v6, v6, s54, 2
	v_and_b32_e32 v11, v7, v53
	v_bfe_u32 v7, v7, s54, 2
	v_cmp_eq_u32_e64 s9, v8, v50
	v_cmp_eq_u32_e64 s10, v9, v50
	;; [unrolled: 1-line block ×15, first 2 shown]
	s_and_b32 s13, s9, s13
	s_and_b32 s14, s10, s14
	v_cmp_eq_u32_e64 s20, 1, v7
	v_cmp_eq_u32_e64 s23, 2, v6
	v_cmp_eq_u32_e64 s27, 3, v6
	s_and_b32 s15, s11, s15
	s_and_b32 s17, s9, s17
	;; [unrolled: 1-line block ×3, first 2 shown]
	v_cndmask_b32_e64 v4, 0, 1, s13
	v_cndmask_b32_e64 v5, 0, 1, s14
	v_cmp_eq_u32_e64 s24, 2, v7
	v_cmp_eq_u32_e64 s28, 3, v7
	s_and_b32 s16, s12, s16
	s_and_b32 s19, s11, s19
	;; [unrolled: 1-line block ×4, first 2 shown]
	v_cndmask_b32_e64 v6, 0, 1, s15
	v_cndmask_b32_e64 v8, 0, 1, s17
	;; [unrolled: 1-line block ×3, first 2 shown]
	s_and_b32 s9, s9, s25
	s_and_b32 s10, s10, s26
	;; [unrolled: 1-line block ×4, first 2 shown]
	v_cndmask_b32_e64 v7, 0, 1, s16
	v_cndmask_b32_e64 v10, 0, 1, s19
	;; [unrolled: 1-line block ×4, first 2 shown]
	s_and_b32 s11, s11, s27
	v_cndmask_b32_e64 v59, 0, 1, s9
	v_cndmask_b32_e64 v60, 0, 1, s10
	v_cmp_ne_u32_e64 s9, 0, v4
	v_cmp_ne_u32_e64 s10, 0, v5
	s_and_b32 s24, s12, s24
	v_cndmask_b32_e64 v11, 0, 1, s20
	v_cndmask_b32_e64 v57, 0, 1, s23
	s_and_b32 s12, s12, s28
	v_cndmask_b32_e64 v61, 0, 1, s11
	v_cmp_ne_u32_e64 s11, 0, v6
	v_cmp_ne_u32_e64 s13, 0, v8
	;; [unrolled: 1-line block ×3, first 2 shown]
	v_cndmask_b32_e64 v58, 0, 1, s24
	v_cndmask_b32_e64 v62, 0, 1, s12
	v_cmp_ne_u32_e64 s12, 0, v7
	v_cmp_ne_u32_e64 s15, 0, v10
	v_cmp_ne_u32_e64 s17, 0, v55
	v_cmp_ne_u32_e64 s18, 0, v56
	s_bcnt1_i32_b32 s9, s9
	s_bcnt1_i32_b32 s10, s10
	v_cmp_ne_u32_e64 s16, 0, v11
	v_cmp_ne_u32_e64 s19, 0, v57
	;; [unrolled: 1-line block ×4, first 2 shown]
	s_bcnt1_i32_b32 s11, s11
	s_bcnt1_i32_b32 s13, s13
	;; [unrolled: 1-line block ×3, first 2 shown]
	s_add_co_i32 s9, s10, s9
	v_cmp_ne_u32_e64 s20, 0, v58
	v_cmp_ne_u32_e64 s23, 0, v61
	s_bcnt1_i32_b32 s12, s12
	s_bcnt1_i32_b32 s15, s15
	;; [unrolled: 1-line block ×4, first 2 shown]
	s_add_co_i32 s10, s14, s13
	s_add_co_i32 s9, s9, s11
	v_cmp_ne_u32_e64 s24, 0, v62
	s_bcnt1_i32_b32 s16, s16
	s_bcnt1_i32_b32 s19, s19
	;; [unrolled: 1-line block ×4, first 2 shown]
	s_add_co_i32 s13, s18, s17
	s_add_co_i32 s10, s10, s15
	;; [unrolled: 1-line block ×3, first 2 shown]
	s_bcnt1_i32_b32 s20, s20
	s_bcnt1_i32_b32 s23, s23
	s_add_co_i32 s14, s22, s21
	s_add_co_i32 s11, s13, s19
	s_add_nc_u64 s[96:97], s[96:97], s[28:29]
	s_add_co_i32 s28, s10, s16
	s_bcnt1_i32_b32 s24, s24
	s_add_co_i32 s13, s14, s23
	s_add_nc_u64 s[94:95], s[94:95], s[28:29]
	s_add_co_i32 s28, s11, s20
	v_mov_b64_e32 v[4:5], s[96:97]
	s_add_nc_u64 s[92:93], s[92:93], s[28:29]
	s_add_co_i32 s28, s13, s24
	v_mov_b64_e32 v[6:7], s[94:95]
	s_add_nc_u64 s[90:91], s[90:91], s[28:29]
	v_mov_b64_e32 v[8:9], s[92:93]
	v_mov_b64_e32 v[10:11], s[90:91]
	s_or_b32 s101, vcc_lo, s101
	s_delay_alu instid0(SALU_CYCLE_1)
	s_and_not1_b32 exec_lo, exec_lo, s101
	s_cbranch_execnz .LBB225_78
; %bb.79:                               ;   in Loop: Header=BB225_31 Depth=1
	s_or_b32 exec_lo, exec_lo, s101
.LBB225_80:                             ;   in Loop: Header=BB225_31 Depth=1
	s_delay_alu instid0(SALU_CYCLE_1) | instskip(SKIP_2) | instid1(VALU_DEP_1)
	s_or_b32 exec_lo, exec_lo, s3
	v_add_nc_u64_e32 v[34:35], s[88:89], v[0:1]
	s_mov_b32 s3, exec_lo
	v_cmpx_gt_u64_e64 s[36:37], v[34:35]
	s_cbranch_execz .LBB225_86
; %bb.81:                               ;   in Loop: Header=BB225_31 Depth=1
	v_mul_u64_e32 v[36:37], s[30:31], v[34:35]
	s_mov_b32 s12, 0
	s_delay_alu instid0(VALU_DEP_1)
	v_lshl_add_u64 v[36:37], v[36:37], 1, s[62:63]
	global_load_u16 v37, v[36:37], off
	s_branch .LBB225_83
.LBB225_82:                             ;   in Loop: Header=BB225_83 Depth=2
	s_wait_xcnt 0x0
	s_or_b32 exec_lo, exec_lo, s10
	s_wait_loadcnt 0x0
	v_cmp_lt_i16_e64 s9, -1, v37
	v_and_b32_e32 v38, 0xffff, v37
	s_and_b32 s11, exec_lo, vcc_lo
	s_delay_alu instid0(SALU_CYCLE_1) | instskip(SKIP_1) | instid1(VALU_DEP_1)
	s_or_b32 s12, s11, s12
	v_cndmask_b32_e64 v39, 0xffff, v52, s9
	v_dual_lshlrev_b32 v37, 16, v37 :: v_dual_bitop2_b32 v38, v39, v38 bitop3:0x14
	s_delay_alu instid0(VALU_DEP_1) | instskip(NEXT) | instid1(VALU_DEP_1)
	v_cmp_o_f32_e64 s9, v37, v37
	v_cndmask_b32_e64 v37, 0xffff, v38, s9
	s_delay_alu instid0(VALU_DEP_1) | instskip(SKIP_1) | instid1(VALU_DEP_2)
	v_and_b32_e32 v38, v37, v53
	v_bfe_u32 v37, v37, s54, 2
	v_cmp_eq_u32_e64 s9, v38, v50
	s_delay_alu instid0(VALU_DEP_2)
	v_cmp_eq_u32_e64 s10, 0, v37
	v_cmp_eq_u32_e32 vcc_lo, 1, v37
	s_and_b32 s10, s9, s10
	s_and_b32 s11, s9, vcc_lo
	v_cndmask_b32_e64 v38, 0, 1, s10
	v_cmp_eq_u32_e64 s10, 2, v37
	v_cmp_eq_u32_e32 vcc_lo, 3, v37
	v_cndmask_b32_e64 v39, 0, 1, s11
	s_delay_alu instid0(VALU_DEP_4)
	v_cmp_ne_u32_e64 s11, 0, v38
	s_and_b32 s10, s9, s10
	s_and_b32 s9, s9, vcc_lo
	v_cndmask_b32_e64 v37, 0, 1, s10
	v_cndmask_b32_e64 v38, 0, 1, s9
	v_cmp_ne_u32_e64 s10, 0, v39
	s_bcnt1_i32_b32 s28, s11
	v_cmp_ne_u32_e32 vcc_lo, 0, v37
	v_cmp_ne_u32_e64 s9, 0, v38
	v_add_nc_u64_e32 v[4:5], s[28:29], v[4:5]
	s_bcnt1_i32_b32 s28, s10
	v_mov_b32_e32 v37, v36
	v_add_nc_u64_e32 v[6:7], s[28:29], v[6:7]
	s_bcnt1_i32_b32 s28, vcc_lo
	s_delay_alu instid0(SALU_CYCLE_1) | instskip(SKIP_1) | instid1(SALU_CYCLE_1)
	v_add_nc_u64_e32 v[8:9], s[28:29], v[8:9]
	s_bcnt1_i32_b32 s28, s9
	v_add_nc_u64_e32 v[10:11], s[28:29], v[10:11]
	s_and_not1_b32 exec_lo, exec_lo, s12
	s_cbranch_execz .LBB225_85
.LBB225_83:                             ;   Parent Loop BB225_31 Depth=1
                                        ; =>  This Inner Loop Header: Depth=2
	v_add_nc_u64_e32 v[34:35], v[34:35], v[2:3]
	s_wait_xcnt 0x0
	v_mov_b32_e32 v36, 0
	s_mov_b32 s10, exec_lo
	s_delay_alu instid0(VALU_DEP_2)
	v_cmp_le_u64_e32 vcc_lo, s[36:37], v[34:35]
	v_cmpx_gt_u64_e64 s[36:37], v[34:35]
	s_cbranch_execz .LBB225_82
; %bb.84:                               ;   in Loop: Header=BB225_83 Depth=2
	v_mul_u64_e32 v[38:39], s[30:31], v[34:35]
	s_delay_alu instid0(VALU_DEP_1)
	v_lshl_add_u64 v[38:39], v[38:39], 1, s[62:63]
	global_load_u16 v36, v[38:39], off
	s_branch .LBB225_82
.LBB225_85:                             ;   in Loop: Header=BB225_31 Depth=1
	s_or_b32 exec_lo, exec_lo, s12
.LBB225_86:                             ;   in Loop: Header=BB225_31 Depth=1
	s_delay_alu instid0(SALU_CYCLE_1)
	s_or_b32 exec_lo, exec_lo, s3
	s_branch .LBB225_65
.LBB225_87:                             ;   in Loop: Header=BB225_31 Depth=1
	global_load_u16 v2, v3, s[82:83]
	s_mov_b32 s25, s29
	v_mov_b64_e32 v[6:7], 0
	v_mov_b64_e32 v[8:9], 0
	;; [unrolled: 1-line block ×3, first 2 shown]
	s_mov_b32 s23, exec_lo
	s_wait_loadcnt 0x0
	v_readfirstlane_b32 s3, v2
	v_and_b32_e32 v2, 0xffff, v2
	s_and_b32 s3, 0xffff, s3
	s_delay_alu instid0(SALU_CYCLE_1) | instskip(NEXT) | instid1(SALU_CYCLE_1)
	s_lshl_b32 s26, s3, 2
	s_cvt_f32_u32 s9, s26
	s_sub_co_i32 s10, 0, s26
	s_delay_alu instid0(SALU_CYCLE_2) | instskip(SKIP_1) | instid1(TRANS32_DEP_1)
	v_rcp_iflag_f32_e32 v4, s9
	v_nop
	v_readfirstlane_b32 s9, v4
	s_mul_f32 s9, s9, 0x4f7ffffe
	s_delay_alu instid0(SALU_CYCLE_3) | instskip(NEXT) | instid1(SALU_CYCLE_3)
	s_cvt_u32_f32 s9, s9
	s_mul_i32 s10, s10, s9
	s_delay_alu instid0(SALU_CYCLE_1) | instskip(NEXT) | instid1(SALU_CYCLE_1)
	s_mul_hi_u32 s10, s9, s10
	s_add_co_i32 s9, s9, s10
	s_delay_alu instid0(SALU_CYCLE_1) | instskip(NEXT) | instid1(SALU_CYCLE_1)
	s_mul_hi_u32 s9, s84, s9
	s_mul_i32 s10, s9, s26
	s_add_co_i32 s11, s9, 1
	s_sub_co_i32 s10, s84, s10
	s_delay_alu instid0(SALU_CYCLE_1)
	s_sub_co_i32 s12, s10, s26
	s_cmp_ge_u32 s10, s26
	s_cselect_b32 s9, s11, s9
	s_cselect_b32 s10, s12, s10
	s_add_co_i32 s11, s9, 1
	s_cmp_ge_u32 s10, s26
	s_cselect_b32 s24, s11, s9
	s_delay_alu instid0(SALU_CYCLE_1) | instskip(NEXT) | instid1(VALU_DEP_1)
	v_mul_u64_e32 v[4:5], s[24:25], v[2:3]
	v_lshlrev_b64_e32 v[34:35], 2, v[4:5]
	v_mov_b64_e32 v[4:5], 0
	s_delay_alu instid0(VALU_DEP_2)
	v_cmpx_gt_u64_e64 v[34:35], v[16:17]
	s_cbranch_execz .LBB225_91
; %bb.88:                               ;   in Loop: Header=BB225_31 Depth=1
	v_mov_b64_e32 v[36:37], v[16:17]
	v_mov_b32_e32 v38, v49
	s_mov_b32 s27, s29
	s_lshl_b32 s25, s3, 3
	s_mov_b64 s[86:87], 0
	s_mov_b32 s94, 0
	s_mov_b64 s[88:89], 0
	s_mov_b64 s[90:91], 0
	;; [unrolled: 1-line block ×3, first 2 shown]
.LBB225_89:                             ;   Parent Loop BB225_31 Depth=1
                                        ; =>  This Inner Loop Header: Depth=2
	ds_load_b64 v[4:5], v38
	v_add_nc_u32_e32 v38, s25, v38
	v_add_nc_u64_e32 v[36:37], s[26:27], v[36:37]
	s_delay_alu instid0(VALU_DEP_1)
	v_cmp_ge_u64_e32 vcc_lo, v[36:37], v[34:35]
	s_wait_dscnt 0x0
	v_lshrrev_b32_e32 v6, 16, v4
	v_cmp_lt_i16_e64 s9, -1, v4
	v_dual_lshrrev_b32 v7, 16, v5 :: v_dual_lshlrev_b32 v8, 16, v4
	v_cmp_lt_i16_e64 s10, -1, v5
	v_and_b32_e32 v9, 0xffff0000, v4
	s_delay_alu instid0(VALU_DEP_4)
	v_cndmask_b32_e64 v39, 0xffff, v52, s9
	v_cmp_lt_i16_e64 s9, -1, v6
	v_cmp_o_f32_e64 s12, v8, v8
	v_cndmask_b32_e64 v40, 0xffff, v52, s10
	v_cmp_lt_i16_e64 s11, -1, v7
	v_bitop3_b32 v4, v39, v4, 0xffff bitop3:0x78
	v_cndmask_b32_e64 v8, 0xffff, v52, s9
	v_lshlrev_b32_e32 v10, 16, v5
	v_and_b32_e32 v11, 0xffff0000, v5
	v_bitop3_b32 v5, v40, v5, 0xffff bitop3:0x78
	v_cmp_o_f32_e64 s14, v9, v9
	v_xor_b32_e32 v6, v8, v6
	v_cmp_o_f32_e64 s10, v10, v10
	v_cndmask_b32_e64 v9, 0xffff, v52, s11
	v_cndmask_b32_e64 v4, 0xffff, v4, s12
	v_cmp_o_f32_e64 s13, v11, v11
	v_cndmask_b32_e64 v6, 0xffff, v6, s14
	v_cndmask_b32_e64 v5, 0xffff, v5, s10
	v_xor_b32_e32 v7, v9, v7
	v_and_b32_e32 v8, v4, v53
	v_bfe_u32 v4, v4, s54, 2
	s_delay_alu instid0(VALU_DEP_4)
	v_and_b32_e32 v9, v5, v53
	v_bfe_u32 v5, v5, s54, 2
	v_cndmask_b32_e64 v7, 0xffff, v7, s13
	v_cmp_eq_u32_e64 s9, v8, v50
	v_and_b32_e32 v8, v6, v53
	v_bfe_u32 v6, v6, s54, 2
	v_cmp_eq_u32_e64 s11, 0, v4
	v_cmp_eq_u32_e64 s13, 1, v4
	;; [unrolled: 1-line block ×7, first 2 shown]
	v_and_b32_e32 v9, v7, v53
	v_bfe_u32 v7, v7, s54, 2
	v_cmp_eq_u32_e64 s15, 2, v4
	v_cmp_eq_u32_e64 s17, 3, v4
	;; [unrolled: 1-line block ×4, first 2 shown]
	s_and_b32 s28, s9, s11
	v_cmp_eq_u32_e64 s11, 1, v6
	s_and_b32 s77, s9, s13
	v_cndmask_b32_e64 v4, 0, 1, s28
	s_and_b32 s76, s10, s12
	s_and_b32 s78, s10, s14
	;; [unrolled: 1-line block ×4, first 2 shown]
	v_cmp_eq_u32_e64 s20, v9, v50
	v_cmp_eq_u32_e64 s22, 0, v7
	;; [unrolled: 1-line block ×3, first 2 shown]
	s_and_b32 s79, s9, s15
	v_cmp_eq_u32_e64 s15, 3, v6
	s_and_b32 s9, s9, s17
	v_cndmask_b32_e64 v6, 0, 1, s77
	v_cndmask_b32_e64 v11, 0, 1, s10
	s_and_b32 s10, s19, s21
	v_cmp_eq_u32_e64 s12, 1, v7
	v_cndmask_b32_e64 v5, 0, 1, s76
	v_cndmask_b32_e64 v8, 0, 1, s79
	v_cndmask_b32_e64 v10, 0, 1, s9
	s_and_b32 s18, s19, s11
	v_cmp_ne_u32_e64 s9, 0, v4
	v_cndmask_b32_e64 v4, 0, 1, s10
	v_cmp_eq_u32_e64 s14, 2, v7
	v_cmp_eq_u32_e64 s16, 3, v7
	v_cndmask_b32_e64 v7, 0, 1, s78
	s_and_b32 s17, s20, s22
	s_and_b32 s22, s19, s13
	s_and_b32 s19, s19, s15
	v_cmp_ne_u32_e64 s11, 0, v6
	v_cndmask_b32_e64 v6, 0, 1, s18
	v_cndmask_b32_e64 v9, 0, 1, s95
	s_and_b32 s21, s20, s12
	v_cmp_ne_u32_e64 s10, 0, v5
	v_cndmask_b32_e64 v5, 0, 1, s17
	v_cmp_ne_u32_e64 s13, 0, v8
	v_cndmask_b32_e64 v8, 0, 1, s22
	;; [unrolled: 2-line block ×3, first 2 shown]
	s_bcnt1_i32_b32 s17, s9
	v_cmp_ne_u32_e64 s9, 0, v4
	s_and_b32 s28, s20, s14
	v_cmp_ne_u32_e64 s12, 0, v7
	v_cndmask_b32_e64 v7, 0, 1, s21
	s_bcnt1_i32_b32 s19, s11
	v_cmp_ne_u32_e64 s11, 0, v6
	s_and_b32 s20, s20, s16
	v_cmp_ne_u32_e64 s14, 0, v9
	v_cndmask_b32_e64 v9, 0, 1, s28
	s_bcnt1_i32_b32 s18, s10
	v_cmp_ne_u32_e64 s10, 0, v5
	s_bcnt1_i32_b32 s21, s13
	v_cmp_ne_u32_e64 s13, 0, v8
	;; [unrolled: 2-line block ×3, first 2 shown]
	v_cmp_ne_u32_e64 s16, 0, v11
	v_cndmask_b32_e64 v11, 0, 1, s20
	s_bcnt1_i32_b32 s9, s9
	s_bcnt1_i32_b32 s20, s12
	v_cmp_ne_u32_e64 s12, 0, v7
	s_bcnt1_i32_b32 s11, s11
	s_add_co_i32 s9, s9, s17
	s_bcnt1_i32_b32 s22, s14
	v_cmp_ne_u32_e64 s14, 0, v9
	s_bcnt1_i32_b32 s10, s10
	s_bcnt1_i32_b32 s13, s13
	;; [unrolled: 1-line block ×3, first 2 shown]
	s_add_co_i32 s11, s11, s19
	s_add_co_i32 s9, s9, s18
	s_bcnt1_i32_b32 s76, s16
	v_cmp_ne_u32_e64 s16, 0, v11
	s_bcnt1_i32_b32 s12, s12
	s_add_co_i32 s13, s13, s21
	s_add_co_i32 s15, s15, s28
	;; [unrolled: 1-line block ×4, first 2 shown]
	s_bcnt1_i32_b32 s14, s14
	s_add_co_i32 s13, s13, s22
	s_add_nc_u64 s[92:93], s[92:93], s[28:29]
	s_add_co_i32 s28, s11, s12
	s_bcnt1_i32_b32 s16, s16
	s_add_co_i32 s15, s15, s76
	s_add_nc_u64 s[90:91], s[90:91], s[28:29]
	s_add_co_i32 s28, s13, s14
	v_mov_b64_e32 v[4:5], s[92:93]
	s_add_nc_u64 s[88:89], s[88:89], s[28:29]
	s_add_co_i32 s28, s15, s16
	v_mov_b64_e32 v[6:7], s[90:91]
	s_add_nc_u64 s[86:87], s[86:87], s[28:29]
	v_mov_b64_e32 v[8:9], s[88:89]
	v_mov_b64_e32 v[10:11], s[86:87]
	s_or_b32 s94, vcc_lo, s94
	s_delay_alu instid0(SALU_CYCLE_1)
	s_and_not1_b32 exec_lo, exec_lo, s94
	s_cbranch_execnz .LBB225_89
; %bb.90:                               ;   in Loop: Header=BB225_31 Depth=1
	s_or_b32 exec_lo, exec_lo, s94
.LBB225_91:                             ;   in Loop: Header=BB225_31 Depth=1
	s_delay_alu instid0(SALU_CYCLE_1) | instskip(SKIP_3) | instid1(VALU_DEP_1)
	s_or_b32 exec_lo, exec_lo, s23
	v_add_nc_u64_e32 v[34:35], v[34:35], v[0:1]
	s_and_b64 s[14:15], s[84:85], 0x7fffffff
	s_mov_b32 s16, exec_lo
	v_cmpx_gt_u64_e64 s[14:15], v[34:35]
	s_cbranch_execz .LBB225_95
; %bb.92:                               ;   in Loop: Header=BB225_31 Depth=1
	s_mul_i32 s9, s24, s3
	s_lshl_b32 s17, s3, 1
	v_lshl_add_u32 v36, s9, 3, v46
	s_mov_b32 s3, 0
.LBB225_93:                             ;   Parent Loop BB225_31 Depth=1
                                        ; =>  This Inner Loop Header: Depth=2
	ds_load_u16 v37, v36
	v_add_nc_u64_e32 v[34:35], v[34:35], v[2:3]
	v_add_nc_u32_e32 v36, s17, v36
	s_delay_alu instid0(VALU_DEP_2) | instskip(SKIP_3) | instid1(VALU_DEP_2)
	v_cmp_le_u64_e32 vcc_lo, s[14:15], v[34:35]
	s_wait_dscnt 0x0
	v_cmp_lt_i16_e64 s9, -1, v37
	v_and_b32_e32 v38, 0xffff, v37
	v_cndmask_b32_e64 v39, 0xffff, v52, s9
	s_delay_alu instid0(VALU_DEP_1) | instskip(NEXT) | instid1(VALU_DEP_1)
	v_dual_lshlrev_b32 v37, 16, v37 :: v_dual_bitop2_b32 v38, v39, v38 bitop3:0x14
	v_cmp_o_f32_e64 s9, v37, v37
	s_delay_alu instid0(VALU_DEP_1) | instskip(NEXT) | instid1(VALU_DEP_1)
	v_cndmask_b32_e64 v37, 0xffff, v38, s9
	v_and_b32_e32 v38, v37, v53
	v_bfe_u32 v37, v37, s54, 2
	s_delay_alu instid0(VALU_DEP_2) | instskip(NEXT) | instid1(VALU_DEP_2)
	v_cmp_eq_u32_e64 s9, v38, v50
	v_cmp_eq_u32_e64 s10, 0, v37
	;; [unrolled: 1-line block ×5, first 2 shown]
	s_and_b32 s10, s9, s10
	s_delay_alu instid0(SALU_CYCLE_1) | instskip(SKIP_1) | instid1(SALU_CYCLE_1)
	v_cndmask_b32_e64 v37, 0, 1, s10
	s_and_b32 s10, s9, s11
	v_cndmask_b32_e64 v38, 0, 1, s10
	s_and_b32 s10, s9, s12
	s_and_b32 s9, s9, s13
	v_cndmask_b32_e64 v39, 0, 1, s10
	v_cndmask_b32_e64 v40, 0, 1, s9
	v_cmp_ne_u32_e64 s9, 0, v37
	v_cmp_ne_u32_e64 s10, 0, v38
	s_delay_alu instid0(VALU_DEP_4) | instskip(NEXT) | instid1(VALU_DEP_4)
	v_cmp_ne_u32_e64 s11, 0, v39
	v_cmp_ne_u32_e64 s12, 0, v40
	s_bcnt1_i32_b32 s28, s9
	s_delay_alu instid0(SALU_CYCLE_1) | instskip(SKIP_1) | instid1(SALU_CYCLE_1)
	v_add_nc_u64_e32 v[4:5], s[28:29], v[4:5]
	s_bcnt1_i32_b32 s28, s10
	v_add_nc_u64_e32 v[6:7], s[28:29], v[6:7]
	s_bcnt1_i32_b32 s28, s11
	s_delay_alu instid0(SALU_CYCLE_1)
	v_add_nc_u64_e32 v[8:9], s[28:29], v[8:9]
	s_bcnt1_i32_b32 s28, s12
	s_or_b32 s3, vcc_lo, s3
	v_add_nc_u64_e32 v[10:11], s[28:29], v[10:11]
	s_and_not1_b32 exec_lo, exec_lo, s3
	s_cbranch_execnz .LBB225_93
; %bb.94:                               ;   in Loop: Header=BB225_31 Depth=1
	s_or_b32 exec_lo, exec_lo, s3
.LBB225_95:                             ;   in Loop: Header=BB225_31 Depth=1
	s_delay_alu instid0(SALU_CYCLE_1)
	s_or_b32 exec_lo, exec_lo, s16
	s_lshl_b32 s3, s57, 7
	s_and_saveexec_b32 s9, s2
	s_cbranch_execnz .LBB225_66
	s_branch .LBB225_67
.LBB225_96:                             ;   in Loop: Header=BB225_31 Depth=1
                                        ; implicit-def: $sgpr10_sgpr11
	s_branch .LBB225_75
.LBB225_97:                             ;   in Loop: Header=BB225_31 Depth=1
	s_mov_b32 s10, 0
.LBB225_98:                             ;   in Loop: Header=BB225_31 Depth=1
	v_readlane_b32 s11, v63, 13
	s_and_not1_b32 vcc_lo, exec_lo, s11
	s_cbranch_vccnz .LBB225_101
; %bb.99:                               ;   in Loop: Header=BB225_31 Depth=1
	s_lshl_b32 s11, s57, 10
	s_lshl_b32 s10, s10, 5
	s_delay_alu instid0(SALU_CYCLE_1)
	v_add3_u32 v2, s11, s10, v51
	v_readlane_b32 s10, v63, 12
.LBB225_100:                            ;   Parent Loop BB225_31 Depth=1
                                        ; =>  This Inner Loop Header: Depth=2
	ds_load_b64 v[6:7], v2
	v_add_nc_u32_e32 v2, 32, v2
	s_add_co_i32 s10, s10, -1
	s_delay_alu instid0(SALU_CYCLE_1)
	s_cmp_lg_u32 s10, 0
	s_wait_dscnt 0x0
	v_add_nc_u64_e32 v[4:5], v[6:7], v[4:5]
	s_cbranch_scc1 .LBB225_100
.LBB225_101:                            ;   in Loop: Header=BB225_31 Depth=1
	v_add_lshl_u32 v2, s3, v13, 3
	ds_store_b64 v2, v[4:5] offset:3072
.LBB225_102:                            ;   in Loop: Header=BB225_31 Depth=1
	s_or_b32 exec_lo, exec_lo, s9
	s_lshl_b32 s3, s3, 3
	s_wait_dscnt 0x0
	v_mov_b32_e32 v2, s3
	s_barrier_signal -1
	s_barrier_wait -1
	v_cmp_eq_u64_e64 s9, 1, v[32:33]
	ds_load_b128 v[4:7], v2 offset:3072
	ds_load_b128 v[8:11], v2 offset:3088
	s_lshl_b32 s24, 3, s54
	s_mov_b32 s87, -1
	s_not_b32 s25, s24
	s_mov_b32 s26, 0
	s_and_not1_b32 vcc_lo, exec_lo, s99
	s_mov_b32 s84, 0
	s_mov_b32 s27, 0
                                        ; implicit-def: $sgpr85
                                        ; implicit-def: $sgpr86
                                        ; implicit-def: $vgpr2
	s_wait_dscnt 0x1
	v_readfirstlane_b32 s13, v5
	v_readfirstlane_b32 s12, v4
	;; [unrolled: 1-line block ×4, first 2 shown]
	s_wait_dscnt 0x0
	v_readfirstlane_b32 s17, v9
	v_readfirstlane_b32 s16, v8
	;; [unrolled: 1-line block ×4, first 2 shown]
                                        ; implicit-def: $vgpr4_vgpr5
                                        ; implicit-def: $vgpr10
                                        ; implicit-def: $vgpr11
                                        ; implicit-def: $vgpr8
	s_cbranch_vccnz .LBB225_297
; %bb.103:                              ;   in Loop: Header=BB225_31 Depth=1
	s_cmp_eq_u64 s[12:13], 1
	v_dual_mov_b32 v10, v50 :: v_dual_mov_b32 v11, v53
	v_mov_b32_e32 v8, v54
	s_cselect_b32 s3, -1, 0
                                        ; implicit-def: $sgpr86
                                        ; implicit-def: $sgpr85
	s_delay_alu instid0(SALU_CYCLE_1)
	s_and_b32 s89, s3, s9
	s_mov_b32 s3, -1
	s_and_saveexec_b32 s27, s89
	s_cbranch_execz .LBB225_138
; %bb.104:                              ;   in Loop: Header=BB225_31 Depth=1
	ds_load_b64 v[4:5], v3 offset:5120
	s_wait_dscnt 0x0
	s_barrier_signal -1
	s_barrier_wait -1
	v_readfirstlane_b32 s10, v4
	v_readfirstlane_b32 s11, v5
	s_and_saveexec_b32 s3, s6
; %bb.105:                              ;   in Loop: Header=BB225_31 Depth=1
	ds_store_b16 v47, v3
; %bb.106:                              ;   in Loop: Header=BB225_31 Depth=1
	s_or_b32 exec_lo, exec_lo, s3
	v_and_b32_e32 v10, s25, v50
	v_or_b32_e32 v11, s24, v53
	s_mov_b32 s85, -1
	s_mov_b32 s86, 0
	s_cmp_eq_u64 s[10:11], 0
	s_mov_b32 s3, 0
	s_mov_b32 s22, -1
	s_wait_dscnt 0x0
	s_barrier_signal -1
	s_barrier_wait -1
                                        ; implicit-def: $vgpr8
	s_cbranch_scc1 .LBB225_123
; %bb.107:                              ;   in Loop: Header=BB225_31 Depth=1
	s_add_nc_u64 s[20:21], s[10:11], s[64:65]
	s_delay_alu instid0(SALU_CYCLE_1) | instskip(NEXT) | instid1(SALU_CYCLE_1)
	s_and_b64 s[22:23], s[20:21], 0xffffffff00000000
	s_cmp_lg_u64 s[22:23], 0
	s_cbranch_scc0 .LBB225_164
; %bb.108:                              ;   in Loop: Header=BB225_31 Depth=1
	s_cvt_f32_u32 s3, s40
	s_sub_nc_u64 s[76:77], 0, s[40:41]
	s_delay_alu instid0(SALU_CYCLE_2) | instskip(NEXT) | instid1(SALU_CYCLE_3)
	s_fmamk_f32 s3, s52, 0x0, s3
	v_s_rcp_f32 s3, s3
	s_delay_alu instid0(TRANS32_DEP_1) | instskip(NEXT) | instid1(SALU_CYCLE_3)
	s_mul_f32 s3, s3, 0x5f7ffffc
	s_mul_f32 s22, s3, 0x2f800000
	s_delay_alu instid0(SALU_CYCLE_3) | instskip(NEXT) | instid1(SALU_CYCLE_3)
	s_trunc_f32 s22, s22
	s_fmamk_f32 s3, s22, 0xcf800000, s3
	s_cvt_u32_f32 s23, s22
	s_delay_alu instid0(SALU_CYCLE_2) | instskip(NEXT) | instid1(SALU_CYCLE_3)
	s_cvt_u32_f32 s22, s3
	s_mul_u64 s[78:79], s[76:77], s[22:23]
	s_delay_alu instid0(SALU_CYCLE_1)
	s_mul_hi_u32 s91, s22, s79
	s_mul_i32 s90, s22, s79
	s_mul_hi_u32 s28, s22, s78
	s_mul_i32 s84, s23, s78
	s_add_nc_u64 s[90:91], s[28:29], s[90:91]
	s_mul_hi_u32 s3, s23, s78
	s_mul_hi_u32 s87, s23, s79
	s_add_co_u32 s28, s90, s84
	s_add_co_ci_u32 s28, s91, s3
	s_mul_i32 s78, s23, s79
	s_add_co_ci_u32 s79, s87, 0
	s_delay_alu instid0(SALU_CYCLE_1) | instskip(NEXT) | instid1(SALU_CYCLE_1)
	s_add_nc_u64 s[78:79], s[28:29], s[78:79]
	s_add_co_u32 s22, s22, s78
	s_cselect_b32 s3, -1, 0
	s_delay_alu instid0(SALU_CYCLE_1) | instskip(SKIP_1) | instid1(SALU_CYCLE_1)
	s_cmp_lg_u32 s3, 0
	s_add_co_ci_u32 s23, s23, s79
	s_mul_u64 s[76:77], s[76:77], s[22:23]
	s_delay_alu instid0(SALU_CYCLE_1)
	s_mul_hi_u32 s79, s22, s77
	s_mul_i32 s78, s22, s77
	s_mul_hi_u32 s28, s22, s76
	s_mul_i32 s84, s23, s76
	s_add_nc_u64 s[78:79], s[28:29], s[78:79]
	s_mul_hi_u32 s3, s23, s76
	s_mul_hi_u32 s87, s23, s77
	s_add_co_u32 s28, s78, s84
	s_add_co_ci_u32 s28, s79, s3
	s_mul_i32 s76, s23, s77
	s_add_co_ci_u32 s77, s87, 0
	s_delay_alu instid0(SALU_CYCLE_1) | instskip(NEXT) | instid1(SALU_CYCLE_1)
	s_add_nc_u64 s[76:77], s[28:29], s[76:77]
	s_add_co_u32 s3, s22, s76
	s_cselect_b32 s22, -1, 0
	s_mul_hi_u32 s28, s20, s3
	s_cmp_lg_u32 s22, 0
	s_mul_hi_u32 s78, s21, s3
	s_add_co_ci_u32 s76, s23, s77
	s_mul_i32 s3, s21, s3
	s_mul_hi_u32 s23, s20, s76
	s_mul_i32 s22, s20, s76
	s_mul_hi_u32 s77, s21, s76
	s_add_nc_u64 s[22:23], s[28:29], s[22:23]
	s_mul_i32 s76, s21, s76
	s_add_co_u32 s3, s22, s3
	s_add_co_ci_u32 s28, s23, s78
	s_add_co_ci_u32 s77, s77, 0
	s_delay_alu instid0(SALU_CYCLE_1) | instskip(NEXT) | instid1(SALU_CYCLE_1)
	s_add_nc_u64 s[22:23], s[28:29], s[76:77]
	s_and_b64 s[76:77], s[22:23], 0xffffffff00000000
	s_delay_alu instid0(SALU_CYCLE_1) | instskip(NEXT) | instid1(SALU_CYCLE_1)
	s_or_b32 s76, s76, s22
	s_mul_u64 s[22:23], s[40:41], s[76:77]
	s_delay_alu instid0(SALU_CYCLE_1) | instskip(SKIP_1) | instid1(SALU_CYCLE_1)
	s_sub_co_u32 s3, s20, s22
	s_cselect_b32 s22, -1, 0
	s_cmp_lg_u32 s22, 0
	s_sub_co_ci_u32 s22, s21, s23
	s_sub_co_u32 s23, s3, s40
	s_cselect_b32 s28, -1, 0
	s_delay_alu instid0(SALU_CYCLE_1) | instskip(SKIP_3) | instid1(SALU_CYCLE_1)
	s_cmp_lg_u32 s28, 0
	s_sub_co_ci_u32 s28, s22, 0
	s_sub_co_u32 s76, s23, s40
	s_cselect_b32 s77, -1, 0
	s_cmp_lg_u32 s77, 0
	s_sub_co_ci_u32 s77, s28, 0
	s_cmp_ge_u32 s23, s40
	s_cselect_b32 s78, -1, 0
	s_cmp_eq_u32 s28, 0
	s_cselect_b32 s78, s78, -1
	s_delay_alu instid0(SALU_CYCLE_1)
	s_cmp_lg_u32 s78, 0
	s_cselect_b32 s28, s77, s28
	s_cselect_b32 s76, s76, s23
	s_cmp_ge_u32 s3, s40
	s_cselect_b32 s23, -1, 0
	s_cmp_eq_u32 s22, 0
	s_cselect_b32 s23, s23, -1
	s_delay_alu instid0(SALU_CYCLE_1)
	s_cmp_lg_u32 s23, 0
	s_cselect_b32 s23, s28, s22
	s_cselect_b32 s22, s76, s3
	s_cbranch_execnz .LBB225_110
.LBB225_109:                            ;   in Loop: Header=BB225_31 Depth=1
	v_cvt_f32_u32_e32 v2, s40
	s_sub_co_i32 s22, 0, s40
	s_delay_alu instid0(VALU_DEP_1) | instskip(SKIP_1) | instid1(TRANS32_DEP_1)
	v_rcp_iflag_f32_e32 v2, v2
	v_nop
	v_mul_f32_e32 v2, 0x4f7ffffe, v2
	s_delay_alu instid0(VALU_DEP_1) | instskip(NEXT) | instid1(VALU_DEP_1)
	v_cvt_u32_f32_e32 v2, v2
	v_readfirstlane_b32 s3, v2
	s_mul_i32 s22, s22, s3
	s_delay_alu instid0(SALU_CYCLE_1) | instskip(NEXT) | instid1(SALU_CYCLE_1)
	s_mul_hi_u32 s22, s3, s22
	s_add_co_i32 s3, s3, s22
	s_delay_alu instid0(SALU_CYCLE_1) | instskip(NEXT) | instid1(SALU_CYCLE_1)
	s_mul_hi_u32 s3, s20, s3
	s_mul_i32 s3, s3, s40
	s_delay_alu instid0(SALU_CYCLE_1) | instskip(NEXT) | instid1(SALU_CYCLE_1)
	s_sub_co_i32 s3, s20, s3
	s_sub_co_i32 s22, s3, s40
	s_cmp_ge_u32 s3, s40
	s_cselect_b32 s3, s22, s3
	s_delay_alu instid0(SALU_CYCLE_1) | instskip(SKIP_2) | instid1(SALU_CYCLE_1)
	s_sub_co_i32 s22, s3, s40
	s_cmp_ge_u32 s3, s40
	s_cselect_b32 s28, s22, s3
	s_mov_b64 s[22:23], s[28:29]
.LBB225_110:                            ;   in Loop: Header=BB225_31 Depth=1
	s_delay_alu instid0(SALU_CYCLE_1)
	s_sub_nc_u64 s[20:21], s[20:21], s[22:23]
	s_mov_b32 s22, 0
	s_mov_b32 s3, 0
	s_mov_b32 s23, exec_lo
                                        ; implicit-def: $vgpr8
	v_cmpx_gt_u64_e64 s[20:21], v[0:1]
	s_cbranch_execz .LBB225_122
; %bb.111:                              ;   in Loop: Header=BB225_31 Depth=1
	v_mov_b64_e32 v[4:5], v[0:1]
	v_mov_b32_e32 v2, v46
                                        ; implicit-def: $sgpr28
	s_branch .LBB225_114
.LBB225_112:                            ;   in Loop: Header=BB225_114 Depth=2
	s_or_b32 exec_lo, exec_lo, s84
	s_wait_dscnt 0x0
	s_barrier_signal -1
	s_barrier_wait -1
	ds_load_b32 v6, v3 offset:3072
	s_mov_b32 s84, -1
	s_mov_b32 s87, -1
	s_wait_dscnt 0x0
	s_barrier_signal -1
	s_barrier_wait -1
	v_and_b32_e32 v7, 0x7fff, v6
	s_delay_alu instid0(VALU_DEP_1)
	v_cmp_ne_u32_e32 vcc_lo, 0, v7
	s_cbranch_vccz .LBB225_117
.LBB225_113:                            ;   in Loop: Header=BB225_114 Depth=2
	s_and_b32 s76, exec_lo, s84
	s_delay_alu instid0(SALU_CYCLE_1) | instskip(SKIP_2) | instid1(SALU_CYCLE_1)
	s_or_b32 s3, s76, s3
	s_and_not1_b32 s28, s28, exec_lo
	s_and_b32 s76, s87, exec_lo
	s_or_b32 s28, s28, s76
	s_and_not1_b32 exec_lo, exec_lo, s3
	s_cbranch_execz .LBB225_121
.LBB225_114:                            ;   Parent Loop BB225_31 Depth=1
                                        ; =>  This Inner Loop Header: Depth=2
	s_mov_b32 s84, exec_lo
	s_delay_alu instid0(VALU_DEP_2)
	v_cmpx_gt_u64_e64 s[10:11], v[4:5]
	s_cbranch_execz .LBB225_112
; %bb.115:                              ;   in Loop: Header=BB225_114 Depth=2
	ds_load_u16 v6, v2
	s_wait_dscnt 0x0
	v_cmp_lt_i16_e32 vcc_lo, -1, v6
	v_and_b32_e32 v7, 0xffff, v6
	v_dual_cndmask_b32 v8, 0xffff, v52 :: v_dual_lshlrev_b32 v9, 16, v6
	s_delay_alu instid0(VALU_DEP_1) | instskip(NEXT) | instid1(VALU_DEP_2)
	v_cmp_o_f32_e32 vcc_lo, v9, v9
	v_xor_b32_e32 v7, v8, v7
	s_delay_alu instid0(VALU_DEP_1) | instskip(NEXT) | instid1(VALU_DEP_1)
	v_cndmask_b32_e32 v7, 0xffff, v7, vcc_lo
	v_and_b32_e32 v7, v7, v11
	s_delay_alu instid0(VALU_DEP_1)
	v_cmp_eq_u32_e32 vcc_lo, v7, v10
	s_and_b32 exec_lo, exec_lo, vcc_lo
	s_cbranch_execz .LBB225_112
; %bb.116:                              ;   in Loop: Header=BB225_114 Depth=2
	v_perm_b32 v6, v6, s53, 0x5040100
	ds_store_b32 v3, v6 offset:3072
	s_branch .LBB225_112
.LBB225_117:                            ;   in Loop: Header=BB225_114 Depth=2
	v_add_nc_u64_e32 v[4:5], s[40:41], v[4:5]
	v_add_nc_u32_e32 v2, vcc_hi, v2
	s_mov_b32 s87, 0
	s_delay_alu instid0(VALU_DEP_2)
	v_cmp_le_u64_e32 vcc_lo, s[20:21], v[4:5]
	s_or_not1_b32 s84, vcc_lo, exec_lo
	s_branch .LBB225_113
.LBB225_118:                            ;   in Loop: Header=BB225_31 Depth=1
	s_or_b32 exec_lo, exec_lo, s11
	s_wait_dscnt 0x0
	s_barrier_signal -1
	s_barrier_wait -1
	s_and_saveexec_b32 s9, s5
	s_cbranch_execz .LBB225_120
; %bb.119:                              ;   in Loop: Header=BB225_31 Depth=1
	ds_load_b32 v4, v3 offset:5144
	s_wait_dscnt 0x0
	v_ashrrev_i32_e32 v5, 31, v4
	ds_store_b64 v3, v[4:5] offset:5120
.LBB225_120:                            ;   in Loop: Header=BB225_31 Depth=1
	s_or_b32 exec_lo, exec_lo, s9
	s_wait_dscnt 0x0
	s_barrier_signal -1
	s_mov_b32 s9, -1
	s_barrier_wait -1
	s_and_b32 vcc_lo, exec_lo, s3
	s_cbranch_vccnz .LBB225_46
	s_branch .LBB225_61
.LBB225_121:                            ;   in Loop: Header=BB225_31 Depth=1
	s_or_b32 exec_lo, exec_lo, s3
	v_lshrrev_b32_e32 v8, 16, v6
	s_and_b32 s3, s28, exec_lo
.LBB225_122:                            ;   in Loop: Header=BB225_31 Depth=1
	s_or_b32 exec_lo, exec_lo, s23
.LBB225_123:                            ;   in Loop: Header=BB225_31 Depth=1
	s_delay_alu instid0(SALU_CYCLE_1)
	s_and_b32 vcc_lo, exec_lo, s22
	s_cbranch_vccz .LBB225_137
; %bb.124:                              ;   in Loop: Header=BB225_31 Depth=1
	s_and_b64 s[10:11], s[66:67], 0xffffffff00000000
	s_delay_alu instid0(SALU_CYCLE_1)
	s_cmp_lg_u64 s[10:11], 0
	s_cbranch_scc0 .LBB225_165
; %bb.125:                              ;   in Loop: Header=BB225_31 Depth=1
	s_cvt_f32_u32 s10, s40
	s_sub_nc_u64 s[20:21], 0, s[40:41]
	s_delay_alu instid0(SALU_CYCLE_2) | instskip(NEXT) | instid1(SALU_CYCLE_3)
	s_fmamk_f32 s10, s52, 0x0, s10
	v_s_rcp_f32 s10, s10
	s_delay_alu instid0(TRANS32_DEP_1) | instskip(NEXT) | instid1(SALU_CYCLE_3)
	s_mul_f32 s10, s10, 0x5f7ffffc
	s_mul_f32 s11, s10, 0x2f800000
	s_delay_alu instid0(SALU_CYCLE_3) | instskip(NEXT) | instid1(SALU_CYCLE_3)
	s_trunc_f32 s11, s11
	s_fmamk_f32 s10, s11, 0xcf800000, s10
	s_cvt_u32_f32 s11, s11
	s_delay_alu instid0(SALU_CYCLE_2) | instskip(NEXT) | instid1(SALU_CYCLE_3)
	s_cvt_u32_f32 s10, s10
	s_mul_u64 s[22:23], s[20:21], s[10:11]
	s_delay_alu instid0(SALU_CYCLE_1)
	s_mul_hi_u32 s77, s10, s23
	s_mul_i32 s76, s10, s23
	s_mul_hi_u32 s28, s10, s22
	s_mul_i32 s79, s11, s22
	s_add_nc_u64 s[76:77], s[28:29], s[76:77]
	s_mul_hi_u32 s78, s11, s22
	s_mul_hi_u32 s84, s11, s23
	s_mul_i32 s22, s11, s23
	s_add_co_u32 s23, s76, s79
	s_add_co_ci_u32 s28, s77, s78
	s_add_co_ci_u32 s23, s84, 0
	s_delay_alu instid0(SALU_CYCLE_1) | instskip(NEXT) | instid1(SALU_CYCLE_1)
	s_add_nc_u64 s[22:23], s[28:29], s[22:23]
	s_add_co_u32 s10, s10, s22
	s_cselect_b32 s22, -1, 0
	s_delay_alu instid0(SALU_CYCLE_1) | instskip(SKIP_1) | instid1(SALU_CYCLE_1)
	s_cmp_lg_u32 s22, 0
	s_add_co_ci_u32 s11, s11, s23
	s_mul_u64 s[20:21], s[20:21], s[10:11]
	s_delay_alu instid0(SALU_CYCLE_1)
	s_mul_hi_u32 s23, s10, s21
	s_mul_i32 s22, s10, s21
	s_mul_hi_u32 s28, s10, s20
	s_mul_i32 s77, s11, s20
	s_add_nc_u64 s[22:23], s[28:29], s[22:23]
	s_mul_hi_u32 s76, s11, s20
	s_mul_hi_u32 s78, s11, s21
	s_mul_i32 s20, s11, s21
	s_add_co_u32 s21, s22, s77
	s_add_co_ci_u32 s28, s23, s76
	s_add_co_ci_u32 s21, s78, 0
	s_delay_alu instid0(SALU_CYCLE_1) | instskip(NEXT) | instid1(SALU_CYCLE_1)
	s_add_nc_u64 s[20:21], s[28:29], s[20:21]
	s_add_co_u32 s10, s10, s20
	s_cselect_b32 s20, -1, 0
	s_mul_hi_u32 s28, s66, s10
	s_cmp_lg_u32 s20, 0
	s_mul_hi_u32 s22, s67, s10
	s_add_co_ci_u32 s20, s11, s21
	s_mul_i32 s21, s67, s10
	s_mul_hi_u32 s11, s66, s20
	s_mul_i32 s10, s66, s20
	s_mul_hi_u32 s23, s67, s20
	s_add_nc_u64 s[10:11], s[28:29], s[10:11]
	s_mul_i32 s20, s67, s20
	s_add_co_u32 s10, s10, s21
	s_add_co_ci_u32 s28, s11, s22
	s_add_co_ci_u32 s21, s23, 0
	s_delay_alu instid0(SALU_CYCLE_1) | instskip(NEXT) | instid1(SALU_CYCLE_1)
	s_add_nc_u64 s[10:11], s[28:29], s[20:21]
	s_and_b64 s[20:21], s[10:11], 0xffffffff00000000
	s_delay_alu instid0(SALU_CYCLE_1) | instskip(NEXT) | instid1(SALU_CYCLE_1)
	s_or_b32 s20, s20, s10
	s_mul_u64 s[10:11], s[40:41], s[20:21]
	s_delay_alu instid0(SALU_CYCLE_1) | instskip(SKIP_1) | instid1(SALU_CYCLE_1)
	s_sub_co_u32 s10, s66, s10
	s_cselect_b32 s20, -1, 0
	s_cmp_lg_u32 s20, 0
	s_sub_co_ci_u32 s11, s67, s11
	s_sub_co_u32 s20, s10, s40
	s_cselect_b32 s21, -1, 0
	s_delay_alu instid0(SALU_CYCLE_1) | instskip(SKIP_3) | instid1(SALU_CYCLE_1)
	s_cmp_lg_u32 s21, 0
	s_sub_co_ci_u32 s21, s11, 0
	s_sub_co_u32 s22, s20, s40
	s_cselect_b32 s23, -1, 0
	s_cmp_lg_u32 s23, 0
	s_sub_co_ci_u32 s23, s21, 0
	s_cmp_ge_u32 s20, s40
	s_cselect_b32 s28, -1, 0
	s_cmp_eq_u32 s21, 0
	s_cselect_b32 s28, s28, -1
	s_delay_alu instid0(SALU_CYCLE_1)
	s_cmp_lg_u32 s28, 0
	s_cselect_b32 s21, s23, s21
	s_cselect_b32 s20, s22, s20
	s_cmp_ge_u32 s10, s40
	s_cselect_b32 s22, -1, 0
	s_cmp_eq_u32 s11, 0
	s_cselect_b32 s22, s22, -1
	s_delay_alu instid0(SALU_CYCLE_1)
	s_cmp_lg_u32 s22, 0
	s_cselect_b32 s11, s21, s11
	s_cselect_b32 s10, s20, s10
	s_cbranch_execnz .LBB225_127
.LBB225_126:                            ;   in Loop: Header=BB225_31 Depth=1
	v_cvt_f32_u32_e32 v2, s40
	s_sub_co_i32 s11, 0, s40
	s_delay_alu instid0(VALU_DEP_1) | instskip(SKIP_1) | instid1(TRANS32_DEP_1)
	v_rcp_iflag_f32_e32 v2, v2
	v_nop
	v_mul_f32_e32 v2, 0x4f7ffffe, v2
	s_delay_alu instid0(VALU_DEP_1) | instskip(NEXT) | instid1(VALU_DEP_1)
	v_cvt_u32_f32_e32 v2, v2
	v_readfirstlane_b32 s10, v2
	s_mul_i32 s11, s11, s10
	s_delay_alu instid0(SALU_CYCLE_1) | instskip(NEXT) | instid1(SALU_CYCLE_1)
	s_mul_hi_u32 s11, s10, s11
	s_add_co_i32 s10, s10, s11
	s_delay_alu instid0(SALU_CYCLE_1) | instskip(NEXT) | instid1(SALU_CYCLE_1)
	s_mul_hi_u32 s10, s66, s10
	s_mul_i32 s10, s10, s40
	s_delay_alu instid0(SALU_CYCLE_1) | instskip(NEXT) | instid1(SALU_CYCLE_1)
	s_sub_co_i32 s10, s66, s10
	s_sub_co_i32 s11, s10, s40
	s_cmp_ge_u32 s10, s40
	s_cselect_b32 s10, s11, s10
	s_delay_alu instid0(SALU_CYCLE_1) | instskip(SKIP_2) | instid1(SALU_CYCLE_1)
	s_sub_co_i32 s11, s10, s40
	s_cmp_ge_u32 s10, s40
	s_cselect_b32 s28, s11, s10
	s_mov_b64 s[10:11], s[28:29]
.LBB225_127:                            ;   in Loop: Header=BB225_31 Depth=1
	s_delay_alu instid0(SALU_CYCLE_1)
	s_sub_nc_u64 s[10:11], s[66:67], s[10:11]
	s_mov_b32 s20, exec_lo
                                        ; implicit-def: $vgpr8
	v_nop
	v_cmpx_gt_u64_e64 s[10:11], v[0:1]
	s_cbranch_execz .LBB225_136
; %bb.128:                              ;   in Loop: Header=BB225_31 Depth=1
	v_mov_b64_e32 v[4:5], v[30:31]
	v_mov_b64_e32 v[6:7], v[0:1]
	s_mov_b32 s21, 0
                                        ; implicit-def: $sgpr22
	s_branch .LBB225_131
.LBB225_129:                            ;   in Loop: Header=BB225_131 Depth=2
	s_or_b32 exec_lo, exec_lo, s23
	s_wait_dscnt 0x0
	s_barrier_signal -1
	s_barrier_wait -1
	ds_load_b32 v2, v3 offset:3072
	s_mov_b32 s23, -1
	s_mov_b32 s28, -1
	s_wait_dscnt 0x0
	s_barrier_signal -1
	s_barrier_wait -1
	v_and_b32_e32 v8, 0x7fff, v2
	s_delay_alu instid0(VALU_DEP_1)
	v_cmp_ne_u32_e32 vcc_lo, 0, v8
	s_cbranch_vccz .LBB225_134
.LBB225_130:                            ;   in Loop: Header=BB225_131 Depth=2
	s_and_b32 s23, exec_lo, s23
	s_delay_alu instid0(SALU_CYCLE_1) | instskip(SKIP_2) | instid1(SALU_CYCLE_1)
	s_or_b32 s21, s23, s21
	s_and_not1_b32 s22, s22, exec_lo
	s_and_b32 s23, s28, exec_lo
	s_or_b32 s22, s22, s23
	s_and_not1_b32 exec_lo, exec_lo, s21
	s_cbranch_execz .LBB225_135
.LBB225_131:                            ;   Parent Loop BB225_31 Depth=1
                                        ; =>  This Inner Loop Header: Depth=2
	s_mov_b32 s23, exec_lo
	s_delay_alu instid0(VALU_DEP_1)
	v_cmpx_gt_u64_e64 s[36:37], v[6:7]
	s_cbranch_execz .LBB225_129
; %bb.132:                              ;   in Loop: Header=BB225_131 Depth=2
	global_load_u16 v2, v[4:5], off
	s_wait_loadcnt 0x0
	v_cmp_lt_i16_e32 vcc_lo, -1, v2
	v_and_b32_e32 v8, 0xffff, v2
	v_dual_cndmask_b32 v9, 0xffff, v52 :: v_dual_lshlrev_b32 v34, 16, v2
	s_delay_alu instid0(VALU_DEP_1) | instskip(NEXT) | instid1(VALU_DEP_2)
	v_cmp_o_f32_e32 vcc_lo, v34, v34
	v_xor_b32_e32 v8, v9, v8
	s_delay_alu instid0(VALU_DEP_1) | instskip(NEXT) | instid1(VALU_DEP_1)
	v_cndmask_b32_e32 v8, 0xffff, v8, vcc_lo
	v_and_b32_e32 v8, v8, v11
	s_delay_alu instid0(VALU_DEP_1)
	v_cmp_eq_u32_e32 vcc_lo, v8, v10
	s_and_b32 exec_lo, exec_lo, vcc_lo
	s_cbranch_execz .LBB225_129
; %bb.133:                              ;   in Loop: Header=BB225_131 Depth=2
	v_perm_b32 v2, v2, s53, 0x5040100
	ds_store_b32 v3, v2 offset:3072
	s_branch .LBB225_129
.LBB225_134:                            ;   in Loop: Header=BB225_131 Depth=2
	v_add_nc_u64_e32 v[6:7], s[40:41], v[6:7]
	v_add_nc_u64_e32 v[4:5], s[44:45], v[4:5]
	s_mov_b32 s28, 0
	s_delay_alu instid0(VALU_DEP_2)
	v_cmp_le_u64_e32 vcc_lo, s[10:11], v[6:7]
	s_or_not1_b32 s23, vcc_lo, exec_lo
	s_branch .LBB225_130
.LBB225_135:                            ;   in Loop: Header=BB225_31 Depth=1
	s_or_b32 exec_lo, exec_lo, s21
	v_lshrrev_b32_e32 v8, 16, v2
	s_and_not1_b32 s3, s3, exec_lo
	s_and_b32 s10, s22, exec_lo
	s_delay_alu instid0(SALU_CYCLE_1)
	s_or_b32 s3, s3, s10
.LBB225_136:                            ;   in Loop: Header=BB225_31 Depth=1
	s_or_b32 exec_lo, exec_lo, s20
	s_mov_b32 s85, 0
	s_mov_b32 s86, -1
.LBB225_137:                            ;   in Loop: Header=BB225_31 Depth=1
	s_or_not1_b32 s3, s3, exec_lo
.LBB225_138:                            ;   in Loop: Header=BB225_31 Depth=1
	s_or_b32 exec_lo, exec_lo, s27
	s_mov_b32 s87, 0
	s_mov_b32 s84, 0
	;; [unrolled: 1-line block ×3, first 2 shown]
                                        ; implicit-def: $vgpr4_vgpr5
                                        ; implicit-def: $vgpr2
	s_and_saveexec_b32 s88, s3
	s_cbranch_execz .LBB225_296
; %bb.139:                              ;   in Loop: Header=BB225_31 Depth=1
	v_mov_b64_e32 v[4:5], 1
	v_mov_b32_e32 v2, 1
	s_xor_b32 s11, s89, -1
	s_mov_b32 s10, 0
	s_and_saveexec_b32 s3, s11
	s_cbranch_execz .LBB225_148
; %bb.140:                              ;   in Loop: Header=BB225_31 Depth=1
	s_mov_b32 s10, exec_lo
	v_cmpx_ge_u64_e64 s[12:13], v[32:33]
	s_xor_b32 s10, exec_lo, s10
	s_cbranch_execz .LBB225_145
; %bb.141:                              ;   in Loop: Header=BB225_31 Depth=1
	ds_load_b64 v[4:5], v3 offset:5120
	v_and_b32_e32 v10, s25, v10
	v_or_b32_e32 v11, s24, v11
	s_wait_dscnt 0x0
	v_cmp_ne_u64_e32 vcc_lo, 0, v[4:5]
	s_cbranch_vccnz .LBB225_145
; %bb.142:                              ;   in Loop: Header=BB225_31 Depth=1
	s_and_saveexec_b32 s11, s5
; %bb.143:                              ;   in Loop: Header=BB225_31 Depth=1
	v_mov_b64_e32 v[4:5], s[12:13]
	ds_store_b64 v3, v[4:5] offset:5128
; %bb.144:                              ;   in Loop: Header=BB225_31 Depth=1
	s_or_b32 exec_lo, exec_lo, s11
	s_wait_dscnt 0x0
	s_barrier_signal -1
	s_barrier_wait -1
.LBB225_145:                            ;   in Loop: Header=BB225_31 Depth=1
	s_or_saveexec_b32 s10, s10
	v_mov_b64_e32 v[4:5], v[32:33]
	v_mov_b32_e32 v2, 8
	s_mov_b32 s11, 0
	s_xor_b32 exec_lo, exec_lo, s10
; %bb.146:                              ;   in Loop: Header=BB225_31 Depth=1
	v_sub_nc_u64_e64 v[4:5], v[32:33], s[12:13]
	v_mov_b32_e32 v2, 0
	s_mov_b32 s11, exec_lo
; %bb.147:                              ;   in Loop: Header=BB225_31 Depth=1
	s_or_b32 exec_lo, exec_lo, s10
	s_delay_alu instid0(SALU_CYCLE_1)
	s_and_b32 s10, s11, exec_lo
.LBB225_148:                            ;   in Loop: Header=BB225_31 Depth=1
	s_or_b32 exec_lo, exec_lo, s3
	s_mov_b32 s3, -1
                                        ; implicit-def: $sgpr84
                                        ; implicit-def: $sgpr89
	s_and_saveexec_b32 s11, s10
	s_delay_alu instid0(SALU_CYCLE_1)
	s_xor_b32 s27, exec_lo, s11
	s_cbranch_execz .LBB225_293
; %bb.149:                              ;   in Loop: Header=BB225_31 Depth=1
	v_cmp_eq_u64_e32 vcc_lo, 1, v[4:5]
	s_cmp_eq_u64 s[14:15], 1
                                        ; implicit-def: $sgpr89
                                        ; implicit-def: $sgpr84
	s_cselect_b32 s3, -1, 0
	s_delay_alu instid0(SALU_CYCLE_1)
	s_and_b32 s91, s3, vcc_lo
	s_mov_b32 s3, -1
	s_and_saveexec_b32 s90, s91
	s_cbranch_execz .LBB225_183
; %bb.150:                              ;   in Loop: Header=BB225_31 Depth=1
	ds_load_b64 v[6:7], v3 offset:5120
	s_wait_dscnt 0x0
	s_barrier_signal -1
	s_barrier_wait -1
	v_readfirstlane_b32 s10, v6
	v_readfirstlane_b32 s11, v7
	s_and_saveexec_b32 s3, s6
; %bb.151:                              ;   in Loop: Header=BB225_31 Depth=1
	ds_store_b16 v47, v3
; %bb.152:                              ;   in Loop: Header=BB225_31 Depth=1
	s_or_b32 exec_lo, exec_lo, s3
	s_lshl_b32 s3, 1, s54
	v_or_b32_e32 v11, s24, v11
	v_and_or_b32 v10, v10, s25, s3
	s_mov_b32 s84, -1
	s_mov_b32 s89, 0
	s_cmp_eq_u64 s[10:11], 0
	s_mov_b32 s3, 0
	s_mov_b32 s22, -1
	s_wait_dscnt 0x0
	s_barrier_signal -1
	s_barrier_wait -1
                                        ; implicit-def: $vgpr8
	s_cbranch_scc1 .LBB225_168
; %bb.153:                              ;   in Loop: Header=BB225_31 Depth=1
	s_add_nc_u64 s[20:21], s[10:11], s[64:65]
	s_delay_alu instid0(SALU_CYCLE_1) | instskip(NEXT) | instid1(SALU_CYCLE_1)
	s_and_b64 s[22:23], s[20:21], 0xffffffff00000000
	s_cmp_lg_u64 s[22:23], 0
	s_cbranch_scc0 .LBB225_209
; %bb.154:                              ;   in Loop: Header=BB225_31 Depth=1
	s_cvt_f32_u32 s3, s40
	s_sub_nc_u64 s[92:93], 0, s[40:41]
	s_delay_alu instid0(SALU_CYCLE_2) | instskip(NEXT) | instid1(SALU_CYCLE_3)
	s_fmamk_f32 s3, s52, 0x0, s3
	v_s_rcp_f32 s3, s3
	s_delay_alu instid0(TRANS32_DEP_1) | instskip(NEXT) | instid1(SALU_CYCLE_3)
	s_mul_f32 s3, s3, 0x5f7ffffc
	s_mul_f32 s22, s3, 0x2f800000
	s_delay_alu instid0(SALU_CYCLE_3) | instskip(NEXT) | instid1(SALU_CYCLE_3)
	s_trunc_f32 s22, s22
	s_fmamk_f32 s3, s22, 0xcf800000, s3
	s_cvt_u32_f32 s23, s22
	s_delay_alu instid0(SALU_CYCLE_2) | instskip(NEXT) | instid1(SALU_CYCLE_3)
	s_cvt_u32_f32 s22, s3
	s_mul_u64 s[94:95], s[92:93], s[22:23]
	s_delay_alu instid0(SALU_CYCLE_1)
	s_mul_hi_u32 s97, s22, s95
	s_mul_i32 s96, s22, s95
	s_mul_hi_u32 s28, s22, s94
	s_mul_i32 s76, s23, s94
	s_add_nc_u64 s[96:97], s[28:29], s[96:97]
	s_mul_hi_u32 s3, s23, s94
	s_mul_hi_u32 s77, s23, s95
	s_add_co_u32 s28, s96, s76
	s_add_co_ci_u32 s28, s97, s3
	s_mul_i32 s94, s23, s95
	s_add_co_ci_u32 s95, s77, 0
	s_delay_alu instid0(SALU_CYCLE_1) | instskip(NEXT) | instid1(SALU_CYCLE_1)
	s_add_nc_u64 s[94:95], s[28:29], s[94:95]
	s_add_co_u32 s22, s22, s94
	s_cselect_b32 s3, -1, 0
	s_delay_alu instid0(SALU_CYCLE_1) | instskip(SKIP_1) | instid1(SALU_CYCLE_1)
	s_cmp_lg_u32 s3, 0
	s_add_co_ci_u32 s23, s23, s95
	s_mul_u64 s[92:93], s[92:93], s[22:23]
	s_delay_alu instid0(SALU_CYCLE_1)
	s_mul_hi_u32 s95, s22, s93
	s_mul_i32 s94, s22, s93
	s_mul_hi_u32 s28, s22, s92
	s_mul_i32 s76, s23, s92
	s_add_nc_u64 s[94:95], s[28:29], s[94:95]
	s_mul_hi_u32 s3, s23, s92
	s_mul_hi_u32 s77, s23, s93
	s_add_co_u32 s28, s94, s76
	s_add_co_ci_u32 s28, s95, s3
	s_mul_i32 s92, s23, s93
	s_add_co_ci_u32 s93, s77, 0
	s_delay_alu instid0(SALU_CYCLE_1) | instskip(NEXT) | instid1(SALU_CYCLE_1)
	s_add_nc_u64 s[92:93], s[28:29], s[92:93]
	s_add_co_u32 s3, s22, s92
	s_cselect_b32 s22, -1, 0
	s_mul_hi_u32 s28, s20, s3
	s_cmp_lg_u32 s22, 0
	s_mul_hi_u32 s76, s21, s3
	s_add_co_ci_u32 s77, s23, s93
	s_mul_i32 s3, s21, s3
	s_mul_hi_u32 s23, s20, s77
	s_mul_i32 s22, s20, s77
	s_mul_hi_u32 s78, s21, s77
	s_add_nc_u64 s[22:23], s[28:29], s[22:23]
	s_mul_i32 s92, s21, s77
	s_add_co_u32 s3, s22, s3
	s_add_co_ci_u32 s28, s23, s76
	s_add_co_ci_u32 s93, s78, 0
	s_delay_alu instid0(SALU_CYCLE_1) | instskip(NEXT) | instid1(SALU_CYCLE_1)
	s_add_nc_u64 s[22:23], s[28:29], s[92:93]
	s_and_b64 s[92:93], s[22:23], 0xffffffff00000000
	s_delay_alu instid0(SALU_CYCLE_1) | instskip(NEXT) | instid1(SALU_CYCLE_1)
	s_or_b32 s92, s92, s22
	s_mul_u64 s[22:23], s[40:41], s[92:93]
	s_delay_alu instid0(SALU_CYCLE_1) | instskip(SKIP_1) | instid1(SALU_CYCLE_1)
	s_sub_co_u32 s3, s20, s22
	s_cselect_b32 s22, -1, 0
	s_cmp_lg_u32 s22, 0
	s_sub_co_ci_u32 s22, s21, s23
	s_sub_co_u32 s23, s3, s40
	s_cselect_b32 s28, -1, 0
	s_delay_alu instid0(SALU_CYCLE_1) | instskip(SKIP_3) | instid1(SALU_CYCLE_1)
	s_cmp_lg_u32 s28, 0
	s_sub_co_ci_u32 s28, s22, 0
	s_sub_co_u32 s76, s23, s40
	s_cselect_b32 s77, -1, 0
	s_cmp_lg_u32 s77, 0
	s_sub_co_ci_u32 s77, s28, 0
	s_cmp_ge_u32 s23, s40
	s_cselect_b32 s78, -1, 0
	s_cmp_eq_u32 s28, 0
	s_cselect_b32 s78, s78, -1
	s_delay_alu instid0(SALU_CYCLE_1)
	s_cmp_lg_u32 s78, 0
	s_cselect_b32 s28, s77, s28
	s_cselect_b32 s76, s76, s23
	s_cmp_ge_u32 s3, s40
	s_cselect_b32 s23, -1, 0
	s_cmp_eq_u32 s22, 0
	s_cselect_b32 s23, s23, -1
	s_delay_alu instid0(SALU_CYCLE_1)
	s_cmp_lg_u32 s23, 0
	s_cselect_b32 s23, s28, s22
	s_cselect_b32 s22, s76, s3
	s_cbranch_execnz .LBB225_156
.LBB225_155:                            ;   in Loop: Header=BB225_31 Depth=1
	v_cvt_f32_u32_e32 v6, s40
	s_sub_co_i32 s22, 0, s40
	s_delay_alu instid0(VALU_DEP_1) | instskip(SKIP_1) | instid1(TRANS32_DEP_1)
	v_rcp_iflag_f32_e32 v6, v6
	v_nop
	v_mul_f32_e32 v6, 0x4f7ffffe, v6
	s_delay_alu instid0(VALU_DEP_1) | instskip(NEXT) | instid1(VALU_DEP_1)
	v_cvt_u32_f32_e32 v6, v6
	v_readfirstlane_b32 s3, v6
	s_mul_i32 s22, s22, s3
	s_delay_alu instid0(SALU_CYCLE_1) | instskip(NEXT) | instid1(SALU_CYCLE_1)
	s_mul_hi_u32 s22, s3, s22
	s_add_co_i32 s3, s3, s22
	s_delay_alu instid0(SALU_CYCLE_1) | instskip(NEXT) | instid1(SALU_CYCLE_1)
	s_mul_hi_u32 s3, s20, s3
	s_mul_i32 s3, s3, s40
	s_delay_alu instid0(SALU_CYCLE_1) | instskip(NEXT) | instid1(SALU_CYCLE_1)
	s_sub_co_i32 s3, s20, s3
	s_sub_co_i32 s22, s3, s40
	s_cmp_ge_u32 s3, s40
	s_cselect_b32 s3, s22, s3
	s_delay_alu instid0(SALU_CYCLE_1) | instskip(SKIP_2) | instid1(SALU_CYCLE_1)
	s_sub_co_i32 s22, s3, s40
	s_cmp_ge_u32 s3, s40
	s_cselect_b32 s28, s22, s3
	s_mov_b64 s[22:23], s[28:29]
.LBB225_156:                            ;   in Loop: Header=BB225_31 Depth=1
	s_delay_alu instid0(SALU_CYCLE_1)
	s_sub_nc_u64 s[20:21], s[20:21], s[22:23]
	s_mov_b32 s22, 0
	s_mov_b32 s3, 0
	s_mov_b32 s23, exec_lo
                                        ; implicit-def: $vgpr8
	v_cmpx_gt_u64_e64 s[20:21], v[0:1]
	s_cbranch_execz .LBB225_167
; %bb.157:                              ;   in Loop: Header=BB225_31 Depth=1
	v_mov_b64_e32 v[6:7], v[0:1]
	v_mov_b32_e32 v8, v46
                                        ; implicit-def: $sgpr28
	s_branch .LBB225_160
.LBB225_158:                            ;   in Loop: Header=BB225_160 Depth=2
	s_or_b32 exec_lo, exec_lo, s92
	s_wait_dscnt 0x0
	s_barrier_signal -1
	s_barrier_wait -1
	ds_load_b32 v9, v3 offset:3072
	s_mov_b32 s92, -1
	s_mov_b32 s93, -1
	s_wait_dscnt 0x0
	s_barrier_signal -1
	s_barrier_wait -1
	v_and_b32_e32 v34, 0x7fff, v9
	s_delay_alu instid0(VALU_DEP_1)
	v_cmp_ne_u32_e32 vcc_lo, 0, v34
	s_cbranch_vccz .LBB225_163
.LBB225_159:                            ;   in Loop: Header=BB225_160 Depth=2
	s_and_b32 s76, exec_lo, s92
	s_delay_alu instid0(SALU_CYCLE_1) | instskip(SKIP_2) | instid1(SALU_CYCLE_1)
	s_or_b32 s3, s76, s3
	s_and_not1_b32 s28, s28, exec_lo
	s_and_b32 s76, s93, exec_lo
	s_or_b32 s28, s28, s76
	s_and_not1_b32 exec_lo, exec_lo, s3
	s_cbranch_execz .LBB225_166
.LBB225_160:                            ;   Parent Loop BB225_31 Depth=1
                                        ; =>  This Inner Loop Header: Depth=2
	s_mov_b32 s92, exec_lo
	s_delay_alu instid0(VALU_DEP_2)
	v_cmpx_gt_u64_e64 s[10:11], v[6:7]
	s_cbranch_execz .LBB225_158
; %bb.161:                              ;   in Loop: Header=BB225_160 Depth=2
	ds_load_u16 v9, v8
	s_wait_dscnt 0x0
	v_cmp_lt_i16_e32 vcc_lo, -1, v9
	v_and_b32_e32 v34, 0xffff, v9
	v_dual_cndmask_b32 v35, 0xffff, v52 :: v_dual_lshlrev_b32 v36, 16, v9
	s_delay_alu instid0(VALU_DEP_1) | instskip(NEXT) | instid1(VALU_DEP_2)
	v_cmp_o_f32_e32 vcc_lo, v36, v36
	v_xor_b32_e32 v34, v35, v34
	s_delay_alu instid0(VALU_DEP_1) | instskip(NEXT) | instid1(VALU_DEP_1)
	v_cndmask_b32_e32 v34, 0xffff, v34, vcc_lo
	v_and_b32_e32 v34, v34, v11
	s_delay_alu instid0(VALU_DEP_1)
	v_cmp_eq_u32_e32 vcc_lo, v34, v10
	s_and_b32 exec_lo, exec_lo, vcc_lo
	s_cbranch_execz .LBB225_158
; %bb.162:                              ;   in Loop: Header=BB225_160 Depth=2
	v_perm_b32 v9, v9, s53, 0x5040100
	ds_store_b32 v3, v9 offset:3072
	s_branch .LBB225_158
.LBB225_163:                            ;   in Loop: Header=BB225_160 Depth=2
	v_add_nc_u64_e32 v[6:7], s[40:41], v[6:7]
	v_add_nc_u32_e32 v8, vcc_hi, v8
	s_mov_b32 s93, 0
	s_delay_alu instid0(VALU_DEP_2)
	v_cmp_le_u64_e32 vcc_lo, s[20:21], v[6:7]
	s_or_not1_b32 s92, vcc_lo, exec_lo
	s_branch .LBB225_159
.LBB225_164:                            ;   in Loop: Header=BB225_31 Depth=1
                                        ; implicit-def: $sgpr22_sgpr23
	s_branch .LBB225_109
.LBB225_165:                            ;   in Loop: Header=BB225_31 Depth=1
                                        ; implicit-def: $sgpr10_sgpr11
	s_branch .LBB225_126
.LBB225_166:                            ;   in Loop: Header=BB225_31 Depth=1
	s_or_b32 exec_lo, exec_lo, s3
	v_lshrrev_b32_e32 v8, 16, v9
	s_and_b32 s3, s28, exec_lo
.LBB225_167:                            ;   in Loop: Header=BB225_31 Depth=1
	s_or_b32 exec_lo, exec_lo, s23
.LBB225_168:                            ;   in Loop: Header=BB225_31 Depth=1
	s_delay_alu instid0(SALU_CYCLE_1)
	s_and_b32 vcc_lo, exec_lo, s22
	s_cbranch_vccz .LBB225_182
; %bb.169:                              ;   in Loop: Header=BB225_31 Depth=1
	s_and_b64 s[10:11], s[66:67], 0xffffffff00000000
	s_delay_alu instid0(SALU_CYCLE_1)
	s_cmp_lg_u64 s[10:11], 0
	s_cbranch_scc0 .LBB225_210
; %bb.170:                              ;   in Loop: Header=BB225_31 Depth=1
	s_cvt_f32_u32 s10, s40
	s_sub_nc_u64 s[20:21], 0, s[40:41]
	s_delay_alu instid0(SALU_CYCLE_2) | instskip(NEXT) | instid1(SALU_CYCLE_3)
	s_fmamk_f32 s10, s52, 0x0, s10
	v_s_rcp_f32 s10, s10
	s_delay_alu instid0(TRANS32_DEP_1) | instskip(NEXT) | instid1(SALU_CYCLE_3)
	s_mul_f32 s10, s10, 0x5f7ffffc
	s_mul_f32 s11, s10, 0x2f800000
	s_delay_alu instid0(SALU_CYCLE_3) | instskip(NEXT) | instid1(SALU_CYCLE_3)
	s_trunc_f32 s11, s11
	s_fmamk_f32 s10, s11, 0xcf800000, s10
	s_cvt_u32_f32 s11, s11
	s_delay_alu instid0(SALU_CYCLE_2) | instskip(NEXT) | instid1(SALU_CYCLE_3)
	s_cvt_u32_f32 s10, s10
	s_mul_u64 s[22:23], s[20:21], s[10:11]
	s_delay_alu instid0(SALU_CYCLE_1)
	s_mul_hi_u32 s93, s10, s23
	s_mul_i32 s92, s10, s23
	s_mul_hi_u32 s28, s10, s22
	s_mul_i32 s77, s11, s22
	s_add_nc_u64 s[92:93], s[28:29], s[92:93]
	s_mul_hi_u32 s76, s11, s22
	s_mul_hi_u32 s78, s11, s23
	s_mul_i32 s22, s11, s23
	s_add_co_u32 s23, s92, s77
	s_add_co_ci_u32 s28, s93, s76
	s_add_co_ci_u32 s23, s78, 0
	s_delay_alu instid0(SALU_CYCLE_1) | instskip(NEXT) | instid1(SALU_CYCLE_1)
	s_add_nc_u64 s[22:23], s[28:29], s[22:23]
	s_add_co_u32 s10, s10, s22
	s_cselect_b32 s22, -1, 0
	s_delay_alu instid0(SALU_CYCLE_1) | instskip(SKIP_1) | instid1(SALU_CYCLE_1)
	s_cmp_lg_u32 s22, 0
	s_add_co_ci_u32 s11, s11, s23
	s_mul_u64 s[20:21], s[20:21], s[10:11]
	s_delay_alu instid0(SALU_CYCLE_1)
	s_mul_hi_u32 s23, s10, s21
	s_mul_i32 s22, s10, s21
	s_mul_hi_u32 s28, s10, s20
	s_mul_i32 s77, s11, s20
	s_add_nc_u64 s[22:23], s[28:29], s[22:23]
	s_mul_hi_u32 s76, s11, s20
	s_mul_hi_u32 s78, s11, s21
	s_mul_i32 s20, s11, s21
	s_add_co_u32 s21, s22, s77
	s_add_co_ci_u32 s28, s23, s76
	s_add_co_ci_u32 s21, s78, 0
	s_delay_alu instid0(SALU_CYCLE_1) | instskip(NEXT) | instid1(SALU_CYCLE_1)
	s_add_nc_u64 s[20:21], s[28:29], s[20:21]
	s_add_co_u32 s10, s10, s20
	s_cselect_b32 s20, -1, 0
	s_mul_hi_u32 s28, s66, s10
	s_cmp_lg_u32 s20, 0
	s_mul_hi_u32 s22, s67, s10
	s_add_co_ci_u32 s20, s11, s21
	s_mul_i32 s21, s67, s10
	s_mul_hi_u32 s11, s66, s20
	s_mul_i32 s10, s66, s20
	s_mul_hi_u32 s23, s67, s20
	s_add_nc_u64 s[10:11], s[28:29], s[10:11]
	s_mul_i32 s20, s67, s20
	s_add_co_u32 s10, s10, s21
	s_add_co_ci_u32 s28, s11, s22
	s_add_co_ci_u32 s21, s23, 0
	s_delay_alu instid0(SALU_CYCLE_1) | instskip(NEXT) | instid1(SALU_CYCLE_1)
	s_add_nc_u64 s[10:11], s[28:29], s[20:21]
	s_and_b64 s[20:21], s[10:11], 0xffffffff00000000
	s_delay_alu instid0(SALU_CYCLE_1) | instskip(NEXT) | instid1(SALU_CYCLE_1)
	s_or_b32 s20, s20, s10
	s_mul_u64 s[10:11], s[40:41], s[20:21]
	s_delay_alu instid0(SALU_CYCLE_1) | instskip(SKIP_1) | instid1(SALU_CYCLE_1)
	s_sub_co_u32 s10, s66, s10
	s_cselect_b32 s20, -1, 0
	s_cmp_lg_u32 s20, 0
	s_sub_co_ci_u32 s11, s67, s11
	s_sub_co_u32 s20, s10, s40
	s_cselect_b32 s21, -1, 0
	s_delay_alu instid0(SALU_CYCLE_1) | instskip(SKIP_3) | instid1(SALU_CYCLE_1)
	s_cmp_lg_u32 s21, 0
	s_sub_co_ci_u32 s21, s11, 0
	s_sub_co_u32 s22, s20, s40
	s_cselect_b32 s23, -1, 0
	s_cmp_lg_u32 s23, 0
	s_sub_co_ci_u32 s23, s21, 0
	s_cmp_ge_u32 s20, s40
	s_cselect_b32 s28, -1, 0
	s_cmp_eq_u32 s21, 0
	s_cselect_b32 s28, s28, -1
	s_delay_alu instid0(SALU_CYCLE_1)
	s_cmp_lg_u32 s28, 0
	s_cselect_b32 s21, s23, s21
	s_cselect_b32 s20, s22, s20
	s_cmp_ge_u32 s10, s40
	s_cselect_b32 s22, -1, 0
	s_cmp_eq_u32 s11, 0
	s_cselect_b32 s22, s22, -1
	s_delay_alu instid0(SALU_CYCLE_1)
	s_cmp_lg_u32 s22, 0
	s_cselect_b32 s11, s21, s11
	s_cselect_b32 s10, s20, s10
	s_cbranch_execnz .LBB225_172
.LBB225_171:                            ;   in Loop: Header=BB225_31 Depth=1
	v_cvt_f32_u32_e32 v6, s40
	s_sub_co_i32 s11, 0, s40
	s_delay_alu instid0(VALU_DEP_1) | instskip(SKIP_1) | instid1(TRANS32_DEP_1)
	v_rcp_iflag_f32_e32 v6, v6
	v_nop
	v_mul_f32_e32 v6, 0x4f7ffffe, v6
	s_delay_alu instid0(VALU_DEP_1) | instskip(NEXT) | instid1(VALU_DEP_1)
	v_cvt_u32_f32_e32 v6, v6
	v_readfirstlane_b32 s10, v6
	s_mul_i32 s11, s11, s10
	s_delay_alu instid0(SALU_CYCLE_1) | instskip(NEXT) | instid1(SALU_CYCLE_1)
	s_mul_hi_u32 s11, s10, s11
	s_add_co_i32 s10, s10, s11
	s_delay_alu instid0(SALU_CYCLE_1) | instskip(NEXT) | instid1(SALU_CYCLE_1)
	s_mul_hi_u32 s10, s66, s10
	s_mul_i32 s10, s10, s40
	s_delay_alu instid0(SALU_CYCLE_1) | instskip(NEXT) | instid1(SALU_CYCLE_1)
	s_sub_co_i32 s10, s66, s10
	s_sub_co_i32 s11, s10, s40
	s_cmp_ge_u32 s10, s40
	s_cselect_b32 s10, s11, s10
	s_delay_alu instid0(SALU_CYCLE_1) | instskip(SKIP_2) | instid1(SALU_CYCLE_1)
	s_sub_co_i32 s11, s10, s40
	s_cmp_ge_u32 s10, s40
	s_cselect_b32 s28, s11, s10
	s_mov_b64 s[10:11], s[28:29]
.LBB225_172:                            ;   in Loop: Header=BB225_31 Depth=1
	s_delay_alu instid0(SALU_CYCLE_1)
	s_sub_nc_u64 s[10:11], s[66:67], s[10:11]
	s_mov_b32 s20, exec_lo
                                        ; implicit-def: $vgpr8
	v_nop
	v_cmpx_gt_u64_e64 s[10:11], v[0:1]
	s_cbranch_execz .LBB225_181
; %bb.173:                              ;   in Loop: Header=BB225_31 Depth=1
	v_mov_b64_e32 v[6:7], v[30:31]
	v_mov_b64_e32 v[8:9], v[0:1]
	s_mov_b32 s21, 0
                                        ; implicit-def: $sgpr22
	s_branch .LBB225_176
.LBB225_174:                            ;   in Loop: Header=BB225_176 Depth=2
	s_or_b32 exec_lo, exec_lo, s23
	s_wait_dscnt 0x0
	s_barrier_signal -1
	s_barrier_wait -1
	ds_load_b32 v34, v3 offset:3072
	s_mov_b32 s23, -1
	s_mov_b32 s28, -1
	s_wait_dscnt 0x0
	s_barrier_signal -1
	s_barrier_wait -1
	v_and_b32_e32 v35, 0x7fff, v34
	s_delay_alu instid0(VALU_DEP_1)
	v_cmp_eq_u32_e32 vcc_lo, 0, v35
	s_cbranch_vccnz .LBB225_179
.LBB225_175:                            ;   in Loop: Header=BB225_176 Depth=2
	s_and_b32 s23, exec_lo, s23
	s_delay_alu instid0(SALU_CYCLE_1) | instskip(SKIP_2) | instid1(SALU_CYCLE_1)
	s_or_b32 s21, s23, s21
	s_and_not1_b32 s22, s22, exec_lo
	s_and_b32 s23, s28, exec_lo
	s_or_b32 s22, s22, s23
	s_and_not1_b32 exec_lo, exec_lo, s21
	s_cbranch_execz .LBB225_180
.LBB225_176:                            ;   Parent Loop BB225_31 Depth=1
                                        ; =>  This Inner Loop Header: Depth=2
	s_mov_b32 s23, exec_lo
	s_delay_alu instid0(VALU_DEP_1)
	v_cmpx_gt_u64_e64 s[36:37], v[8:9]
	s_cbranch_execz .LBB225_174
; %bb.177:                              ;   in Loop: Header=BB225_176 Depth=2
	global_load_u16 v34, v[6:7], off
	s_wait_loadcnt 0x0
	v_cmp_lt_i16_e32 vcc_lo, -1, v34
	v_and_b32_e32 v35, 0xffff, v34
	v_dual_cndmask_b32 v36, 0xffff, v52 :: v_dual_lshlrev_b32 v37, 16, v34
	s_delay_alu instid0(VALU_DEP_1) | instskip(NEXT) | instid1(VALU_DEP_2)
	v_cmp_o_f32_e32 vcc_lo, v37, v37
	v_xor_b32_e32 v35, v36, v35
	s_delay_alu instid0(VALU_DEP_1) | instskip(NEXT) | instid1(VALU_DEP_1)
	v_cndmask_b32_e32 v35, 0xffff, v35, vcc_lo
	v_and_b32_e32 v35, v35, v11
	s_delay_alu instid0(VALU_DEP_1)
	v_cmp_eq_u32_e32 vcc_lo, v35, v10
	s_and_b32 exec_lo, exec_lo, vcc_lo
	s_cbranch_execz .LBB225_174
; %bb.178:                              ;   in Loop: Header=BB225_176 Depth=2
	v_perm_b32 v34, v34, s53, 0x5040100
	ds_store_b32 v3, v34 offset:3072
	s_branch .LBB225_174
.LBB225_179:                            ;   in Loop: Header=BB225_176 Depth=2
	v_add_nc_u64_e32 v[8:9], s[40:41], v[8:9]
	v_add_nc_u64_e32 v[6:7], s[44:45], v[6:7]
	s_mov_b32 s28, 0
	s_delay_alu instid0(VALU_DEP_2)
	v_cmp_le_u64_e32 vcc_lo, s[10:11], v[8:9]
	s_or_not1_b32 s23, vcc_lo, exec_lo
	s_branch .LBB225_175
.LBB225_180:                            ;   in Loop: Header=BB225_31 Depth=1
	s_or_b32 exec_lo, exec_lo, s21
	v_lshrrev_b32_e32 v8, 16, v34
	s_and_not1_b32 s3, s3, exec_lo
	s_and_b32 s10, s22, exec_lo
	s_delay_alu instid0(SALU_CYCLE_1)
	s_or_b32 s3, s3, s10
.LBB225_181:                            ;   in Loop: Header=BB225_31 Depth=1
	s_or_b32 exec_lo, exec_lo, s20
	s_mov_b32 s84, 0
	s_mov_b32 s89, -1
.LBB225_182:                            ;   in Loop: Header=BB225_31 Depth=1
	s_or_not1_b32 s3, s3, exec_lo
.LBB225_183:                            ;   in Loop: Header=BB225_31 Depth=1
	s_or_b32 exec_lo, exec_lo, s90
	s_mov_b32 s10, 0
	s_and_saveexec_b32 s90, s3
	s_cbranch_execz .LBB225_292
; %bb.184:                              ;   in Loop: Header=BB225_31 Depth=1
	v_mov_b64_e32 v[6:7], 1
	v_mov_b32_e32 v2, 1
	s_xor_b32 s11, s91, -1
	s_delay_alu instid0(SALU_CYCLE_1)
	s_and_saveexec_b32 s3, s11
	s_cbranch_execz .LBB225_193
; %bb.185:                              ;   in Loop: Header=BB225_31 Depth=1
	s_mov_b32 s10, exec_lo
	v_cmpx_ge_u64_e64 s[14:15], v[4:5]
	s_xor_b32 s10, exec_lo, s10
	s_cbranch_execz .LBB225_190
; %bb.186:                              ;   in Loop: Header=BB225_31 Depth=1
	ds_load_b64 v[6:7], v3 offset:5120
	s_lshl_b32 s11, 1, s54
	v_or_b32_e32 v11, s24, v11
	v_and_or_b32 v10, v10, s25, s11
	s_wait_dscnt 0x0
	v_cmp_ne_u64_e32 vcc_lo, 0, v[6:7]
	s_cbranch_vccnz .LBB225_190
; %bb.187:                              ;   in Loop: Header=BB225_31 Depth=1
	s_and_saveexec_b32 s11, s5
; %bb.188:                              ;   in Loop: Header=BB225_31 Depth=1
	v_mov_b64_e32 v[6:7], s[14:15]
	ds_store_b64 v3, v[6:7] offset:5128
; %bb.189:                              ;   in Loop: Header=BB225_31 Depth=1
	s_or_b32 exec_lo, exec_lo, s11
	s_wait_dscnt 0x0
	s_barrier_signal -1
	s_barrier_wait -1
.LBB225_190:                            ;   in Loop: Header=BB225_31 Depth=1
	s_or_saveexec_b32 s10, s10
	v_mov_b32_e32 v2, 8
	s_mov_b32 s11, 0
	s_xor_b32 exec_lo, exec_lo, s10
; %bb.191:                              ;   in Loop: Header=BB225_31 Depth=1
	v_sub_nc_u64_e64 v[4:5], v[4:5], s[14:15]
	v_mov_b32_e32 v2, 0
	s_mov_b32 s11, exec_lo
; %bb.192:                              ;   in Loop: Header=BB225_31 Depth=1
	s_or_b32 exec_lo, exec_lo, s10
	s_delay_alu instid0(VALU_DEP_2)
	v_mov_b64_e32 v[6:7], v[4:5]
	s_and_b32 s10, s11, exec_lo
.LBB225_193:                            ;   in Loop: Header=BB225_31 Depth=1
	s_or_b32 exec_lo, exec_lo, s3
	s_mov_b32 s3, -1
                                        ; implicit-def: $sgpr92
                                        ; implicit-def: $sgpr93
	s_and_saveexec_b32 s91, s10
	s_cbranch_execz .LBB225_291
; %bb.194:                              ;   in Loop: Header=BB225_31 Depth=1
	s_delay_alu instid0(VALU_DEP_1) | instskip(SKIP_2) | instid1(SALU_CYCLE_1)
	v_cmp_eq_u64_e32 vcc_lo, 1, v[6:7]
	s_cmp_eq_u64 s[16:17], 1
                                        ; implicit-def: $sgpr93
                                        ; implicit-def: $sgpr92
	s_cselect_b32 s3, -1, 0
	s_and_b32 s95, s3, vcc_lo
	s_mov_b32 s3, -1
	s_and_saveexec_b32 s94, s95
	s_cbranch_execz .LBB225_228
; %bb.195:                              ;   in Loop: Header=BB225_31 Depth=1
	ds_load_b64 v[4:5], v3 offset:5120
	s_wait_dscnt 0x0
	s_barrier_signal -1
	s_barrier_wait -1
	v_readfirstlane_b32 s10, v4
	v_readfirstlane_b32 s11, v5
	s_and_saveexec_b32 s3, s6
; %bb.196:                              ;   in Loop: Header=BB225_31 Depth=1
	ds_store_b16 v47, v3
; %bb.197:                              ;   in Loop: Header=BB225_31 Depth=1
	s_or_b32 exec_lo, exec_lo, s3
	s_lshl_b32 s3, 2, s54
	v_or_b32_e32 v11, s24, v11
	v_and_or_b32 v10, v10, s25, s3
	s_mov_b32 s92, -1
	s_mov_b32 s93, 0
	s_cmp_eq_u64 s[10:11], 0
	s_mov_b32 s3, 0
	s_mov_b32 s22, -1
	s_wait_dscnt 0x0
	s_barrier_signal -1
	s_barrier_wait -1
                                        ; implicit-def: $vgpr8
	s_cbranch_scc1 .LBB225_213
; %bb.198:                              ;   in Loop: Header=BB225_31 Depth=1
	s_add_nc_u64 s[20:21], s[10:11], s[64:65]
	s_mov_b32 s104, s102
	s_and_b64 s[22:23], s[20:21], 0xffffffff00000000
	s_delay_alu instid0(SALU_CYCLE_1)
	s_cmp_lg_u64 s[22:23], 0
	s_cbranch_scc0 .LBB225_245
; %bb.199:                              ;   in Loop: Header=BB225_31 Depth=1
	s_cvt_f32_u32 s3, s40
	s_sub_nc_u64 s[96:97], 0, s[40:41]
	s_delay_alu instid0(SALU_CYCLE_2) | instskip(NEXT) | instid1(SALU_CYCLE_3)
	s_fmamk_f32 s3, s52, 0x0, s3
	v_s_rcp_f32 s3, s3
	s_delay_alu instid0(TRANS32_DEP_1) | instskip(NEXT) | instid1(SALU_CYCLE_3)
	s_mul_f32 s3, s3, 0x5f7ffffc
	s_mul_f32 s22, s3, 0x2f800000
	s_delay_alu instid0(SALU_CYCLE_3) | instskip(NEXT) | instid1(SALU_CYCLE_3)
	s_trunc_f32 s22, s22
	s_fmamk_f32 s3, s22, 0xcf800000, s3
	s_cvt_u32_f32 s23, s22
	s_delay_alu instid0(SALU_CYCLE_2) | instskip(NEXT) | instid1(SALU_CYCLE_3)
	s_cvt_u32_f32 s22, s3
	s_mul_u64 s[78:79], s[96:97], s[22:23]
	s_delay_alu instid0(SALU_CYCLE_1)
	s_mul_hi_u32 s77, s22, s79
	s_mul_i32 s76, s22, s79
	s_mul_hi_u32 s28, s22, s78
	s_mul_i32 s101, s23, s78
	s_add_nc_u64 s[76:77], s[28:29], s[76:77]
	s_mul_hi_u32 s3, s23, s78
	s_mul_hi_u32 s102, s23, s79
	s_add_co_u32 s28, s76, s101
	s_add_co_ci_u32 s28, s77, s3
	s_mul_i32 s78, s23, s79
	s_add_co_ci_u32 s79, s102, 0
	s_delay_alu instid0(SALU_CYCLE_1) | instskip(NEXT) | instid1(SALU_CYCLE_1)
	s_add_nc_u64 s[76:77], s[28:29], s[78:79]
	s_add_co_u32 s22, s22, s76
	s_cselect_b32 s3, -1, 0
	s_delay_alu instid0(SALU_CYCLE_1) | instskip(SKIP_1) | instid1(SALU_CYCLE_1)
	s_cmp_lg_u32 s3, 0
	s_add_co_ci_u32 s23, s23, s77
	s_mul_u64 s[76:77], s[96:97], s[22:23]
	s_delay_alu instid0(SALU_CYCLE_1)
	s_mul_hi_u32 s79, s22, s77
	s_mul_i32 s78, s22, s77
	s_mul_hi_u32 s28, s22, s76
	s_mul_i32 s96, s23, s76
	s_add_nc_u64 s[78:79], s[28:29], s[78:79]
	s_mul_hi_u32 s3, s23, s76
	s_mul_hi_u32 s97, s23, s77
	s_add_co_u32 s28, s78, s96
	s_add_co_ci_u32 s28, s79, s3
	s_mul_i32 s76, s23, s77
	s_add_co_ci_u32 s77, s97, 0
	s_delay_alu instid0(SALU_CYCLE_1) | instskip(NEXT) | instid1(SALU_CYCLE_1)
	s_add_nc_u64 s[76:77], s[28:29], s[76:77]
	s_add_co_u32 s3, s22, s76
	s_cselect_b32 s22, -1, 0
	s_mul_hi_u32 s28, s20, s3
	s_cmp_lg_u32 s22, 0
	s_mul_hi_u32 s78, s21, s3
	s_add_co_ci_u32 s76, s23, s77
	s_mul_i32 s3, s21, s3
	s_mul_hi_u32 s23, s20, s76
	s_mul_i32 s22, s20, s76
	s_mul_hi_u32 s77, s21, s76
	s_add_nc_u64 s[22:23], s[28:29], s[22:23]
	s_mul_i32 s76, s21, s76
	s_add_co_u32 s3, s22, s3
	s_add_co_ci_u32 s28, s23, s78
	s_add_co_ci_u32 s77, s77, 0
	s_delay_alu instid0(SALU_CYCLE_1) | instskip(NEXT) | instid1(SALU_CYCLE_1)
	s_add_nc_u64 s[22:23], s[28:29], s[76:77]
	s_and_b64 s[76:77], s[22:23], 0xffffffff00000000
	s_delay_alu instid0(SALU_CYCLE_1) | instskip(NEXT) | instid1(SALU_CYCLE_1)
	s_or_b32 s76, s76, s22
	s_mul_u64 s[22:23], s[40:41], s[76:77]
	s_delay_alu instid0(SALU_CYCLE_1) | instskip(SKIP_1) | instid1(SALU_CYCLE_1)
	s_sub_co_u32 s3, s20, s22
	s_cselect_b32 s22, -1, 0
	s_cmp_lg_u32 s22, 0
	s_sub_co_ci_u32 s22, s21, s23
	s_sub_co_u32 s23, s3, s40
	s_cselect_b32 s28, -1, 0
	s_delay_alu instid0(SALU_CYCLE_1) | instskip(SKIP_3) | instid1(SALU_CYCLE_1)
	s_cmp_lg_u32 s28, 0
	s_sub_co_ci_u32 s28, s22, 0
	s_sub_co_u32 s76, s23, s40
	s_cselect_b32 s77, -1, 0
	s_cmp_lg_u32 s77, 0
	s_sub_co_ci_u32 s77, s28, 0
	s_cmp_ge_u32 s23, s40
	s_cselect_b32 s78, -1, 0
	s_cmp_eq_u32 s28, 0
	s_cselect_b32 s78, s78, -1
	s_delay_alu instid0(SALU_CYCLE_1)
	s_cmp_lg_u32 s78, 0
	s_cselect_b32 s28, s77, s28
	s_cselect_b32 s76, s76, s23
	s_cmp_ge_u32 s3, s40
	s_cselect_b32 s23, -1, 0
	s_cmp_eq_u32 s22, 0
	s_cselect_b32 s23, s23, -1
	s_delay_alu instid0(SALU_CYCLE_1)
	s_cmp_lg_u32 s23, 0
	s_cselect_b32 s23, s28, s22
	s_cselect_b32 s22, s76, s3
	s_cbranch_execnz .LBB225_201
.LBB225_200:                            ;   in Loop: Header=BB225_31 Depth=1
	v_cvt_f32_u32_e32 v4, s40
	s_sub_co_i32 s22, 0, s40
	s_delay_alu instid0(VALU_DEP_1) | instskip(SKIP_1) | instid1(TRANS32_DEP_1)
	v_rcp_iflag_f32_e32 v4, v4
	v_nop
	v_mul_f32_e32 v4, 0x4f7ffffe, v4
	s_delay_alu instid0(VALU_DEP_1) | instskip(NEXT) | instid1(VALU_DEP_1)
	v_cvt_u32_f32_e32 v4, v4
	v_readfirstlane_b32 s3, v4
	s_mul_i32 s22, s22, s3
	s_delay_alu instid0(SALU_CYCLE_1) | instskip(NEXT) | instid1(SALU_CYCLE_1)
	s_mul_hi_u32 s22, s3, s22
	s_add_co_i32 s3, s3, s22
	s_delay_alu instid0(SALU_CYCLE_1) | instskip(NEXT) | instid1(SALU_CYCLE_1)
	s_mul_hi_u32 s3, s20, s3
	s_mul_i32 s3, s3, s40
	s_delay_alu instid0(SALU_CYCLE_1) | instskip(NEXT) | instid1(SALU_CYCLE_1)
	s_sub_co_i32 s3, s20, s3
	s_sub_co_i32 s22, s3, s40
	s_cmp_ge_u32 s3, s40
	s_cselect_b32 s3, s22, s3
	s_delay_alu instid0(SALU_CYCLE_1) | instskip(SKIP_2) | instid1(SALU_CYCLE_1)
	s_sub_co_i32 s22, s3, s40
	s_cmp_ge_u32 s3, s40
	s_cselect_b32 s28, s22, s3
	s_mov_b64 s[22:23], s[28:29]
.LBB225_201:                            ;   in Loop: Header=BB225_31 Depth=1
	s_delay_alu instid0(SALU_CYCLE_1)
	s_sub_nc_u64 s[20:21], s[20:21], s[22:23]
	s_mov_b32 s22, 0
	s_mov_b32 s3, 0
	s_mov_b32 s23, exec_lo
                                        ; implicit-def: $vgpr8
	v_cmpx_gt_u64_e64 s[20:21], v[0:1]
	s_mov_b32 s102, s104
	s_cbranch_execz .LBB225_212
; %bb.202:                              ;   in Loop: Header=BB225_31 Depth=1
	v_mov_b64_e32 v[4:5], v[0:1]
	v_mov_b32_e32 v8, v46
                                        ; implicit-def: $sgpr28
	s_branch .LBB225_205
.LBB225_203:                            ;   in Loop: Header=BB225_205 Depth=2
	s_or_b32 exec_lo, exec_lo, s96
	s_wait_dscnt 0x0
	s_barrier_signal -1
	s_barrier_wait -1
	ds_load_b32 v9, v3 offset:3072
	s_mov_b32 s96, -1
	s_mov_b32 s97, -1
	s_wait_dscnt 0x0
	s_barrier_signal -1
	s_barrier_wait -1
	v_and_b32_e32 v34, 0x7fff, v9
	s_delay_alu instid0(VALU_DEP_1)
	v_cmp_ne_u32_e32 vcc_lo, 0, v34
	s_cbranch_vccz .LBB225_208
.LBB225_204:                            ;   in Loop: Header=BB225_205 Depth=2
	s_and_b32 s76, exec_lo, s96
	s_delay_alu instid0(SALU_CYCLE_1) | instskip(SKIP_2) | instid1(SALU_CYCLE_1)
	s_or_b32 s3, s76, s3
	s_and_not1_b32 s28, s28, exec_lo
	s_and_b32 s76, s97, exec_lo
	s_or_b32 s28, s28, s76
	s_and_not1_b32 exec_lo, exec_lo, s3
	s_cbranch_execz .LBB225_211
.LBB225_205:                            ;   Parent Loop BB225_31 Depth=1
                                        ; =>  This Inner Loop Header: Depth=2
	s_mov_b32 s96, exec_lo
	s_delay_alu instid0(VALU_DEP_2)
	v_cmpx_gt_u64_e64 s[10:11], v[4:5]
	s_cbranch_execz .LBB225_203
; %bb.206:                              ;   in Loop: Header=BB225_205 Depth=2
	ds_load_u16 v9, v8
	s_wait_dscnt 0x0
	v_cmp_lt_i16_e32 vcc_lo, -1, v9
	v_and_b32_e32 v34, 0xffff, v9
	v_dual_cndmask_b32 v35, 0xffff, v52 :: v_dual_lshlrev_b32 v36, 16, v9
	s_delay_alu instid0(VALU_DEP_1) | instskip(NEXT) | instid1(VALU_DEP_2)
	v_cmp_o_f32_e32 vcc_lo, v36, v36
	v_xor_b32_e32 v34, v35, v34
	s_delay_alu instid0(VALU_DEP_1) | instskip(NEXT) | instid1(VALU_DEP_1)
	v_cndmask_b32_e32 v34, 0xffff, v34, vcc_lo
	v_and_b32_e32 v34, v34, v11
	s_delay_alu instid0(VALU_DEP_1)
	v_cmp_eq_u32_e32 vcc_lo, v34, v10
	s_and_b32 exec_lo, exec_lo, vcc_lo
	s_cbranch_execz .LBB225_203
; %bb.207:                              ;   in Loop: Header=BB225_205 Depth=2
	v_perm_b32 v9, v9, s53, 0x5040100
	ds_store_b32 v3, v9 offset:3072
	s_branch .LBB225_203
.LBB225_208:                            ;   in Loop: Header=BB225_205 Depth=2
	v_add_nc_u64_e32 v[4:5], s[40:41], v[4:5]
	v_add_nc_u32_e32 v8, vcc_hi, v8
	s_mov_b32 s97, 0
	s_delay_alu instid0(VALU_DEP_2)
	v_cmp_le_u64_e32 vcc_lo, s[20:21], v[4:5]
	s_or_not1_b32 s96, vcc_lo, exec_lo
	s_branch .LBB225_204
.LBB225_209:                            ;   in Loop: Header=BB225_31 Depth=1
                                        ; implicit-def: $sgpr22_sgpr23
	s_branch .LBB225_155
.LBB225_210:                            ;   in Loop: Header=BB225_31 Depth=1
                                        ; implicit-def: $sgpr10_sgpr11
	s_branch .LBB225_171
.LBB225_211:                            ;   in Loop: Header=BB225_31 Depth=1
	s_or_b32 exec_lo, exec_lo, s3
	v_lshrrev_b32_e32 v8, 16, v9
	s_and_b32 s3, s28, exec_lo
.LBB225_212:                            ;   in Loop: Header=BB225_31 Depth=1
	s_or_b32 exec_lo, exec_lo, s23
.LBB225_213:                            ;   in Loop: Header=BB225_31 Depth=1
	s_delay_alu instid0(SALU_CYCLE_1)
	s_and_b32 vcc_lo, exec_lo, s22
	s_cbranch_vccz .LBB225_227
; %bb.214:                              ;   in Loop: Header=BB225_31 Depth=1
	s_and_b64 s[10:11], s[66:67], 0xffffffff00000000
	s_delay_alu instid0(SALU_CYCLE_1)
	s_cmp_lg_u64 s[10:11], 0
	s_cbranch_scc0 .LBB225_246
; %bb.215:                              ;   in Loop: Header=BB225_31 Depth=1
	s_cvt_f32_u32 s10, s40
	s_sub_nc_u64 s[20:21], 0, s[40:41]
	s_delay_alu instid0(SALU_CYCLE_2) | instskip(NEXT) | instid1(SALU_CYCLE_3)
	s_fmamk_f32 s10, s52, 0x0, s10
	v_s_rcp_f32 s10, s10
	s_delay_alu instid0(TRANS32_DEP_1) | instskip(NEXT) | instid1(SALU_CYCLE_3)
	s_mul_f32 s10, s10, 0x5f7ffffc
	s_mul_f32 s11, s10, 0x2f800000
	s_delay_alu instid0(SALU_CYCLE_3) | instskip(NEXT) | instid1(SALU_CYCLE_3)
	s_trunc_f32 s11, s11
	s_fmamk_f32 s10, s11, 0xcf800000, s10
	s_cvt_u32_f32 s11, s11
	s_delay_alu instid0(SALU_CYCLE_2) | instskip(NEXT) | instid1(SALU_CYCLE_3)
	s_cvt_u32_f32 s10, s10
	s_mul_u64 s[22:23], s[20:21], s[10:11]
	s_delay_alu instid0(SALU_CYCLE_1)
	s_mul_hi_u32 s77, s10, s23
	s_mul_i32 s76, s10, s23
	s_mul_hi_u32 s28, s10, s22
	s_mul_i32 s79, s11, s22
	s_add_nc_u64 s[76:77], s[28:29], s[76:77]
	s_mul_hi_u32 s78, s11, s22
	s_mul_hi_u32 s92, s11, s23
	s_mul_i32 s22, s11, s23
	s_add_co_u32 s23, s76, s79
	s_add_co_ci_u32 s28, s77, s78
	s_add_co_ci_u32 s23, s92, 0
	s_delay_alu instid0(SALU_CYCLE_1) | instskip(NEXT) | instid1(SALU_CYCLE_1)
	s_add_nc_u64 s[22:23], s[28:29], s[22:23]
	s_add_co_u32 s10, s10, s22
	s_cselect_b32 s22, -1, 0
	s_delay_alu instid0(SALU_CYCLE_1) | instskip(SKIP_1) | instid1(SALU_CYCLE_1)
	s_cmp_lg_u32 s22, 0
	s_add_co_ci_u32 s11, s11, s23
	s_mul_u64 s[20:21], s[20:21], s[10:11]
	s_delay_alu instid0(SALU_CYCLE_1)
	s_mul_hi_u32 s23, s10, s21
	s_mul_i32 s22, s10, s21
	s_mul_hi_u32 s28, s10, s20
	s_mul_i32 s77, s11, s20
	s_add_nc_u64 s[22:23], s[28:29], s[22:23]
	s_mul_hi_u32 s76, s11, s20
	s_mul_hi_u32 s78, s11, s21
	s_mul_i32 s20, s11, s21
	s_add_co_u32 s21, s22, s77
	s_add_co_ci_u32 s28, s23, s76
	s_add_co_ci_u32 s21, s78, 0
	s_delay_alu instid0(SALU_CYCLE_1) | instskip(NEXT) | instid1(SALU_CYCLE_1)
	s_add_nc_u64 s[20:21], s[28:29], s[20:21]
	s_add_co_u32 s10, s10, s20
	s_cselect_b32 s20, -1, 0
	s_mul_hi_u32 s28, s66, s10
	s_cmp_lg_u32 s20, 0
	s_mul_hi_u32 s22, s67, s10
	s_add_co_ci_u32 s20, s11, s21
	s_mul_i32 s21, s67, s10
	s_mul_hi_u32 s11, s66, s20
	s_mul_i32 s10, s66, s20
	s_mul_hi_u32 s23, s67, s20
	s_add_nc_u64 s[10:11], s[28:29], s[10:11]
	s_mul_i32 s20, s67, s20
	s_add_co_u32 s10, s10, s21
	s_add_co_ci_u32 s28, s11, s22
	s_add_co_ci_u32 s21, s23, 0
	s_delay_alu instid0(SALU_CYCLE_1) | instskip(NEXT) | instid1(SALU_CYCLE_1)
	s_add_nc_u64 s[10:11], s[28:29], s[20:21]
	s_and_b64 s[20:21], s[10:11], 0xffffffff00000000
	s_delay_alu instid0(SALU_CYCLE_1) | instskip(NEXT) | instid1(SALU_CYCLE_1)
	s_or_b32 s20, s20, s10
	s_mul_u64 s[10:11], s[40:41], s[20:21]
	s_delay_alu instid0(SALU_CYCLE_1) | instskip(SKIP_1) | instid1(SALU_CYCLE_1)
	s_sub_co_u32 s10, s66, s10
	s_cselect_b32 s20, -1, 0
	s_cmp_lg_u32 s20, 0
	s_sub_co_ci_u32 s11, s67, s11
	s_sub_co_u32 s20, s10, s40
	s_cselect_b32 s21, -1, 0
	s_delay_alu instid0(SALU_CYCLE_1) | instskip(SKIP_3) | instid1(SALU_CYCLE_1)
	s_cmp_lg_u32 s21, 0
	s_sub_co_ci_u32 s21, s11, 0
	s_sub_co_u32 s22, s20, s40
	s_cselect_b32 s23, -1, 0
	s_cmp_lg_u32 s23, 0
	s_sub_co_ci_u32 s23, s21, 0
	s_cmp_ge_u32 s20, s40
	s_cselect_b32 s28, -1, 0
	s_cmp_eq_u32 s21, 0
	s_cselect_b32 s28, s28, -1
	s_delay_alu instid0(SALU_CYCLE_1)
	s_cmp_lg_u32 s28, 0
	s_cselect_b32 s21, s23, s21
	s_cselect_b32 s20, s22, s20
	s_cmp_ge_u32 s10, s40
	s_cselect_b32 s22, -1, 0
	s_cmp_eq_u32 s11, 0
	s_cselect_b32 s22, s22, -1
	s_delay_alu instid0(SALU_CYCLE_1)
	s_cmp_lg_u32 s22, 0
	s_cselect_b32 s11, s21, s11
	s_cselect_b32 s10, s20, s10
	s_cbranch_execnz .LBB225_217
.LBB225_216:                            ;   in Loop: Header=BB225_31 Depth=1
	v_cvt_f32_u32_e32 v4, s40
	s_sub_co_i32 s11, 0, s40
	s_delay_alu instid0(VALU_DEP_1) | instskip(SKIP_1) | instid1(TRANS32_DEP_1)
	v_rcp_iflag_f32_e32 v4, v4
	v_nop
	v_mul_f32_e32 v4, 0x4f7ffffe, v4
	s_delay_alu instid0(VALU_DEP_1) | instskip(NEXT) | instid1(VALU_DEP_1)
	v_cvt_u32_f32_e32 v4, v4
	v_readfirstlane_b32 s10, v4
	s_mul_i32 s11, s11, s10
	s_delay_alu instid0(SALU_CYCLE_1) | instskip(NEXT) | instid1(SALU_CYCLE_1)
	s_mul_hi_u32 s11, s10, s11
	s_add_co_i32 s10, s10, s11
	s_delay_alu instid0(SALU_CYCLE_1) | instskip(NEXT) | instid1(SALU_CYCLE_1)
	s_mul_hi_u32 s10, s66, s10
	s_mul_i32 s10, s10, s40
	s_delay_alu instid0(SALU_CYCLE_1) | instskip(NEXT) | instid1(SALU_CYCLE_1)
	s_sub_co_i32 s10, s66, s10
	s_sub_co_i32 s11, s10, s40
	s_cmp_ge_u32 s10, s40
	s_cselect_b32 s10, s11, s10
	s_delay_alu instid0(SALU_CYCLE_1) | instskip(SKIP_2) | instid1(SALU_CYCLE_1)
	s_sub_co_i32 s11, s10, s40
	s_cmp_ge_u32 s10, s40
	s_cselect_b32 s28, s11, s10
	s_mov_b64 s[10:11], s[28:29]
.LBB225_217:                            ;   in Loop: Header=BB225_31 Depth=1
	s_delay_alu instid0(SALU_CYCLE_1)
	s_sub_nc_u64 s[10:11], s[66:67], s[10:11]
	s_mov_b32 s20, exec_lo
                                        ; implicit-def: $vgpr8
	v_nop
	v_cmpx_gt_u64_e64 s[10:11], v[0:1]
	s_cbranch_execz .LBB225_226
; %bb.218:                              ;   in Loop: Header=BB225_31 Depth=1
	v_mov_b64_e32 v[4:5], v[30:31]
	v_mov_b64_e32 v[8:9], v[0:1]
	s_mov_b32 s21, 0
                                        ; implicit-def: $sgpr22
	s_branch .LBB225_221
.LBB225_219:                            ;   in Loop: Header=BB225_221 Depth=2
	s_or_b32 exec_lo, exec_lo, s23
	s_wait_dscnt 0x0
	s_barrier_signal -1
	s_barrier_wait -1
	ds_load_b32 v34, v3 offset:3072
	s_mov_b32 s23, -1
	s_mov_b32 s28, -1
	s_wait_dscnt 0x0
	s_barrier_signal -1
	s_barrier_wait -1
	v_and_b32_e32 v35, 0x7fff, v34
	s_delay_alu instid0(VALU_DEP_1)
	v_cmp_eq_u32_e32 vcc_lo, 0, v35
	s_cbranch_vccnz .LBB225_224
.LBB225_220:                            ;   in Loop: Header=BB225_221 Depth=2
	s_and_b32 s23, exec_lo, s23
	s_delay_alu instid0(SALU_CYCLE_1) | instskip(SKIP_2) | instid1(SALU_CYCLE_1)
	s_or_b32 s21, s23, s21
	s_and_not1_b32 s22, s22, exec_lo
	s_and_b32 s23, s28, exec_lo
	s_or_b32 s22, s22, s23
	s_and_not1_b32 exec_lo, exec_lo, s21
	s_cbranch_execz .LBB225_225
.LBB225_221:                            ;   Parent Loop BB225_31 Depth=1
                                        ; =>  This Inner Loop Header: Depth=2
	s_mov_b32 s23, exec_lo
	s_delay_alu instid0(VALU_DEP_1)
	v_cmpx_gt_u64_e64 s[36:37], v[8:9]
	s_cbranch_execz .LBB225_219
; %bb.222:                              ;   in Loop: Header=BB225_221 Depth=2
	global_load_u16 v34, v[4:5], off
	s_wait_loadcnt 0x0
	v_cmp_lt_i16_e32 vcc_lo, -1, v34
	v_and_b32_e32 v35, 0xffff, v34
	v_dual_cndmask_b32 v36, 0xffff, v52 :: v_dual_lshlrev_b32 v37, 16, v34
	s_delay_alu instid0(VALU_DEP_1) | instskip(NEXT) | instid1(VALU_DEP_2)
	v_cmp_o_f32_e32 vcc_lo, v37, v37
	v_xor_b32_e32 v35, v36, v35
	s_delay_alu instid0(VALU_DEP_1) | instskip(NEXT) | instid1(VALU_DEP_1)
	v_cndmask_b32_e32 v35, 0xffff, v35, vcc_lo
	v_and_b32_e32 v35, v35, v11
	s_delay_alu instid0(VALU_DEP_1)
	v_cmp_eq_u32_e32 vcc_lo, v35, v10
	s_and_b32 exec_lo, exec_lo, vcc_lo
	s_cbranch_execz .LBB225_219
; %bb.223:                              ;   in Loop: Header=BB225_221 Depth=2
	v_perm_b32 v34, v34, s53, 0x5040100
	ds_store_b32 v3, v34 offset:3072
	s_branch .LBB225_219
.LBB225_224:                            ;   in Loop: Header=BB225_221 Depth=2
	v_add_nc_u64_e32 v[8:9], s[40:41], v[8:9]
	v_add_nc_u64_e32 v[4:5], s[44:45], v[4:5]
	s_mov_b32 s28, 0
	s_delay_alu instid0(VALU_DEP_2)
	v_cmp_le_u64_e32 vcc_lo, s[10:11], v[8:9]
	s_or_not1_b32 s23, vcc_lo, exec_lo
	s_branch .LBB225_220
.LBB225_225:                            ;   in Loop: Header=BB225_31 Depth=1
	s_or_b32 exec_lo, exec_lo, s21
	v_lshrrev_b32_e32 v8, 16, v34
	s_and_not1_b32 s3, s3, exec_lo
	s_and_b32 s10, s22, exec_lo
	s_delay_alu instid0(SALU_CYCLE_1)
	s_or_b32 s3, s3, s10
.LBB225_226:                            ;   in Loop: Header=BB225_31 Depth=1
	s_or_b32 exec_lo, exec_lo, s20
	s_mov_b32 s92, 0
	s_mov_b32 s93, -1
.LBB225_227:                            ;   in Loop: Header=BB225_31 Depth=1
	s_or_not1_b32 s3, s3, exec_lo
.LBB225_228:                            ;   in Loop: Header=BB225_31 Depth=1
	s_or_b32 exec_lo, exec_lo, s94
	s_mov_b32 s10, 0
	s_and_saveexec_b32 s94, s3
	s_cbranch_execz .LBB225_290
; %bb.229:                              ;   in Loop: Header=BB225_31 Depth=1
	v_mov_b64_e32 v[4:5], 1
	v_mov_b32_e32 v2, 1
	s_xor_b32 s10, s95, -1
	s_mov_b32 s11, 0
	s_and_saveexec_b32 s3, s10
	s_cbranch_execz .LBB225_238
; %bb.230:                              ;   in Loop: Header=BB225_31 Depth=1
	s_mov_b32 s10, exec_lo
	v_cmpx_ge_u64_e64 s[16:17], v[6:7]
	s_xor_b32 s10, exec_lo, s10
	s_cbranch_execz .LBB225_235
; %bb.231:                              ;   in Loop: Header=BB225_31 Depth=1
	ds_load_b64 v[4:5], v3 offset:5120
	s_lshl_b32 s11, 2, s54
	v_or_b32_e32 v11, s24, v11
	v_and_or_b32 v10, v10, s25, s11
	s_wait_dscnt 0x0
	v_cmp_ne_u64_e32 vcc_lo, 0, v[4:5]
	s_cbranch_vccnz .LBB225_235
; %bb.232:                              ;   in Loop: Header=BB225_31 Depth=1
	s_and_saveexec_b32 s11, s5
; %bb.233:                              ;   in Loop: Header=BB225_31 Depth=1
	v_mov_b64_e32 v[4:5], s[16:17]
	ds_store_b64 v3, v[4:5] offset:5128
; %bb.234:                              ;   in Loop: Header=BB225_31 Depth=1
	s_or_b32 exec_lo, exec_lo, s11
	s_wait_dscnt 0x0
	s_barrier_signal -1
	s_barrier_wait -1
.LBB225_235:                            ;   in Loop: Header=BB225_31 Depth=1
	s_or_saveexec_b32 s10, s10
	v_mov_b32_e32 v2, 8
	s_mov_b32 s11, 0
	s_xor_b32 exec_lo, exec_lo, s10
; %bb.236:                              ;   in Loop: Header=BB225_31 Depth=1
	v_sub_nc_u64_e64 v[6:7], v[6:7], s[16:17]
	v_mov_b32_e32 v2, 0
	s_mov_b32 s11, exec_lo
; %bb.237:                              ;   in Loop: Header=BB225_31 Depth=1
	s_or_b32 exec_lo, exec_lo, s10
	s_delay_alu instid0(VALU_DEP_2)
	v_mov_b64_e32 v[4:5], v[6:7]
	s_and_b32 s11, s11, exec_lo
.LBB225_238:                            ;   in Loop: Header=BB225_31 Depth=1
	s_or_b32 exec_lo, exec_lo, s3
	s_mov_b32 s10, -1
                                        ; implicit-def: $sgpr101
                                        ; implicit-def: $sgpr3
	s_and_saveexec_b32 s95, s11
	s_cbranch_execz .LBB225_289
; %bb.239:                              ;   in Loop: Header=BB225_31 Depth=1
	s_delay_alu instid0(VALU_DEP_1) | instskip(SKIP_3) | instid1(SALU_CYCLE_1)
	v_cmp_eq_u64_e32 vcc_lo, 1, v[4:5]
	s_cmp_eq_u64 s[18:19], 1
	s_mov_b32 s11, -1
	s_cselect_b32 s3, -1, 0
                                        ; implicit-def: $sgpr101
	s_and_b32 s97, s3, vcc_lo
                                        ; implicit-def: $sgpr3
	s_delay_alu instid0(SALU_CYCLE_1)
	s_and_saveexec_b32 s76, s97
	s_cbranch_execz .LBB225_277
; %bb.240:                              ;   in Loop: Header=BB225_31 Depth=1
	ds_load_b64 v[6:7], v3 offset:5120
	s_wait_dscnt 0x0
	s_barrier_signal -1
	s_barrier_wait -1
	v_readfirstlane_b32 s10, v6
	v_readfirstlane_b32 s11, v7
	s_and_saveexec_b32 s3, s6
; %bb.241:                              ;   in Loop: Header=BB225_31 Depth=1
	ds_store_b16 v47, v3
; %bb.242:                              ;   in Loop: Header=BB225_31 Depth=1
	s_or_b32 exec_lo, exec_lo, s3
	v_or_b32_e32 v10, s24, v10
	v_or_b32_e32 v11, s24, v11
	s_mov_b32 s3, -1
	s_mov_b32 s101, 0
	s_cmp_eq_u64 s[10:11], 0
	s_mov_b32 s22, 0
	s_mov_b32 s23, -1
	s_wait_dscnt 0x0
	s_barrier_signal -1
	s_barrier_wait -1
                                        ; implicit-def: $vgpr8
	s_cbranch_scc1 .LBB225_260
; %bb.243:                              ;   in Loop: Header=BB225_31 Depth=1
	v_writelane_b32 v63, s76, 22
	s_add_nc_u64 s[20:21], s[10:11], s[64:65]
	s_delay_alu instid0(SALU_CYCLE_1) | instskip(NEXT) | instid1(SALU_CYCLE_1)
	s_and_b64 s[22:23], s[20:21], 0xffffffff00000000
	s_cmp_lg_u64 s[22:23], 0
	v_writelane_b32 v63, s97, 23
	v_writelane_b32 v63, s102, 24
	s_cbranch_scc0 .LBB225_247
; %bb.244:                              ;   in Loop: Header=BB225_31 Depth=1
	s_cvt_f32_u32 s22, s40
	s_sub_nc_u64 s[76:77], 0, s[40:41]
	s_delay_alu instid0(SALU_CYCLE_2) | instskip(NEXT) | instid1(SALU_CYCLE_3)
	s_fmamk_f32 s22, s52, 0x0, s22
	v_s_rcp_f32 s22, s22
	s_delay_alu instid0(TRANS32_DEP_1) | instskip(NEXT) | instid1(SALU_CYCLE_3)
	s_mul_f32 s22, s22, 0x5f7ffffc
	s_mul_f32 s23, s22, 0x2f800000
	s_delay_alu instid0(SALU_CYCLE_3) | instskip(NEXT) | instid1(SALU_CYCLE_3)
	s_trunc_f32 s23, s23
	s_fmamk_f32 s22, s23, 0xcf800000, s22
	s_cvt_u32_f32 s23, s23
	s_delay_alu instid0(SALU_CYCLE_2) | instskip(NEXT) | instid1(SALU_CYCLE_3)
	s_cvt_u32_f32 s22, s22
	s_mul_u64 s[78:79], s[76:77], s[22:23]
	s_delay_alu instid0(SALU_CYCLE_1)
	s_mul_hi_u32 s97, s22, s79
	s_mul_i32 s96, s22, s79
	s_mul_hi_u32 s28, s22, s78
	s_mul_i32 s104, s23, s78
	s_add_nc_u64 s[96:97], s[28:29], s[96:97]
	s_mul_hi_u32 s102, s23, s78
	s_mul_hi_u32 vcc_lo, s23, s79
	s_add_co_u32 s28, s96, s104
	s_add_co_ci_u32 s28, s97, s102
	s_mul_i32 s78, s23, s79
	s_add_co_ci_u32 s79, vcc_lo, 0
	s_delay_alu instid0(SALU_CYCLE_1) | instskip(NEXT) | instid1(SALU_CYCLE_1)
	s_add_nc_u64 s[78:79], s[28:29], s[78:79]
	s_add_co_u32 s22, s22, s78
	s_cselect_b32 s28, -1, 0
	s_delay_alu instid0(SALU_CYCLE_1) | instskip(SKIP_1) | instid1(SALU_CYCLE_1)
	s_cmp_lg_u32 s28, 0
	s_add_co_ci_u32 s23, s23, s79
	s_mul_u64 s[76:77], s[76:77], s[22:23]
	s_delay_alu instid0(SALU_CYCLE_1)
	s_mul_hi_u32 s79, s22, s77
	s_mul_i32 s78, s22, s77
	s_mul_hi_u32 s28, s22, s76
	s_mul_i32 s97, s23, s76
	s_add_nc_u64 s[78:79], s[28:29], s[78:79]
	s_mul_hi_u32 s96, s23, s76
	s_mul_hi_u32 s102, s23, s77
	s_add_co_u32 s28, s78, s97
	s_add_co_ci_u32 s28, s79, s96
	s_mul_i32 s76, s23, s77
	s_add_co_ci_u32 s77, s102, 0
	s_delay_alu instid0(SALU_CYCLE_1) | instskip(NEXT) | instid1(SALU_CYCLE_1)
	s_add_nc_u64 s[76:77], s[28:29], s[76:77]
	s_add_co_u32 s22, s22, s76
	s_cselect_b32 s76, -1, 0
	s_mul_hi_u32 s28, s20, s22
	s_cmp_lg_u32 s76, 0
	s_mul_hi_u32 s78, s21, s22
	s_add_co_ci_u32 s76, s23, s77
	s_mul_i32 s77, s21, s22
	s_mul_hi_u32 s23, s20, s76
	s_mul_i32 s22, s20, s76
	s_mul_hi_u32 s79, s21, s76
	s_add_nc_u64 s[22:23], s[28:29], s[22:23]
	s_mul_i32 s76, s21, s76
	s_add_co_u32 s22, s22, s77
	s_add_co_ci_u32 s28, s23, s78
	s_add_co_ci_u32 s77, s79, 0
	s_delay_alu instid0(SALU_CYCLE_1) | instskip(NEXT) | instid1(SALU_CYCLE_1)
	s_add_nc_u64 s[22:23], s[28:29], s[76:77]
	s_and_b64 s[76:77], s[22:23], 0xffffffff00000000
	s_delay_alu instid0(SALU_CYCLE_1) | instskip(NEXT) | instid1(SALU_CYCLE_1)
	s_or_b32 s76, s76, s22
	s_mul_u64 s[22:23], s[40:41], s[76:77]
	s_delay_alu instid0(SALU_CYCLE_1) | instskip(SKIP_1) | instid1(SALU_CYCLE_1)
	s_sub_co_u32 s22, s20, s22
	s_cselect_b32 s28, -1, 0
	s_cmp_lg_u32 s28, 0
	s_sub_co_ci_u32 s23, s21, s23
	s_sub_co_u32 s28, s22, s40
	s_cselect_b32 s76, -1, 0
	s_delay_alu instid0(SALU_CYCLE_1) | instskip(SKIP_3) | instid1(SALU_CYCLE_1)
	s_cmp_lg_u32 s76, 0
	s_sub_co_ci_u32 s76, s23, 0
	s_sub_co_u32 s77, s28, s40
	s_cselect_b32 s78, -1, 0
	s_cmp_lg_u32 s78, 0
	s_sub_co_ci_u32 s78, s76, 0
	s_cmp_ge_u32 s28, s40
	s_cselect_b32 s79, -1, 0
	s_cmp_eq_u32 s76, 0
	s_cselect_b32 s79, s79, -1
	s_delay_alu instid0(SALU_CYCLE_1)
	s_cmp_lg_u32 s79, 0
	s_cselect_b32 s76, s78, s76
	s_cselect_b32 s28, s77, s28
	s_cmp_ge_u32 s22, s40
	s_cselect_b32 s77, -1, 0
	s_cmp_eq_u32 s23, 0
	s_cselect_b32 s77, s77, -1
	s_delay_alu instid0(SALU_CYCLE_1)
	s_cmp_lg_u32 s77, 0
	s_cselect_b32 s23, s76, s23
	s_cselect_b32 s22, s28, s22
	s_mov_b32 s28, 0
	s_branch .LBB225_248
.LBB225_245:                            ;   in Loop: Header=BB225_31 Depth=1
                                        ; implicit-def: $sgpr22_sgpr23
	s_branch .LBB225_200
.LBB225_246:                            ;   in Loop: Header=BB225_31 Depth=1
                                        ; implicit-def: $sgpr10_sgpr11
	s_branch .LBB225_216
.LBB225_247:                            ;   in Loop: Header=BB225_31 Depth=1
	s_mov_b32 s28, -1
                                        ; implicit-def: $sgpr22_sgpr23
.LBB225_248:                            ;   in Loop: Header=BB225_31 Depth=1
	s_delay_alu instid0(SALU_CYCLE_1)
	s_and_not1_b32 vcc_lo, exec_lo, s28
	s_cbranch_vccnz .LBB225_250
; %bb.249:                              ;   in Loop: Header=BB225_31 Depth=1
	v_cvt_f32_u32_e32 v6, s40
	s_sub_co_i32 s23, 0, s40
	s_delay_alu instid0(VALU_DEP_1) | instskip(SKIP_1) | instid1(TRANS32_DEP_1)
	v_rcp_iflag_f32_e32 v6, v6
	v_nop
	v_mul_f32_e32 v6, 0x4f7ffffe, v6
	s_delay_alu instid0(VALU_DEP_1) | instskip(NEXT) | instid1(VALU_DEP_1)
	v_cvt_u32_f32_e32 v6, v6
	v_readfirstlane_b32 s22, v6
	s_mul_i32 s23, s23, s22
	s_delay_alu instid0(SALU_CYCLE_1) | instskip(NEXT) | instid1(SALU_CYCLE_1)
	s_mul_hi_u32 s23, s22, s23
	s_add_co_i32 s22, s22, s23
	s_delay_alu instid0(SALU_CYCLE_1) | instskip(NEXT) | instid1(SALU_CYCLE_1)
	s_mul_hi_u32 s22, s20, s22
	s_mul_i32 s22, s22, s40
	s_delay_alu instid0(SALU_CYCLE_1) | instskip(NEXT) | instid1(SALU_CYCLE_1)
	s_sub_co_i32 s22, s20, s22
	s_sub_co_i32 s23, s22, s40
	s_cmp_ge_u32 s22, s40
	s_cselect_b32 s22, s23, s22
	s_delay_alu instid0(SALU_CYCLE_1) | instskip(SKIP_2) | instid1(SALU_CYCLE_1)
	s_sub_co_i32 s23, s22, s40
	s_cmp_ge_u32 s22, s40
	s_cselect_b32 s28, s23, s22
	s_mov_b64 s[22:23], s[28:29]
.LBB225_250:                            ;   in Loop: Header=BB225_31 Depth=1
	s_delay_alu instid0(SALU_CYCLE_1)
	s_sub_nc_u64 s[20:21], s[20:21], s[22:23]
	s_mov_b32 s23, 0
	s_mov_b32 s22, 0
	s_mov_b32 s28, exec_lo
                                        ; implicit-def: $vgpr8
	v_cmpx_gt_u64_e64 s[20:21], v[0:1]
	v_readlane_b32 s97, v63, 23
	s_cbranch_execz .LBB225_259
; %bb.251:                              ;   in Loop: Header=BB225_31 Depth=1
	v_mov_b64_e32 v[6:7], v[0:1]
	v_mov_b32_e32 v8, v46
                                        ; implicit-def: $sgpr96
	s_branch .LBB225_254
.LBB225_252:                            ;   in Loop: Header=BB225_254 Depth=2
	s_or_b32 exec_lo, exec_lo, s102
	s_wait_dscnt 0x0
	s_barrier_signal -1
	s_barrier_wait -1
	ds_load_b32 v9, v3 offset:3072
	s_mov_b32 s102, -1
	s_mov_b32 s104, -1
	s_wait_dscnt 0x0
	s_barrier_signal -1
	s_barrier_wait -1
	v_and_b32_e32 v34, 0x7fff, v9
	s_delay_alu instid0(VALU_DEP_1)
	v_cmp_ne_u32_e32 vcc_lo, 0, v34
	s_cbranch_vccz .LBB225_257
.LBB225_253:                            ;   in Loop: Header=BB225_254 Depth=2
	s_and_b32 s76, exec_lo, s102
	s_delay_alu instid0(SALU_CYCLE_1) | instskip(SKIP_2) | instid1(SALU_CYCLE_1)
	s_or_b32 s22, s76, s22
	s_and_not1_b32 s76, s96, exec_lo
	s_and_b32 s77, s104, exec_lo
	s_or_b32 s96, s76, s77
	s_and_not1_b32 exec_lo, exec_lo, s22
	s_cbranch_execz .LBB225_258
.LBB225_254:                            ;   Parent Loop BB225_31 Depth=1
                                        ; =>  This Inner Loop Header: Depth=2
	s_mov_b32 s102, exec_lo
	s_delay_alu instid0(VALU_DEP_2)
	v_cmpx_gt_u64_e64 s[10:11], v[6:7]
	s_cbranch_execz .LBB225_252
; %bb.255:                              ;   in Loop: Header=BB225_254 Depth=2
	ds_load_u16 v9, v8
	s_wait_dscnt 0x0
	v_cmp_lt_i16_e32 vcc_lo, -1, v9
	v_and_b32_e32 v34, 0xffff, v9
	v_dual_cndmask_b32 v35, 0xffff, v52 :: v_dual_lshlrev_b32 v36, 16, v9
	s_delay_alu instid0(VALU_DEP_1) | instskip(NEXT) | instid1(VALU_DEP_2)
	v_cmp_o_f32_e32 vcc_lo, v36, v36
	v_xor_b32_e32 v34, v35, v34
	s_delay_alu instid0(VALU_DEP_1) | instskip(NEXT) | instid1(VALU_DEP_1)
	v_cndmask_b32_e32 v34, 0xffff, v34, vcc_lo
	v_and_b32_e32 v34, v34, v11
	s_delay_alu instid0(VALU_DEP_1)
	v_cmp_eq_u32_e32 vcc_lo, v34, v10
	s_and_b32 exec_lo, exec_lo, vcc_lo
	s_cbranch_execz .LBB225_252
; %bb.256:                              ;   in Loop: Header=BB225_254 Depth=2
	v_perm_b32 v9, v9, s53, 0x5040100
	ds_store_b32 v3, v9 offset:3072
	s_branch .LBB225_252
.LBB225_257:                            ;   in Loop: Header=BB225_254 Depth=2
	v_add_nc_u64_e32 v[6:7], s[40:41], v[6:7]
	v_add_nc_u32_e32 v8, vcc_hi, v8
	s_mov_b32 s104, 0
	s_delay_alu instid0(VALU_DEP_2)
	v_cmp_le_u64_e32 vcc_lo, s[20:21], v[6:7]
	s_or_not1_b32 s102, vcc_lo, exec_lo
	s_branch .LBB225_253
.LBB225_258:                            ;   in Loop: Header=BB225_31 Depth=1
	s_or_b32 exec_lo, exec_lo, s22
	v_lshrrev_b32_e32 v8, 16, v9
	s_and_b32 s22, s96, exec_lo
.LBB225_259:                            ;   in Loop: Header=BB225_31 Depth=1
	s_or_b32 exec_lo, exec_lo, s28
	v_readlane_b32 s102, v63, 24
	v_readlane_b32 s76, v63, 22
.LBB225_260:                            ;   in Loop: Header=BB225_31 Depth=1
	s_and_b32 vcc_lo, exec_lo, s23
	s_cbranch_vccz .LBB225_276
; %bb.261:                              ;   in Loop: Header=BB225_31 Depth=1
	s_and_b64 s[10:11], s[66:67], 0xffffffff00000000
	s_delay_alu instid0(SALU_CYCLE_1)
	s_cmp_lg_u64 s[10:11], 0
	s_cbranch_scc0 .LBB225_263
; %bb.262:                              ;   in Loop: Header=BB225_31 Depth=1
	s_cvt_f32_u32 s3, s40
	s_sub_nc_u64 s[20:21], 0, s[40:41]
	s_mov_b32 s101, s76
	s_delay_alu instid0(SALU_CYCLE_1) | instskip(NEXT) | instid1(SALU_CYCLE_3)
	s_fmamk_f32 s3, s52, 0x0, s3
	v_s_rcp_f32 s3, s3
	s_delay_alu instid0(TRANS32_DEP_1) | instskip(NEXT) | instid1(SALU_CYCLE_3)
	s_mul_f32 s3, s3, 0x5f7ffffc
	s_mul_f32 s10, s3, 0x2f800000
	s_delay_alu instid0(SALU_CYCLE_3) | instskip(NEXT) | instid1(SALU_CYCLE_3)
	s_trunc_f32 s10, s10
	s_fmamk_f32 s3, s10, 0xcf800000, s3
	s_cvt_u32_f32 s11, s10
	s_delay_alu instid0(SALU_CYCLE_2) | instskip(NEXT) | instid1(SALU_CYCLE_3)
	s_cvt_u32_f32 s10, s3
	s_mul_u64 s[76:77], s[20:21], s[10:11]
	s_delay_alu instid0(SALU_CYCLE_1)
	s_mul_hi_u32 s79, s10, s77
	s_mul_i32 s78, s10, s77
	s_mul_hi_u32 s28, s10, s76
	s_mul_i32 s23, s11, s76
	s_add_nc_u64 s[78:79], s[28:29], s[78:79]
	s_mul_hi_u32 s3, s11, s76
	s_mul_hi_u32 s96, s11, s77
	s_add_co_u32 s23, s78, s23
	s_add_co_ci_u32 s28, s79, s3
	s_mul_i32 s76, s11, s77
	s_add_co_ci_u32 s77, s96, 0
	s_delay_alu instid0(SALU_CYCLE_1) | instskip(NEXT) | instid1(SALU_CYCLE_1)
	s_add_nc_u64 s[76:77], s[28:29], s[76:77]
	s_add_co_u32 s10, s10, s76
	s_cselect_b32 s3, -1, 0
	s_delay_alu instid0(SALU_CYCLE_1) | instskip(SKIP_1) | instid1(SALU_CYCLE_1)
	s_cmp_lg_u32 s3, 0
	s_add_co_ci_u32 s11, s11, s77
	s_mul_u64 s[20:21], s[20:21], s[10:11]
	s_delay_alu instid0(SALU_CYCLE_1)
	s_mul_hi_u32 s77, s10, s21
	s_mul_i32 s76, s10, s21
	s_mul_hi_u32 s28, s10, s20
	s_mul_i32 s23, s11, s20
	s_add_nc_u64 s[76:77], s[28:29], s[76:77]
	s_mul_hi_u32 s3, s11, s20
	s_mul_hi_u32 s78, s11, s21
	s_mul_i32 s20, s11, s21
	s_add_co_u32 s21, s76, s23
	s_add_co_ci_u32 s28, s77, s3
	s_add_co_ci_u32 s21, s78, 0
	s_mov_b32 s76, s101
	s_add_nc_u64 s[20:21], s[28:29], s[20:21]
	s_delay_alu instid0(SALU_CYCLE_1)
	s_add_co_u32 s3, s10, s20
	s_cselect_b32 s10, -1, 0
	s_mul_hi_u32 s28, s66, s3
	s_cmp_lg_u32 s10, 0
	s_mul_hi_u32 s23, s67, s3
	s_add_co_ci_u32 s20, s11, s21
	s_mul_i32 s3, s67, s3
	s_mul_hi_u32 s11, s66, s20
	s_mul_i32 s10, s66, s20
	s_mul_hi_u32 s21, s67, s20
	s_add_nc_u64 s[10:11], s[28:29], s[10:11]
	s_mul_i32 s20, s67, s20
	s_add_co_u32 s3, s10, s3
	s_add_co_ci_u32 s28, s11, s23
	s_add_co_ci_u32 s21, s21, 0
	s_delay_alu instid0(SALU_CYCLE_1) | instskip(NEXT) | instid1(SALU_CYCLE_1)
	s_add_nc_u64 s[10:11], s[28:29], s[20:21]
	s_and_b64 s[20:21], s[10:11], 0xffffffff00000000
	s_delay_alu instid0(SALU_CYCLE_1) | instskip(NEXT) | instid1(SALU_CYCLE_1)
	s_or_b32 s20, s20, s10
	s_mul_u64 s[10:11], s[40:41], s[20:21]
	s_delay_alu instid0(SALU_CYCLE_1) | instskip(SKIP_1) | instid1(SALU_CYCLE_1)
	s_sub_co_u32 s3, s66, s10
	s_cselect_b32 s10, -1, 0
	s_cmp_lg_u32 s10, 0
	s_sub_co_ci_u32 s10, s67, s11
	s_sub_co_u32 s11, s3, s40
	s_cselect_b32 s20, -1, 0
	s_delay_alu instid0(SALU_CYCLE_1) | instskip(SKIP_3) | instid1(SALU_CYCLE_1)
	s_cmp_lg_u32 s20, 0
	s_sub_co_ci_u32 s20, s10, 0
	s_sub_co_u32 s21, s11, s40
	s_cselect_b32 s23, -1, 0
	s_cmp_lg_u32 s23, 0
	s_sub_co_ci_u32 s23, s20, 0
	s_cmp_ge_u32 s11, s40
	s_cselect_b32 s28, -1, 0
	s_cmp_eq_u32 s20, 0
	s_cselect_b32 s28, s28, -1
	s_delay_alu instid0(SALU_CYCLE_1)
	s_cmp_lg_u32 s28, 0
	s_cselect_b32 s20, s23, s20
	s_cselect_b32 s21, s21, s11
	s_cmp_ge_u32 s3, s40
	s_cselect_b32 s11, -1, 0
	s_cmp_eq_u32 s10, 0
	s_cselect_b32 s11, s11, -1
	s_delay_alu instid0(SALU_CYCLE_1)
	s_cmp_lg_u32 s11, 0
	s_cselect_b32 s11, s20, s10
	s_cselect_b32 s10, s21, s3
	s_mov_b32 s3, 0
	s_branch .LBB225_264
.LBB225_263:                            ;   in Loop: Header=BB225_31 Depth=1
	s_mov_b32 s3, -1
                                        ; implicit-def: $sgpr10_sgpr11
.LBB225_264:                            ;   in Loop: Header=BB225_31 Depth=1
	s_delay_alu instid0(SALU_CYCLE_1)
	s_and_not1_b32 vcc_lo, exec_lo, s3
	s_cbranch_vccnz .LBB225_266
; %bb.265:                              ;   in Loop: Header=BB225_31 Depth=1
	v_cvt_f32_u32_e32 v6, s40
	s_sub_co_i32 s10, 0, s40
	s_delay_alu instid0(VALU_DEP_1) | instskip(SKIP_1) | instid1(TRANS32_DEP_1)
	v_rcp_iflag_f32_e32 v6, v6
	v_nop
	v_mul_f32_e32 v6, 0x4f7ffffe, v6
	s_delay_alu instid0(VALU_DEP_1) | instskip(NEXT) | instid1(VALU_DEP_1)
	v_cvt_u32_f32_e32 v6, v6
	v_readfirstlane_b32 s3, v6
	s_mul_i32 s10, s10, s3
	s_delay_alu instid0(SALU_CYCLE_1) | instskip(NEXT) | instid1(SALU_CYCLE_1)
	s_mul_hi_u32 s10, s3, s10
	s_add_co_i32 s3, s3, s10
	s_delay_alu instid0(SALU_CYCLE_1) | instskip(NEXT) | instid1(SALU_CYCLE_1)
	s_mul_hi_u32 s3, s66, s3
	s_mul_i32 s3, s3, s40
	s_delay_alu instid0(SALU_CYCLE_1) | instskip(NEXT) | instid1(SALU_CYCLE_1)
	s_sub_co_i32 s3, s66, s3
	s_sub_co_i32 s10, s3, s40
	s_cmp_ge_u32 s3, s40
	s_cselect_b32 s3, s10, s3
	s_delay_alu instid0(SALU_CYCLE_1) | instskip(SKIP_2) | instid1(SALU_CYCLE_1)
	s_sub_co_i32 s10, s3, s40
	s_cmp_ge_u32 s3, s40
	s_cselect_b32 s28, s10, s3
	s_mov_b64 s[10:11], s[28:29]
.LBB225_266:                            ;   in Loop: Header=BB225_31 Depth=1
	s_delay_alu instid0(SALU_CYCLE_1)
	s_sub_nc_u64 s[10:11], s[66:67], s[10:11]
	s_mov_b32 s3, exec_lo
                                        ; implicit-def: $vgpr8
	v_cmpx_gt_u64_e64 s[10:11], v[0:1]
	s_cbranch_execz .LBB225_275
; %bb.267:                              ;   in Loop: Header=BB225_31 Depth=1
	v_mov_b64_e32 v[6:7], v[30:31]
	v_mov_b64_e32 v[8:9], v[0:1]
	s_mov_b32 s20, 0
                                        ; implicit-def: $sgpr21
	s_branch .LBB225_270
.LBB225_268:                            ;   in Loop: Header=BB225_270 Depth=2
	s_or_b32 exec_lo, exec_lo, s23
	s_wait_dscnt 0x0
	s_barrier_signal -1
	s_barrier_wait -1
	ds_load_b32 v34, v3 offset:3072
	s_mov_b32 s23, -1
	s_mov_b32 s28, -1
	s_wait_dscnt 0x0
	s_barrier_signal -1
	s_barrier_wait -1
	v_and_b32_e32 v35, 0x7fff, v34
	s_delay_alu instid0(VALU_DEP_1)
	v_cmp_eq_u32_e32 vcc_lo, 0, v35
	s_cbranch_vccnz .LBB225_273
.LBB225_269:                            ;   in Loop: Header=BB225_270 Depth=2
	s_and_b32 s23, exec_lo, s23
	s_delay_alu instid0(SALU_CYCLE_1) | instskip(SKIP_2) | instid1(SALU_CYCLE_1)
	s_or_b32 s20, s23, s20
	s_and_not1_b32 s21, s21, exec_lo
	s_and_b32 s23, s28, exec_lo
	s_or_b32 s21, s21, s23
	s_and_not1_b32 exec_lo, exec_lo, s20
	s_cbranch_execz .LBB225_274
.LBB225_270:                            ;   Parent Loop BB225_31 Depth=1
                                        ; =>  This Inner Loop Header: Depth=2
	s_mov_b32 s23, exec_lo
	s_delay_alu instid0(VALU_DEP_1)
	v_cmpx_gt_u64_e64 s[36:37], v[8:9]
	s_cbranch_execz .LBB225_268
; %bb.271:                              ;   in Loop: Header=BB225_270 Depth=2
	global_load_u16 v34, v[6:7], off
	s_wait_loadcnt 0x0
	v_cmp_lt_i16_e32 vcc_lo, -1, v34
	v_and_b32_e32 v35, 0xffff, v34
	v_dual_cndmask_b32 v36, 0xffff, v52 :: v_dual_lshlrev_b32 v37, 16, v34
	s_delay_alu instid0(VALU_DEP_1) | instskip(NEXT) | instid1(VALU_DEP_2)
	v_cmp_o_f32_e32 vcc_lo, v37, v37
	v_xor_b32_e32 v35, v36, v35
	s_delay_alu instid0(VALU_DEP_1) | instskip(NEXT) | instid1(VALU_DEP_1)
	v_cndmask_b32_e32 v35, 0xffff, v35, vcc_lo
	v_and_b32_e32 v35, v35, v11
	s_delay_alu instid0(VALU_DEP_1)
	v_cmp_eq_u32_e32 vcc_lo, v35, v10
	s_and_b32 exec_lo, exec_lo, vcc_lo
	s_cbranch_execz .LBB225_268
; %bb.272:                              ;   in Loop: Header=BB225_270 Depth=2
	v_perm_b32 v34, v34, s53, 0x5040100
	ds_store_b32 v3, v34 offset:3072
	s_branch .LBB225_268
.LBB225_273:                            ;   in Loop: Header=BB225_270 Depth=2
	v_add_nc_u64_e32 v[8:9], s[40:41], v[8:9]
	v_add_nc_u64_e32 v[6:7], s[44:45], v[6:7]
	s_mov_b32 s28, 0
	s_delay_alu instid0(VALU_DEP_2)
	v_cmp_le_u64_e32 vcc_lo, s[10:11], v[8:9]
	s_or_not1_b32 s23, vcc_lo, exec_lo
	s_branch .LBB225_269
.LBB225_274:                            ;   in Loop: Header=BB225_31 Depth=1
	s_or_b32 exec_lo, exec_lo, s20
	v_lshrrev_b32_e32 v8, 16, v34
	s_and_not1_b32 s10, s22, exec_lo
	s_and_b32 s11, s21, exec_lo
	s_delay_alu instid0(SALU_CYCLE_1)
	s_or_b32 s22, s10, s11
.LBB225_275:                            ;   in Loop: Header=BB225_31 Depth=1
	s_or_b32 exec_lo, exec_lo, s3
	s_mov_b32 s3, 0
	s_mov_b32 s101, -1
.LBB225_276:                            ;   in Loop: Header=BB225_31 Depth=1
	s_or_not1_b32 s11, s22, exec_lo
.LBB225_277:                            ;   in Loop: Header=BB225_31 Depth=1
	s_delay_alu instid0(VALU_DEP_1)
	s_or_b32 exec_lo, exec_lo, s76
	s_mov_b32 s20, 0
	s_and_saveexec_b32 s10, s11
	s_cbranch_execz .LBB225_288
; %bb.278:                              ;   in Loop: Header=BB225_31 Depth=1
	v_mov_b64_e32 v[6:7], 1
	v_mov_b32_e32 v2, 1
	s_xor_b32 s20, s97, -1
	s_delay_alu instid0(SALU_CYCLE_1)
	s_and_saveexec_b32 s11, s20
	s_cbranch_execz .LBB225_287
; %bb.279:                              ;   in Loop: Header=BB225_31 Depth=1
	s_mov_b32 s20, exec_lo
	v_cmpx_ge_u64_e64 s[18:19], v[4:5]
	s_xor_b32 s20, exec_lo, s20
	s_cbranch_execz .LBB225_284
; %bb.280:                              ;   in Loop: Header=BB225_31 Depth=1
	ds_load_b64 v[6:7], v3 offset:5120
	v_or_b32_e32 v10, s24, v10
	v_or_b32_e32 v11, s24, v11
	s_wait_dscnt 0x0
	v_cmp_ne_u64_e32 vcc_lo, 0, v[6:7]
	s_cbranch_vccnz .LBB225_284
; %bb.281:                              ;   in Loop: Header=BB225_31 Depth=1
	s_and_saveexec_b32 s21, s5
; %bb.282:                              ;   in Loop: Header=BB225_31 Depth=1
	v_mov_b64_e32 v[6:7], s[18:19]
	ds_store_b64 v3, v[6:7] offset:5128
; %bb.283:                              ;   in Loop: Header=BB225_31 Depth=1
	s_or_b32 exec_lo, exec_lo, s21
	s_wait_dscnt 0x0
	s_barrier_signal -1
	s_barrier_wait -1
.LBB225_284:                            ;   in Loop: Header=BB225_31 Depth=1
	s_and_not1_saveexec_b32 s20, s20
; %bb.285:                              ;   in Loop: Header=BB225_31 Depth=1
	v_sub_nc_u64_e64 v[4:5], v[4:5], s[18:19]
; %bb.286:                              ;   in Loop: Header=BB225_31 Depth=1
	s_or_b32 exec_lo, exec_lo, s20
	s_delay_alu instid0(VALU_DEP_1)
	v_mov_b64_e32 v[6:7], v[4:5]
	v_mov_b32_e32 v2, 8
.LBB225_287:                            ;   in Loop: Header=BB225_31 Depth=1
	s_or_b32 exec_lo, exec_lo, s11
	s_delay_alu instid0(VALU_DEP_2)
	v_mov_b64_e32 v[4:5], v[6:7]
	s_mov_b32 s20, exec_lo
.LBB225_288:                            ;   in Loop: Header=BB225_31 Depth=1
	s_or_b32 exec_lo, exec_lo, s10
	s_delay_alu instid0(SALU_CYCLE_1)
	s_or_not1_b32 s10, s20, exec_lo
.LBB225_289:                            ;   in Loop: Header=BB225_31 Depth=1
	s_or_b32 exec_lo, exec_lo, s95
	s_delay_alu instid0(VALU_DEP_1)
	v_mov_b64_e32 v[6:7], v[4:5]
	s_and_not1_b32 s11, s93, exec_lo
	s_and_b32 s20, s101, exec_lo
	s_and_not1_b32 s21, s92, exec_lo
	s_and_b32 s3, s3, exec_lo
	s_or_b32 s93, s11, s20
	s_or_b32 s92, s21, s3
	s_and_b32 s10, s10, exec_lo
.LBB225_290:                            ;   in Loop: Header=BB225_31 Depth=1
	s_or_b32 exec_lo, exec_lo, s94
	s_delay_alu instid0(SALU_CYCLE_1)
	s_or_not1_b32 s3, s10, exec_lo
.LBB225_291:                            ;   in Loop: Header=BB225_31 Depth=1
	s_or_b32 exec_lo, exec_lo, s91
	v_mov_b64_e32 v[4:5], v[6:7]
	s_and_not1_b32 s10, s89, exec_lo
	s_and_b32 s11, s93, exec_lo
	s_and_not1_b32 s20, s84, exec_lo
	s_and_b32 s21, s92, exec_lo
	s_or_b32 s89, s10, s11
	s_or_b32 s84, s20, s21
	s_and_b32 s10, s3, exec_lo
.LBB225_292:                            ;   in Loop: Header=BB225_31 Depth=1
	s_or_b32 exec_lo, exec_lo, s90
	s_delay_alu instid0(SALU_CYCLE_1)
	s_or_not1_b32 s3, s10, exec_lo
.LBB225_293:                            ;   in Loop: Header=BB225_31 Depth=1
	s_or_b32 exec_lo, exec_lo, s27
	s_mov_b32 s10, 0
	s_mov_b32 s11, 0
	s_and_saveexec_b32 s20, s3
	s_delay_alu instid0(SALU_CYCLE_1)
	s_xor_b32 s3, exec_lo, s20
; %bb.294:                              ;   in Loop: Header=BB225_31 Depth=1
	v_cmp_ne_u32_e32 vcc_lo, 8, v2
	v_cmp_eq_u32_e64 s10, 8, v2
	s_and_b32 s11, vcc_lo, exec_lo
	s_and_b32 s10, s10, exec_lo
; %bb.295:                              ;   in Loop: Header=BB225_31 Depth=1
	s_or_b32 exec_lo, exec_lo, s3
	s_delay_alu instid0(SALU_CYCLE_1)
	s_and_not1_b32 s3, s86, exec_lo
	s_and_b32 s20, s89, exec_lo
	s_and_not1_b32 s21, s85, exec_lo
	s_and_b32 s22, s84, exec_lo
	s_or_b32 s86, s3, s20
	s_or_b32 s85, s21, s22
	s_and_b32 s27, s11, exec_lo
	s_and_b32 s84, s10, exec_lo
.LBB225_296:                            ;   in Loop: Header=BB225_31 Depth=1
	s_or_b32 exec_lo, exec_lo, s88
.LBB225_297:                            ;   in Loop: Header=BB225_31 Depth=1
	s_delay_alu instid0(SALU_CYCLE_1)
	s_and_b32 vcc_lo, exec_lo, s87
	s_cbranch_vccz .LBB225_313
; %bb.298:                              ;   in Loop: Header=BB225_31 Depth=1
	s_cmp_eq_u64 s[18:19], 1
                                        ; implicit-def: $sgpr87
                                        ; implicit-def: $sgpr26
	s_cselect_b32 s3, -1, 0
	s_delay_alu instid0(SALU_CYCLE_1)
	s_and_b32 s9, s3, s9
	s_mov_b32 s3, -1
	s_and_saveexec_b32 s85, s9
	s_cbranch_execz .LBB225_331
; %bb.299:                              ;   in Loop: Header=BB225_31 Depth=1
	ds_load_b64 v[4:5], v3 offset:5120
	s_wait_dscnt 0x0
	s_barrier_signal -1
	s_barrier_wait -1
	v_readfirstlane_b32 s10, v4
	v_readfirstlane_b32 s11, v5
	s_and_saveexec_b32 s3, s6
; %bb.300:                              ;   in Loop: Header=BB225_31 Depth=1
	ds_store_b16 v47, v3
; %bb.301:                              ;   in Loop: Header=BB225_31 Depth=1
	s_or_b32 exec_lo, exec_lo, s3
	v_or_b32_e32 v50, s24, v50
	v_or_b32_e32 v53, s24, v53
	s_mov_b32 s26, -1
	s_mov_b32 s87, 0
	s_cmp_eq_u64 s[10:11], 0
	s_mov_b32 s3, 0
	s_mov_b32 s22, -1
	s_wait_dscnt 0x0
	s_barrier_signal -1
	s_barrier_wait -1
                                        ; implicit-def: $vgpr54
	s_cbranch_scc1 .LBB225_316
; %bb.302:                              ;   in Loop: Header=BB225_31 Depth=1
	s_add_nc_u64 s[20:21], s[10:11], s[64:65]
	s_delay_alu instid0(SALU_CYCLE_1) | instskip(NEXT) | instid1(SALU_CYCLE_1)
	s_and_b64 s[22:23], s[20:21], 0xffffffff00000000
	s_cmp_lg_u64 s[22:23], 0
	s_cbranch_scc0 .LBB225_357
; %bb.303:                              ;   in Loop: Header=BB225_31 Depth=1
	s_cvt_f32_u32 s3, s40
	s_sub_nc_u64 s[88:89], 0, s[40:41]
	s_delay_alu instid0(SALU_CYCLE_2) | instskip(NEXT) | instid1(SALU_CYCLE_3)
	s_fmamk_f32 s3, s52, 0x0, s3
	v_s_rcp_f32 s3, s3
	s_delay_alu instid0(TRANS32_DEP_1) | instskip(NEXT) | instid1(SALU_CYCLE_3)
	s_mul_f32 s3, s3, 0x5f7ffffc
	s_mul_f32 s22, s3, 0x2f800000
	s_delay_alu instid0(SALU_CYCLE_3) | instskip(NEXT) | instid1(SALU_CYCLE_3)
	s_trunc_f32 s22, s22
	s_fmamk_f32 s3, s22, 0xcf800000, s3
	s_cvt_u32_f32 s23, s22
	s_delay_alu instid0(SALU_CYCLE_2) | instskip(NEXT) | instid1(SALU_CYCLE_3)
	s_cvt_u32_f32 s22, s3
	s_mul_u64 s[90:91], s[88:89], s[22:23]
	s_delay_alu instid0(SALU_CYCLE_1)
	s_mul_hi_u32 s93, s22, s91
	s_mul_i32 s92, s22, s91
	s_mul_hi_u32 s28, s22, s90
	s_mul_i32 s76, s23, s90
	s_add_nc_u64 s[92:93], s[28:29], s[92:93]
	s_mul_hi_u32 s3, s23, s90
	s_mul_hi_u32 s77, s23, s91
	s_add_co_u32 s28, s92, s76
	s_add_co_ci_u32 s28, s93, s3
	s_mul_i32 s90, s23, s91
	s_add_co_ci_u32 s91, s77, 0
	s_delay_alu instid0(SALU_CYCLE_1) | instskip(NEXT) | instid1(SALU_CYCLE_1)
	s_add_nc_u64 s[90:91], s[28:29], s[90:91]
	s_add_co_u32 s22, s22, s90
	s_cselect_b32 s3, -1, 0
	s_delay_alu instid0(SALU_CYCLE_1) | instskip(SKIP_1) | instid1(SALU_CYCLE_1)
	s_cmp_lg_u32 s3, 0
	s_add_co_ci_u32 s23, s23, s91
	s_mul_u64 s[88:89], s[88:89], s[22:23]
	s_delay_alu instid0(SALU_CYCLE_1)
	s_mul_hi_u32 s91, s22, s89
	s_mul_i32 s90, s22, s89
	s_mul_hi_u32 s28, s22, s88
	s_mul_i32 s76, s23, s88
	s_add_nc_u64 s[90:91], s[28:29], s[90:91]
	s_mul_hi_u32 s3, s23, s88
	s_mul_hi_u32 s77, s23, s89
	s_add_co_u32 s28, s90, s76
	s_add_co_ci_u32 s28, s91, s3
	s_mul_i32 s88, s23, s89
	s_add_co_ci_u32 s89, s77, 0
	s_delay_alu instid0(SALU_CYCLE_1) | instskip(NEXT) | instid1(SALU_CYCLE_1)
	s_add_nc_u64 s[88:89], s[28:29], s[88:89]
	s_add_co_u32 s3, s22, s88
	s_cselect_b32 s22, -1, 0
	s_mul_hi_u32 s28, s20, s3
	s_cmp_lg_u32 s22, 0
	s_mul_hi_u32 s76, s21, s3
	s_add_co_ci_u32 s77, s23, s89
	s_mul_i32 s3, s21, s3
	s_mul_hi_u32 s23, s20, s77
	s_mul_i32 s22, s20, s77
	s_mul_hi_u32 s78, s21, s77
	s_add_nc_u64 s[22:23], s[28:29], s[22:23]
	s_mul_i32 s88, s21, s77
	s_add_co_u32 s3, s22, s3
	s_add_co_ci_u32 s28, s23, s76
	s_add_co_ci_u32 s89, s78, 0
	s_delay_alu instid0(SALU_CYCLE_1) | instskip(NEXT) | instid1(SALU_CYCLE_1)
	s_add_nc_u64 s[22:23], s[28:29], s[88:89]
	s_and_b64 s[88:89], s[22:23], 0xffffffff00000000
	s_delay_alu instid0(SALU_CYCLE_1) | instskip(NEXT) | instid1(SALU_CYCLE_1)
	s_or_b32 s88, s88, s22
	s_mul_u64 s[22:23], s[40:41], s[88:89]
	s_delay_alu instid0(SALU_CYCLE_1) | instskip(SKIP_1) | instid1(SALU_CYCLE_1)
	s_sub_co_u32 s3, s20, s22
	s_cselect_b32 s22, -1, 0
	s_cmp_lg_u32 s22, 0
	s_sub_co_ci_u32 s22, s21, s23
	s_sub_co_u32 s23, s3, s40
	s_cselect_b32 s28, -1, 0
	s_delay_alu instid0(SALU_CYCLE_1) | instskip(SKIP_3) | instid1(SALU_CYCLE_1)
	s_cmp_lg_u32 s28, 0
	s_sub_co_ci_u32 s28, s22, 0
	s_sub_co_u32 s76, s23, s40
	s_cselect_b32 s77, -1, 0
	s_cmp_lg_u32 s77, 0
	s_sub_co_ci_u32 s77, s28, 0
	s_cmp_ge_u32 s23, s40
	s_cselect_b32 s78, -1, 0
	s_cmp_eq_u32 s28, 0
	s_cselect_b32 s78, s78, -1
	s_delay_alu instid0(SALU_CYCLE_1)
	s_cmp_lg_u32 s78, 0
	s_cselect_b32 s28, s77, s28
	s_cselect_b32 s76, s76, s23
	s_cmp_ge_u32 s3, s40
	s_cselect_b32 s23, -1, 0
	s_cmp_eq_u32 s22, 0
	s_cselect_b32 s23, s23, -1
	s_delay_alu instid0(SALU_CYCLE_1)
	s_cmp_lg_u32 s23, 0
	s_cselect_b32 s23, s28, s22
	s_cselect_b32 s22, s76, s3
	s_cbranch_execnz .LBB225_305
.LBB225_304:                            ;   in Loop: Header=BB225_31 Depth=1
	v_cvt_f32_u32_e32 v2, s40
	s_sub_co_i32 s22, 0, s40
	s_delay_alu instid0(VALU_DEP_1) | instskip(SKIP_1) | instid1(TRANS32_DEP_1)
	v_rcp_iflag_f32_e32 v2, v2
	v_nop
	v_mul_f32_e32 v2, 0x4f7ffffe, v2
	s_delay_alu instid0(VALU_DEP_1) | instskip(NEXT) | instid1(VALU_DEP_1)
	v_cvt_u32_f32_e32 v2, v2
	v_readfirstlane_b32 s3, v2
	s_mul_i32 s22, s22, s3
	s_delay_alu instid0(SALU_CYCLE_1) | instskip(NEXT) | instid1(SALU_CYCLE_1)
	s_mul_hi_u32 s22, s3, s22
	s_add_co_i32 s3, s3, s22
	s_delay_alu instid0(SALU_CYCLE_1) | instskip(NEXT) | instid1(SALU_CYCLE_1)
	s_mul_hi_u32 s3, s20, s3
	s_mul_i32 s3, s3, s40
	s_delay_alu instid0(SALU_CYCLE_1) | instskip(NEXT) | instid1(SALU_CYCLE_1)
	s_sub_co_i32 s3, s20, s3
	s_sub_co_i32 s22, s3, s40
	s_cmp_ge_u32 s3, s40
	s_cselect_b32 s3, s22, s3
	s_delay_alu instid0(SALU_CYCLE_1) | instskip(SKIP_2) | instid1(SALU_CYCLE_1)
	s_sub_co_i32 s22, s3, s40
	s_cmp_ge_u32 s3, s40
	s_cselect_b32 s28, s22, s3
	s_mov_b64 s[22:23], s[28:29]
.LBB225_305:                            ;   in Loop: Header=BB225_31 Depth=1
	s_delay_alu instid0(SALU_CYCLE_1)
	s_sub_nc_u64 s[20:21], s[20:21], s[22:23]
	s_mov_b32 s22, 0
	s_mov_b32 s3, 0
	s_mov_b32 s23, exec_lo
                                        ; implicit-def: $vgpr54
	v_cmpx_gt_u64_e64 s[20:21], v[0:1]
	s_cbranch_execz .LBB225_315
; %bb.306:                              ;   in Loop: Header=BB225_31 Depth=1
	v_mov_b64_e32 v[4:5], v[0:1]
	v_mov_b32_e32 v2, v46
                                        ; implicit-def: $sgpr28
	s_branch .LBB225_309
.LBB225_307:                            ;   in Loop: Header=BB225_309 Depth=2
	s_or_b32 exec_lo, exec_lo, s86
	s_wait_dscnt 0x0
	s_barrier_signal -1
	s_barrier_wait -1
	ds_load_b32 v6, v3 offset:3072
	s_mov_b32 s86, -1
	s_mov_b32 s88, -1
	s_wait_dscnt 0x0
	s_barrier_signal -1
	s_barrier_wait -1
	v_and_b32_e32 v7, 0x7fff, v6
	s_delay_alu instid0(VALU_DEP_1)
	v_cmp_ne_u32_e32 vcc_lo, 0, v7
	s_cbranch_vccz .LBB225_312
.LBB225_308:                            ;   in Loop: Header=BB225_309 Depth=2
	s_and_b32 s76, exec_lo, s86
	s_delay_alu instid0(SALU_CYCLE_1) | instskip(SKIP_2) | instid1(SALU_CYCLE_1)
	s_or_b32 s3, s76, s3
	s_and_not1_b32 s28, s28, exec_lo
	s_and_b32 s76, s88, exec_lo
	s_or_b32 s28, s28, s76
	s_and_not1_b32 exec_lo, exec_lo, s3
	s_cbranch_execz .LBB225_314
.LBB225_309:                            ;   Parent Loop BB225_31 Depth=1
                                        ; =>  This Inner Loop Header: Depth=2
	s_mov_b32 s86, exec_lo
	s_delay_alu instid0(VALU_DEP_2)
	v_cmpx_gt_u64_e64 s[10:11], v[4:5]
	s_cbranch_execz .LBB225_307
; %bb.310:                              ;   in Loop: Header=BB225_309 Depth=2
	ds_load_u16 v6, v2
	s_wait_dscnt 0x0
	v_cmp_lt_i16_e32 vcc_lo, -1, v6
	v_and_b32_e32 v7, 0xffff, v6
	v_dual_cndmask_b32 v8, 0xffff, v52 :: v_dual_lshlrev_b32 v9, 16, v6
	s_delay_alu instid0(VALU_DEP_1) | instskip(NEXT) | instid1(VALU_DEP_2)
	v_cmp_o_f32_e32 vcc_lo, v9, v9
	v_xor_b32_e32 v7, v8, v7
	s_delay_alu instid0(VALU_DEP_1) | instskip(NEXT) | instid1(VALU_DEP_1)
	v_cndmask_b32_e32 v7, 0xffff, v7, vcc_lo
	v_and_b32_e32 v7, v7, v53
	s_delay_alu instid0(VALU_DEP_1)
	v_cmp_eq_u32_e32 vcc_lo, v7, v50
	s_and_b32 exec_lo, exec_lo, vcc_lo
	s_cbranch_execz .LBB225_307
; %bb.311:                              ;   in Loop: Header=BB225_309 Depth=2
	v_perm_b32 v6, v6, s53, 0x5040100
	ds_store_b32 v3, v6 offset:3072
	s_branch .LBB225_307
.LBB225_312:                            ;   in Loop: Header=BB225_309 Depth=2
	v_add_nc_u64_e32 v[4:5], s[40:41], v[4:5]
	v_add_nc_u32_e32 v2, vcc_hi, v2
	s_mov_b32 s88, 0
	s_delay_alu instid0(VALU_DEP_2)
	v_cmp_le_u64_e32 vcc_lo, s[20:21], v[4:5]
	s_or_not1_b32 s86, vcc_lo, exec_lo
	s_branch .LBB225_308
.LBB225_313:                            ;   in Loop: Header=BB225_31 Depth=1
	v_dual_mov_b32 v50, v10 :: v_dual_mov_b32 v53, v11
	v_mov_b32_e32 v54, v8
	s_mov_b32 s87, 0
	s_and_saveexec_b32 s3, s84
	s_cbranch_execnz .LBB225_490
	s_branch .LBB225_491
.LBB225_314:                            ;   in Loop: Header=BB225_31 Depth=1
	s_or_b32 exec_lo, exec_lo, s3
	v_lshrrev_b32_e32 v54, 16, v6
	s_and_b32 s3, s28, exec_lo
.LBB225_315:                            ;   in Loop: Header=BB225_31 Depth=1
	s_or_b32 exec_lo, exec_lo, s23
.LBB225_316:                            ;   in Loop: Header=BB225_31 Depth=1
	s_delay_alu instid0(SALU_CYCLE_1)
	s_and_b32 vcc_lo, exec_lo, s22
	s_cbranch_vccz .LBB225_330
; %bb.317:                              ;   in Loop: Header=BB225_31 Depth=1
	s_and_b64 s[10:11], s[66:67], 0xffffffff00000000
	s_delay_alu instid0(SALU_CYCLE_1)
	s_cmp_lg_u64 s[10:11], 0
	s_cbranch_scc0 .LBB225_358
; %bb.318:                              ;   in Loop: Header=BB225_31 Depth=1
	s_cvt_f32_u32 s10, s40
	s_sub_nc_u64 s[20:21], 0, s[40:41]
	s_delay_alu instid0(SALU_CYCLE_2) | instskip(NEXT) | instid1(SALU_CYCLE_3)
	s_fmamk_f32 s10, s52, 0x0, s10
	v_s_rcp_f32 s10, s10
	s_delay_alu instid0(TRANS32_DEP_1) | instskip(NEXT) | instid1(SALU_CYCLE_3)
	s_mul_f32 s10, s10, 0x5f7ffffc
	s_mul_f32 s11, s10, 0x2f800000
	s_delay_alu instid0(SALU_CYCLE_3) | instskip(NEXT) | instid1(SALU_CYCLE_3)
	s_trunc_f32 s11, s11
	s_fmamk_f32 s10, s11, 0xcf800000, s10
	s_cvt_u32_f32 s11, s11
	s_delay_alu instid0(SALU_CYCLE_2) | instskip(NEXT) | instid1(SALU_CYCLE_3)
	s_cvt_u32_f32 s10, s10
	s_mul_u64 s[22:23], s[20:21], s[10:11]
	s_delay_alu instid0(SALU_CYCLE_1)
	s_mul_hi_u32 s87, s10, s23
	s_mul_i32 s86, s10, s23
	s_mul_hi_u32 s28, s10, s22
	s_mul_i32 s76, s11, s22
	s_add_nc_u64 s[86:87], s[28:29], s[86:87]
	s_mul_hi_u32 s26, s11, s22
	s_mul_hi_u32 s77, s11, s23
	s_mul_i32 s22, s11, s23
	s_add_co_u32 s23, s86, s76
	s_add_co_ci_u32 s28, s87, s26
	s_add_co_ci_u32 s23, s77, 0
	s_delay_alu instid0(SALU_CYCLE_1) | instskip(NEXT) | instid1(SALU_CYCLE_1)
	s_add_nc_u64 s[22:23], s[28:29], s[22:23]
	s_add_co_u32 s10, s10, s22
	s_cselect_b32 s22, -1, 0
	s_delay_alu instid0(SALU_CYCLE_1) | instskip(SKIP_1) | instid1(SALU_CYCLE_1)
	s_cmp_lg_u32 s22, 0
	s_add_co_ci_u32 s11, s11, s23
	s_mul_u64 s[20:21], s[20:21], s[10:11]
	s_delay_alu instid0(SALU_CYCLE_1)
	s_mul_hi_u32 s23, s10, s21
	s_mul_i32 s22, s10, s21
	s_mul_hi_u32 s28, s10, s20
	s_mul_i32 s76, s11, s20
	s_add_nc_u64 s[22:23], s[28:29], s[22:23]
	s_mul_hi_u32 s26, s11, s20
	s_mul_hi_u32 s77, s11, s21
	s_mul_i32 s20, s11, s21
	s_add_co_u32 s21, s22, s76
	s_add_co_ci_u32 s28, s23, s26
	s_add_co_ci_u32 s21, s77, 0
	s_delay_alu instid0(SALU_CYCLE_1) | instskip(NEXT) | instid1(SALU_CYCLE_1)
	s_add_nc_u64 s[20:21], s[28:29], s[20:21]
	s_add_co_u32 s10, s10, s20
	s_cselect_b32 s20, -1, 0
	s_mul_hi_u32 s28, s66, s10
	s_cmp_lg_u32 s20, 0
	s_mul_hi_u32 s22, s67, s10
	s_add_co_ci_u32 s20, s11, s21
	s_mul_i32 s21, s67, s10
	s_mul_hi_u32 s11, s66, s20
	s_mul_i32 s10, s66, s20
	s_mul_hi_u32 s23, s67, s20
	s_add_nc_u64 s[10:11], s[28:29], s[10:11]
	s_mul_i32 s20, s67, s20
	s_add_co_u32 s10, s10, s21
	s_add_co_ci_u32 s28, s11, s22
	s_add_co_ci_u32 s21, s23, 0
	s_delay_alu instid0(SALU_CYCLE_1) | instskip(NEXT) | instid1(SALU_CYCLE_1)
	s_add_nc_u64 s[10:11], s[28:29], s[20:21]
	s_and_b64 s[20:21], s[10:11], 0xffffffff00000000
	s_delay_alu instid0(SALU_CYCLE_1) | instskip(NEXT) | instid1(SALU_CYCLE_1)
	s_or_b32 s20, s20, s10
	s_mul_u64 s[10:11], s[40:41], s[20:21]
	s_delay_alu instid0(SALU_CYCLE_1) | instskip(SKIP_1) | instid1(SALU_CYCLE_1)
	s_sub_co_u32 s10, s66, s10
	s_cselect_b32 s20, -1, 0
	s_cmp_lg_u32 s20, 0
	s_sub_co_ci_u32 s11, s67, s11
	s_sub_co_u32 s20, s10, s40
	s_cselect_b32 s21, -1, 0
	s_delay_alu instid0(SALU_CYCLE_1) | instskip(SKIP_3) | instid1(SALU_CYCLE_1)
	s_cmp_lg_u32 s21, 0
	s_sub_co_ci_u32 s21, s11, 0
	s_sub_co_u32 s22, s20, s40
	s_cselect_b32 s23, -1, 0
	s_cmp_lg_u32 s23, 0
	s_sub_co_ci_u32 s23, s21, 0
	s_cmp_ge_u32 s20, s40
	s_cselect_b32 s26, -1, 0
	s_cmp_eq_u32 s21, 0
	s_cselect_b32 s26, s26, -1
	s_delay_alu instid0(SALU_CYCLE_1)
	s_cmp_lg_u32 s26, 0
	s_cselect_b32 s21, s23, s21
	s_cselect_b32 s20, s22, s20
	s_cmp_ge_u32 s10, s40
	s_cselect_b32 s22, -1, 0
	s_cmp_eq_u32 s11, 0
	s_cselect_b32 s22, s22, -1
	s_delay_alu instid0(SALU_CYCLE_1)
	s_cmp_lg_u32 s22, 0
	s_cselect_b32 s11, s21, s11
	s_cselect_b32 s10, s20, s10
	s_cbranch_execnz .LBB225_320
.LBB225_319:                            ;   in Loop: Header=BB225_31 Depth=1
	v_cvt_f32_u32_e32 v2, s40
	s_sub_co_i32 s11, 0, s40
	s_delay_alu instid0(VALU_DEP_1) | instskip(SKIP_1) | instid1(TRANS32_DEP_1)
	v_rcp_iflag_f32_e32 v2, v2
	v_nop
	v_mul_f32_e32 v2, 0x4f7ffffe, v2
	s_delay_alu instid0(VALU_DEP_1) | instskip(NEXT) | instid1(VALU_DEP_1)
	v_cvt_u32_f32_e32 v2, v2
	v_readfirstlane_b32 s10, v2
	s_mul_i32 s11, s11, s10
	s_delay_alu instid0(SALU_CYCLE_1) | instskip(NEXT) | instid1(SALU_CYCLE_1)
	s_mul_hi_u32 s11, s10, s11
	s_add_co_i32 s10, s10, s11
	s_delay_alu instid0(SALU_CYCLE_1) | instskip(NEXT) | instid1(SALU_CYCLE_1)
	s_mul_hi_u32 s10, s66, s10
	s_mul_i32 s10, s10, s40
	s_delay_alu instid0(SALU_CYCLE_1) | instskip(NEXT) | instid1(SALU_CYCLE_1)
	s_sub_co_i32 s10, s66, s10
	s_sub_co_i32 s11, s10, s40
	s_cmp_ge_u32 s10, s40
	s_cselect_b32 s10, s11, s10
	s_delay_alu instid0(SALU_CYCLE_1) | instskip(SKIP_2) | instid1(SALU_CYCLE_1)
	s_sub_co_i32 s11, s10, s40
	s_cmp_ge_u32 s10, s40
	s_cselect_b32 s28, s11, s10
	s_mov_b64 s[10:11], s[28:29]
.LBB225_320:                            ;   in Loop: Header=BB225_31 Depth=1
	s_delay_alu instid0(SALU_CYCLE_1)
	s_sub_nc_u64 s[10:11], s[66:67], s[10:11]
	s_mov_b32 s20, exec_lo
                                        ; implicit-def: $vgpr54
	v_nop
	v_cmpx_gt_u64_e64 s[10:11], v[0:1]
	s_cbranch_execz .LBB225_329
; %bb.321:                              ;   in Loop: Header=BB225_31 Depth=1
	v_mov_b64_e32 v[4:5], v[30:31]
	v_mov_b64_e32 v[6:7], v[0:1]
	s_mov_b32 s21, 0
                                        ; implicit-def: $sgpr22
	s_branch .LBB225_324
.LBB225_322:                            ;   in Loop: Header=BB225_324 Depth=2
	s_or_b32 exec_lo, exec_lo, s23
	s_wait_dscnt 0x0
	s_barrier_signal -1
	s_barrier_wait -1
	ds_load_b32 v2, v3 offset:3072
	s_mov_b32 s23, -1
	s_mov_b32 s26, -1
	s_wait_dscnt 0x0
	s_barrier_signal -1
	s_barrier_wait -1
	v_and_b32_e32 v8, 0x7fff, v2
	s_delay_alu instid0(VALU_DEP_1)
	v_cmp_ne_u32_e32 vcc_lo, 0, v8
	s_cbranch_vccz .LBB225_327
.LBB225_323:                            ;   in Loop: Header=BB225_324 Depth=2
	s_and_b32 s23, exec_lo, s23
	s_delay_alu instid0(SALU_CYCLE_1) | instskip(SKIP_2) | instid1(SALU_CYCLE_1)
	s_or_b32 s21, s23, s21
	s_and_not1_b32 s22, s22, exec_lo
	s_and_b32 s23, s26, exec_lo
	s_or_b32 s22, s22, s23
	s_and_not1_b32 exec_lo, exec_lo, s21
	s_cbranch_execz .LBB225_328
.LBB225_324:                            ;   Parent Loop BB225_31 Depth=1
                                        ; =>  This Inner Loop Header: Depth=2
	s_mov_b32 s23, exec_lo
	s_delay_alu instid0(VALU_DEP_1)
	v_cmpx_gt_u64_e64 s[36:37], v[6:7]
	s_cbranch_execz .LBB225_322
; %bb.325:                              ;   in Loop: Header=BB225_324 Depth=2
	global_load_u16 v2, v[4:5], off
	s_wait_loadcnt 0x0
	v_cmp_lt_i16_e32 vcc_lo, -1, v2
	v_and_b32_e32 v8, 0xffff, v2
	v_dual_cndmask_b32 v9, 0xffff, v52 :: v_dual_lshlrev_b32 v10, 16, v2
	s_delay_alu instid0(VALU_DEP_1) | instskip(NEXT) | instid1(VALU_DEP_2)
	v_cmp_o_f32_e32 vcc_lo, v10, v10
	v_xor_b32_e32 v8, v9, v8
	s_delay_alu instid0(VALU_DEP_1) | instskip(NEXT) | instid1(VALU_DEP_1)
	v_cndmask_b32_e32 v8, 0xffff, v8, vcc_lo
	v_and_b32_e32 v8, v8, v53
	s_delay_alu instid0(VALU_DEP_1)
	v_cmp_eq_u32_e32 vcc_lo, v8, v50
	s_and_b32 exec_lo, exec_lo, vcc_lo
	s_cbranch_execz .LBB225_322
; %bb.326:                              ;   in Loop: Header=BB225_324 Depth=2
	v_perm_b32 v2, v2, s53, 0x5040100
	ds_store_b32 v3, v2 offset:3072
	s_branch .LBB225_322
.LBB225_327:                            ;   in Loop: Header=BB225_324 Depth=2
	v_add_nc_u64_e32 v[6:7], s[40:41], v[6:7]
	v_add_nc_u64_e32 v[4:5], s[44:45], v[4:5]
	s_mov_b32 s26, 0
	s_delay_alu instid0(VALU_DEP_2)
	v_cmp_le_u64_e32 vcc_lo, s[10:11], v[6:7]
	s_or_not1_b32 s23, vcc_lo, exec_lo
	s_branch .LBB225_323
.LBB225_328:                            ;   in Loop: Header=BB225_31 Depth=1
	s_or_b32 exec_lo, exec_lo, s21
	v_lshrrev_b32_e32 v54, 16, v2
	s_and_not1_b32 s3, s3, exec_lo
	s_and_b32 s10, s22, exec_lo
	s_delay_alu instid0(SALU_CYCLE_1)
	s_or_b32 s3, s3, s10
.LBB225_329:                            ;   in Loop: Header=BB225_31 Depth=1
	s_or_b32 exec_lo, exec_lo, s20
	s_mov_b32 s26, 0
	s_mov_b32 s87, -1
.LBB225_330:                            ;   in Loop: Header=BB225_31 Depth=1
	s_or_not1_b32 s3, s3, exec_lo
.LBB225_331:                            ;   in Loop: Header=BB225_31 Depth=1
	s_or_b32 exec_lo, exec_lo, s85
                                        ; implicit-def: $vgpr4_vgpr5
                                        ; implicit-def: $vgpr2
	s_and_saveexec_b32 s22, s3
	s_cbranch_execz .LBB225_489
; %bb.332:                              ;   in Loop: Header=BB225_31 Depth=1
	v_mov_b64_e32 v[4:5], 1
	v_mov_b32_e32 v2, 1
	s_xor_b32 s10, s9, -1
	s_mov_b32 s9, 0
	s_and_saveexec_b32 s3, s10
	s_cbranch_execz .LBB225_341
; %bb.333:                              ;   in Loop: Header=BB225_31 Depth=1
	s_mov_b32 s9, exec_lo
	v_cmpx_ge_u64_e64 s[18:19], v[32:33]
	s_xor_b32 s9, exec_lo, s9
	s_cbranch_execz .LBB225_338
; %bb.334:                              ;   in Loop: Header=BB225_31 Depth=1
	ds_load_b64 v[4:5], v3 offset:5120
	v_or_b32_e32 v50, s24, v50
	v_or_b32_e32 v53, s24, v53
	s_wait_dscnt 0x0
	v_cmp_ne_u64_e32 vcc_lo, 0, v[4:5]
	s_cbranch_vccnz .LBB225_338
; %bb.335:                              ;   in Loop: Header=BB225_31 Depth=1
	s_and_saveexec_b32 s10, s5
; %bb.336:                              ;   in Loop: Header=BB225_31 Depth=1
	v_mov_b64_e32 v[4:5], s[18:19]
	ds_store_b64 v3, v[4:5] offset:5128
; %bb.337:                              ;   in Loop: Header=BB225_31 Depth=1
	s_or_b32 exec_lo, exec_lo, s10
	s_wait_dscnt 0x0
	s_barrier_signal -1
	s_barrier_wait -1
.LBB225_338:                            ;   in Loop: Header=BB225_31 Depth=1
	s_or_saveexec_b32 s9, s9
	v_mov_b32_e32 v2, 5
	s_mov_b32 s10, 0
	s_xor_b32 exec_lo, exec_lo, s9
; %bb.339:                              ;   in Loop: Header=BB225_31 Depth=1
	v_sub_nc_u64_e64 v[32:33], v[32:33], s[18:19]
	v_mov_b32_e32 v2, 0
	s_mov_b32 s10, exec_lo
; %bb.340:                              ;   in Loop: Header=BB225_31 Depth=1
	s_or_b32 exec_lo, exec_lo, s9
	s_delay_alu instid0(VALU_DEP_2)
	v_mov_b64_e32 v[4:5], v[32:33]
	s_and_b32 s9, s10, exec_lo
.LBB225_341:                            ;   in Loop: Header=BB225_31 Depth=1
	s_or_b32 exec_lo, exec_lo, s3
	s_mov_b32 s3, -1
                                        ; implicit-def: $sgpr23
                                        ; implicit-def: $sgpr85
	s_and_saveexec_b32 s10, s9
	s_delay_alu instid0(SALU_CYCLE_1)
	s_xor_b32 s9, exec_lo, s10
	s_cbranch_execz .LBB225_486
; %bb.342:                              ;   in Loop: Header=BB225_31 Depth=1
	v_cmp_eq_u64_e32 vcc_lo, 1, v[4:5]
	s_cmp_eq_u64 s[16:17], 1
                                        ; implicit-def: $sgpr85
                                        ; implicit-def: $sgpr23
	s_cselect_b32 s3, -1, 0
	s_delay_alu instid0(SALU_CYCLE_1)
	s_and_b32 s86, s3, vcc_lo
	s_mov_b32 s3, -1
	s_and_saveexec_b32 s88, s86
	s_cbranch_execz .LBB225_376
; %bb.343:                              ;   in Loop: Header=BB225_31 Depth=1
	ds_load_b64 v[6:7], v3 offset:5120
	s_wait_dscnt 0x0
	s_barrier_signal -1
	s_barrier_wait -1
	v_readfirstlane_b32 s10, v6
	v_readfirstlane_b32 s11, v7
	s_and_saveexec_b32 s3, s6
; %bb.344:                              ;   in Loop: Header=BB225_31 Depth=1
	ds_store_b16 v47, v3
; %bb.345:                              ;   in Loop: Header=BB225_31 Depth=1
	s_or_b32 exec_lo, exec_lo, s3
	s_lshl_b32 s3, 2, s54
	v_or_b32_e32 v53, s24, v53
	v_and_or_b32 v50, v50, s25, s3
	s_mov_b32 s23, -1
	s_mov_b32 s85, 0
	s_cmp_eq_u64 s[10:11], 0
	s_mov_b32 s3, 0
	s_mov_b32 s20, -1
	s_wait_dscnt 0x0
	s_barrier_signal -1
	s_barrier_wait -1
                                        ; implicit-def: $vgpr54
	s_cbranch_scc1 .LBB225_361
; %bb.346:                              ;   in Loop: Header=BB225_31 Depth=1
	s_add_nc_u64 s[18:19], s[10:11], s[64:65]
	s_delay_alu instid0(SALU_CYCLE_1) | instskip(NEXT) | instid1(SALU_CYCLE_1)
	s_and_b64 s[20:21], s[18:19], 0xffffffff00000000
	s_cmp_lg_u64 s[20:21], 0
	s_cbranch_scc0 .LBB225_402
; %bb.347:                              ;   in Loop: Header=BB225_31 Depth=1
	s_cvt_f32_u32 s3, s40
	s_sub_nc_u64 s[90:91], 0, s[40:41]
	s_delay_alu instid0(SALU_CYCLE_2) | instskip(NEXT) | instid1(SALU_CYCLE_3)
	s_fmamk_f32 s3, s52, 0x0, s3
	v_s_rcp_f32 s3, s3
	s_delay_alu instid0(TRANS32_DEP_1) | instskip(NEXT) | instid1(SALU_CYCLE_3)
	s_mul_f32 s3, s3, 0x5f7ffffc
	s_mul_f32 s20, s3, 0x2f800000
	s_delay_alu instid0(SALU_CYCLE_3) | instskip(NEXT) | instid1(SALU_CYCLE_3)
	s_trunc_f32 s20, s20
	s_fmamk_f32 s3, s20, 0xcf800000, s3
	s_cvt_u32_f32 s21, s20
	s_delay_alu instid0(SALU_CYCLE_2) | instskip(NEXT) | instid1(SALU_CYCLE_3)
	s_cvt_u32_f32 s20, s3
	s_mul_u64 s[92:93], s[90:91], s[20:21]
	s_delay_alu instid0(SALU_CYCLE_1)
	s_mul_hi_u32 s95, s20, s93
	s_mul_i32 s94, s20, s93
	s_mul_hi_u32 s28, s20, s92
	s_mul_i32 s76, s21, s92
	s_add_nc_u64 s[94:95], s[28:29], s[94:95]
	s_mul_hi_u32 s3, s21, s92
	s_mul_hi_u32 s77, s21, s93
	s_add_co_u32 s28, s94, s76
	s_add_co_ci_u32 s28, s95, s3
	s_mul_i32 s92, s21, s93
	s_add_co_ci_u32 s93, s77, 0
	s_delay_alu instid0(SALU_CYCLE_1) | instskip(NEXT) | instid1(SALU_CYCLE_1)
	s_add_nc_u64 s[92:93], s[28:29], s[92:93]
	s_add_co_u32 s20, s20, s92
	s_cselect_b32 s3, -1, 0
	s_delay_alu instid0(SALU_CYCLE_1) | instskip(SKIP_1) | instid1(SALU_CYCLE_1)
	s_cmp_lg_u32 s3, 0
	s_add_co_ci_u32 s21, s21, s93
	s_mul_u64 s[90:91], s[90:91], s[20:21]
	s_delay_alu instid0(SALU_CYCLE_1)
	s_mul_hi_u32 s93, s20, s91
	s_mul_i32 s92, s20, s91
	s_mul_hi_u32 s28, s20, s90
	s_mul_i32 s76, s21, s90
	s_add_nc_u64 s[92:93], s[28:29], s[92:93]
	s_mul_hi_u32 s3, s21, s90
	s_mul_hi_u32 s77, s21, s91
	s_add_co_u32 s28, s92, s76
	s_add_co_ci_u32 s28, s93, s3
	s_mul_i32 s90, s21, s91
	s_add_co_ci_u32 s91, s77, 0
	s_delay_alu instid0(SALU_CYCLE_1) | instskip(NEXT) | instid1(SALU_CYCLE_1)
	s_add_nc_u64 s[90:91], s[28:29], s[90:91]
	s_add_co_u32 s3, s20, s90
	s_cselect_b32 s20, -1, 0
	s_mul_hi_u32 s28, s18, s3
	s_cmp_lg_u32 s20, 0
	s_mul_hi_u32 s76, s19, s3
	s_add_co_ci_u32 s77, s21, s91
	s_mul_i32 s3, s19, s3
	s_mul_hi_u32 s21, s18, s77
	s_mul_i32 s20, s18, s77
	s_mul_hi_u32 s78, s19, s77
	s_add_nc_u64 s[20:21], s[28:29], s[20:21]
	s_mul_i32 s90, s19, s77
	s_add_co_u32 s3, s20, s3
	s_add_co_ci_u32 s28, s21, s76
	s_add_co_ci_u32 s91, s78, 0
	s_delay_alu instid0(SALU_CYCLE_1) | instskip(NEXT) | instid1(SALU_CYCLE_1)
	s_add_nc_u64 s[20:21], s[28:29], s[90:91]
	s_and_b64 s[90:91], s[20:21], 0xffffffff00000000
	s_delay_alu instid0(SALU_CYCLE_1) | instskip(NEXT) | instid1(SALU_CYCLE_1)
	s_or_b32 s90, s90, s20
	s_mul_u64 s[20:21], s[40:41], s[90:91]
	s_delay_alu instid0(SALU_CYCLE_1) | instskip(SKIP_1) | instid1(SALU_CYCLE_1)
	s_sub_co_u32 s3, s18, s20
	s_cselect_b32 s20, -1, 0
	s_cmp_lg_u32 s20, 0
	s_sub_co_ci_u32 s20, s19, s21
	s_sub_co_u32 s21, s3, s40
	s_cselect_b32 s28, -1, 0
	s_delay_alu instid0(SALU_CYCLE_1) | instskip(SKIP_3) | instid1(SALU_CYCLE_1)
	s_cmp_lg_u32 s28, 0
	s_sub_co_ci_u32 s28, s20, 0
	s_sub_co_u32 s76, s21, s40
	s_cselect_b32 s77, -1, 0
	s_cmp_lg_u32 s77, 0
	s_sub_co_ci_u32 s77, s28, 0
	s_cmp_ge_u32 s21, s40
	s_cselect_b32 s78, -1, 0
	s_cmp_eq_u32 s28, 0
	s_cselect_b32 s78, s78, -1
	s_delay_alu instid0(SALU_CYCLE_1)
	s_cmp_lg_u32 s78, 0
	s_cselect_b32 s28, s77, s28
	s_cselect_b32 s76, s76, s21
	s_cmp_ge_u32 s3, s40
	s_cselect_b32 s21, -1, 0
	s_cmp_eq_u32 s20, 0
	s_cselect_b32 s21, s21, -1
	s_delay_alu instid0(SALU_CYCLE_1)
	s_cmp_lg_u32 s21, 0
	s_cselect_b32 s21, s28, s20
	s_cselect_b32 s20, s76, s3
	s_cbranch_execnz .LBB225_349
.LBB225_348:                            ;   in Loop: Header=BB225_31 Depth=1
	v_cvt_f32_u32_e32 v6, s40
	s_sub_co_i32 s20, 0, s40
	s_delay_alu instid0(VALU_DEP_1) | instskip(SKIP_1) | instid1(TRANS32_DEP_1)
	v_rcp_iflag_f32_e32 v6, v6
	v_nop
	v_mul_f32_e32 v6, 0x4f7ffffe, v6
	s_delay_alu instid0(VALU_DEP_1) | instskip(NEXT) | instid1(VALU_DEP_1)
	v_cvt_u32_f32_e32 v6, v6
	v_readfirstlane_b32 s3, v6
	s_mul_i32 s20, s20, s3
	s_delay_alu instid0(SALU_CYCLE_1) | instskip(NEXT) | instid1(SALU_CYCLE_1)
	s_mul_hi_u32 s20, s3, s20
	s_add_co_i32 s3, s3, s20
	s_delay_alu instid0(SALU_CYCLE_1) | instskip(NEXT) | instid1(SALU_CYCLE_1)
	s_mul_hi_u32 s3, s18, s3
	s_mul_i32 s3, s3, s40
	s_delay_alu instid0(SALU_CYCLE_1) | instskip(NEXT) | instid1(SALU_CYCLE_1)
	s_sub_co_i32 s3, s18, s3
	s_sub_co_i32 s20, s3, s40
	s_cmp_ge_u32 s3, s40
	s_cselect_b32 s3, s20, s3
	s_delay_alu instid0(SALU_CYCLE_1) | instskip(SKIP_2) | instid1(SALU_CYCLE_1)
	s_sub_co_i32 s20, s3, s40
	s_cmp_ge_u32 s3, s40
	s_cselect_b32 s28, s20, s3
	s_mov_b64 s[20:21], s[28:29]
.LBB225_349:                            ;   in Loop: Header=BB225_31 Depth=1
	s_delay_alu instid0(SALU_CYCLE_1)
	s_sub_nc_u64 s[18:19], s[18:19], s[20:21]
	s_mov_b32 s20, 0
	s_mov_b32 s3, 0
	s_mov_b32 s21, exec_lo
                                        ; implicit-def: $vgpr54
	v_cmpx_gt_u64_e64 s[18:19], v[0:1]
	s_cbranch_execz .LBB225_360
; %bb.350:                              ;   in Loop: Header=BB225_31 Depth=1
	v_mov_b64_e32 v[6:7], v[0:1]
	v_mov_b32_e32 v8, v46
                                        ; implicit-def: $sgpr28
	s_branch .LBB225_353
.LBB225_351:                            ;   in Loop: Header=BB225_353 Depth=2
	s_or_b32 exec_lo, exec_lo, s89
	s_wait_dscnt 0x0
	s_barrier_signal -1
	s_barrier_wait -1
	ds_load_b32 v9, v3 offset:3072
	s_mov_b32 s89, -1
	s_mov_b32 s90, -1
	s_wait_dscnt 0x0
	s_barrier_signal -1
	s_barrier_wait -1
	v_and_b32_e32 v10, 0x7fff, v9
	s_delay_alu instid0(VALU_DEP_1)
	v_cmp_ne_u32_e32 vcc_lo, 0, v10
	s_cbranch_vccz .LBB225_356
.LBB225_352:                            ;   in Loop: Header=BB225_353 Depth=2
	s_and_b32 s76, exec_lo, s89
	s_delay_alu instid0(SALU_CYCLE_1) | instskip(SKIP_2) | instid1(SALU_CYCLE_1)
	s_or_b32 s3, s76, s3
	s_and_not1_b32 s28, s28, exec_lo
	s_and_b32 s76, s90, exec_lo
	s_or_b32 s28, s28, s76
	s_and_not1_b32 exec_lo, exec_lo, s3
	s_cbranch_execz .LBB225_359
.LBB225_353:                            ;   Parent Loop BB225_31 Depth=1
                                        ; =>  This Inner Loop Header: Depth=2
	s_mov_b32 s89, exec_lo
	s_delay_alu instid0(VALU_DEP_2)
	v_cmpx_gt_u64_e64 s[10:11], v[6:7]
	s_cbranch_execz .LBB225_351
; %bb.354:                              ;   in Loop: Header=BB225_353 Depth=2
	ds_load_u16 v9, v8
	s_wait_dscnt 0x0
	v_cmp_lt_i16_e32 vcc_lo, -1, v9
	v_and_b32_e32 v10, 0xffff, v9
	v_dual_cndmask_b32 v11, 0xffff, v52 :: v_dual_lshlrev_b32 v32, 16, v9
	s_delay_alu instid0(VALU_DEP_1) | instskip(NEXT) | instid1(VALU_DEP_2)
	v_cmp_o_f32_e32 vcc_lo, v32, v32
	v_xor_b32_e32 v10, v11, v10
	s_delay_alu instid0(VALU_DEP_1) | instskip(NEXT) | instid1(VALU_DEP_1)
	v_cndmask_b32_e32 v10, 0xffff, v10, vcc_lo
	v_and_b32_e32 v10, v10, v53
	s_delay_alu instid0(VALU_DEP_1)
	v_cmp_eq_u32_e32 vcc_lo, v10, v50
	s_and_b32 exec_lo, exec_lo, vcc_lo
	s_cbranch_execz .LBB225_351
; %bb.355:                              ;   in Loop: Header=BB225_353 Depth=2
	v_perm_b32 v9, v9, s53, 0x5040100
	ds_store_b32 v3, v9 offset:3072
	s_branch .LBB225_351
.LBB225_356:                            ;   in Loop: Header=BB225_353 Depth=2
	v_add_nc_u64_e32 v[6:7], s[40:41], v[6:7]
	v_add_nc_u32_e32 v8, vcc_hi, v8
	s_mov_b32 s90, 0
	s_delay_alu instid0(VALU_DEP_2)
	v_cmp_le_u64_e32 vcc_lo, s[18:19], v[6:7]
	s_or_not1_b32 s89, vcc_lo, exec_lo
	s_branch .LBB225_352
.LBB225_357:                            ;   in Loop: Header=BB225_31 Depth=1
                                        ; implicit-def: $sgpr22_sgpr23
	s_branch .LBB225_304
.LBB225_358:                            ;   in Loop: Header=BB225_31 Depth=1
                                        ; implicit-def: $sgpr10_sgpr11
	s_branch .LBB225_319
.LBB225_359:                            ;   in Loop: Header=BB225_31 Depth=1
	s_or_b32 exec_lo, exec_lo, s3
	v_lshrrev_b32_e32 v54, 16, v9
	s_and_b32 s3, s28, exec_lo
.LBB225_360:                            ;   in Loop: Header=BB225_31 Depth=1
	s_or_b32 exec_lo, exec_lo, s21
.LBB225_361:                            ;   in Loop: Header=BB225_31 Depth=1
	s_delay_alu instid0(SALU_CYCLE_1)
	s_and_b32 vcc_lo, exec_lo, s20
	s_cbranch_vccz .LBB225_375
; %bb.362:                              ;   in Loop: Header=BB225_31 Depth=1
	s_and_b64 s[10:11], s[66:67], 0xffffffff00000000
	s_delay_alu instid0(SALU_CYCLE_1)
	s_cmp_lg_u64 s[10:11], 0
	s_cbranch_scc0 .LBB225_403
; %bb.363:                              ;   in Loop: Header=BB225_31 Depth=1
	s_cvt_f32_u32 s10, s40
	s_sub_nc_u64 s[18:19], 0, s[40:41]
	s_delay_alu instid0(SALU_CYCLE_2) | instskip(NEXT) | instid1(SALU_CYCLE_3)
	s_fmamk_f32 s10, s52, 0x0, s10
	v_s_rcp_f32 s10, s10
	s_delay_alu instid0(TRANS32_DEP_1) | instskip(NEXT) | instid1(SALU_CYCLE_3)
	s_mul_f32 s10, s10, 0x5f7ffffc
	s_mul_f32 s11, s10, 0x2f800000
	s_delay_alu instid0(SALU_CYCLE_3) | instskip(NEXT) | instid1(SALU_CYCLE_3)
	s_trunc_f32 s11, s11
	s_fmamk_f32 s10, s11, 0xcf800000, s10
	s_cvt_u32_f32 s11, s11
	s_delay_alu instid0(SALU_CYCLE_2) | instskip(NEXT) | instid1(SALU_CYCLE_3)
	s_cvt_u32_f32 s10, s10
	s_mul_u64 s[20:21], s[18:19], s[10:11]
	s_delay_alu instid0(SALU_CYCLE_1)
	s_mul_hi_u32 s91, s10, s21
	s_mul_i32 s90, s10, s21
	s_mul_hi_u32 s28, s10, s20
	s_mul_i32 s76, s11, s20
	s_add_nc_u64 s[90:91], s[28:29], s[90:91]
	s_mul_hi_u32 s23, s11, s20
	s_mul_hi_u32 s77, s11, s21
	s_mul_i32 s20, s11, s21
	s_add_co_u32 s21, s90, s76
	s_add_co_ci_u32 s28, s91, s23
	s_add_co_ci_u32 s21, s77, 0
	s_delay_alu instid0(SALU_CYCLE_1) | instskip(NEXT) | instid1(SALU_CYCLE_1)
	s_add_nc_u64 s[20:21], s[28:29], s[20:21]
	s_add_co_u32 s10, s10, s20
	s_cselect_b32 s20, -1, 0
	s_delay_alu instid0(SALU_CYCLE_1) | instskip(SKIP_1) | instid1(SALU_CYCLE_1)
	s_cmp_lg_u32 s20, 0
	s_add_co_ci_u32 s11, s11, s21
	s_mul_u64 s[18:19], s[18:19], s[10:11]
	s_delay_alu instid0(SALU_CYCLE_1)
	s_mul_hi_u32 s21, s10, s19
	s_mul_i32 s20, s10, s19
	s_mul_hi_u32 s28, s10, s18
	s_mul_i32 s76, s11, s18
	s_add_nc_u64 s[20:21], s[28:29], s[20:21]
	s_mul_hi_u32 s23, s11, s18
	s_mul_hi_u32 s77, s11, s19
	s_mul_i32 s18, s11, s19
	s_add_co_u32 s19, s20, s76
	s_add_co_ci_u32 s28, s21, s23
	s_add_co_ci_u32 s19, s77, 0
	s_delay_alu instid0(SALU_CYCLE_1) | instskip(NEXT) | instid1(SALU_CYCLE_1)
	s_add_nc_u64 s[18:19], s[28:29], s[18:19]
	s_add_co_u32 s10, s10, s18
	s_cselect_b32 s18, -1, 0
	s_mul_hi_u32 s28, s66, s10
	s_cmp_lg_u32 s18, 0
	s_mul_hi_u32 s20, s67, s10
	s_add_co_ci_u32 s18, s11, s19
	s_mul_i32 s19, s67, s10
	s_mul_hi_u32 s11, s66, s18
	s_mul_i32 s10, s66, s18
	s_mul_hi_u32 s21, s67, s18
	s_add_nc_u64 s[10:11], s[28:29], s[10:11]
	s_mul_i32 s18, s67, s18
	s_add_co_u32 s10, s10, s19
	s_add_co_ci_u32 s28, s11, s20
	s_add_co_ci_u32 s19, s21, 0
	s_delay_alu instid0(SALU_CYCLE_1) | instskip(NEXT) | instid1(SALU_CYCLE_1)
	s_add_nc_u64 s[10:11], s[28:29], s[18:19]
	s_and_b64 s[18:19], s[10:11], 0xffffffff00000000
	s_delay_alu instid0(SALU_CYCLE_1) | instskip(NEXT) | instid1(SALU_CYCLE_1)
	s_or_b32 s18, s18, s10
	s_mul_u64 s[10:11], s[40:41], s[18:19]
	s_delay_alu instid0(SALU_CYCLE_1) | instskip(SKIP_1) | instid1(SALU_CYCLE_1)
	s_sub_co_u32 s10, s66, s10
	s_cselect_b32 s18, -1, 0
	s_cmp_lg_u32 s18, 0
	s_sub_co_ci_u32 s11, s67, s11
	s_sub_co_u32 s18, s10, s40
	s_cselect_b32 s19, -1, 0
	s_delay_alu instid0(SALU_CYCLE_1) | instskip(SKIP_3) | instid1(SALU_CYCLE_1)
	s_cmp_lg_u32 s19, 0
	s_sub_co_ci_u32 s19, s11, 0
	s_sub_co_u32 s20, s18, s40
	s_cselect_b32 s21, -1, 0
	s_cmp_lg_u32 s21, 0
	s_sub_co_ci_u32 s21, s19, 0
	s_cmp_ge_u32 s18, s40
	s_cselect_b32 s23, -1, 0
	s_cmp_eq_u32 s19, 0
	s_cselect_b32 s23, s23, -1
	s_delay_alu instid0(SALU_CYCLE_1)
	s_cmp_lg_u32 s23, 0
	s_cselect_b32 s19, s21, s19
	s_cselect_b32 s18, s20, s18
	s_cmp_ge_u32 s10, s40
	s_cselect_b32 s20, -1, 0
	s_cmp_eq_u32 s11, 0
	s_cselect_b32 s20, s20, -1
	s_delay_alu instid0(SALU_CYCLE_1)
	s_cmp_lg_u32 s20, 0
	s_cselect_b32 s11, s19, s11
	s_cselect_b32 s10, s18, s10
	s_cbranch_execnz .LBB225_365
.LBB225_364:                            ;   in Loop: Header=BB225_31 Depth=1
	v_cvt_f32_u32_e32 v6, s40
	s_sub_co_i32 s11, 0, s40
	s_delay_alu instid0(VALU_DEP_1) | instskip(SKIP_1) | instid1(TRANS32_DEP_1)
	v_rcp_iflag_f32_e32 v6, v6
	v_nop
	v_mul_f32_e32 v6, 0x4f7ffffe, v6
	s_delay_alu instid0(VALU_DEP_1) | instskip(NEXT) | instid1(VALU_DEP_1)
	v_cvt_u32_f32_e32 v6, v6
	v_readfirstlane_b32 s10, v6
	s_mul_i32 s11, s11, s10
	s_delay_alu instid0(SALU_CYCLE_1) | instskip(NEXT) | instid1(SALU_CYCLE_1)
	s_mul_hi_u32 s11, s10, s11
	s_add_co_i32 s10, s10, s11
	s_delay_alu instid0(SALU_CYCLE_1) | instskip(NEXT) | instid1(SALU_CYCLE_1)
	s_mul_hi_u32 s10, s66, s10
	s_mul_i32 s10, s10, s40
	s_delay_alu instid0(SALU_CYCLE_1) | instskip(NEXT) | instid1(SALU_CYCLE_1)
	s_sub_co_i32 s10, s66, s10
	s_sub_co_i32 s11, s10, s40
	s_cmp_ge_u32 s10, s40
	s_cselect_b32 s10, s11, s10
	s_delay_alu instid0(SALU_CYCLE_1) | instskip(SKIP_2) | instid1(SALU_CYCLE_1)
	s_sub_co_i32 s11, s10, s40
	s_cmp_ge_u32 s10, s40
	s_cselect_b32 s28, s11, s10
	s_mov_b64 s[10:11], s[28:29]
.LBB225_365:                            ;   in Loop: Header=BB225_31 Depth=1
	s_delay_alu instid0(SALU_CYCLE_1)
	s_sub_nc_u64 s[10:11], s[66:67], s[10:11]
	s_mov_b32 s18, exec_lo
                                        ; implicit-def: $vgpr54
	v_nop
	v_cmpx_gt_u64_e64 s[10:11], v[0:1]
	s_cbranch_execz .LBB225_374
; %bb.366:                              ;   in Loop: Header=BB225_31 Depth=1
	v_mov_b64_e32 v[6:7], v[30:31]
	v_mov_b64_e32 v[8:9], v[0:1]
	s_mov_b32 s19, 0
                                        ; implicit-def: $sgpr20
	s_branch .LBB225_369
.LBB225_367:                            ;   in Loop: Header=BB225_369 Depth=2
	s_or_b32 exec_lo, exec_lo, s21
	s_wait_dscnt 0x0
	s_barrier_signal -1
	s_barrier_wait -1
	ds_load_b32 v10, v3 offset:3072
	s_mov_b32 s21, -1
	s_mov_b32 s23, -1
	s_wait_dscnt 0x0
	s_barrier_signal -1
	s_barrier_wait -1
	v_and_b32_e32 v11, 0x7fff, v10
	s_delay_alu instid0(VALU_DEP_1)
	v_cmp_eq_u32_e32 vcc_lo, 0, v11
	s_cbranch_vccnz .LBB225_372
.LBB225_368:                            ;   in Loop: Header=BB225_369 Depth=2
	s_and_b32 s21, exec_lo, s21
	s_delay_alu instid0(SALU_CYCLE_1) | instskip(SKIP_2) | instid1(SALU_CYCLE_1)
	s_or_b32 s19, s21, s19
	s_and_not1_b32 s20, s20, exec_lo
	s_and_b32 s21, s23, exec_lo
	s_or_b32 s20, s20, s21
	s_and_not1_b32 exec_lo, exec_lo, s19
	s_cbranch_execz .LBB225_373
.LBB225_369:                            ;   Parent Loop BB225_31 Depth=1
                                        ; =>  This Inner Loop Header: Depth=2
	s_mov_b32 s21, exec_lo
	s_delay_alu instid0(VALU_DEP_1)
	v_cmpx_gt_u64_e64 s[36:37], v[8:9]
	s_cbranch_execz .LBB225_367
; %bb.370:                              ;   in Loop: Header=BB225_369 Depth=2
	global_load_u16 v10, v[6:7], off
	s_wait_loadcnt 0x0
	v_cmp_lt_i16_e32 vcc_lo, -1, v10
	v_and_b32_e32 v11, 0xffff, v10
	v_dual_cndmask_b32 v32, 0xffff, v52 :: v_dual_lshlrev_b32 v33, 16, v10
	s_delay_alu instid0(VALU_DEP_1) | instskip(NEXT) | instid1(VALU_DEP_2)
	v_cmp_o_f32_e32 vcc_lo, v33, v33
	v_xor_b32_e32 v11, v32, v11
	s_delay_alu instid0(VALU_DEP_1) | instskip(NEXT) | instid1(VALU_DEP_1)
	v_cndmask_b32_e32 v11, 0xffff, v11, vcc_lo
	v_and_b32_e32 v11, v11, v53
	s_delay_alu instid0(VALU_DEP_1)
	v_cmp_eq_u32_e32 vcc_lo, v11, v50
	s_and_b32 exec_lo, exec_lo, vcc_lo
	s_cbranch_execz .LBB225_367
; %bb.371:                              ;   in Loop: Header=BB225_369 Depth=2
	v_perm_b32 v10, v10, s53, 0x5040100
	ds_store_b32 v3, v10 offset:3072
	s_branch .LBB225_367
.LBB225_372:                            ;   in Loop: Header=BB225_369 Depth=2
	v_add_nc_u64_e32 v[8:9], s[40:41], v[8:9]
	v_add_nc_u64_e32 v[6:7], s[44:45], v[6:7]
	s_mov_b32 s23, 0
	s_delay_alu instid0(VALU_DEP_2)
	v_cmp_le_u64_e32 vcc_lo, s[10:11], v[8:9]
	s_or_not1_b32 s21, vcc_lo, exec_lo
	s_branch .LBB225_368
.LBB225_373:                            ;   in Loop: Header=BB225_31 Depth=1
	s_or_b32 exec_lo, exec_lo, s19
	v_lshrrev_b32_e32 v54, 16, v10
	s_and_not1_b32 s3, s3, exec_lo
	s_and_b32 s10, s20, exec_lo
	s_delay_alu instid0(SALU_CYCLE_1)
	s_or_b32 s3, s3, s10
.LBB225_374:                            ;   in Loop: Header=BB225_31 Depth=1
	s_or_b32 exec_lo, exec_lo, s18
	s_mov_b32 s23, 0
	s_mov_b32 s85, -1
.LBB225_375:                            ;   in Loop: Header=BB225_31 Depth=1
	s_or_not1_b32 s3, s3, exec_lo
.LBB225_376:                            ;   in Loop: Header=BB225_31 Depth=1
	s_or_b32 exec_lo, exec_lo, s88
	s_mov_b32 s10, 0
	s_and_saveexec_b32 s20, s3
	s_cbranch_execz .LBB225_485
; %bb.377:                              ;   in Loop: Header=BB225_31 Depth=1
	v_mov_b64_e32 v[6:7], 1
	v_mov_b32_e32 v2, 1
	s_xor_b32 s11, s86, -1
	s_delay_alu instid0(SALU_CYCLE_1)
	s_and_saveexec_b32 s3, s11
	s_cbranch_execz .LBB225_386
; %bb.378:                              ;   in Loop: Header=BB225_31 Depth=1
	s_mov_b32 s10, exec_lo
	v_cmpx_ge_u64_e64 s[16:17], v[4:5]
	s_xor_b32 s10, exec_lo, s10
	s_cbranch_execz .LBB225_383
; %bb.379:                              ;   in Loop: Header=BB225_31 Depth=1
	ds_load_b64 v[6:7], v3 offset:5120
	s_lshl_b32 s11, 2, s54
	v_or_b32_e32 v53, s24, v53
	v_and_or_b32 v50, v50, s25, s11
	s_wait_dscnt 0x0
	v_cmp_ne_u64_e32 vcc_lo, 0, v[6:7]
	s_cbranch_vccnz .LBB225_383
; %bb.380:                              ;   in Loop: Header=BB225_31 Depth=1
	s_and_saveexec_b32 s11, s5
; %bb.381:                              ;   in Loop: Header=BB225_31 Depth=1
	v_mov_b64_e32 v[6:7], s[16:17]
	ds_store_b64 v3, v[6:7] offset:5128
; %bb.382:                              ;   in Loop: Header=BB225_31 Depth=1
	s_or_b32 exec_lo, exec_lo, s11
	s_wait_dscnt 0x0
	s_barrier_signal -1
	s_barrier_wait -1
.LBB225_383:                            ;   in Loop: Header=BB225_31 Depth=1
	s_or_saveexec_b32 s10, s10
	v_mov_b32_e32 v2, 5
	s_mov_b32 s11, 0
	s_xor_b32 exec_lo, exec_lo, s10
; %bb.384:                              ;   in Loop: Header=BB225_31 Depth=1
	v_sub_nc_u64_e64 v[4:5], v[4:5], s[16:17]
	v_mov_b32_e32 v2, 0
	s_mov_b32 s11, exec_lo
; %bb.385:                              ;   in Loop: Header=BB225_31 Depth=1
	s_or_b32 exec_lo, exec_lo, s10
	s_delay_alu instid0(VALU_DEP_2)
	v_mov_b64_e32 v[6:7], v[4:5]
	s_and_b32 s10, s11, exec_lo
.LBB225_386:                            ;   in Loop: Header=BB225_31 Depth=1
	s_or_b32 exec_lo, exec_lo, s3
	s_mov_b32 s3, -1
                                        ; implicit-def: $sgpr86
                                        ; implicit-def: $sgpr88
	s_and_saveexec_b32 s21, s10
	s_cbranch_execz .LBB225_484
; %bb.387:                              ;   in Loop: Header=BB225_31 Depth=1
	s_delay_alu instid0(VALU_DEP_1) | instskip(SKIP_2) | instid1(SALU_CYCLE_1)
	v_cmp_eq_u64_e32 vcc_lo, 1, v[6:7]
	s_cmp_eq_u64 s[14:15], 1
                                        ; implicit-def: $sgpr88
                                        ; implicit-def: $sgpr86
	s_cselect_b32 s3, -1, 0
	s_and_b32 s89, s3, vcc_lo
	s_mov_b32 s3, -1
	s_and_saveexec_b32 s90, s89
	s_cbranch_execz .LBB225_421
; %bb.388:                              ;   in Loop: Header=BB225_31 Depth=1
	ds_load_b64 v[4:5], v3 offset:5120
	s_wait_dscnt 0x0
	s_barrier_signal -1
	s_barrier_wait -1
	v_readfirstlane_b32 s10, v4
	v_readfirstlane_b32 s11, v5
	s_and_saveexec_b32 s3, s6
; %bb.389:                              ;   in Loop: Header=BB225_31 Depth=1
	ds_store_b16 v47, v3
; %bb.390:                              ;   in Loop: Header=BB225_31 Depth=1
	s_or_b32 exec_lo, exec_lo, s3
	s_lshl_b32 s3, 1, s54
	v_or_b32_e32 v53, s24, v53
	v_and_or_b32 v50, v50, s25, s3
	s_mov_b32 s86, -1
	s_mov_b32 s88, 0
	s_cmp_eq_u64 s[10:11], 0
	s_mov_b32 s3, 0
	s_mov_b32 s18, -1
	s_wait_dscnt 0x0
	s_barrier_signal -1
	s_barrier_wait -1
                                        ; implicit-def: $vgpr54
	s_cbranch_scc1 .LBB225_406
; %bb.391:                              ;   in Loop: Header=BB225_31 Depth=1
	s_add_nc_u64 s[16:17], s[10:11], s[64:65]
	s_delay_alu instid0(SALU_CYCLE_1) | instskip(NEXT) | instid1(SALU_CYCLE_1)
	s_and_b64 s[18:19], s[16:17], 0xffffffff00000000
	s_cmp_lg_u64 s[18:19], 0
	s_cbranch_scc0 .LBB225_438
; %bb.392:                              ;   in Loop: Header=BB225_31 Depth=1
	s_cvt_f32_u32 s3, s40
	s_sub_nc_u64 s[92:93], 0, s[40:41]
	s_delay_alu instid0(SALU_CYCLE_2) | instskip(NEXT) | instid1(SALU_CYCLE_3)
	s_fmamk_f32 s3, s52, 0x0, s3
	v_s_rcp_f32 s3, s3
	s_delay_alu instid0(TRANS32_DEP_1) | instskip(NEXT) | instid1(SALU_CYCLE_3)
	s_mul_f32 s3, s3, 0x5f7ffffc
	s_mul_f32 s18, s3, 0x2f800000
	s_delay_alu instid0(SALU_CYCLE_3) | instskip(NEXT) | instid1(SALU_CYCLE_3)
	s_trunc_f32 s18, s18
	s_fmamk_f32 s3, s18, 0xcf800000, s3
	s_cvt_u32_f32 s19, s18
	s_delay_alu instid0(SALU_CYCLE_2) | instskip(NEXT) | instid1(SALU_CYCLE_3)
	s_cvt_u32_f32 s18, s3
	s_mul_u64 s[94:95], s[92:93], s[18:19]
	s_delay_alu instid0(SALU_CYCLE_1)
	s_mul_hi_u32 s97, s18, s95
	s_mul_i32 s96, s18, s95
	s_mul_hi_u32 s28, s18, s94
	s_mul_i32 s76, s19, s94
	s_add_nc_u64 s[96:97], s[28:29], s[96:97]
	s_mul_hi_u32 s3, s19, s94
	s_mul_hi_u32 s77, s19, s95
	s_add_co_u32 s28, s96, s76
	s_add_co_ci_u32 s28, s97, s3
	s_mul_i32 s94, s19, s95
	s_add_co_ci_u32 s95, s77, 0
	s_delay_alu instid0(SALU_CYCLE_1) | instskip(NEXT) | instid1(SALU_CYCLE_1)
	s_add_nc_u64 s[94:95], s[28:29], s[94:95]
	s_add_co_u32 s18, s18, s94
	s_cselect_b32 s3, -1, 0
	s_delay_alu instid0(SALU_CYCLE_1) | instskip(SKIP_1) | instid1(SALU_CYCLE_1)
	s_cmp_lg_u32 s3, 0
	s_add_co_ci_u32 s19, s19, s95
	s_mul_u64 s[92:93], s[92:93], s[18:19]
	s_delay_alu instid0(SALU_CYCLE_1)
	s_mul_hi_u32 s95, s18, s93
	s_mul_i32 s94, s18, s93
	s_mul_hi_u32 s28, s18, s92
	s_mul_i32 s76, s19, s92
	s_add_nc_u64 s[94:95], s[28:29], s[94:95]
	s_mul_hi_u32 s3, s19, s92
	s_mul_hi_u32 s77, s19, s93
	s_add_co_u32 s28, s94, s76
	s_add_co_ci_u32 s28, s95, s3
	s_mul_i32 s92, s19, s93
	s_add_co_ci_u32 s93, s77, 0
	s_delay_alu instid0(SALU_CYCLE_1) | instskip(NEXT) | instid1(SALU_CYCLE_1)
	s_add_nc_u64 s[92:93], s[28:29], s[92:93]
	s_add_co_u32 s3, s18, s92
	s_cselect_b32 s18, -1, 0
	s_mul_hi_u32 s28, s16, s3
	s_cmp_lg_u32 s18, 0
	s_mul_hi_u32 s76, s17, s3
	s_add_co_ci_u32 s77, s19, s93
	s_mul_i32 s3, s17, s3
	s_mul_hi_u32 s19, s16, s77
	s_mul_i32 s18, s16, s77
	s_mul_hi_u32 s78, s17, s77
	s_add_nc_u64 s[18:19], s[28:29], s[18:19]
	s_mul_i32 s92, s17, s77
	s_add_co_u32 s3, s18, s3
	s_add_co_ci_u32 s28, s19, s76
	s_add_co_ci_u32 s93, s78, 0
	s_delay_alu instid0(SALU_CYCLE_1) | instskip(NEXT) | instid1(SALU_CYCLE_1)
	s_add_nc_u64 s[18:19], s[28:29], s[92:93]
	s_and_b64 s[92:93], s[18:19], 0xffffffff00000000
	s_delay_alu instid0(SALU_CYCLE_1) | instskip(NEXT) | instid1(SALU_CYCLE_1)
	s_or_b32 s92, s92, s18
	s_mul_u64 s[18:19], s[40:41], s[92:93]
	s_delay_alu instid0(SALU_CYCLE_1) | instskip(SKIP_1) | instid1(SALU_CYCLE_1)
	s_sub_co_u32 s3, s16, s18
	s_cselect_b32 s18, -1, 0
	s_cmp_lg_u32 s18, 0
	s_sub_co_ci_u32 s18, s17, s19
	s_sub_co_u32 s19, s3, s40
	s_cselect_b32 s28, -1, 0
	s_delay_alu instid0(SALU_CYCLE_1) | instskip(SKIP_3) | instid1(SALU_CYCLE_1)
	s_cmp_lg_u32 s28, 0
	s_sub_co_ci_u32 s28, s18, 0
	s_sub_co_u32 s76, s19, s40
	s_cselect_b32 s77, -1, 0
	s_cmp_lg_u32 s77, 0
	s_sub_co_ci_u32 s77, s28, 0
	s_cmp_ge_u32 s19, s40
	s_cselect_b32 s78, -1, 0
	s_cmp_eq_u32 s28, 0
	s_cselect_b32 s78, s78, -1
	s_delay_alu instid0(SALU_CYCLE_1)
	s_cmp_lg_u32 s78, 0
	s_cselect_b32 s28, s77, s28
	s_cselect_b32 s76, s76, s19
	s_cmp_ge_u32 s3, s40
	s_cselect_b32 s19, -1, 0
	s_cmp_eq_u32 s18, 0
	s_cselect_b32 s19, s19, -1
	s_delay_alu instid0(SALU_CYCLE_1)
	s_cmp_lg_u32 s19, 0
	s_cselect_b32 s19, s28, s18
	s_cselect_b32 s18, s76, s3
	s_cbranch_execnz .LBB225_394
.LBB225_393:                            ;   in Loop: Header=BB225_31 Depth=1
	v_cvt_f32_u32_e32 v4, s40
	s_sub_co_i32 s18, 0, s40
	s_delay_alu instid0(VALU_DEP_1) | instskip(SKIP_1) | instid1(TRANS32_DEP_1)
	v_rcp_iflag_f32_e32 v4, v4
	v_nop
	v_mul_f32_e32 v4, 0x4f7ffffe, v4
	s_delay_alu instid0(VALU_DEP_1) | instskip(NEXT) | instid1(VALU_DEP_1)
	v_cvt_u32_f32_e32 v4, v4
	v_readfirstlane_b32 s3, v4
	s_mul_i32 s18, s18, s3
	s_delay_alu instid0(SALU_CYCLE_1) | instskip(NEXT) | instid1(SALU_CYCLE_1)
	s_mul_hi_u32 s18, s3, s18
	s_add_co_i32 s3, s3, s18
	s_delay_alu instid0(SALU_CYCLE_1) | instskip(NEXT) | instid1(SALU_CYCLE_1)
	s_mul_hi_u32 s3, s16, s3
	s_mul_i32 s3, s3, s40
	s_delay_alu instid0(SALU_CYCLE_1) | instskip(NEXT) | instid1(SALU_CYCLE_1)
	s_sub_co_i32 s3, s16, s3
	s_sub_co_i32 s18, s3, s40
	s_cmp_ge_u32 s3, s40
	s_cselect_b32 s3, s18, s3
	s_delay_alu instid0(SALU_CYCLE_1) | instskip(SKIP_2) | instid1(SALU_CYCLE_1)
	s_sub_co_i32 s18, s3, s40
	s_cmp_ge_u32 s3, s40
	s_cselect_b32 s28, s18, s3
	s_mov_b64 s[18:19], s[28:29]
.LBB225_394:                            ;   in Loop: Header=BB225_31 Depth=1
	s_delay_alu instid0(SALU_CYCLE_1)
	s_sub_nc_u64 s[16:17], s[16:17], s[18:19]
	s_mov_b32 s18, 0
	s_mov_b32 s3, 0
	s_mov_b32 s19, exec_lo
                                        ; implicit-def: $vgpr54
	v_cmpx_gt_u64_e64 s[16:17], v[0:1]
	s_cbranch_execz .LBB225_405
; %bb.395:                              ;   in Loop: Header=BB225_31 Depth=1
	v_mov_b64_e32 v[4:5], v[0:1]
	v_mov_b32_e32 v8, v46
                                        ; implicit-def: $sgpr28
	s_branch .LBB225_398
.LBB225_396:                            ;   in Loop: Header=BB225_398 Depth=2
	s_or_b32 exec_lo, exec_lo, s91
	s_wait_dscnt 0x0
	s_barrier_signal -1
	s_barrier_wait -1
	ds_load_b32 v9, v3 offset:3072
	s_mov_b32 s91, -1
	s_mov_b32 s92, -1
	s_wait_dscnt 0x0
	s_barrier_signal -1
	s_barrier_wait -1
	v_and_b32_e32 v10, 0x7fff, v9
	s_delay_alu instid0(VALU_DEP_1)
	v_cmp_ne_u32_e32 vcc_lo, 0, v10
	s_cbranch_vccz .LBB225_401
.LBB225_397:                            ;   in Loop: Header=BB225_398 Depth=2
	s_and_b32 s76, exec_lo, s91
	s_delay_alu instid0(SALU_CYCLE_1) | instskip(SKIP_2) | instid1(SALU_CYCLE_1)
	s_or_b32 s3, s76, s3
	s_and_not1_b32 s28, s28, exec_lo
	s_and_b32 s76, s92, exec_lo
	s_or_b32 s28, s28, s76
	s_and_not1_b32 exec_lo, exec_lo, s3
	s_cbranch_execz .LBB225_404
.LBB225_398:                            ;   Parent Loop BB225_31 Depth=1
                                        ; =>  This Inner Loop Header: Depth=2
	s_mov_b32 s91, exec_lo
	s_delay_alu instid0(VALU_DEP_2)
	v_cmpx_gt_u64_e64 s[10:11], v[4:5]
	s_cbranch_execz .LBB225_396
; %bb.399:                              ;   in Loop: Header=BB225_398 Depth=2
	ds_load_u16 v9, v8
	s_wait_dscnt 0x0
	v_cmp_lt_i16_e32 vcc_lo, -1, v9
	v_and_b32_e32 v10, 0xffff, v9
	v_dual_cndmask_b32 v11, 0xffff, v52 :: v_dual_lshlrev_b32 v32, 16, v9
	s_delay_alu instid0(VALU_DEP_1) | instskip(NEXT) | instid1(VALU_DEP_2)
	v_cmp_o_f32_e32 vcc_lo, v32, v32
	v_xor_b32_e32 v10, v11, v10
	s_delay_alu instid0(VALU_DEP_1) | instskip(NEXT) | instid1(VALU_DEP_1)
	v_cndmask_b32_e32 v10, 0xffff, v10, vcc_lo
	v_and_b32_e32 v10, v10, v53
	s_delay_alu instid0(VALU_DEP_1)
	v_cmp_eq_u32_e32 vcc_lo, v10, v50
	s_and_b32 exec_lo, exec_lo, vcc_lo
	s_cbranch_execz .LBB225_396
; %bb.400:                              ;   in Loop: Header=BB225_398 Depth=2
	v_perm_b32 v9, v9, s53, 0x5040100
	ds_store_b32 v3, v9 offset:3072
	s_branch .LBB225_396
.LBB225_401:                            ;   in Loop: Header=BB225_398 Depth=2
	v_add_nc_u64_e32 v[4:5], s[40:41], v[4:5]
	v_add_nc_u32_e32 v8, vcc_hi, v8
	s_mov_b32 s92, 0
	s_delay_alu instid0(VALU_DEP_2)
	v_cmp_le_u64_e32 vcc_lo, s[16:17], v[4:5]
	s_or_not1_b32 s91, vcc_lo, exec_lo
	s_branch .LBB225_397
.LBB225_402:                            ;   in Loop: Header=BB225_31 Depth=1
                                        ; implicit-def: $sgpr20_sgpr21
	s_branch .LBB225_348
.LBB225_403:                            ;   in Loop: Header=BB225_31 Depth=1
                                        ; implicit-def: $sgpr10_sgpr11
	s_branch .LBB225_364
.LBB225_404:                            ;   in Loop: Header=BB225_31 Depth=1
	s_or_b32 exec_lo, exec_lo, s3
	v_lshrrev_b32_e32 v54, 16, v9
	s_and_b32 s3, s28, exec_lo
.LBB225_405:                            ;   in Loop: Header=BB225_31 Depth=1
	s_or_b32 exec_lo, exec_lo, s19
.LBB225_406:                            ;   in Loop: Header=BB225_31 Depth=1
	s_delay_alu instid0(SALU_CYCLE_1)
	s_and_b32 vcc_lo, exec_lo, s18
	s_cbranch_vccz .LBB225_420
; %bb.407:                              ;   in Loop: Header=BB225_31 Depth=1
	s_and_b64 s[10:11], s[66:67], 0xffffffff00000000
	s_delay_alu instid0(SALU_CYCLE_1)
	s_cmp_lg_u64 s[10:11], 0
	s_cbranch_scc0 .LBB225_439
; %bb.408:                              ;   in Loop: Header=BB225_31 Depth=1
	s_cvt_f32_u32 s10, s40
	s_sub_nc_u64 s[16:17], 0, s[40:41]
	s_delay_alu instid0(SALU_CYCLE_2) | instskip(NEXT) | instid1(SALU_CYCLE_3)
	s_fmamk_f32 s10, s52, 0x0, s10
	v_s_rcp_f32 s10, s10
	s_delay_alu instid0(TRANS32_DEP_1) | instskip(NEXT) | instid1(SALU_CYCLE_3)
	s_mul_f32 s10, s10, 0x5f7ffffc
	s_mul_f32 s11, s10, 0x2f800000
	s_delay_alu instid0(SALU_CYCLE_3) | instskip(NEXT) | instid1(SALU_CYCLE_3)
	s_trunc_f32 s11, s11
	s_fmamk_f32 s10, s11, 0xcf800000, s10
	s_cvt_u32_f32 s11, s11
	s_delay_alu instid0(SALU_CYCLE_2) | instskip(NEXT) | instid1(SALU_CYCLE_3)
	s_cvt_u32_f32 s10, s10
	s_mul_u64 s[18:19], s[16:17], s[10:11]
	s_delay_alu instid0(SALU_CYCLE_1)
	s_mul_hi_u32 s93, s10, s19
	s_mul_i32 s92, s10, s19
	s_mul_hi_u32 s28, s10, s18
	s_mul_i32 s77, s11, s18
	s_add_nc_u64 s[92:93], s[28:29], s[92:93]
	s_mul_hi_u32 s76, s11, s18
	s_mul_hi_u32 s78, s11, s19
	s_mul_i32 s18, s11, s19
	s_add_co_u32 s19, s92, s77
	s_add_co_ci_u32 s28, s93, s76
	s_add_co_ci_u32 s19, s78, 0
	s_delay_alu instid0(SALU_CYCLE_1) | instskip(NEXT) | instid1(SALU_CYCLE_1)
	s_add_nc_u64 s[18:19], s[28:29], s[18:19]
	s_add_co_u32 s10, s10, s18
	s_cselect_b32 s18, -1, 0
	s_delay_alu instid0(SALU_CYCLE_1) | instskip(SKIP_1) | instid1(SALU_CYCLE_1)
	s_cmp_lg_u32 s18, 0
	s_add_co_ci_u32 s11, s11, s19
	s_mul_u64 s[16:17], s[16:17], s[10:11]
	s_delay_alu instid0(SALU_CYCLE_1)
	s_mul_hi_u32 s19, s10, s17
	s_mul_i32 s18, s10, s17
	s_mul_hi_u32 s28, s10, s16
	s_mul_i32 s77, s11, s16
	s_add_nc_u64 s[18:19], s[28:29], s[18:19]
	s_mul_hi_u32 s76, s11, s16
	s_mul_hi_u32 s78, s11, s17
	s_mul_i32 s16, s11, s17
	s_add_co_u32 s17, s18, s77
	s_add_co_ci_u32 s28, s19, s76
	s_add_co_ci_u32 s17, s78, 0
	s_delay_alu instid0(SALU_CYCLE_1) | instskip(NEXT) | instid1(SALU_CYCLE_1)
	s_add_nc_u64 s[16:17], s[28:29], s[16:17]
	s_add_co_u32 s10, s10, s16
	s_cselect_b32 s16, -1, 0
	s_mul_hi_u32 s28, s66, s10
	s_cmp_lg_u32 s16, 0
	s_mul_hi_u32 s18, s67, s10
	s_add_co_ci_u32 s16, s11, s17
	s_mul_i32 s17, s67, s10
	s_mul_hi_u32 s11, s66, s16
	s_mul_i32 s10, s66, s16
	s_mul_hi_u32 s19, s67, s16
	s_add_nc_u64 s[10:11], s[28:29], s[10:11]
	s_mul_i32 s16, s67, s16
	s_add_co_u32 s10, s10, s17
	s_add_co_ci_u32 s28, s11, s18
	s_add_co_ci_u32 s17, s19, 0
	s_delay_alu instid0(SALU_CYCLE_1) | instskip(NEXT) | instid1(SALU_CYCLE_1)
	s_add_nc_u64 s[10:11], s[28:29], s[16:17]
	s_and_b64 s[16:17], s[10:11], 0xffffffff00000000
	s_delay_alu instid0(SALU_CYCLE_1) | instskip(NEXT) | instid1(SALU_CYCLE_1)
	s_or_b32 s16, s16, s10
	s_mul_u64 s[10:11], s[40:41], s[16:17]
	s_delay_alu instid0(SALU_CYCLE_1) | instskip(SKIP_1) | instid1(SALU_CYCLE_1)
	s_sub_co_u32 s10, s66, s10
	s_cselect_b32 s16, -1, 0
	s_cmp_lg_u32 s16, 0
	s_sub_co_ci_u32 s11, s67, s11
	s_sub_co_u32 s16, s10, s40
	s_cselect_b32 s17, -1, 0
	s_delay_alu instid0(SALU_CYCLE_1) | instskip(SKIP_3) | instid1(SALU_CYCLE_1)
	s_cmp_lg_u32 s17, 0
	s_sub_co_ci_u32 s17, s11, 0
	s_sub_co_u32 s18, s16, s40
	s_cselect_b32 s19, -1, 0
	s_cmp_lg_u32 s19, 0
	s_sub_co_ci_u32 s19, s17, 0
	s_cmp_ge_u32 s16, s40
	s_cselect_b32 s28, -1, 0
	s_cmp_eq_u32 s17, 0
	s_cselect_b32 s28, s28, -1
	s_delay_alu instid0(SALU_CYCLE_1)
	s_cmp_lg_u32 s28, 0
	s_cselect_b32 s17, s19, s17
	s_cselect_b32 s16, s18, s16
	s_cmp_ge_u32 s10, s40
	s_cselect_b32 s18, -1, 0
	s_cmp_eq_u32 s11, 0
	s_cselect_b32 s18, s18, -1
	s_delay_alu instid0(SALU_CYCLE_1)
	s_cmp_lg_u32 s18, 0
	s_cselect_b32 s11, s17, s11
	s_cselect_b32 s10, s16, s10
	s_cbranch_execnz .LBB225_410
.LBB225_409:                            ;   in Loop: Header=BB225_31 Depth=1
	v_cvt_f32_u32_e32 v4, s40
	s_sub_co_i32 s11, 0, s40
	s_delay_alu instid0(VALU_DEP_1) | instskip(SKIP_1) | instid1(TRANS32_DEP_1)
	v_rcp_iflag_f32_e32 v4, v4
	v_nop
	v_mul_f32_e32 v4, 0x4f7ffffe, v4
	s_delay_alu instid0(VALU_DEP_1) | instskip(NEXT) | instid1(VALU_DEP_1)
	v_cvt_u32_f32_e32 v4, v4
	v_readfirstlane_b32 s10, v4
	s_mul_i32 s11, s11, s10
	s_delay_alu instid0(SALU_CYCLE_1) | instskip(NEXT) | instid1(SALU_CYCLE_1)
	s_mul_hi_u32 s11, s10, s11
	s_add_co_i32 s10, s10, s11
	s_delay_alu instid0(SALU_CYCLE_1) | instskip(NEXT) | instid1(SALU_CYCLE_1)
	s_mul_hi_u32 s10, s66, s10
	s_mul_i32 s10, s10, s40
	s_delay_alu instid0(SALU_CYCLE_1) | instskip(NEXT) | instid1(SALU_CYCLE_1)
	s_sub_co_i32 s10, s66, s10
	s_sub_co_i32 s11, s10, s40
	s_cmp_ge_u32 s10, s40
	s_cselect_b32 s10, s11, s10
	s_delay_alu instid0(SALU_CYCLE_1) | instskip(SKIP_2) | instid1(SALU_CYCLE_1)
	s_sub_co_i32 s11, s10, s40
	s_cmp_ge_u32 s10, s40
	s_cselect_b32 s28, s11, s10
	s_mov_b64 s[10:11], s[28:29]
.LBB225_410:                            ;   in Loop: Header=BB225_31 Depth=1
	s_delay_alu instid0(SALU_CYCLE_1)
	s_sub_nc_u64 s[10:11], s[66:67], s[10:11]
	s_mov_b32 s16, exec_lo
                                        ; implicit-def: $vgpr54
	v_nop
	v_cmpx_gt_u64_e64 s[10:11], v[0:1]
	s_cbranch_execz .LBB225_419
; %bb.411:                              ;   in Loop: Header=BB225_31 Depth=1
	v_mov_b64_e32 v[4:5], v[30:31]
	v_mov_b64_e32 v[8:9], v[0:1]
	s_mov_b32 s17, 0
                                        ; implicit-def: $sgpr18
	s_branch .LBB225_414
.LBB225_412:                            ;   in Loop: Header=BB225_414 Depth=2
	s_or_b32 exec_lo, exec_lo, s19
	s_wait_dscnt 0x0
	s_barrier_signal -1
	s_barrier_wait -1
	ds_load_b32 v10, v3 offset:3072
	s_mov_b32 s19, -1
	s_mov_b32 s28, -1
	s_wait_dscnt 0x0
	s_barrier_signal -1
	s_barrier_wait -1
	v_and_b32_e32 v11, 0x7fff, v10
	s_delay_alu instid0(VALU_DEP_1)
	v_cmp_eq_u32_e32 vcc_lo, 0, v11
	s_cbranch_vccnz .LBB225_417
.LBB225_413:                            ;   in Loop: Header=BB225_414 Depth=2
	s_and_b32 s19, exec_lo, s19
	s_delay_alu instid0(SALU_CYCLE_1) | instskip(SKIP_2) | instid1(SALU_CYCLE_1)
	s_or_b32 s17, s19, s17
	s_and_not1_b32 s18, s18, exec_lo
	s_and_b32 s19, s28, exec_lo
	s_or_b32 s18, s18, s19
	s_and_not1_b32 exec_lo, exec_lo, s17
	s_cbranch_execz .LBB225_418
.LBB225_414:                            ;   Parent Loop BB225_31 Depth=1
                                        ; =>  This Inner Loop Header: Depth=2
	s_mov_b32 s19, exec_lo
	s_delay_alu instid0(VALU_DEP_1)
	v_cmpx_gt_u64_e64 s[36:37], v[8:9]
	s_cbranch_execz .LBB225_412
; %bb.415:                              ;   in Loop: Header=BB225_414 Depth=2
	global_load_u16 v10, v[4:5], off
	s_wait_loadcnt 0x0
	v_cmp_lt_i16_e32 vcc_lo, -1, v10
	v_and_b32_e32 v11, 0xffff, v10
	v_dual_cndmask_b32 v32, 0xffff, v52 :: v_dual_lshlrev_b32 v33, 16, v10
	s_delay_alu instid0(VALU_DEP_1) | instskip(NEXT) | instid1(VALU_DEP_2)
	v_cmp_o_f32_e32 vcc_lo, v33, v33
	v_xor_b32_e32 v11, v32, v11
	s_delay_alu instid0(VALU_DEP_1) | instskip(NEXT) | instid1(VALU_DEP_1)
	v_cndmask_b32_e32 v11, 0xffff, v11, vcc_lo
	v_and_b32_e32 v11, v11, v53
	s_delay_alu instid0(VALU_DEP_1)
	v_cmp_eq_u32_e32 vcc_lo, v11, v50
	s_and_b32 exec_lo, exec_lo, vcc_lo
	s_cbranch_execz .LBB225_412
; %bb.416:                              ;   in Loop: Header=BB225_414 Depth=2
	v_perm_b32 v10, v10, s53, 0x5040100
	ds_store_b32 v3, v10 offset:3072
	s_branch .LBB225_412
.LBB225_417:                            ;   in Loop: Header=BB225_414 Depth=2
	v_add_nc_u64_e32 v[8:9], s[40:41], v[8:9]
	v_add_nc_u64_e32 v[4:5], s[44:45], v[4:5]
	s_mov_b32 s28, 0
	s_delay_alu instid0(VALU_DEP_2)
	v_cmp_le_u64_e32 vcc_lo, s[10:11], v[8:9]
	s_or_not1_b32 s19, vcc_lo, exec_lo
	s_branch .LBB225_413
.LBB225_418:                            ;   in Loop: Header=BB225_31 Depth=1
	s_or_b32 exec_lo, exec_lo, s17
	v_lshrrev_b32_e32 v54, 16, v10
	s_and_not1_b32 s3, s3, exec_lo
	s_and_b32 s10, s18, exec_lo
	s_delay_alu instid0(SALU_CYCLE_1)
	s_or_b32 s3, s3, s10
.LBB225_419:                            ;   in Loop: Header=BB225_31 Depth=1
	s_or_b32 exec_lo, exec_lo, s16
	s_mov_b32 s86, 0
	s_mov_b32 s88, -1
.LBB225_420:                            ;   in Loop: Header=BB225_31 Depth=1
	s_or_not1_b32 s3, s3, exec_lo
.LBB225_421:                            ;   in Loop: Header=BB225_31 Depth=1
	s_or_b32 exec_lo, exec_lo, s90
	s_mov_b32 s10, 0
	s_and_saveexec_b32 s18, s3
	s_cbranch_execz .LBB225_483
; %bb.422:                              ;   in Loop: Header=BB225_31 Depth=1
	v_mov_b64_e32 v[4:5], 1
	v_mov_b32_e32 v2, 1
	s_xor_b32 s10, s89, -1
	s_mov_b32 s11, 0
	s_and_saveexec_b32 s3, s10
	s_cbranch_execz .LBB225_431
; %bb.423:                              ;   in Loop: Header=BB225_31 Depth=1
	s_mov_b32 s10, exec_lo
	v_cmpx_ge_u64_e64 s[14:15], v[6:7]
	s_xor_b32 s10, exec_lo, s10
	s_cbranch_execz .LBB225_428
; %bb.424:                              ;   in Loop: Header=BB225_31 Depth=1
	ds_load_b64 v[4:5], v3 offset:5120
	s_lshl_b32 s11, 1, s54
	v_or_b32_e32 v53, s24, v53
	v_and_or_b32 v50, v50, s25, s11
	s_wait_dscnt 0x0
	v_cmp_ne_u64_e32 vcc_lo, 0, v[4:5]
	s_cbranch_vccnz .LBB225_428
; %bb.425:                              ;   in Loop: Header=BB225_31 Depth=1
	s_and_saveexec_b32 s11, s5
; %bb.426:                              ;   in Loop: Header=BB225_31 Depth=1
	v_mov_b64_e32 v[4:5], s[14:15]
	ds_store_b64 v3, v[4:5] offset:5128
; %bb.427:                              ;   in Loop: Header=BB225_31 Depth=1
	s_or_b32 exec_lo, exec_lo, s11
	s_wait_dscnt 0x0
	s_barrier_signal -1
	s_barrier_wait -1
.LBB225_428:                            ;   in Loop: Header=BB225_31 Depth=1
	s_or_saveexec_b32 s10, s10
	v_mov_b32_e32 v2, 5
	s_mov_b32 s11, 0
	s_xor_b32 exec_lo, exec_lo, s10
; %bb.429:                              ;   in Loop: Header=BB225_31 Depth=1
	v_sub_nc_u64_e64 v[6:7], v[6:7], s[14:15]
	v_mov_b32_e32 v2, 0
	s_mov_b32 s11, exec_lo
; %bb.430:                              ;   in Loop: Header=BB225_31 Depth=1
	s_or_b32 exec_lo, exec_lo, s10
	s_delay_alu instid0(VALU_DEP_2)
	v_mov_b64_e32 v[4:5], v[6:7]
	s_and_b32 s11, s11, exec_lo
.LBB225_431:                            ;   in Loop: Header=BB225_31 Depth=1
	s_or_b32 exec_lo, exec_lo, s3
	s_mov_b32 s10, -1
                                        ; implicit-def: $sgpr3
                                        ; implicit-def: $sgpr91
	s_and_saveexec_b32 s19, s11
	s_cbranch_execz .LBB225_482
; %bb.432:                              ;   in Loop: Header=BB225_31 Depth=1
	s_delay_alu instid0(VALU_DEP_1) | instskip(SKIP_3) | instid1(SALU_CYCLE_1)
	v_cmp_eq_u64_e32 vcc_lo, 1, v[4:5]
	s_cmp_eq_u64 s[12:13], 1
	s_mov_b32 s11, -1
	s_cselect_b32 s3, -1, 0
                                        ; implicit-def: $sgpr91
	s_and_b32 s89, s3, vcc_lo
                                        ; implicit-def: $sgpr3
	s_delay_alu instid0(SALU_CYCLE_1)
	s_and_saveexec_b32 s90, s89
	s_cbranch_execz .LBB225_470
; %bb.433:                              ;   in Loop: Header=BB225_31 Depth=1
	ds_load_b64 v[6:7], v3 offset:5120
	s_wait_dscnt 0x0
	s_barrier_signal -1
	s_barrier_wait -1
	v_readfirstlane_b32 s10, v6
	v_readfirstlane_b32 s11, v7
	s_and_saveexec_b32 s3, s6
; %bb.434:                              ;   in Loop: Header=BB225_31 Depth=1
	ds_store_b16 v47, v3
; %bb.435:                              ;   in Loop: Header=BB225_31 Depth=1
	s_or_b32 exec_lo, exec_lo, s3
	v_and_b32_e32 v50, s25, v50
	v_or_b32_e32 v53, s24, v53
	s_mov_b32 s91, -1
	s_mov_b32 s3, 0
	s_cmp_eq_u64 s[10:11], 0
	s_mov_b32 s16, 0
	s_mov_b32 s17, -1
	s_wait_dscnt 0x0
	s_barrier_signal -1
	s_barrier_wait -1
                                        ; implicit-def: $vgpr54
	s_cbranch_scc1 .LBB225_453
; %bb.436:                              ;   in Loop: Header=BB225_31 Depth=1
	s_add_nc_u64 s[14:15], s[10:11], s[64:65]
	s_delay_alu instid0(SALU_CYCLE_1) | instskip(NEXT) | instid1(SALU_CYCLE_1)
	s_and_b64 s[16:17], s[14:15], 0xffffffff00000000
	s_cmp_lg_u64 s[16:17], 0
	s_cbranch_scc0 .LBB225_440
; %bb.437:                              ;   in Loop: Header=BB225_31 Depth=1
	s_cvt_f32_u32 s16, s40
	s_sub_nc_u64 s[92:93], 0, s[40:41]
	s_delay_alu instid0(SALU_CYCLE_2) | instskip(NEXT) | instid1(SALU_CYCLE_3)
	s_fmamk_f32 s16, s52, 0x0, s16
	v_s_rcp_f32 s16, s16
	s_delay_alu instid0(TRANS32_DEP_1) | instskip(NEXT) | instid1(SALU_CYCLE_3)
	s_mul_f32 s16, s16, 0x5f7ffffc
	s_mul_f32 s17, s16, 0x2f800000
	s_delay_alu instid0(SALU_CYCLE_3) | instskip(NEXT) | instid1(SALU_CYCLE_3)
	s_trunc_f32 s17, s17
	s_fmamk_f32 s16, s17, 0xcf800000, s16
	s_cvt_u32_f32 s17, s17
	s_delay_alu instid0(SALU_CYCLE_2) | instskip(NEXT) | instid1(SALU_CYCLE_3)
	s_cvt_u32_f32 s16, s16
	s_mul_u64 s[94:95], s[92:93], s[16:17]
	s_delay_alu instid0(SALU_CYCLE_1)
	s_mul_hi_u32 s97, s16, s95
	s_mul_i32 s96, s16, s95
	s_mul_hi_u32 s28, s16, s94
	s_mul_i32 s77, s17, s94
	s_add_nc_u64 s[96:97], s[28:29], s[96:97]
	s_mul_hi_u32 s76, s17, s94
	s_mul_hi_u32 s78, s17, s95
	s_add_co_u32 s28, s96, s77
	s_add_co_ci_u32 s28, s97, s76
	s_mul_i32 s94, s17, s95
	s_add_co_ci_u32 s95, s78, 0
	s_delay_alu instid0(SALU_CYCLE_1) | instskip(NEXT) | instid1(SALU_CYCLE_1)
	s_add_nc_u64 s[94:95], s[28:29], s[94:95]
	s_add_co_u32 s16, s16, s94
	s_cselect_b32 s28, -1, 0
	s_delay_alu instid0(SALU_CYCLE_1) | instskip(SKIP_1) | instid1(SALU_CYCLE_1)
	s_cmp_lg_u32 s28, 0
	s_add_co_ci_u32 s17, s17, s95
	s_mul_u64 s[92:93], s[92:93], s[16:17]
	s_delay_alu instid0(SALU_CYCLE_1)
	s_mul_hi_u32 s95, s16, s93
	s_mul_i32 s94, s16, s93
	s_mul_hi_u32 s28, s16, s92
	s_mul_i32 s77, s17, s92
	s_add_nc_u64 s[94:95], s[28:29], s[94:95]
	s_mul_hi_u32 s76, s17, s92
	s_mul_hi_u32 s78, s17, s93
	s_add_co_u32 s28, s94, s77
	s_add_co_ci_u32 s28, s95, s76
	s_mul_i32 s92, s17, s93
	s_add_co_ci_u32 s93, s78, 0
	s_delay_alu instid0(SALU_CYCLE_1) | instskip(NEXT) | instid1(SALU_CYCLE_1)
	s_add_nc_u64 s[92:93], s[28:29], s[92:93]
	s_add_co_u32 s16, s16, s92
	s_cselect_b32 s76, -1, 0
	s_mul_hi_u32 s28, s14, s16
	s_cmp_lg_u32 s76, 0
	s_mul_hi_u32 s76, s15, s16
	s_add_co_ci_u32 s77, s17, s93
	s_mul_i32 s78, s15, s16
	s_mul_hi_u32 s17, s14, s77
	s_mul_i32 s16, s14, s77
	s_mul_hi_u32 s79, s15, s77
	s_add_nc_u64 s[16:17], s[28:29], s[16:17]
	s_mul_i32 s92, s15, s77
	s_add_co_u32 s16, s16, s78
	s_add_co_ci_u32 s28, s17, s76
	s_add_co_ci_u32 s93, s79, 0
	s_delay_alu instid0(SALU_CYCLE_1) | instskip(NEXT) | instid1(SALU_CYCLE_1)
	s_add_nc_u64 s[16:17], s[28:29], s[92:93]
	s_and_b64 s[92:93], s[16:17], 0xffffffff00000000
	s_delay_alu instid0(SALU_CYCLE_1) | instskip(NEXT) | instid1(SALU_CYCLE_1)
	s_or_b32 s92, s92, s16
	s_mul_u64 s[16:17], s[40:41], s[92:93]
	s_delay_alu instid0(SALU_CYCLE_1) | instskip(SKIP_1) | instid1(SALU_CYCLE_1)
	s_sub_co_u32 s16, s14, s16
	s_cselect_b32 s28, -1, 0
	s_cmp_lg_u32 s28, 0
	s_sub_co_ci_u32 s17, s15, s17
	s_sub_co_u32 s28, s16, s40
	s_cselect_b32 s76, -1, 0
	s_delay_alu instid0(SALU_CYCLE_1) | instskip(SKIP_3) | instid1(SALU_CYCLE_1)
	s_cmp_lg_u32 s76, 0
	s_sub_co_ci_u32 s76, s17, 0
	s_sub_co_u32 s77, s28, s40
	s_cselect_b32 s78, -1, 0
	s_cmp_lg_u32 s78, 0
	s_sub_co_ci_u32 s78, s76, 0
	s_cmp_ge_u32 s28, s40
	s_cselect_b32 s79, -1, 0
	s_cmp_eq_u32 s76, 0
	s_cselect_b32 s79, s79, -1
	s_delay_alu instid0(SALU_CYCLE_1)
	s_cmp_lg_u32 s79, 0
	s_cselect_b32 s76, s78, s76
	s_cselect_b32 s28, s77, s28
	s_cmp_ge_u32 s16, s40
	s_cselect_b32 s77, -1, 0
	s_cmp_eq_u32 s17, 0
	s_cselect_b32 s77, s77, -1
	s_delay_alu instid0(SALU_CYCLE_1)
	s_cmp_lg_u32 s77, 0
	s_cselect_b32 s17, s76, s17
	s_cselect_b32 s16, s28, s16
	s_mov_b32 s28, 0
	s_branch .LBB225_441
.LBB225_438:                            ;   in Loop: Header=BB225_31 Depth=1
                                        ; implicit-def: $sgpr18_sgpr19
	s_branch .LBB225_393
.LBB225_439:                            ;   in Loop: Header=BB225_31 Depth=1
                                        ; implicit-def: $sgpr10_sgpr11
	s_branch .LBB225_409
.LBB225_440:                            ;   in Loop: Header=BB225_31 Depth=1
	s_mov_b32 s28, -1
                                        ; implicit-def: $sgpr16_sgpr17
.LBB225_441:                            ;   in Loop: Header=BB225_31 Depth=1
	s_delay_alu instid0(SALU_CYCLE_1)
	s_and_not1_b32 vcc_lo, exec_lo, s28
	s_cbranch_vccnz .LBB225_443
; %bb.442:                              ;   in Loop: Header=BB225_31 Depth=1
	v_cvt_f32_u32_e32 v6, s40
	s_sub_co_i32 s17, 0, s40
	s_delay_alu instid0(VALU_DEP_1) | instskip(SKIP_1) | instid1(TRANS32_DEP_1)
	v_rcp_iflag_f32_e32 v6, v6
	v_nop
	v_mul_f32_e32 v6, 0x4f7ffffe, v6
	s_delay_alu instid0(VALU_DEP_1) | instskip(NEXT) | instid1(VALU_DEP_1)
	v_cvt_u32_f32_e32 v6, v6
	v_readfirstlane_b32 s16, v6
	s_mul_i32 s17, s17, s16
	s_delay_alu instid0(SALU_CYCLE_1) | instskip(NEXT) | instid1(SALU_CYCLE_1)
	s_mul_hi_u32 s17, s16, s17
	s_add_co_i32 s16, s16, s17
	s_delay_alu instid0(SALU_CYCLE_1) | instskip(NEXT) | instid1(SALU_CYCLE_1)
	s_mul_hi_u32 s16, s14, s16
	s_mul_i32 s16, s16, s40
	s_delay_alu instid0(SALU_CYCLE_1) | instskip(NEXT) | instid1(SALU_CYCLE_1)
	s_sub_co_i32 s16, s14, s16
	s_sub_co_i32 s17, s16, s40
	s_cmp_ge_u32 s16, s40
	s_cselect_b32 s16, s17, s16
	s_delay_alu instid0(SALU_CYCLE_1) | instskip(SKIP_2) | instid1(SALU_CYCLE_1)
	s_sub_co_i32 s17, s16, s40
	s_cmp_ge_u32 s16, s40
	s_cselect_b32 s28, s17, s16
	s_mov_b64 s[16:17], s[28:29]
.LBB225_443:                            ;   in Loop: Header=BB225_31 Depth=1
	s_delay_alu instid0(SALU_CYCLE_1)
	s_sub_nc_u64 s[14:15], s[14:15], s[16:17]
	s_mov_b32 s17, 0
	s_mov_b32 s16, 0
	s_mov_b32 s28, exec_lo
                                        ; implicit-def: $vgpr54
	v_cmpx_gt_u64_e64 s[14:15], v[0:1]
	s_cbranch_execz .LBB225_452
; %bb.444:                              ;   in Loop: Header=BB225_31 Depth=1
	v_mov_b64_e32 v[6:7], v[0:1]
	v_mov_b32_e32 v8, v46
                                        ; implicit-def: $sgpr92
	s_branch .LBB225_447
.LBB225_445:                            ;   in Loop: Header=BB225_447 Depth=2
	s_or_b32 exec_lo, exec_lo, s93
	s_wait_dscnt 0x0
	s_barrier_signal -1
	s_barrier_wait -1
	ds_load_b32 v9, v3 offset:3072
	s_mov_b32 s93, -1
	s_mov_b32 s94, -1
	s_wait_dscnt 0x0
	s_barrier_signal -1
	s_barrier_wait -1
	v_and_b32_e32 v10, 0x7fff, v9
	s_delay_alu instid0(VALU_DEP_1)
	v_cmp_ne_u32_e32 vcc_lo, 0, v10
	s_cbranch_vccz .LBB225_450
.LBB225_446:                            ;   in Loop: Header=BB225_447 Depth=2
	s_and_b32 s76, exec_lo, s93
	s_delay_alu instid0(SALU_CYCLE_1) | instskip(SKIP_2) | instid1(SALU_CYCLE_1)
	s_or_b32 s16, s76, s16
	s_and_not1_b32 s76, s92, exec_lo
	s_and_b32 s77, s94, exec_lo
	s_or_b32 s92, s76, s77
	s_and_not1_b32 exec_lo, exec_lo, s16
	s_cbranch_execz .LBB225_451
.LBB225_447:                            ;   Parent Loop BB225_31 Depth=1
                                        ; =>  This Inner Loop Header: Depth=2
	s_mov_b32 s93, exec_lo
	s_delay_alu instid0(VALU_DEP_2)
	v_cmpx_gt_u64_e64 s[10:11], v[6:7]
	s_cbranch_execz .LBB225_445
; %bb.448:                              ;   in Loop: Header=BB225_447 Depth=2
	ds_load_u16 v9, v8
	s_wait_dscnt 0x0
	v_cmp_lt_i16_e32 vcc_lo, -1, v9
	v_and_b32_e32 v10, 0xffff, v9
	v_dual_cndmask_b32 v11, 0xffff, v52 :: v_dual_lshlrev_b32 v32, 16, v9
	s_delay_alu instid0(VALU_DEP_1) | instskip(NEXT) | instid1(VALU_DEP_2)
	v_cmp_o_f32_e32 vcc_lo, v32, v32
	v_xor_b32_e32 v10, v11, v10
	s_delay_alu instid0(VALU_DEP_1) | instskip(NEXT) | instid1(VALU_DEP_1)
	v_cndmask_b32_e32 v10, 0xffff, v10, vcc_lo
	v_and_b32_e32 v10, v10, v53
	s_delay_alu instid0(VALU_DEP_1)
	v_cmp_eq_u32_e32 vcc_lo, v10, v50
	s_and_b32 exec_lo, exec_lo, vcc_lo
	s_cbranch_execz .LBB225_445
; %bb.449:                              ;   in Loop: Header=BB225_447 Depth=2
	v_perm_b32 v9, v9, s53, 0x5040100
	ds_store_b32 v3, v9 offset:3072
	s_branch .LBB225_445
.LBB225_450:                            ;   in Loop: Header=BB225_447 Depth=2
	v_add_nc_u64_e32 v[6:7], s[40:41], v[6:7]
	v_add_nc_u32_e32 v8, vcc_hi, v8
	s_mov_b32 s94, 0
	s_delay_alu instid0(VALU_DEP_2)
	v_cmp_le_u64_e32 vcc_lo, s[14:15], v[6:7]
	s_or_not1_b32 s93, vcc_lo, exec_lo
	s_branch .LBB225_446
.LBB225_451:                            ;   in Loop: Header=BB225_31 Depth=1
	s_or_b32 exec_lo, exec_lo, s16
	v_lshrrev_b32_e32 v54, 16, v9
	s_and_b32 s16, s92, exec_lo
.LBB225_452:                            ;   in Loop: Header=BB225_31 Depth=1
	s_or_b32 exec_lo, exec_lo, s28
.LBB225_453:                            ;   in Loop: Header=BB225_31 Depth=1
	s_delay_alu instid0(SALU_CYCLE_1)
	s_and_b32 vcc_lo, exec_lo, s17
	s_cbranch_vccz .LBB225_469
; %bb.454:                              ;   in Loop: Header=BB225_31 Depth=1
	s_and_b64 s[10:11], s[66:67], 0xffffffff00000000
	s_delay_alu instid0(SALU_CYCLE_1)
	s_cmp_lg_u64 s[10:11], 0
	s_cbranch_scc0 .LBB225_456
; %bb.455:                              ;   in Loop: Header=BB225_31 Depth=1
	s_cvt_f32_u32 s3, s40
	s_sub_nc_u64 s[14:15], 0, s[40:41]
	s_delay_alu instid0(SALU_CYCLE_2) | instskip(NEXT) | instid1(SALU_CYCLE_3)
	s_fmamk_f32 s3, s52, 0x0, s3
	v_s_rcp_f32 s3, s3
	s_delay_alu instid0(TRANS32_DEP_1) | instskip(NEXT) | instid1(SALU_CYCLE_3)
	s_mul_f32 s3, s3, 0x5f7ffffc
	s_mul_f32 s10, s3, 0x2f800000
	s_delay_alu instid0(SALU_CYCLE_3) | instskip(NEXT) | instid1(SALU_CYCLE_3)
	s_trunc_f32 s10, s10
	s_fmamk_f32 s3, s10, 0xcf800000, s3
	s_cvt_u32_f32 s11, s10
	s_delay_alu instid0(SALU_CYCLE_2) | instskip(NEXT) | instid1(SALU_CYCLE_3)
	s_cvt_u32_f32 s10, s3
	s_mul_u64 s[92:93], s[14:15], s[10:11]
	s_delay_alu instid0(SALU_CYCLE_1)
	s_mul_hi_u32 s95, s10, s93
	s_mul_i32 s94, s10, s93
	s_mul_hi_u32 s28, s10, s92
	s_mul_i32 s17, s11, s92
	s_add_nc_u64 s[94:95], s[28:29], s[94:95]
	s_mul_hi_u32 s3, s11, s92
	s_mul_hi_u32 s76, s11, s93
	s_add_co_u32 s17, s94, s17
	s_add_co_ci_u32 s28, s95, s3
	s_mul_i32 s92, s11, s93
	s_add_co_ci_u32 s93, s76, 0
	s_delay_alu instid0(SALU_CYCLE_1) | instskip(NEXT) | instid1(SALU_CYCLE_1)
	s_add_nc_u64 s[92:93], s[28:29], s[92:93]
	s_add_co_u32 s10, s10, s92
	s_cselect_b32 s3, -1, 0
	s_delay_alu instid0(SALU_CYCLE_1) | instskip(SKIP_1) | instid1(SALU_CYCLE_1)
	s_cmp_lg_u32 s3, 0
	s_add_co_ci_u32 s11, s11, s93
	s_mul_u64 s[14:15], s[14:15], s[10:11]
	s_delay_alu instid0(SALU_CYCLE_1)
	s_mul_hi_u32 s93, s10, s15
	s_mul_i32 s92, s10, s15
	s_mul_hi_u32 s28, s10, s14
	s_mul_i32 s17, s11, s14
	s_add_nc_u64 s[92:93], s[28:29], s[92:93]
	s_mul_hi_u32 s3, s11, s14
	s_mul_hi_u32 s76, s11, s15
	s_mul_i32 s14, s11, s15
	s_add_co_u32 s15, s92, s17
	s_add_co_ci_u32 s28, s93, s3
	s_add_co_ci_u32 s15, s76, 0
	s_delay_alu instid0(SALU_CYCLE_1) | instskip(NEXT) | instid1(SALU_CYCLE_1)
	s_add_nc_u64 s[14:15], s[28:29], s[14:15]
	s_add_co_u32 s3, s10, s14
	s_cselect_b32 s10, -1, 0
	s_mul_hi_u32 s28, s66, s3
	s_cmp_lg_u32 s10, 0
	s_mul_hi_u32 s17, s67, s3
	s_add_co_ci_u32 s14, s11, s15
	s_mul_i32 s3, s67, s3
	s_mul_hi_u32 s11, s66, s14
	s_mul_i32 s10, s66, s14
	s_mul_hi_u32 s15, s67, s14
	s_add_nc_u64 s[10:11], s[28:29], s[10:11]
	s_mul_i32 s14, s67, s14
	s_add_co_u32 s3, s10, s3
	s_add_co_ci_u32 s28, s11, s17
	s_add_co_ci_u32 s15, s15, 0
	s_delay_alu instid0(SALU_CYCLE_1) | instskip(NEXT) | instid1(SALU_CYCLE_1)
	s_add_nc_u64 s[10:11], s[28:29], s[14:15]
	s_and_b64 s[14:15], s[10:11], 0xffffffff00000000
	s_delay_alu instid0(SALU_CYCLE_1) | instskip(NEXT) | instid1(SALU_CYCLE_1)
	s_or_b32 s14, s14, s10
	s_mul_u64 s[10:11], s[40:41], s[14:15]
	s_delay_alu instid0(SALU_CYCLE_1) | instskip(SKIP_1) | instid1(SALU_CYCLE_1)
	s_sub_co_u32 s3, s66, s10
	s_cselect_b32 s10, -1, 0
	s_cmp_lg_u32 s10, 0
	s_sub_co_ci_u32 s10, s67, s11
	s_sub_co_u32 s11, s3, s40
	s_cselect_b32 s14, -1, 0
	s_delay_alu instid0(SALU_CYCLE_1) | instskip(SKIP_3) | instid1(SALU_CYCLE_1)
	s_cmp_lg_u32 s14, 0
	s_sub_co_ci_u32 s14, s10, 0
	s_sub_co_u32 s15, s11, s40
	s_cselect_b32 s17, -1, 0
	s_cmp_lg_u32 s17, 0
	s_sub_co_ci_u32 s17, s14, 0
	s_cmp_ge_u32 s11, s40
	s_cselect_b32 s28, -1, 0
	s_cmp_eq_u32 s14, 0
	s_cselect_b32 s28, s28, -1
	s_delay_alu instid0(SALU_CYCLE_1)
	s_cmp_lg_u32 s28, 0
	s_cselect_b32 s14, s17, s14
	s_cselect_b32 s15, s15, s11
	s_cmp_ge_u32 s3, s40
	s_cselect_b32 s11, -1, 0
	s_cmp_eq_u32 s10, 0
	s_cselect_b32 s11, s11, -1
	s_delay_alu instid0(SALU_CYCLE_1)
	s_cmp_lg_u32 s11, 0
	s_cselect_b32 s11, s14, s10
	s_cselect_b32 s10, s15, s3
	s_mov_b32 s3, 0
	s_branch .LBB225_457
.LBB225_456:                            ;   in Loop: Header=BB225_31 Depth=1
	s_mov_b32 s3, -1
                                        ; implicit-def: $sgpr10_sgpr11
.LBB225_457:                            ;   in Loop: Header=BB225_31 Depth=1
	s_delay_alu instid0(SALU_CYCLE_1)
	s_and_not1_b32 vcc_lo, exec_lo, s3
	s_cbranch_vccnz .LBB225_459
; %bb.458:                              ;   in Loop: Header=BB225_31 Depth=1
	v_cvt_f32_u32_e32 v6, s40
	s_sub_co_i32 s10, 0, s40
	s_delay_alu instid0(VALU_DEP_1) | instskip(SKIP_1) | instid1(TRANS32_DEP_1)
	v_rcp_iflag_f32_e32 v6, v6
	v_nop
	v_mul_f32_e32 v6, 0x4f7ffffe, v6
	s_delay_alu instid0(VALU_DEP_1) | instskip(NEXT) | instid1(VALU_DEP_1)
	v_cvt_u32_f32_e32 v6, v6
	v_readfirstlane_b32 s3, v6
	s_mul_i32 s10, s10, s3
	s_delay_alu instid0(SALU_CYCLE_1) | instskip(NEXT) | instid1(SALU_CYCLE_1)
	s_mul_hi_u32 s10, s3, s10
	s_add_co_i32 s3, s3, s10
	s_delay_alu instid0(SALU_CYCLE_1) | instskip(NEXT) | instid1(SALU_CYCLE_1)
	s_mul_hi_u32 s3, s66, s3
	s_mul_i32 s3, s3, s40
	s_delay_alu instid0(SALU_CYCLE_1) | instskip(NEXT) | instid1(SALU_CYCLE_1)
	s_sub_co_i32 s3, s66, s3
	s_sub_co_i32 s10, s3, s40
	s_cmp_ge_u32 s3, s40
	s_cselect_b32 s3, s10, s3
	s_delay_alu instid0(SALU_CYCLE_1) | instskip(SKIP_2) | instid1(SALU_CYCLE_1)
	s_sub_co_i32 s10, s3, s40
	s_cmp_ge_u32 s3, s40
	s_cselect_b32 s28, s10, s3
	s_mov_b64 s[10:11], s[28:29]
.LBB225_459:                            ;   in Loop: Header=BB225_31 Depth=1
	s_delay_alu instid0(SALU_CYCLE_1)
	s_sub_nc_u64 s[10:11], s[66:67], s[10:11]
	s_mov_b32 s3, exec_lo
                                        ; implicit-def: $vgpr54
	v_cmpx_gt_u64_e64 s[10:11], v[0:1]
	s_cbranch_execz .LBB225_468
; %bb.460:                              ;   in Loop: Header=BB225_31 Depth=1
	v_mov_b64_e32 v[6:7], v[30:31]
	v_mov_b64_e32 v[8:9], v[0:1]
	s_mov_b32 s14, 0
                                        ; implicit-def: $sgpr15
	s_branch .LBB225_463
.LBB225_461:                            ;   in Loop: Header=BB225_463 Depth=2
	s_or_b32 exec_lo, exec_lo, s17
	s_wait_dscnt 0x0
	s_barrier_signal -1
	s_barrier_wait -1
	ds_load_b32 v10, v3 offset:3072
	s_mov_b32 s17, -1
	s_mov_b32 s28, -1
	s_wait_dscnt 0x0
	s_barrier_signal -1
	s_barrier_wait -1
	v_and_b32_e32 v11, 0x7fff, v10
	s_delay_alu instid0(VALU_DEP_1)
	v_cmp_eq_u32_e32 vcc_lo, 0, v11
	s_cbranch_vccnz .LBB225_466
.LBB225_462:                            ;   in Loop: Header=BB225_463 Depth=2
	s_and_b32 s17, exec_lo, s17
	s_delay_alu instid0(SALU_CYCLE_1) | instskip(SKIP_2) | instid1(SALU_CYCLE_1)
	s_or_b32 s14, s17, s14
	s_and_not1_b32 s15, s15, exec_lo
	s_and_b32 s17, s28, exec_lo
	s_or_b32 s15, s15, s17
	s_and_not1_b32 exec_lo, exec_lo, s14
	s_cbranch_execz .LBB225_467
.LBB225_463:                            ;   Parent Loop BB225_31 Depth=1
                                        ; =>  This Inner Loop Header: Depth=2
	s_mov_b32 s17, exec_lo
	s_delay_alu instid0(VALU_DEP_1)
	v_cmpx_gt_u64_e64 s[36:37], v[8:9]
	s_cbranch_execz .LBB225_461
; %bb.464:                              ;   in Loop: Header=BB225_463 Depth=2
	global_load_u16 v10, v[6:7], off
	s_wait_loadcnt 0x0
	v_cmp_lt_i16_e32 vcc_lo, -1, v10
	v_and_b32_e32 v11, 0xffff, v10
	v_dual_cndmask_b32 v32, 0xffff, v52 :: v_dual_lshlrev_b32 v33, 16, v10
	s_delay_alu instid0(VALU_DEP_1) | instskip(NEXT) | instid1(VALU_DEP_2)
	v_cmp_o_f32_e32 vcc_lo, v33, v33
	v_xor_b32_e32 v11, v32, v11
	s_delay_alu instid0(VALU_DEP_1) | instskip(NEXT) | instid1(VALU_DEP_1)
	v_cndmask_b32_e32 v11, 0xffff, v11, vcc_lo
	v_and_b32_e32 v11, v11, v53
	s_delay_alu instid0(VALU_DEP_1)
	v_cmp_eq_u32_e32 vcc_lo, v11, v50
	s_and_b32 exec_lo, exec_lo, vcc_lo
	s_cbranch_execz .LBB225_461
; %bb.465:                              ;   in Loop: Header=BB225_463 Depth=2
	v_perm_b32 v10, v10, s53, 0x5040100
	ds_store_b32 v3, v10 offset:3072
	s_branch .LBB225_461
.LBB225_466:                            ;   in Loop: Header=BB225_463 Depth=2
	v_add_nc_u64_e32 v[8:9], s[40:41], v[8:9]
	v_add_nc_u64_e32 v[6:7], s[44:45], v[6:7]
	s_mov_b32 s28, 0
	s_delay_alu instid0(VALU_DEP_2)
	v_cmp_le_u64_e32 vcc_lo, s[10:11], v[8:9]
	s_or_not1_b32 s17, vcc_lo, exec_lo
	s_branch .LBB225_462
.LBB225_467:                            ;   in Loop: Header=BB225_31 Depth=1
	s_or_b32 exec_lo, exec_lo, s14
	v_lshrrev_b32_e32 v54, 16, v10
	s_and_not1_b32 s10, s16, exec_lo
	s_and_b32 s11, s15, exec_lo
	s_delay_alu instid0(SALU_CYCLE_1)
	s_or_b32 s16, s10, s11
.LBB225_468:                            ;   in Loop: Header=BB225_31 Depth=1
	s_or_b32 exec_lo, exec_lo, s3
	s_mov_b32 s91, 0
	s_mov_b32 s3, -1
.LBB225_469:                            ;   in Loop: Header=BB225_31 Depth=1
	s_or_not1_b32 s11, s16, exec_lo
.LBB225_470:                            ;   in Loop: Header=BB225_31 Depth=1
	s_or_b32 exec_lo, exec_lo, s90
	s_mov_b32 s14, 0
	s_and_saveexec_b32 s10, s11
	s_cbranch_execz .LBB225_481
; %bb.471:                              ;   in Loop: Header=BB225_31 Depth=1
	v_mov_b64_e32 v[6:7], 1
	v_mov_b32_e32 v2, 1
	s_xor_b32 s14, s89, -1
	s_delay_alu instid0(SALU_CYCLE_1)
	s_and_saveexec_b32 s11, s14
	s_cbranch_execz .LBB225_480
; %bb.472:                              ;   in Loop: Header=BB225_31 Depth=1
	s_mov_b32 s14, exec_lo
	v_cmpx_ge_u64_e64 s[12:13], v[4:5]
	s_xor_b32 s14, exec_lo, s14
	s_cbranch_execz .LBB225_477
; %bb.473:                              ;   in Loop: Header=BB225_31 Depth=1
	ds_load_b64 v[6:7], v3 offset:5120
	v_and_b32_e32 v50, s25, v50
	v_or_b32_e32 v53, s24, v53
	s_wait_dscnt 0x0
	v_cmp_ne_u64_e32 vcc_lo, 0, v[6:7]
	s_cbranch_vccnz .LBB225_477
; %bb.474:                              ;   in Loop: Header=BB225_31 Depth=1
	s_and_saveexec_b32 s15, s5
; %bb.475:                              ;   in Loop: Header=BB225_31 Depth=1
	v_mov_b64_e32 v[6:7], s[12:13]
	ds_store_b64 v3, v[6:7] offset:5128
; %bb.476:                              ;   in Loop: Header=BB225_31 Depth=1
	s_or_b32 exec_lo, exec_lo, s15
	s_wait_dscnt 0x0
	s_barrier_signal -1
	s_barrier_wait -1
.LBB225_477:                            ;   in Loop: Header=BB225_31 Depth=1
	s_and_not1_saveexec_b32 s14, s14
; %bb.478:                              ;   in Loop: Header=BB225_31 Depth=1
	v_sub_nc_u64_e64 v[4:5], v[4:5], s[12:13]
; %bb.479:                              ;   in Loop: Header=BB225_31 Depth=1
	s_or_b32 exec_lo, exec_lo, s14
	s_delay_alu instid0(VALU_DEP_1)
	v_mov_b64_e32 v[6:7], v[4:5]
	v_mov_b32_e32 v2, 5
.LBB225_480:                            ;   in Loop: Header=BB225_31 Depth=1
	s_or_b32 exec_lo, exec_lo, s11
	s_delay_alu instid0(VALU_DEP_2)
	v_mov_b64_e32 v[4:5], v[6:7]
	s_mov_b32 s14, exec_lo
.LBB225_481:                            ;   in Loop: Header=BB225_31 Depth=1
	s_or_b32 exec_lo, exec_lo, s10
	s_delay_alu instid0(SALU_CYCLE_1)
	s_or_not1_b32 s10, s14, exec_lo
.LBB225_482:                            ;   in Loop: Header=BB225_31 Depth=1
	s_or_b32 exec_lo, exec_lo, s19
	s_delay_alu instid0(VALU_DEP_1)
	v_mov_b64_e32 v[6:7], v[4:5]
	s_and_not1_b32 s11, s88, exec_lo
	s_and_b32 s3, s3, exec_lo
	s_and_not1_b32 s12, s86, exec_lo
	s_and_b32 s13, s91, exec_lo
	s_or_b32 s88, s11, s3
	s_or_b32 s86, s12, s13
	s_and_b32 s10, s10, exec_lo
.LBB225_483:                            ;   in Loop: Header=BB225_31 Depth=1
	s_or_b32 exec_lo, exec_lo, s18
	s_delay_alu instid0(SALU_CYCLE_1)
	s_or_not1_b32 s3, s10, exec_lo
.LBB225_484:                            ;   in Loop: Header=BB225_31 Depth=1
	s_or_b32 exec_lo, exec_lo, s21
	v_mov_b64_e32 v[4:5], v[6:7]
	s_and_not1_b32 s10, s85, exec_lo
	s_and_b32 s11, s88, exec_lo
	s_and_not1_b32 s12, s23, exec_lo
	s_and_b32 s13, s86, exec_lo
	s_or_b32 s85, s10, s11
	s_or_b32 s23, s12, s13
	s_and_b32 s10, s3, exec_lo
.LBB225_485:                            ;   in Loop: Header=BB225_31 Depth=1
	s_or_b32 exec_lo, exec_lo, s20
	s_delay_alu instid0(SALU_CYCLE_1)
	s_or_not1_b32 s3, s10, exec_lo
.LBB225_486:                            ;   in Loop: Header=BB225_31 Depth=1
	s_or_b32 exec_lo, exec_lo, s9
	s_mov_b32 s9, s84
	s_mov_b32 s10, s27
	s_and_saveexec_b32 s11, s3
; %bb.487:                              ;   in Loop: Header=BB225_31 Depth=1
	v_cmp_ne_u32_e32 vcc_lo, 5, v2
	v_cmp_eq_u32_e64 s9, 5, v2
	s_and_not1_b32 s3, s27, exec_lo
	s_and_not1_b32 s12, s84, exec_lo
	s_and_b32 s10, vcc_lo, exec_lo
	s_and_b32 s9, s9, exec_lo
	s_or_b32 s10, s3, s10
	s_or_b32 s9, s12, s9
; %bb.488:                              ;   in Loop: Header=BB225_31 Depth=1
	s_or_b32 exec_lo, exec_lo, s11
	s_delay_alu instid0(SALU_CYCLE_1)
	s_and_not1_b32 s3, s87, exec_lo
	s_and_b32 s11, s85, exec_lo
	s_and_not1_b32 s12, s26, exec_lo
	s_and_b32 s13, s23, exec_lo
	s_or_b32 s87, s3, s11
	s_and_not1_b32 s3, s27, exec_lo
	s_and_b32 s10, s10, exec_lo
	s_and_not1_b32 s11, s84, exec_lo
	s_and_b32 s9, s9, exec_lo
	s_or_b32 s26, s12, s13
	s_or_b32 s27, s3, s10
	;; [unrolled: 1-line block ×3, first 2 shown]
.LBB225_489:                            ;   in Loop: Header=BB225_31 Depth=1
	s_or_b32 exec_lo, exec_lo, s22
	s_mov_b32 s85, 0
	s_mov_b32 s86, 0
	s_and_saveexec_b32 s3, s84
.LBB225_490:                            ;   in Loop: Header=BB225_31 Depth=1
	v_mov_b32_e32 v2, 0
	s_or_b32 s27, s27, exec_lo
.LBB225_491:                            ;   in Loop: Header=BB225_31 Depth=1
	s_or_b32 exec_lo, exec_lo, s3
	v_mov_b64_e32 v[32:33], v[4:5]
	s_and_not1_b32 s3, s7, exec_lo
	s_and_b32 s7, s87, exec_lo
	s_and_not1_b32 s10, s49, exec_lo
	s_and_b32 s11, s26, exec_lo
	s_or_b32 s7, s3, s7
	s_or_b32 s49, s10, s11
	s_and_not1_b32 s3, s75, exec_lo
	s_and_b32 s10, s86, exec_lo
	s_and_not1_b32 s11, s74, exec_lo
	s_and_b32 s12, s85, exec_lo
	s_mov_b32 s9, -1
	s_and_not1_b32 s4, s4, exec_lo
	s_or_b32 s75, s3, s10
	s_or_b32 s74, s11, s12
	s_and_saveexec_b32 s3, s27
	s_delay_alu instid0(SALU_CYCLE_1)
	s_xor_b32 s3, exec_lo, s3
	s_cbranch_execz .LBB225_30
; %bb.492:                              ;   in Loop: Header=BB225_31 Depth=1
	s_mov_b32 s10, -1
	s_mov_b32 s11, exec_lo
	v_cmpx_eq_u32_e32 0, v2
	s_cbranch_execz .LBB225_29
; %bb.493:                              ;   in Loop: Header=BB225_31 Depth=1
	s_xor_b32 s57, s57, 1
	s_add_co_i32 s12, s54, -2
	s_cmp_eq_u32 s54, 0
	s_mov_b32 s54, s12
	s_cselect_b32 s9, -1, 0
	s_xor_b32 s10, exec_lo, -1
	s_or_not1_b32 s9, s9, exec_lo
	s_branch .LBB225_29
.LBB225_494:
	s_or_b32 exec_lo, exec_lo, s55
	s_xor_b32 s6, s48, -1
	s_xor_b32 s9, s59, -1
	;; [unrolled: 1-line block ×5, first 2 shown]
	s_mov_b32 s7, 0
	s_and_saveexec_b32 s10, s4
	s_delay_alu instid0(SALU_CYCLE_1)
	s_xor_b32 s4, exec_lo, s10
	s_cbranch_execnz .LBB225_499
; %bb.495:
	s_and_not1_saveexec_b32 s0, s4
	s_cbranch_execnz .LBB225_518
.LBB225_496:
	s_or_b32 exec_lo, exec_lo, s0
	s_and_saveexec_b32 s0, s7
.LBB225_497:
	; divergent unreachable
.LBB225_498:
	s_endpgm
.LBB225_499:
	s_and_saveexec_b32 s10, s8
	s_delay_alu instid0(SALU_CYCLE_1)
	s_xor_b32 s16, exec_lo, s10
	s_cbranch_execz .LBB225_516
; %bb.500:
	s_and_saveexec_b32 s8, s9
	s_delay_alu instid0(SALU_CYCLE_1)
	s_xor_b32 s17, exec_lo, s8
	s_cbranch_execz .LBB225_514
; %bb.501:
	;; [unrolled: 5-line block ×3, first 2 shown]
	s_and_saveexec_b32 s6, s3
	s_delay_alu instid0(SALU_CYCLE_1)
	s_xor_b32 s3, exec_lo, s6
; %bb.503:
	v_and_b32_e32 v2, 0x8000, v50
	v_mov_b32_e32 v3, 0xffff
	s_delay_alu instid0(VALU_DEP_2) | instskip(NEXT) | instid1(VALU_DEP_2)
	v_cmp_eq_u32_e32 vcc_lo, 0, v2
	v_cndmask_b32_e32 v2, 0x8000, v3, vcc_lo
	s_delay_alu instid0(VALU_DEP_1)
	v_xor_b32_e32 v54, v2, v50
; %bb.504:
	s_or_b32 exec_lo, exec_lo, s3
	s_and_saveexec_b32 s3, s5
	v_readlane_b32 s26, v63, 8
; %bb.505:
	v_mov_b64_e32 v[2:3], 0
	v_mov_b32_e32 v4, 0
	ds_store_b64 v4, v[2:3] offset:5136
; %bb.506:
	s_or_b32 exec_lo, exec_lo, s3
	v_mov_b32_e32 v19, 0
	s_wait_dscnt 0x0
	s_barrier_signal -1
	s_barrier_wait -1
	s_and_saveexec_b32 s3, s102
	s_cbranch_execz .LBB225_508
; %bb.507:
	global_load_u16 v19, v[14:15], off
.LBB225_508:
	s_wait_xcnt 0x0
	s_or_b32 exec_lo, exec_lo, s3
	v_mov_b32_e32 v18, 0x8000
	v_cmp_lt_i16_e32 vcc_lo, -1, v54
	v_readlane_b32 s14, v63, 0
	v_readlane_b32 s15, v63, 1
	s_clause 0x1
	s_load_b64 s[6:7], s[0:1], 0x368
	s_load_b64 s[8:9], s[0:1], 0x510
	v_and_b32_e32 v2, 0xffff, v54
	v_cndmask_b32_e32 v3, 0xffff, v18, vcc_lo
	v_lshlrev_b32_e32 v4, 16, v54
	s_add_nc_u64 s[10:11], s[36:37], 31
	s_mov_b64 s[12:13], 0xffffffffffffffe0
	s_mul_u64 s[14:15], s[14:15], s[42:43]
	s_and_b64 s[10:11], s[10:11], s[12:13]
	s_lshl_b64 s[12:13], s[14:15], 1
	v_readlane_b32 s14, v63, 2
	v_readlane_b32 s15, v63, 3
	v_xor_b32_e32 v2, v3, v2
	v_cmp_o_f32_e32 vcc_lo, v4, v4
	v_readlane_b32 s20, v63, 4
	v_readlane_b32 s22, v63, 6
	;; [unrolled: 1-line block ×4, first 2 shown]
	s_mul_u64 s[14:15], s[14:15], s[50:51]
	v_cndmask_b32_e32 v13, 0xffff, v2, vcc_lo
	v_cmp_gt_u64_e32 vcc_lo, s[10:11], v[0:1]
	s_lshl_b64 s[14:15], s[14:15], 3
	s_add_nc_u64 s[12:13], s[20:21], s[12:13]
	s_lshl_b64 s[20:21], s[34:35], 1
	s_add_nc_u64 s[14:15], s[22:23], s[14:15]
	s_lshl_b64 s[22:23], s[46:47], 3
	s_wait_xcnt 0x0
	s_mov_b32 s0, -1
	s_add_nc_u64 s[12:13], s[12:13], s[20:21]
	s_add_nc_u64 s[14:15], s[14:15], s[22:23]
	s_mov_b32 s5, 0
	s_mov_b32 s1, 0
	s_and_saveexec_b32 s3, vcc_lo
	s_cbranch_execnz .LBB225_519
; %bb.509:
	s_or_b32 exec_lo, exec_lo, s3
	s_and_saveexec_b32 s3, s0
	s_cbranch_execnz .LBB225_536
.LBB225_510:
	s_or_b32 exec_lo, exec_lo, s3
	s_and_saveexec_b32 s0, s1
	s_delay_alu instid0(SALU_CYCLE_1)
	s_xor_b32 s0, exec_lo, s0
	s_cbranch_execnz .LBB225_561
.LBB225_511:
	s_or_b32 exec_lo, exec_lo, s0
	s_wait_kmcnt 0x0
	s_and_b32 s7, s5, exec_lo
.LBB225_512:
	s_and_not1_saveexec_b32 s0, s18
	s_cbranch_execnz .LBB225_563
.LBB225_513:
	s_or_b32 exec_lo, exec_lo, s0
	s_delay_alu instid0(SALU_CYCLE_1)
	s_and_b32 s7, s7, exec_lo
.LBB225_514:
	s_and_not1_saveexec_b32 s0, s17
	s_cbranch_execnz .LBB225_562
.LBB225_515:
	s_or_b32 exec_lo, exec_lo, s0
	s_delay_alu instid0(SALU_CYCLE_1)
	s_and_b32 s7, s7, exec_lo
.LBB225_516:
	s_and_not1_saveexec_b32 s0, s16
	s_cbranch_execnz .LBB225_557
.LBB225_517:
	s_or_b32 exec_lo, exec_lo, s0
	s_delay_alu instid0(SALU_CYCLE_1)
	s_and_b32 s7, s7, exec_lo
	s_and_not1_saveexec_b32 s0, s4
	s_cbranch_execz .LBB225_496
.LBB225_518:
	s_or_b32 s7, s7, exec_lo
	s_trap 2
	s_or_b32 exec_lo, exec_lo, s0
	s_and_saveexec_b32 s0, s7
	s_cbranch_execnz .LBB225_497
	s_branch .LBB225_498
.LBB225_519:
	v_add_nc_u64_e32 v[2:3], s[40:41], v[0:1]
	v_readlane_b32 s0, v63, 20
	v_readlane_b32 s1, v63, 21
	v_mov_b64_e32 v[10:11], v[0:1]
	s_mov_b32 s19, 0
                                        ; implicit-def: $sgpr20
                                        ; implicit-def: $vgpr8_vgpr9
	v_mul_u64_e32 v[4:5], s[30:31], v[2:3]
	v_mov_b32_e32 v3, 0
	s_delay_alu instid0(VALU_DEP_2)
	v_lshl_add_u64 v[4:5], v[4:5], 1, s[0:1]
	s_branch .LBB225_521
.LBB225_520:                            ;   in Loop: Header=BB225_521 Depth=1
	s_or_b32 exec_lo, exec_lo, s22
	s_xor_b32 s0, s21, -1
	s_and_b32 s1, exec_lo, s1
	v_mov_b64_e32 v[10:11], v[6:7]
	s_or_b32 s19, s1, s19
	s_wait_loadcnt 0x0
	v_mov_b32_e32 v19, v20
	s_and_not1_b32 s1, s20, exec_lo
	s_and_b32 s0, s0, exec_lo
	s_delay_alu instid0(SALU_CYCLE_1)
	s_or_b32 s20, s1, s0
	s_and_not1_b32 exec_lo, exec_lo, s19
	s_cbranch_execz .LBB225_535
.LBB225_521:                            ; =>This Inner Loop Header: Depth=1
	s_delay_alu instid0(VALU_DEP_4) | instskip(SKIP_2) | instid1(VALU_DEP_2)
	v_add_nc_u64_e32 v[6:7], s[40:41], v[10:11]
	v_mov_b32_e32 v20, 0
	s_mov_b32 s1, exec_lo
	v_cmpx_gt_u64_e64 s[36:37], v[6:7]
	s_cbranch_execz .LBB225_523
; %bb.522:                              ;   in Loop: Header=BB225_521 Depth=1
	global_load_u16 v20, v[4:5], off
.LBB225_523:                            ;   in Loop: Header=BB225_521 Depth=1
	s_wait_xcnt 0x0
	s_or_b32 exec_lo, exec_lo, s1
	s_mov_b32 s21, 0
	s_mov_b32 s1, exec_lo
	v_cmpx_gt_u64_e64 s[36:37], v[10:11]
	s_cbranch_execz .LBB225_525
; %bb.524:                              ;   in Loop: Header=BB225_521 Depth=1
	s_wait_loadcnt 0x0
	v_cmp_lt_i16_e64 s0, -1, v19
	v_and_b32_e32 v2, 0xffff, v19
	s_delay_alu instid0(VALU_DEP_2) | instskip(NEXT) | instid1(VALU_DEP_1)
	v_cndmask_b32_e64 v16, 0xffff, v18, s0
	v_dual_lshlrev_b32 v17, 16, v19 :: v_dual_bitop2_b32 v2, v16, v2 bitop3:0x14
	s_delay_alu instid0(VALU_DEP_1) | instskip(NEXT) | instid1(VALU_DEP_1)
	v_cmp_o_f32_e64 s0, v17, v17
	v_cndmask_b32_e64 v2, 0xffff, v2, s0
	s_delay_alu instid0(VALU_DEP_1) | instskip(NEXT) | instid1(VALU_DEP_1)
	v_cmp_gt_u32_e64 s0, v2, v13
	v_cndmask_b32_e64 v16, 0, 1, s0
	v_cmp_lt_u32_e64 s0, v2, v13
	s_delay_alu instid0(VALU_DEP_1) | instskip(NEXT) | instid1(VALU_DEP_1)
	v_cndmask_b32_e64 v2, 0, 1, s0
	v_cndmask_b32_e64 v2, v2, v16, s26
	s_delay_alu instid0(VALU_DEP_1) | instskip(NEXT) | instid1(VALU_DEP_1)
	v_and_b32_e32 v2, 1, v2
	v_cmp_eq_u32_e64 s0, 1, v2
	s_and_b32 s21, s0, exec_lo
.LBB225_525:                            ;   in Loop: Header=BB225_521 Depth=1
	s_or_b32 exec_lo, exec_lo, s1
	v_cndmask_b32_e64 v2, 0, 1, s21
	s_delay_alu instid0(VALU_DEP_1) | instskip(SKIP_2) | instid1(SALU_CYCLE_1)
	v_cmp_ne_u32_e64 s0, 0, v2
	s_cmp_lg_u32 s0, 0
	s_cselect_b32 s1, -1, 0
	s_and_b32 s1, s2, s1
	s_delay_alu instid0(SALU_CYCLE_1)
	s_and_saveexec_b32 s22, s1
	s_cbranch_execz .LBB225_529
; %bb.526:                              ;   in Loop: Header=BB225_521 Depth=1
	s_mov_b32 s25, exec_lo
	s_bcnt1_i32_b32 s23, s0
	v_mbcnt_lo_u32_b32 v16, s25, 0
	s_mov_b32 s24, exec_lo
                                        ; implicit-def: $vgpr8_vgpr9
	s_delay_alu instid0(VALU_DEP_1)
	v_cmpx_eq_u32_e32 0, v16
	s_cbranch_execz .LBB225_528
; %bb.527:                              ;   in Loop: Header=BB225_521 Depth=1
	s_bcnt1_i32_b32 s1, s25
	s_delay_alu instid0(SALU_CYCLE_1) | instskip(NEXT) | instid1(SALU_CYCLE_1)
	s_mul_i32 s1, s23, s1
	v_mov_b32_e32 v2, s1
	s_wait_dscnt 0x0
	ds_add_rtn_u64 v[8:9], v3, v[2:3] offset:5136
.LBB225_528:                            ;   in Loop: Header=BB225_521 Depth=1
	s_or_b32 exec_lo, exec_lo, s24
	s_wait_dscnt 0x0
	v_readfirstlane_b32 s25, v9
	v_readfirstlane_b32 s24, v8
	s_delay_alu instid0(VALU_DEP_1)
	v_mad_nc_u64_u32 v[8:9], s23, v16, s[24:25]
.LBB225_529:                            ;   in Loop: Header=BB225_521 Depth=1
	s_or_b32 exec_lo, exec_lo, s22
	s_wait_dscnt 0x1
	ds_bpermute_b32 v8, v3, v8
	s_wait_dscnt 0x1
	ds_bpermute_b32 v9, v3, v9
	s_mov_b32 s1, -1
	s_mov_b32 s23, -1
	s_and_saveexec_b32 s22, s21
	s_cbranch_execz .LBB225_533
; %bb.530:                              ;   in Loop: Header=BB225_521 Depth=1
	v_and_b32_e32 v2, s0, v12
	s_mov_b32 s21, 0
	s_mov_b32 s23, exec_lo
	s_delay_alu instid0(VALU_DEP_1) | instskip(SKIP_1) | instid1(VALU_DEP_1)
	v_bcnt_u32_b32 v2, v2, 0
	s_wait_dscnt 0x0
	v_add_nc_u64_e32 v[16:17], v[8:9], v[2:3]
	s_delay_alu instid0(VALU_DEP_1)
	v_cmpx_gt_u64_e64 s[38:39], v[16:17]
	s_cbranch_execz .LBB225_532
; %bb.531:                              ;   in Loop: Header=BB225_521 Depth=1
	s_wait_kmcnt 0x0
	v_mul_u64_e32 v[22:23], s[6:7], v[16:17]
	v_mul_u64_e32 v[16:17], s[8:9], v[16:17]
	s_mov_b32 s21, exec_lo
	s_delay_alu instid0(VALU_DEP_2) | instskip(NEXT) | instid1(VALU_DEP_2)
	v_lshl_add_u64 v[22:23], v[22:23], 1, s[12:13]
	v_lshl_add_u64 v[16:17], v[16:17], 3, s[14:15]
	s_wait_loadcnt 0x0
	global_store_b16 v[22:23], v19, off
	global_store_b64 v[16:17], v[10:11], off
.LBB225_532:                            ;   in Loop: Header=BB225_521 Depth=1
	s_wait_xcnt 0x0
	s_or_b32 exec_lo, exec_lo, s23
	s_delay_alu instid0(SALU_CYCLE_1)
	s_or_not1_b32 s23, s21, exec_lo
.LBB225_533:                            ;   in Loop: Header=BB225_521 Depth=1
	s_or_b32 exec_lo, exec_lo, s22
	s_mov_b32 s21, -1
	s_and_saveexec_b32 s22, s23
	s_cbranch_execz .LBB225_520
; %bb.534:                              ;   in Loop: Header=BB225_521 Depth=1
	v_cmp_le_u64_e64 s0, s[10:11], v[6:7]
	v_add_nc_u64_e32 v[4:5], s[44:45], v[4:5]
	s_xor_b32 s21, exec_lo, -1
	s_or_not1_b32 s1, s0, exec_lo
	s_branch .LBB225_520
.LBB225_535:
	s_or_b32 exec_lo, exec_lo, s19
	s_delay_alu instid0(SALU_CYCLE_1)
	s_mov_b32 s1, exec_lo
	s_or_not1_b32 s0, s20, exec_lo
	s_or_b32 exec_lo, exec_lo, s3
	s_and_saveexec_b32 s3, s0
	s_cbranch_execz .LBB225_510
.LBB225_536:
	v_mov_b32_e32 v16, 0
	s_wait_storecnt 0x0
	s_wait_loadcnt_dscnt 0x0
	s_barrier_signal -1
	s_barrier_wait -1
	s_and_saveexec_b32 s0, s102
	s_cbranch_execz .LBB225_538
; %bb.537:
	global_load_u16 v16, v[14:15], off
.LBB225_538:
	s_wait_xcnt 0x0
	s_or_b32 exec_lo, exec_lo, s0
	s_mov_b32 s0, 0
	s_and_saveexec_b32 s5, vcc_lo
	s_cbranch_execz .LBB225_560
; %bb.539:
	v_add_nc_u64_e32 v[2:3], s[40:41], v[0:1]
	v_readlane_b32 s20, v63, 20
	v_readlane_b32 s21, v63, 21
	s_mov_b32 s19, 0
                                        ; implicit-def: $vgpr8_vgpr9
	v_mov_b32_e32 v14, 0x8000
	v_mul_u64_e32 v[4:5], s[30:31], v[2:3]
	v_mov_b32_e32 v3, 0
	s_delay_alu instid0(VALU_DEP_2)
	v_lshl_add_u64 v[4:5], v[4:5], 1, s[20:21]
                                        ; implicit-def: $sgpr20
	s_branch .LBB225_542
.LBB225_540:                            ;   in Loop: Header=BB225_542 Depth=1
	s_or_b32 exec_lo, exec_lo, s23
	s_delay_alu instid0(SALU_CYCLE_1)
	s_or_not1_b32 s23, s21, exec_lo
	s_or_not1_b32 s22, s22, exec_lo
.LBB225_541:                            ;   in Loop: Header=BB225_542 Depth=1
	s_or_b32 exec_lo, exec_lo, s0
	s_xor_b32 s0, s23, -1
	s_and_b32 s21, exec_lo, s22
	v_mov_b64_e32 v[0:1], v[6:7]
	s_or_b32 s19, s21, s19
	s_wait_loadcnt 0x0
	v_mov_b32_e32 v16, v15
	s_and_not1_b32 s20, s20, exec_lo
	s_and_b32 s0, s0, exec_lo
	s_delay_alu instid0(SALU_CYCLE_1)
	s_or_b32 s20, s20, s0
	s_and_not1_b32 exec_lo, exec_lo, s19
	s_cbranch_execz .LBB225_558
.LBB225_542:                            ; =>This Inner Loop Header: Depth=1
	v_add_nc_u64_e32 v[6:7], s[40:41], v[0:1]
	v_mov_b32_e32 v15, 0
	s_mov_b32 s0, exec_lo
	s_delay_alu instid0(VALU_DEP_2)
	v_cmpx_gt_u64_e64 s[36:37], v[6:7]
	s_cbranch_execz .LBB225_544
; %bb.543:                              ;   in Loop: Header=BB225_542 Depth=1
	global_load_u16 v15, v[4:5], off
.LBB225_544:                            ;   in Loop: Header=BB225_542 Depth=1
	s_wait_xcnt 0x0
	s_or_b32 exec_lo, exec_lo, s0
	s_mov_b32 s21, 0
	s_mov_b32 s0, exec_lo
	v_cmpx_gt_u64_e64 s[36:37], v[0:1]
	s_cbranch_execz .LBB225_546
; %bb.545:                              ;   in Loop: Header=BB225_542 Depth=1
	s_wait_loadcnt 0x0
	v_cmp_lt_i16_e32 vcc_lo, -1, v16
	v_and_b32_e32 v2, 0xffff, v16
	v_dual_cndmask_b32 v10, 0xffff, v14 :: v_dual_lshlrev_b32 v11, 16, v16
	s_delay_alu instid0(VALU_DEP_1) | instskip(NEXT) | instid1(VALU_DEP_2)
	v_cmp_o_f32_e32 vcc_lo, v11, v11
	v_xor_b32_e32 v2, v10, v2
	s_delay_alu instid0(VALU_DEP_1) | instskip(NEXT) | instid1(VALU_DEP_1)
	v_cndmask_b32_e32 v2, 0xffff, v2, vcc_lo
	v_cmp_eq_u32_e32 vcc_lo, v2, v13
	s_and_b32 s21, vcc_lo, exec_lo
.LBB225_546:                            ;   in Loop: Header=BB225_542 Depth=1
	s_or_b32 exec_lo, exec_lo, s0
	v_cndmask_b32_e64 v2, 0, 1, s21
	s_delay_alu instid0(VALU_DEP_1) | instskip(SKIP_2) | instid1(SALU_CYCLE_1)
	v_cmp_ne_u32_e32 vcc_lo, 0, v2
	s_cmp_lg_u32 vcc_lo, 0
	s_cselect_b32 s0, -1, 0
	s_and_b32 s0, s2, s0
	s_delay_alu instid0(SALU_CYCLE_1)
	s_and_saveexec_b32 s22, s0
	s_cbranch_execz .LBB225_550
; %bb.547:                              ;   in Loop: Header=BB225_542 Depth=1
	s_mov_b32 s25, exec_lo
	s_bcnt1_i32_b32 s23, vcc_lo
	v_mbcnt_lo_u32_b32 v10, s25, 0
	s_mov_b32 s24, exec_lo
                                        ; implicit-def: $vgpr8_vgpr9
	s_delay_alu instid0(VALU_DEP_1)
	v_cmpx_eq_u32_e32 0, v10
; %bb.548:                              ;   in Loop: Header=BB225_542 Depth=1
	s_bcnt1_i32_b32 s0, s25
	s_delay_alu instid0(SALU_CYCLE_1) | instskip(NEXT) | instid1(SALU_CYCLE_1)
	s_mul_i32 s0, s23, s0
	v_mov_b32_e32 v2, s0
	ds_add_rtn_u64 v[8:9], v3, v[2:3] offset:5136
; %bb.549:                              ;   in Loop: Header=BB225_542 Depth=1
	s_or_b32 exec_lo, exec_lo, s24
	s_wait_dscnt 0x0
	v_readfirstlane_b32 s25, v9
	v_readfirstlane_b32 s24, v8
	s_delay_alu instid0(VALU_DEP_1)
	v_mad_nc_u64_u32 v[8:9], s23, v10, s[24:25]
.LBB225_550:                            ;   in Loop: Header=BB225_542 Depth=1
	s_or_b32 exec_lo, exec_lo, s22
	ds_bpermute_b32 v8, v3, v8
	ds_bpermute_b32 v9, v3, v9
	s_cmp_eq_u32 vcc_lo, 0
	s_mov_b32 s22, -1
	s_cselect_b32 s23, -1, 0
	s_wait_dscnt 0x0
	v_cmp_gt_u64_e64 s0, s[38:39], v[8:9]
	s_or_b32 s24, s23, s0
	s_mov_b32 s23, -1
	s_and_saveexec_b32 s0, s24
	s_cbranch_execz .LBB225_541
; %bb.551:                              ;   in Loop: Header=BB225_542 Depth=1
	v_and_b32_e32 v2, vcc_lo, v12
	v_sub_nc_u64_e32 v[10:11], s[38:39], v[8:9]
	s_mov_b32 s24, -1
	s_delay_alu instid0(VALU_DEP_2) | instskip(NEXT) | instid1(VALU_DEP_1)
	v_bcnt_u32_b32 v2, v2, 0
	v_bcnt_u32_b32 v2, 0, v2
	s_delay_alu instid0(VALU_DEP_1)
	v_cmp_gt_u64_e32 vcc_lo, v[10:11], v[2:3]
	s_and_b32 s25, s21, vcc_lo
	s_mov_b32 s21, -1
	s_and_saveexec_b32 s23, s25
	s_cbranch_execz .LBB225_555
; %bb.552:                              ;   in Loop: Header=BB225_542 Depth=1
	v_add_nc_u64_e32 v[10:11], v[8:9], v[2:3]
	s_mov_b32 s24, 0
	s_mov_b32 s21, exec_lo
	s_delay_alu instid0(VALU_DEP_1)
	v_cmpx_gt_u64_e64 s[38:39], v[10:11]
	s_cbranch_execz .LBB225_554
; %bb.553:                              ;   in Loop: Header=BB225_542 Depth=1
	s_wait_kmcnt 0x0
	v_mul_u64_e32 v[18:19], s[6:7], v[10:11]
	v_mul_u64_e32 v[10:11], s[8:9], v[10:11]
	s_mov_b32 s24, exec_lo
	s_delay_alu instid0(VALU_DEP_2) | instskip(NEXT) | instid1(VALU_DEP_2)
	v_lshl_add_u64 v[18:19], v[18:19], 1, s[12:13]
	v_lshl_add_u64 v[10:11], v[10:11], 3, s[14:15]
	s_wait_loadcnt 0x0
	global_store_b16 v[18:19], v16, off
	global_store_b64 v[10:11], v[0:1], off
.LBB225_554:                            ;   in Loop: Header=BB225_542 Depth=1
	s_wait_xcnt 0x0
	s_or_b32 exec_lo, exec_lo, s21
	s_delay_alu instid0(SALU_CYCLE_1)
	s_xor_b32 s21, exec_lo, -1
	s_or_not1_b32 s24, s24, exec_lo
.LBB225_555:                            ;   in Loop: Header=BB225_542 Depth=1
	s_or_b32 exec_lo, exec_lo, s23
	s_and_saveexec_b32 s23, s24
	s_cbranch_execz .LBB225_540
; %bb.556:                              ;   in Loop: Header=BB225_542 Depth=1
	v_cmp_le_u64_e32 vcc_lo, s[10:11], v[6:7]
	v_add_nc_u64_e32 v[4:5], s[44:45], v[4:5]
	s_or_b32 s21, s21, exec_lo
	s_or_not1_b32 s22, vcc_lo, exec_lo
	s_branch .LBB225_540
.LBB225_557:
	s_or_b32 s7, s7, exec_lo
	s_trap 2
	s_branch .LBB225_517
.LBB225_558:
	s_or_b32 exec_lo, exec_lo, s19
	s_mov_b32 s0, 0
	s_and_saveexec_b32 s2, s20
	s_delay_alu instid0(SALU_CYCLE_1)
	s_xor_b32 s2, exec_lo, s2
	s_cbranch_execnz .LBB225_564
.LBB225_559:
	s_or_b32 exec_lo, exec_lo, s2
	s_delay_alu instid0(SALU_CYCLE_1)
	s_and_b32 s0, s0, exec_lo
.LBB225_560:
	s_or_b32 exec_lo, exec_lo, s5
	s_delay_alu instid0(SALU_CYCLE_1) | instskip(SKIP_3) | instid1(SALU_CYCLE_1)
	s_and_b32 s5, s0, exec_lo
	s_and_not1_b32 s1, s1, exec_lo
	s_or_b32 exec_lo, exec_lo, s3
	s_and_saveexec_b32 s0, s1
	s_xor_b32 s0, exec_lo, s0
	s_cbranch_execz .LBB225_511
.LBB225_561:
	s_or_b32 s5, s5, exec_lo
	s_trap 2
	s_branch .LBB225_511
.LBB225_562:
	s_or_b32 s7, s7, exec_lo
	s_trap 2
	s_branch .LBB225_515
.LBB225_563:
	s_or_b32 s7, s7, exec_lo
	s_trap 2
	s_branch .LBB225_513
.LBB225_564:
	s_mov_b32 s0, exec_lo
	s_trap 2
	s_branch .LBB225_559
	.section	.rodata,"a",@progbits
	.p2align	6, 0x0
	.amdhsa_kernel _ZN2at6native6sbtopk10gatherTopKIN3c108BFloat16EmLin1ELb0EEEvNS_4cuda6detail10TensorInfoIKT_T0_EESA_SA_bSA_SA_NS7_IS8_SA_EESA_NS7_IlSA_EESA_PS8_
		.amdhsa_group_segment_fixed_size 5152
		.amdhsa_private_segment_fixed_size 0
		.amdhsa_kernarg_size 1568
		.amdhsa_user_sgpr_count 2
		.amdhsa_user_sgpr_dispatch_ptr 0
		.amdhsa_user_sgpr_queue_ptr 0
		.amdhsa_user_sgpr_kernarg_segment_ptr 1
		.amdhsa_user_sgpr_dispatch_id 0
		.amdhsa_user_sgpr_kernarg_preload_length 0
		.amdhsa_user_sgpr_kernarg_preload_offset 0
		.amdhsa_user_sgpr_private_segment_size 0
		.amdhsa_wavefront_size32 1
		.amdhsa_uses_dynamic_stack 0
		.amdhsa_enable_private_segment 0
		.amdhsa_system_sgpr_workgroup_id_x 1
		.amdhsa_system_sgpr_workgroup_id_y 1
		.amdhsa_system_sgpr_workgroup_id_z 1
		.amdhsa_system_sgpr_workgroup_info 0
		.amdhsa_system_vgpr_workitem_id 0
		.amdhsa_next_free_vgpr 64
		.amdhsa_next_free_sgpr 105
		.amdhsa_named_barrier_count 0
		.amdhsa_reserve_vcc 1
		.amdhsa_float_round_mode_32 0
		.amdhsa_float_round_mode_16_64 0
		.amdhsa_float_denorm_mode_32 3
		.amdhsa_float_denorm_mode_16_64 3
		.amdhsa_fp16_overflow 0
		.amdhsa_memory_ordered 1
		.amdhsa_forward_progress 1
		.amdhsa_inst_pref_size 224
		.amdhsa_round_robin_scheduling 0
		.amdhsa_exception_fp_ieee_invalid_op 0
		.amdhsa_exception_fp_denorm_src 0
		.amdhsa_exception_fp_ieee_div_zero 0
		.amdhsa_exception_fp_ieee_overflow 0
		.amdhsa_exception_fp_ieee_underflow 0
		.amdhsa_exception_fp_ieee_inexact 0
		.amdhsa_exception_int_div_zero 0
	.end_amdhsa_kernel
	.section	.text._ZN2at6native6sbtopk10gatherTopKIN3c108BFloat16EmLin1ELb0EEEvNS_4cuda6detail10TensorInfoIKT_T0_EESA_SA_bSA_SA_NS7_IS8_SA_EESA_NS7_IlSA_EESA_PS8_,"axG",@progbits,_ZN2at6native6sbtopk10gatherTopKIN3c108BFloat16EmLin1ELb0EEEvNS_4cuda6detail10TensorInfoIKT_T0_EESA_SA_bSA_SA_NS7_IS8_SA_EESA_NS7_IlSA_EESA_PS8_,comdat
.Lfunc_end225:
	.size	_ZN2at6native6sbtopk10gatherTopKIN3c108BFloat16EmLin1ELb0EEEvNS_4cuda6detail10TensorInfoIKT_T0_EESA_SA_bSA_SA_NS7_IS8_SA_EESA_NS7_IlSA_EESA_PS8_, .Lfunc_end225-_ZN2at6native6sbtopk10gatherTopKIN3c108BFloat16EmLin1ELb0EEEvNS_4cuda6detail10TensorInfoIKT_T0_EESA_SA_bSA_SA_NS7_IS8_SA_EESA_NS7_IlSA_EESA_PS8_
                                        ; -- End function
	.set _ZN2at6native6sbtopk10gatherTopKIN3c108BFloat16EmLin1ELb0EEEvNS_4cuda6detail10TensorInfoIKT_T0_EESA_SA_bSA_SA_NS7_IS8_SA_EESA_NS7_IlSA_EESA_PS8_.num_vgpr, 64
	.set _ZN2at6native6sbtopk10gatherTopKIN3c108BFloat16EmLin1ELb0EEEvNS_4cuda6detail10TensorInfoIKT_T0_EESA_SA_bSA_SA_NS7_IS8_SA_EESA_NS7_IlSA_EESA_PS8_.num_agpr, 0
	.set _ZN2at6native6sbtopk10gatherTopKIN3c108BFloat16EmLin1ELb0EEEvNS_4cuda6detail10TensorInfoIKT_T0_EESA_SA_bSA_SA_NS7_IS8_SA_EESA_NS7_IlSA_EESA_PS8_.numbered_sgpr, 105
	.set _ZN2at6native6sbtopk10gatherTopKIN3c108BFloat16EmLin1ELb0EEEvNS_4cuda6detail10TensorInfoIKT_T0_EESA_SA_bSA_SA_NS7_IS8_SA_EESA_NS7_IlSA_EESA_PS8_.num_named_barrier, 0
	.set _ZN2at6native6sbtopk10gatherTopKIN3c108BFloat16EmLin1ELb0EEEvNS_4cuda6detail10TensorInfoIKT_T0_EESA_SA_bSA_SA_NS7_IS8_SA_EESA_NS7_IlSA_EESA_PS8_.private_seg_size, 0
	.set _ZN2at6native6sbtopk10gatherTopKIN3c108BFloat16EmLin1ELb0EEEvNS_4cuda6detail10TensorInfoIKT_T0_EESA_SA_bSA_SA_NS7_IS8_SA_EESA_NS7_IlSA_EESA_PS8_.uses_vcc, 1
	.set _ZN2at6native6sbtopk10gatherTopKIN3c108BFloat16EmLin1ELb0EEEvNS_4cuda6detail10TensorInfoIKT_T0_EESA_SA_bSA_SA_NS7_IS8_SA_EESA_NS7_IlSA_EESA_PS8_.uses_flat_scratch, 0
	.set _ZN2at6native6sbtopk10gatherTopKIN3c108BFloat16EmLin1ELb0EEEvNS_4cuda6detail10TensorInfoIKT_T0_EESA_SA_bSA_SA_NS7_IS8_SA_EESA_NS7_IlSA_EESA_PS8_.has_dyn_sized_stack, 0
	.set _ZN2at6native6sbtopk10gatherTopKIN3c108BFloat16EmLin1ELb0EEEvNS_4cuda6detail10TensorInfoIKT_T0_EESA_SA_bSA_SA_NS7_IS8_SA_EESA_NS7_IlSA_EESA_PS8_.has_recursion, 0
	.set _ZN2at6native6sbtopk10gatherTopKIN3c108BFloat16EmLin1ELb0EEEvNS_4cuda6detail10TensorInfoIKT_T0_EESA_SA_bSA_SA_NS7_IS8_SA_EESA_NS7_IlSA_EESA_PS8_.has_indirect_call, 0
	.section	.AMDGPU.csdata,"",@progbits
; Kernel info:
; codeLenInByte = 28644
; TotalNumSgprs: 107
; NumVgprs: 64
; ScratchSize: 0
; MemoryBound: 0
; FloatMode: 240
; IeeeMode: 1
; LDSByteSize: 5152 bytes/workgroup (compile time only)
; SGPRBlocks: 0
; VGPRBlocks: 3
; NumSGPRsForWavesPerEU: 107
; NumVGPRsForWavesPerEU: 64
; NamedBarCnt: 0
; Occupancy: 16
; WaveLimiterHint : 1
; COMPUTE_PGM_RSRC2:SCRATCH_EN: 0
; COMPUTE_PGM_RSRC2:USER_SGPR: 2
; COMPUTE_PGM_RSRC2:TRAP_HANDLER: 0
; COMPUTE_PGM_RSRC2:TGID_X_EN: 1
; COMPUTE_PGM_RSRC2:TGID_Y_EN: 1
; COMPUTE_PGM_RSRC2:TGID_Z_EN: 1
; COMPUTE_PGM_RSRC2:TIDIG_COMP_CNT: 0
	.section	.AMDGPU.gpr_maximums,"",@progbits
	.set amdgpu.max_num_vgpr, 0
	.set amdgpu.max_num_agpr, 0
	.set amdgpu.max_num_sgpr, 0
	.section	.AMDGPU.csdata,"",@progbits
	.type	__hip_cuid_abf152137bf5004,@object ; @__hip_cuid_abf152137bf5004
	.section	.bss,"aw",@nobits
	.globl	__hip_cuid_abf152137bf5004
__hip_cuid_abf152137bf5004:
	.byte	0                               ; 0x0
	.size	__hip_cuid_abf152137bf5004, 1

	.ident	"AMD clang version 22.0.0git (https://github.com/RadeonOpenCompute/llvm-project roc-7.2.4 26084 f58b06dce1f9c15707c5f808fd002e18c2accf7e)"
	.section	".note.GNU-stack","",@progbits
	.addrsig
	.addrsig_sym __hip_cuid_abf152137bf5004
	.amdgpu_metadata
---
amdhsa.kernels:
  - .args:
      - .address_space:  global
        .offset:         0
        .size:           8
        .value_kind:     global_buffer
      - .offset:         8
        .size:           4
        .value_kind:     by_value
      - .offset:         12
        .size:           4
        .value_kind:     by_value
      - .offset:         16
        .size:           4
        .value_kind:     hidden_block_count_x
      - .offset:         20
        .size:           4
        .value_kind:     hidden_block_count_y
      - .offset:         24
        .size:           4
        .value_kind:     hidden_block_count_z
      - .offset:         28
        .size:           2
        .value_kind:     hidden_group_size_x
      - .offset:         30
        .size:           2
        .value_kind:     hidden_group_size_y
      - .offset:         32
        .size:           2
        .value_kind:     hidden_group_size_z
      - .offset:         34
        .size:           2
        .value_kind:     hidden_remainder_x
      - .offset:         36
        .size:           2
        .value_kind:     hidden_remainder_y
      - .offset:         38
        .size:           2
        .value_kind:     hidden_remainder_z
      - .offset:         56
        .size:           8
        .value_kind:     hidden_global_offset_x
      - .offset:         64
        .size:           8
        .value_kind:     hidden_global_offset_y
      - .offset:         72
        .size:           8
        .value_kind:     hidden_global_offset_z
      - .offset:         80
        .size:           2
        .value_kind:     hidden_grid_dims
    .group_segment_fixed_size: 0
    .kernarg_segment_align: 8
    .kernarg_segment_size: 272
    .language:       OpenCL C
    .language_version:
      - 2
      - 0
    .max_flat_workgroup_size: 1024
    .name:           _ZN2at6native6mbtopk4fillIjjEEvPT_S3_T0_
    .private_segment_fixed_size: 0
    .sgpr_count:     13
    .sgpr_spill_count: 0
    .symbol:         _ZN2at6native6mbtopk4fillIjjEEvPT_S3_T0_.kd
    .uniform_work_group_size: 1
    .uses_dynamic_stack: false
    .vgpr_count:     2
    .vgpr_spill_count: 0
    .wavefront_size: 32
  - .args:
      - .offset:         0
        .size:           216
        .value_kind:     by_value
      - .offset:         216
        .size:           4
        .value_kind:     by_value
      - .address_space:  global
        .offset:         224
        .size:           8
        .value_kind:     global_buffer
      - .offset:         232
        .size:           4
        .value_kind:     by_value
      - .offset:         236
        .size:           4
        .value_kind:     by_value
      - .offset:         240
        .size:           4
        .value_kind:     by_value
      - .offset:         244
        .size:           4
        .value_kind:     by_value
      - .offset:         248
        .size:           4
        .value_kind:     by_value
      - .offset:         252
        .size:           4
        .value_kind:     by_value
      - .address_space:  global
        .offset:         256
        .size:           8
        .value_kind:     global_buffer
      - .address_space:  global
        .offset:         264
        .size:           8
        .value_kind:     global_buffer
      - .offset:         272
        .size:           4
        .value_kind:     hidden_block_count_x
      - .offset:         276
        .size:           4
        .value_kind:     hidden_block_count_y
      - .offset:         280
        .size:           4
        .value_kind:     hidden_block_count_z
      - .offset:         284
        .size:           2
        .value_kind:     hidden_group_size_x
      - .offset:         286
        .size:           2
        .value_kind:     hidden_group_size_y
      - .offset:         288
        .size:           2
        .value_kind:     hidden_group_size_z
      - .offset:         290
        .size:           2
        .value_kind:     hidden_remainder_x
      - .offset:         292
        .size:           2
        .value_kind:     hidden_remainder_y
      - .offset:         294
        .size:           2
        .value_kind:     hidden_remainder_z
      - .offset:         312
        .size:           8
        .value_kind:     hidden_global_offset_x
      - .offset:         320
        .size:           8
        .value_kind:     hidden_global_offset_y
      - .offset:         328
        .size:           8
        .value_kind:     hidden_global_offset_z
      - .offset:         336
        .size:           2
        .value_kind:     hidden_grid_dims
    .group_segment_fixed_size: 1024
    .kernarg_segment_align: 8
    .kernarg_segment_size: 528
    .language:       OpenCL C
    .language_version:
      - 2
      - 0
    .max_flat_workgroup_size: 256
    .name:           _ZN2at6native6mbtopk23computeBlockDigitCountsIhjjLi1EEEvNS_4cuda6detail10TensorInfoIKT_T0_EEjPjjS8_iijT1_PSB_Ps
    .private_segment_fixed_size: 0
    .sgpr_count:     22
    .sgpr_spill_count: 0
    .symbol:         _ZN2at6native6mbtopk23computeBlockDigitCountsIhjjLi1EEEvNS_4cuda6detail10TensorInfoIKT_T0_EEjPjjS8_iijT1_PSB_Ps.kd
    .uniform_work_group_size: 1
    .uses_dynamic_stack: false
    .vgpr_count:     10
    .vgpr_spill_count: 0
    .wavefront_size: 32
  - .args:
      - .address_space:  global
        .offset:         0
        .size:           8
        .value_kind:     global_buffer
      - .address_space:  global
        .offset:         8
        .size:           8
        .value_kind:     global_buffer
      - .address_space:  global
        .offset:         16
        .size:           8
        .value_kind:     global_buffer
      - .offset:         24
        .size:           4
        .value_kind:     by_value
      - .offset:         28
        .size:           4
        .value_kind:     by_value
      - .offset:         32
        .size:           1
        .value_kind:     by_value
      - .address_space:  global
        .offset:         40
        .size:           8
        .value_kind:     global_buffer
      - .address_space:  global
        .offset:         48
        .size:           8
        .value_kind:     global_buffer
      - .address_space:  global
        .offset:         56
        .size:           8
        .value_kind:     global_buffer
      - .address_space:  global
        .offset:         64
        .size:           8
        .value_kind:     global_buffer
      - .address_space:  global
        .offset:         72
        .size:           8
        .value_kind:     global_buffer
      - .offset:         80
        .size:           4
        .value_kind:     by_value
      - .offset:         88
        .size:           4
        .value_kind:     hidden_block_count_x
      - .offset:         92
        .size:           4
        .value_kind:     hidden_block_count_y
      - .offset:         96
        .size:           4
        .value_kind:     hidden_block_count_z
      - .offset:         100
        .size:           2
        .value_kind:     hidden_group_size_x
      - .offset:         102
        .size:           2
        .value_kind:     hidden_group_size_y
      - .offset:         104
        .size:           2
        .value_kind:     hidden_group_size_z
      - .offset:         106
        .size:           2
        .value_kind:     hidden_remainder_x
      - .offset:         108
        .size:           2
        .value_kind:     hidden_remainder_y
      - .offset:         110
        .size:           2
        .value_kind:     hidden_remainder_z
      - .offset:         128
        .size:           8
        .value_kind:     hidden_global_offset_x
      - .offset:         136
        .size:           8
        .value_kind:     hidden_global_offset_y
      - .offset:         144
        .size:           8
        .value_kind:     hidden_global_offset_z
      - .offset:         152
        .size:           2
        .value_kind:     hidden_grid_dims
    .group_segment_fixed_size: 2116
    .kernarg_segment_align: 8
    .kernarg_segment_size: 344
    .language:       OpenCL C
    .language_version:
      - 2
      - 0
    .max_flat_workgroup_size: 256
    .name:           _ZN2at6native6mbtopk29computeBlockwiseWithinKCountsIjhEEvPT_PsPjjibS6_PT0_S6_S4_S6_j
    .private_segment_fixed_size: 0
    .sgpr_count:     29
    .sgpr_spill_count: 0
    .symbol:         _ZN2at6native6mbtopk29computeBlockwiseWithinKCountsIjhEEvPT_PsPjjibS6_PT0_S6_S4_S6_j.kd
    .uniform_work_group_size: 1
    .uses_dynamic_stack: false
    .vgpr_count:     15
    .vgpr_spill_count: 0
    .wavefront_size: 32
  - .args:
      - .offset:         0
        .size:           216
        .value_kind:     by_value
      - .offset:         216
        .size:           4
        .value_kind:     by_value
      - .offset:         220
        .size:           4
        .value_kind:     by_value
      - .offset:         224
        .size:           1
        .value_kind:     by_value
      - .offset:         228
        .size:           4
        .value_kind:     by_value
      - .offset:         232
        .size:           4
        .value_kind:     by_value
      - .offset:         240
        .size:           216
        .value_kind:     by_value
      - .offset:         456
        .size:           4
        .value_kind:     by_value
      - .offset:         464
        .size:           216
        .value_kind:     by_value
      - .offset:         680
        .size:           4
        .value_kind:     by_value
      - .offset:         684
        .size:           4
        .value_kind:     by_value
      - .offset:         688
        .size:           4
        .value_kind:     by_value
      - .address_space:  global
        .offset:         696
        .size:           8
        .value_kind:     global_buffer
      - .address_space:  global
        .offset:         704
        .size:           8
        .value_kind:     global_buffer
      - .address_space:  global
        .offset:         712
        .size:           8
        .value_kind:     global_buffer
      - .offset:         720
        .size:           4
        .value_kind:     by_value
      - .offset:         728
        .size:           4
        .value_kind:     hidden_block_count_x
      - .offset:         732
        .size:           4
        .value_kind:     hidden_block_count_y
      - .offset:         736
        .size:           4
        .value_kind:     hidden_block_count_z
      - .offset:         740
        .size:           2
        .value_kind:     hidden_group_size_x
      - .offset:         742
        .size:           2
        .value_kind:     hidden_group_size_y
      - .offset:         744
        .size:           2
        .value_kind:     hidden_group_size_z
      - .offset:         746
        .size:           2
        .value_kind:     hidden_remainder_x
      - .offset:         748
        .size:           2
        .value_kind:     hidden_remainder_y
      - .offset:         750
        .size:           2
        .value_kind:     hidden_remainder_z
      - .offset:         768
        .size:           8
        .value_kind:     hidden_global_offset_x
      - .offset:         776
        .size:           8
        .value_kind:     hidden_global_offset_y
      - .offset:         784
        .size:           8
        .value_kind:     hidden_global_offset_z
      - .offset:         792
        .size:           2
        .value_kind:     hidden_grid_dims
    .group_segment_fixed_size: 1068
    .kernarg_segment_align: 8
    .kernarg_segment_size: 984
    .language:       OpenCL C
    .language_version:
      - 2
      - 0
    .max_flat_workgroup_size: 256
    .name:           _ZN2at6native6mbtopk10gatherTopKIhjLi1EEEvNS_4cuda6detail10TensorInfoIKT_T0_EES8_S8_bjS8_NS5_IS6_S8_EES8_NS5_IlS8_EES8_jjPS6_PjSD_j
    .private_segment_fixed_size: 0
    .sgpr_count:     30
    .sgpr_spill_count: 0
    .symbol:         _ZN2at6native6mbtopk10gatherTopKIhjLi1EEEvNS_4cuda6detail10TensorInfoIKT_T0_EES8_S8_bjS8_NS5_IS6_S8_EES8_NS5_IlS8_EES8_jjPS6_PjSD_j.kd
    .uniform_work_group_size: 1
    .uses_dynamic_stack: false
    .vgpr_count:     26
    .vgpr_spill_count: 0
    .wavefront_size: 32
  - .args:
      - .offset:         0
        .size:           216
        .value_kind:     by_value
      - .offset:         216
        .size:           4
        .value_kind:     by_value
      - .offset:         220
        .size:           4
        .value_kind:     by_value
      - .offset:         224
        .size:           1
        .value_kind:     by_value
      - .offset:         228
        .size:           4
        .value_kind:     by_value
      - .offset:         232
        .size:           4
        .value_kind:     by_value
      - .offset:         240
        .size:           216
        .value_kind:     by_value
      - .offset:         456
        .size:           4
        .value_kind:     by_value
      - .offset:         464
        .size:           216
        .value_kind:     by_value
      - .offset:         680
        .size:           4
        .value_kind:     by_value
      - .address_space:  global
        .offset:         688
        .size:           8
        .value_kind:     global_buffer
      - .offset:         696
        .size:           4
        .value_kind:     hidden_block_count_x
      - .offset:         700
        .size:           4
        .value_kind:     hidden_block_count_y
      - .offset:         704
        .size:           4
        .value_kind:     hidden_block_count_z
      - .offset:         708
        .size:           2
        .value_kind:     hidden_group_size_x
      - .offset:         710
        .size:           2
        .value_kind:     hidden_group_size_y
      - .offset:         712
        .size:           2
        .value_kind:     hidden_group_size_z
      - .offset:         714
        .size:           2
        .value_kind:     hidden_remainder_x
      - .offset:         716
        .size:           2
        .value_kind:     hidden_remainder_y
      - .offset:         718
        .size:           2
        .value_kind:     hidden_remainder_z
      - .offset:         736
        .size:           8
        .value_kind:     hidden_global_offset_x
      - .offset:         744
        .size:           8
        .value_kind:     hidden_global_offset_y
      - .offset:         752
        .size:           8
        .value_kind:     hidden_global_offset_z
      - .offset:         760
        .size:           2
        .value_kind:     hidden_grid_dims
    .group_segment_fixed_size: 4112
    .kernarg_segment_align: 8
    .kernarg_segment_size: 952
    .language:       OpenCL C
    .language_version:
      - 2
      - 0
    .max_flat_workgroup_size: 1024
    .name:           _ZN2at6native6sbtopk10gatherTopKIhjLi1ELb0EEEvNS_4cuda6detail10TensorInfoIKT_T0_EES8_S8_bS8_S8_NS5_IS6_S8_EES8_NS5_IlS8_EES8_PS6_
    .private_segment_fixed_size: 0
    .sgpr_count:     107
    .sgpr_spill_count: 0
    .symbol:         _ZN2at6native6sbtopk10gatherTopKIhjLi1ELb0EEEvNS_4cuda6detail10TensorInfoIKT_T0_EES8_S8_bS8_S8_NS5_IS6_S8_EES8_NS5_IlS8_EES8_PS6_.kd
    .uniform_work_group_size: 1
    .uses_dynamic_stack: false
    .vgpr_count:     68
    .vgpr_spill_count: 0
    .wavefront_size: 32
  - .args:
      - .offset:         0
        .size:           216
        .value_kind:     by_value
      - .offset:         216
        .size:           4
        .value_kind:     by_value
      - .address_space:  global
        .offset:         224
        .size:           8
        .value_kind:     global_buffer
      - .offset:         232
        .size:           4
        .value_kind:     by_value
      - .offset:         236
        .size:           4
        .value_kind:     by_value
      - .offset:         240
        .size:           4
        .value_kind:     by_value
      - .offset:         244
        .size:           4
        .value_kind:     by_value
      - .offset:         248
        .size:           4
        .value_kind:     by_value
      - .offset:         252
        .size:           4
        .value_kind:     by_value
      - .address_space:  global
        .offset:         256
        .size:           8
        .value_kind:     global_buffer
      - .address_space:  global
        .offset:         264
        .size:           8
        .value_kind:     global_buffer
      - .offset:         272
        .size:           4
        .value_kind:     hidden_block_count_x
      - .offset:         276
        .size:           4
        .value_kind:     hidden_block_count_y
      - .offset:         280
        .size:           4
        .value_kind:     hidden_block_count_z
      - .offset:         284
        .size:           2
        .value_kind:     hidden_group_size_x
      - .offset:         286
        .size:           2
        .value_kind:     hidden_group_size_y
      - .offset:         288
        .size:           2
        .value_kind:     hidden_group_size_z
      - .offset:         290
        .size:           2
        .value_kind:     hidden_remainder_x
      - .offset:         292
        .size:           2
        .value_kind:     hidden_remainder_y
      - .offset:         294
        .size:           2
        .value_kind:     hidden_remainder_z
      - .offset:         312
        .size:           8
        .value_kind:     hidden_global_offset_x
      - .offset:         320
        .size:           8
        .value_kind:     hidden_global_offset_y
      - .offset:         328
        .size:           8
        .value_kind:     hidden_global_offset_z
      - .offset:         336
        .size:           2
        .value_kind:     hidden_grid_dims
    .group_segment_fixed_size: 1024
    .kernarg_segment_align: 8
    .kernarg_segment_size: 528
    .language:       OpenCL C
    .language_version:
      - 2
      - 0
    .max_flat_workgroup_size: 256
    .name:           _ZN2at6native6mbtopk23computeBlockDigitCountsIhjjLi2EEEvNS_4cuda6detail10TensorInfoIKT_T0_EEjPjjS8_iijT1_PSB_Ps
    .private_segment_fixed_size: 0
    .sgpr_count:     28
    .sgpr_spill_count: 0
    .symbol:         _ZN2at6native6mbtopk23computeBlockDigitCountsIhjjLi2EEEvNS_4cuda6detail10TensorInfoIKT_T0_EEjPjjS8_iijT1_PSB_Ps.kd
    .uniform_work_group_size: 1
    .uses_dynamic_stack: false
    .vgpr_count:     10
    .vgpr_spill_count: 0
    .wavefront_size: 32
  - .args:
      - .offset:         0
        .size:           216
        .value_kind:     by_value
      - .offset:         216
        .size:           4
        .value_kind:     by_value
      - .offset:         220
        .size:           4
        .value_kind:     by_value
      - .offset:         224
        .size:           1
        .value_kind:     by_value
      - .offset:         228
        .size:           4
        .value_kind:     by_value
      - .offset:         232
        .size:           4
        .value_kind:     by_value
      - .offset:         240
        .size:           216
        .value_kind:     by_value
      - .offset:         456
        .size:           4
        .value_kind:     by_value
      - .offset:         464
        .size:           216
        .value_kind:     by_value
      - .offset:         680
        .size:           4
        .value_kind:     by_value
      - .offset:         684
        .size:           4
        .value_kind:     by_value
      - .offset:         688
        .size:           4
        .value_kind:     by_value
      - .address_space:  global
        .offset:         696
        .size:           8
        .value_kind:     global_buffer
      - .address_space:  global
        .offset:         704
        .size:           8
        .value_kind:     global_buffer
      - .address_space:  global
        .offset:         712
        .size:           8
        .value_kind:     global_buffer
      - .offset:         720
        .size:           4
        .value_kind:     by_value
      - .offset:         728
        .size:           4
        .value_kind:     hidden_block_count_x
      - .offset:         732
        .size:           4
        .value_kind:     hidden_block_count_y
      - .offset:         736
        .size:           4
        .value_kind:     hidden_block_count_z
      - .offset:         740
        .size:           2
        .value_kind:     hidden_group_size_x
      - .offset:         742
        .size:           2
        .value_kind:     hidden_group_size_y
      - .offset:         744
        .size:           2
        .value_kind:     hidden_group_size_z
      - .offset:         746
        .size:           2
        .value_kind:     hidden_remainder_x
      - .offset:         748
        .size:           2
        .value_kind:     hidden_remainder_y
      - .offset:         750
        .size:           2
        .value_kind:     hidden_remainder_z
      - .offset:         768
        .size:           8
        .value_kind:     hidden_global_offset_x
      - .offset:         776
        .size:           8
        .value_kind:     hidden_global_offset_y
      - .offset:         784
        .size:           8
        .value_kind:     hidden_global_offset_z
      - .offset:         792
        .size:           2
        .value_kind:     hidden_grid_dims
    .group_segment_fixed_size: 1068
    .kernarg_segment_align: 8
    .kernarg_segment_size: 984
    .language:       OpenCL C
    .language_version:
      - 2
      - 0
    .max_flat_workgroup_size: 256
    .name:           _ZN2at6native6mbtopk10gatherTopKIhjLi2EEEvNS_4cuda6detail10TensorInfoIKT_T0_EES8_S8_bjS8_NS5_IS6_S8_EES8_NS5_IlS8_EES8_jjPS6_PjSD_j
    .private_segment_fixed_size: 0
    .sgpr_count:     47
    .sgpr_spill_count: 0
    .symbol:         _ZN2at6native6mbtopk10gatherTopKIhjLi2EEEvNS_4cuda6detail10TensorInfoIKT_T0_EES8_S8_bjS8_NS5_IS6_S8_EES8_NS5_IlS8_EES8_jjPS6_PjSD_j.kd
    .uniform_work_group_size: 1
    .uses_dynamic_stack: false
    .vgpr_count:     26
    .vgpr_spill_count: 0
    .wavefront_size: 32
  - .args:
      - .offset:         0
        .size:           216
        .value_kind:     by_value
      - .offset:         216
        .size:           4
        .value_kind:     by_value
      - .offset:         220
        .size:           4
        .value_kind:     by_value
      - .offset:         224
        .size:           1
        .value_kind:     by_value
      - .offset:         228
        .size:           4
        .value_kind:     by_value
      - .offset:         232
        .size:           4
        .value_kind:     by_value
      - .offset:         240
        .size:           216
        .value_kind:     by_value
      - .offset:         456
        .size:           4
        .value_kind:     by_value
      - .offset:         464
        .size:           216
        .value_kind:     by_value
      - .offset:         680
        .size:           4
        .value_kind:     by_value
      - .address_space:  global
        .offset:         688
        .size:           8
        .value_kind:     global_buffer
      - .offset:         696
        .size:           4
        .value_kind:     hidden_block_count_x
      - .offset:         700
        .size:           4
        .value_kind:     hidden_block_count_y
      - .offset:         704
        .size:           4
        .value_kind:     hidden_block_count_z
      - .offset:         708
        .size:           2
        .value_kind:     hidden_group_size_x
      - .offset:         710
        .size:           2
        .value_kind:     hidden_group_size_y
      - .offset:         712
        .size:           2
        .value_kind:     hidden_group_size_z
      - .offset:         714
        .size:           2
        .value_kind:     hidden_remainder_x
      - .offset:         716
        .size:           2
        .value_kind:     hidden_remainder_y
      - .offset:         718
        .size:           2
        .value_kind:     hidden_remainder_z
      - .offset:         736
        .size:           8
        .value_kind:     hidden_global_offset_x
      - .offset:         744
        .size:           8
        .value_kind:     hidden_global_offset_y
      - .offset:         752
        .size:           8
        .value_kind:     hidden_global_offset_z
      - .offset:         760
        .size:           2
        .value_kind:     hidden_grid_dims
    .group_segment_fixed_size: 4112
    .kernarg_segment_align: 8
    .kernarg_segment_size: 952
    .language:       OpenCL C
    .language_version:
      - 2
      - 0
    .max_flat_workgroup_size: 1024
    .name:           _ZN2at6native6sbtopk10gatherTopKIhjLi2ELb0EEEvNS_4cuda6detail10TensorInfoIKT_T0_EES8_S8_bS8_S8_NS5_IS6_S8_EES8_NS5_IlS8_EES8_PS6_
    .private_segment_fixed_size: 0
    .sgpr_count:     107
    .sgpr_spill_count: 6
    .symbol:         _ZN2at6native6sbtopk10gatherTopKIhjLi2ELb0EEEvNS_4cuda6detail10TensorInfoIKT_T0_EES8_S8_bS8_S8_NS5_IS6_S8_EES8_NS5_IlS8_EES8_PS6_.kd
    .uniform_work_group_size: 1
    .uses_dynamic_stack: false
    .vgpr_count:     69
    .vgpr_spill_count: 0
    .wavefront_size: 32
  - .args:
      - .offset:         0
        .size:           216
        .value_kind:     by_value
      - .offset:         216
        .size:           4
        .value_kind:     by_value
      - .address_space:  global
        .offset:         224
        .size:           8
        .value_kind:     global_buffer
      - .offset:         232
        .size:           4
        .value_kind:     by_value
      - .offset:         236
        .size:           4
        .value_kind:     by_value
      - .offset:         240
        .size:           4
        .value_kind:     by_value
      - .offset:         244
        .size:           4
        .value_kind:     by_value
      - .offset:         248
        .size:           4
        .value_kind:     by_value
      - .offset:         252
        .size:           4
        .value_kind:     by_value
      - .address_space:  global
        .offset:         256
        .size:           8
        .value_kind:     global_buffer
      - .address_space:  global
        .offset:         264
        .size:           8
        .value_kind:     global_buffer
      - .offset:         272
        .size:           4
        .value_kind:     hidden_block_count_x
      - .offset:         276
        .size:           4
        .value_kind:     hidden_block_count_y
      - .offset:         280
        .size:           4
        .value_kind:     hidden_block_count_z
      - .offset:         284
        .size:           2
        .value_kind:     hidden_group_size_x
      - .offset:         286
        .size:           2
        .value_kind:     hidden_group_size_y
      - .offset:         288
        .size:           2
        .value_kind:     hidden_group_size_z
      - .offset:         290
        .size:           2
        .value_kind:     hidden_remainder_x
      - .offset:         292
        .size:           2
        .value_kind:     hidden_remainder_y
      - .offset:         294
        .size:           2
        .value_kind:     hidden_remainder_z
      - .offset:         312
        .size:           8
        .value_kind:     hidden_global_offset_x
      - .offset:         320
        .size:           8
        .value_kind:     hidden_global_offset_y
      - .offset:         328
        .size:           8
        .value_kind:     hidden_global_offset_z
      - .offset:         336
        .size:           2
        .value_kind:     hidden_grid_dims
    .group_segment_fixed_size: 1024
    .kernarg_segment_align: 8
    .kernarg_segment_size: 528
    .language:       OpenCL C
    .language_version:
      - 2
      - 0
    .max_flat_workgroup_size: 256
    .name:           _ZN2at6native6mbtopk23computeBlockDigitCountsIhjjLi3EEEvNS_4cuda6detail10TensorInfoIKT_T0_EEjPjjS8_iijT1_PSB_Ps
    .private_segment_fixed_size: 0
    .sgpr_count:     32
    .sgpr_spill_count: 0
    .symbol:         _ZN2at6native6mbtopk23computeBlockDigitCountsIhjjLi3EEEvNS_4cuda6detail10TensorInfoIKT_T0_EEjPjjS8_iijT1_PSB_Ps.kd
    .uniform_work_group_size: 1
    .uses_dynamic_stack: false
    .vgpr_count:     10
    .vgpr_spill_count: 0
    .wavefront_size: 32
  - .args:
      - .offset:         0
        .size:           216
        .value_kind:     by_value
      - .offset:         216
        .size:           4
        .value_kind:     by_value
      - .offset:         220
        .size:           4
        .value_kind:     by_value
      - .offset:         224
        .size:           1
        .value_kind:     by_value
      - .offset:         228
        .size:           4
        .value_kind:     by_value
      - .offset:         232
        .size:           4
        .value_kind:     by_value
      - .offset:         240
        .size:           216
        .value_kind:     by_value
      - .offset:         456
        .size:           4
        .value_kind:     by_value
      - .offset:         464
        .size:           216
        .value_kind:     by_value
      - .offset:         680
        .size:           4
        .value_kind:     by_value
      - .offset:         684
        .size:           4
        .value_kind:     by_value
      - .offset:         688
        .size:           4
        .value_kind:     by_value
      - .address_space:  global
        .offset:         696
        .size:           8
        .value_kind:     global_buffer
      - .address_space:  global
        .offset:         704
        .size:           8
        .value_kind:     global_buffer
      - .address_space:  global
        .offset:         712
        .size:           8
        .value_kind:     global_buffer
      - .offset:         720
        .size:           4
        .value_kind:     by_value
      - .offset:         728
        .size:           4
        .value_kind:     hidden_block_count_x
      - .offset:         732
        .size:           4
        .value_kind:     hidden_block_count_y
      - .offset:         736
        .size:           4
        .value_kind:     hidden_block_count_z
      - .offset:         740
        .size:           2
        .value_kind:     hidden_group_size_x
      - .offset:         742
        .size:           2
        .value_kind:     hidden_group_size_y
      - .offset:         744
        .size:           2
        .value_kind:     hidden_group_size_z
      - .offset:         746
        .size:           2
        .value_kind:     hidden_remainder_x
      - .offset:         748
        .size:           2
        .value_kind:     hidden_remainder_y
      - .offset:         750
        .size:           2
        .value_kind:     hidden_remainder_z
      - .offset:         768
        .size:           8
        .value_kind:     hidden_global_offset_x
      - .offset:         776
        .size:           8
        .value_kind:     hidden_global_offset_y
      - .offset:         784
        .size:           8
        .value_kind:     hidden_global_offset_z
      - .offset:         792
        .size:           2
        .value_kind:     hidden_grid_dims
    .group_segment_fixed_size: 1068
    .kernarg_segment_align: 8
    .kernarg_segment_size: 984
    .language:       OpenCL C
    .language_version:
      - 2
      - 0
    .max_flat_workgroup_size: 256
    .name:           _ZN2at6native6mbtopk10gatherTopKIhjLi3EEEvNS_4cuda6detail10TensorInfoIKT_T0_EES8_S8_bjS8_NS5_IS6_S8_EES8_NS5_IlS8_EES8_jjPS6_PjSD_j
    .private_segment_fixed_size: 0
    .sgpr_count:     54
    .sgpr_spill_count: 0
    .symbol:         _ZN2at6native6mbtopk10gatherTopKIhjLi3EEEvNS_4cuda6detail10TensorInfoIKT_T0_EES8_S8_bjS8_NS5_IS6_S8_EES8_NS5_IlS8_EES8_jjPS6_PjSD_j.kd
    .uniform_work_group_size: 1
    .uses_dynamic_stack: false
    .vgpr_count:     26
    .vgpr_spill_count: 0
    .wavefront_size: 32
  - .args:
      - .offset:         0
        .size:           216
        .value_kind:     by_value
      - .offset:         216
        .size:           4
        .value_kind:     by_value
      - .offset:         220
        .size:           4
        .value_kind:     by_value
      - .offset:         224
        .size:           1
        .value_kind:     by_value
      - .offset:         228
        .size:           4
        .value_kind:     by_value
      - .offset:         232
        .size:           4
        .value_kind:     by_value
      - .offset:         240
        .size:           216
        .value_kind:     by_value
      - .offset:         456
        .size:           4
        .value_kind:     by_value
      - .offset:         464
        .size:           216
        .value_kind:     by_value
      - .offset:         680
        .size:           4
        .value_kind:     by_value
      - .address_space:  global
        .offset:         688
        .size:           8
        .value_kind:     global_buffer
      - .offset:         696
        .size:           4
        .value_kind:     hidden_block_count_x
      - .offset:         700
        .size:           4
        .value_kind:     hidden_block_count_y
      - .offset:         704
        .size:           4
        .value_kind:     hidden_block_count_z
      - .offset:         708
        .size:           2
        .value_kind:     hidden_group_size_x
      - .offset:         710
        .size:           2
        .value_kind:     hidden_group_size_y
      - .offset:         712
        .size:           2
        .value_kind:     hidden_group_size_z
      - .offset:         714
        .size:           2
        .value_kind:     hidden_remainder_x
      - .offset:         716
        .size:           2
        .value_kind:     hidden_remainder_y
      - .offset:         718
        .size:           2
        .value_kind:     hidden_remainder_z
      - .offset:         736
        .size:           8
        .value_kind:     hidden_global_offset_x
      - .offset:         744
        .size:           8
        .value_kind:     hidden_global_offset_y
      - .offset:         752
        .size:           8
        .value_kind:     hidden_global_offset_z
      - .offset:         760
        .size:           2
        .value_kind:     hidden_grid_dims
    .group_segment_fixed_size: 4112
    .kernarg_segment_align: 8
    .kernarg_segment_size: 952
    .language:       OpenCL C
    .language_version:
      - 2
      - 0
    .max_flat_workgroup_size: 1024
    .name:           _ZN2at6native6sbtopk10gatherTopKIhjLi3ELb0EEEvNS_4cuda6detail10TensorInfoIKT_T0_EES8_S8_bS8_S8_NS5_IS6_S8_EES8_NS5_IlS8_EES8_PS6_
    .private_segment_fixed_size: 0
    .sgpr_count:     107
    .sgpr_spill_count: 13
    .symbol:         _ZN2at6native6sbtopk10gatherTopKIhjLi3ELb0EEEvNS_4cuda6detail10TensorInfoIKT_T0_EES8_S8_bS8_S8_NS5_IS6_S8_EES8_NS5_IlS8_EES8_PS6_.kd
    .uniform_work_group_size: 1
    .uses_dynamic_stack: false
    .vgpr_count:     69
    .vgpr_spill_count: 0
    .wavefront_size: 32
  - .args:
      - .offset:         0
        .size:           216
        .value_kind:     by_value
      - .offset:         216
        .size:           4
        .value_kind:     by_value
      - .address_space:  global
        .offset:         224
        .size:           8
        .value_kind:     global_buffer
      - .offset:         232
        .size:           4
        .value_kind:     by_value
      - .offset:         236
        .size:           4
        .value_kind:     by_value
      - .offset:         240
        .size:           4
        .value_kind:     by_value
      - .offset:         244
        .size:           4
        .value_kind:     by_value
      - .offset:         248
        .size:           4
        .value_kind:     by_value
      - .offset:         252
        .size:           4
        .value_kind:     by_value
      - .address_space:  global
        .offset:         256
        .size:           8
        .value_kind:     global_buffer
      - .address_space:  global
        .offset:         264
        .size:           8
        .value_kind:     global_buffer
      - .offset:         272
        .size:           4
        .value_kind:     hidden_block_count_x
      - .offset:         276
        .size:           4
        .value_kind:     hidden_block_count_y
      - .offset:         280
        .size:           4
        .value_kind:     hidden_block_count_z
      - .offset:         284
        .size:           2
        .value_kind:     hidden_group_size_x
      - .offset:         286
        .size:           2
        .value_kind:     hidden_group_size_y
      - .offset:         288
        .size:           2
        .value_kind:     hidden_group_size_z
      - .offset:         290
        .size:           2
        .value_kind:     hidden_remainder_x
      - .offset:         292
        .size:           2
        .value_kind:     hidden_remainder_y
      - .offset:         294
        .size:           2
        .value_kind:     hidden_remainder_z
      - .offset:         312
        .size:           8
        .value_kind:     hidden_global_offset_x
      - .offset:         320
        .size:           8
        .value_kind:     hidden_global_offset_y
      - .offset:         328
        .size:           8
        .value_kind:     hidden_global_offset_z
      - .offset:         336
        .size:           2
        .value_kind:     hidden_grid_dims
    .group_segment_fixed_size: 1024
    .kernarg_segment_align: 8
    .kernarg_segment_size: 528
    .language:       OpenCL C
    .language_version:
      - 2
      - 0
    .max_flat_workgroup_size: 256
    .name:           _ZN2at6native6mbtopk23computeBlockDigitCountsIhjjLin1EEEvNS_4cuda6detail10TensorInfoIKT_T0_EEjPjjS8_iijT1_PSB_Ps
    .private_segment_fixed_size: 0
    .sgpr_count:     26
    .sgpr_spill_count: 0
    .symbol:         _ZN2at6native6mbtopk23computeBlockDigitCountsIhjjLin1EEEvNS_4cuda6detail10TensorInfoIKT_T0_EEjPjjS8_iijT1_PSB_Ps.kd
    .uniform_work_group_size: 1
    .uses_dynamic_stack: false
    .vgpr_count:     10
    .vgpr_spill_count: 0
    .wavefront_size: 32
  - .args:
      - .offset:         0
        .size:           216
        .value_kind:     by_value
      - .offset:         216
        .size:           4
        .value_kind:     by_value
      - .offset:         220
        .size:           4
        .value_kind:     by_value
      - .offset:         224
        .size:           1
        .value_kind:     by_value
      - .offset:         228
        .size:           4
        .value_kind:     by_value
      - .offset:         232
        .size:           4
        .value_kind:     by_value
      - .offset:         240
        .size:           216
        .value_kind:     by_value
      - .offset:         456
        .size:           4
        .value_kind:     by_value
      - .offset:         464
        .size:           216
        .value_kind:     by_value
      - .offset:         680
        .size:           4
        .value_kind:     by_value
      - .offset:         684
        .size:           4
        .value_kind:     by_value
      - .offset:         688
        .size:           4
        .value_kind:     by_value
      - .address_space:  global
        .offset:         696
        .size:           8
        .value_kind:     global_buffer
      - .address_space:  global
        .offset:         704
        .size:           8
        .value_kind:     global_buffer
      - .address_space:  global
        .offset:         712
        .size:           8
        .value_kind:     global_buffer
      - .offset:         720
        .size:           4
        .value_kind:     by_value
      - .offset:         728
        .size:           4
        .value_kind:     hidden_block_count_x
      - .offset:         732
        .size:           4
        .value_kind:     hidden_block_count_y
      - .offset:         736
        .size:           4
        .value_kind:     hidden_block_count_z
      - .offset:         740
        .size:           2
        .value_kind:     hidden_group_size_x
      - .offset:         742
        .size:           2
        .value_kind:     hidden_group_size_y
      - .offset:         744
        .size:           2
        .value_kind:     hidden_group_size_z
      - .offset:         746
        .size:           2
        .value_kind:     hidden_remainder_x
      - .offset:         748
        .size:           2
        .value_kind:     hidden_remainder_y
      - .offset:         750
        .size:           2
        .value_kind:     hidden_remainder_z
      - .offset:         768
        .size:           8
        .value_kind:     hidden_global_offset_x
      - .offset:         776
        .size:           8
        .value_kind:     hidden_global_offset_y
      - .offset:         784
        .size:           8
        .value_kind:     hidden_global_offset_z
      - .offset:         792
        .size:           2
        .value_kind:     hidden_grid_dims
    .group_segment_fixed_size: 1068
    .kernarg_segment_align: 8
    .kernarg_segment_size: 984
    .language:       OpenCL C
    .language_version:
      - 2
      - 0
    .max_flat_workgroup_size: 256
    .name:           _ZN2at6native6mbtopk10gatherTopKIhjLin1EEEvNS_4cuda6detail10TensorInfoIKT_T0_EES8_S8_bjS8_NS5_IS6_S8_EES8_NS5_IlS8_EES8_jjPS6_PjSD_j
    .private_segment_fixed_size: 0
    .sgpr_count:     38
    .sgpr_spill_count: 0
    .symbol:         _ZN2at6native6mbtopk10gatherTopKIhjLin1EEEvNS_4cuda6detail10TensorInfoIKT_T0_EES8_S8_bjS8_NS5_IS6_S8_EES8_NS5_IlS8_EES8_jjPS6_PjSD_j.kd
    .uniform_work_group_size: 1
    .uses_dynamic_stack: false
    .vgpr_count:     26
    .vgpr_spill_count: 0
    .wavefront_size: 32
  - .args:
      - .offset:         0
        .size:           216
        .value_kind:     by_value
      - .offset:         216
        .size:           4
        .value_kind:     by_value
      - .offset:         220
        .size:           4
        .value_kind:     by_value
      - .offset:         224
        .size:           1
        .value_kind:     by_value
      - .offset:         228
        .size:           4
        .value_kind:     by_value
      - .offset:         232
        .size:           4
        .value_kind:     by_value
      - .offset:         240
        .size:           216
        .value_kind:     by_value
      - .offset:         456
        .size:           4
        .value_kind:     by_value
      - .offset:         464
        .size:           216
        .value_kind:     by_value
      - .offset:         680
        .size:           4
        .value_kind:     by_value
      - .address_space:  global
        .offset:         688
        .size:           8
        .value_kind:     global_buffer
      - .offset:         696
        .size:           4
        .value_kind:     hidden_block_count_x
      - .offset:         700
        .size:           4
        .value_kind:     hidden_block_count_y
      - .offset:         704
        .size:           4
        .value_kind:     hidden_block_count_z
      - .offset:         708
        .size:           2
        .value_kind:     hidden_group_size_x
      - .offset:         710
        .size:           2
        .value_kind:     hidden_group_size_y
      - .offset:         712
        .size:           2
        .value_kind:     hidden_group_size_z
      - .offset:         714
        .size:           2
        .value_kind:     hidden_remainder_x
      - .offset:         716
        .size:           2
        .value_kind:     hidden_remainder_y
      - .offset:         718
        .size:           2
        .value_kind:     hidden_remainder_z
      - .offset:         736
        .size:           8
        .value_kind:     hidden_global_offset_x
      - .offset:         744
        .size:           8
        .value_kind:     hidden_global_offset_y
      - .offset:         752
        .size:           8
        .value_kind:     hidden_global_offset_z
      - .offset:         760
        .size:           2
        .value_kind:     hidden_grid_dims
    .group_segment_fixed_size: 4112
    .kernarg_segment_align: 8
    .kernarg_segment_size: 952
    .language:       OpenCL C
    .language_version:
      - 2
      - 0
    .max_flat_workgroup_size: 1024
    .name:           _ZN2at6native6sbtopk10gatherTopKIhjLin1ELb0EEEvNS_4cuda6detail10TensorInfoIKT_T0_EES8_S8_bS8_S8_NS5_IS6_S8_EES8_NS5_IlS8_EES8_PS6_
    .private_segment_fixed_size: 0
    .sgpr_count:     107
    .sgpr_spill_count: 4
    .symbol:         _ZN2at6native6sbtopk10gatherTopKIhjLin1ELb0EEEvNS_4cuda6detail10TensorInfoIKT_T0_EES8_S8_bS8_S8_NS5_IS6_S8_EES8_NS5_IlS8_EES8_PS6_.kd
    .uniform_work_group_size: 1
    .uses_dynamic_stack: false
    .vgpr_count:     69
    .vgpr_spill_count: 0
    .wavefront_size: 32
  - .args:
      - .offset:         0
        .size:           216
        .value_kind:     by_value
      - .offset:         216
        .size:           4
        .value_kind:     by_value
      - .address_space:  global
        .offset:         224
        .size:           8
        .value_kind:     global_buffer
      - .offset:         232
        .size:           4
        .value_kind:     by_value
      - .offset:         236
        .size:           4
        .value_kind:     by_value
      - .offset:         240
        .size:           4
        .value_kind:     by_value
      - .offset:         244
        .size:           4
        .value_kind:     by_value
      - .offset:         248
        .size:           4
        .value_kind:     by_value
      - .offset:         252
        .size:           4
        .value_kind:     by_value
      - .address_space:  global
        .offset:         256
        .size:           8
        .value_kind:     global_buffer
      - .address_space:  global
        .offset:         264
        .size:           8
        .value_kind:     global_buffer
      - .offset:         272
        .size:           4
        .value_kind:     hidden_block_count_x
      - .offset:         276
        .size:           4
        .value_kind:     hidden_block_count_y
      - .offset:         280
        .size:           4
        .value_kind:     hidden_block_count_z
      - .offset:         284
        .size:           2
        .value_kind:     hidden_group_size_x
      - .offset:         286
        .size:           2
        .value_kind:     hidden_group_size_y
      - .offset:         288
        .size:           2
        .value_kind:     hidden_group_size_z
      - .offset:         290
        .size:           2
        .value_kind:     hidden_remainder_x
      - .offset:         292
        .size:           2
        .value_kind:     hidden_remainder_y
      - .offset:         294
        .size:           2
        .value_kind:     hidden_remainder_z
      - .offset:         312
        .size:           8
        .value_kind:     hidden_global_offset_x
      - .offset:         320
        .size:           8
        .value_kind:     hidden_global_offset_y
      - .offset:         328
        .size:           8
        .value_kind:     hidden_global_offset_z
      - .offset:         336
        .size:           2
        .value_kind:     hidden_grid_dims
    .group_segment_fixed_size: 1024
    .kernarg_segment_align: 8
    .kernarg_segment_size: 528
    .language:       OpenCL C
    .language_version:
      - 2
      - 0
    .max_flat_workgroup_size: 256
    .name:           _ZN2at6native6mbtopk23computeBlockDigitCountsIajjLi1EEEvNS_4cuda6detail10TensorInfoIKT_T0_EEjPjjS8_iijT1_PSB_Ps
    .private_segment_fixed_size: 0
    .sgpr_count:     22
    .sgpr_spill_count: 0
    .symbol:         _ZN2at6native6mbtopk23computeBlockDigitCountsIajjLi1EEEvNS_4cuda6detail10TensorInfoIKT_T0_EEjPjjS8_iijT1_PSB_Ps.kd
    .uniform_work_group_size: 1
    .uses_dynamic_stack: false
    .vgpr_count:     10
    .vgpr_spill_count: 0
    .wavefront_size: 32
  - .args:
      - .address_space:  global
        .offset:         0
        .size:           8
        .value_kind:     global_buffer
      - .address_space:  global
        .offset:         8
        .size:           8
        .value_kind:     global_buffer
      - .address_space:  global
        .offset:         16
        .size:           8
        .value_kind:     global_buffer
      - .offset:         24
        .size:           4
        .value_kind:     by_value
      - .offset:         28
        .size:           4
        .value_kind:     by_value
      - .offset:         32
        .size:           1
        .value_kind:     by_value
      - .address_space:  global
        .offset:         40
        .size:           8
        .value_kind:     global_buffer
      - .address_space:  global
        .offset:         48
        .size:           8
        .value_kind:     global_buffer
      - .address_space:  global
        .offset:         56
        .size:           8
        .value_kind:     global_buffer
      - .address_space:  global
        .offset:         64
        .size:           8
        .value_kind:     global_buffer
      - .address_space:  global
        .offset:         72
        .size:           8
        .value_kind:     global_buffer
      - .offset:         80
        .size:           4
        .value_kind:     by_value
      - .offset:         88
        .size:           4
        .value_kind:     hidden_block_count_x
      - .offset:         92
        .size:           4
        .value_kind:     hidden_block_count_y
      - .offset:         96
        .size:           4
        .value_kind:     hidden_block_count_z
      - .offset:         100
        .size:           2
        .value_kind:     hidden_group_size_x
      - .offset:         102
        .size:           2
        .value_kind:     hidden_group_size_y
      - .offset:         104
        .size:           2
        .value_kind:     hidden_group_size_z
      - .offset:         106
        .size:           2
        .value_kind:     hidden_remainder_x
      - .offset:         108
        .size:           2
        .value_kind:     hidden_remainder_y
      - .offset:         110
        .size:           2
        .value_kind:     hidden_remainder_z
      - .offset:         128
        .size:           8
        .value_kind:     hidden_global_offset_x
      - .offset:         136
        .size:           8
        .value_kind:     hidden_global_offset_y
      - .offset:         144
        .size:           8
        .value_kind:     hidden_global_offset_z
      - .offset:         152
        .size:           2
        .value_kind:     hidden_grid_dims
    .group_segment_fixed_size: 2116
    .kernarg_segment_align: 8
    .kernarg_segment_size: 344
    .language:       OpenCL C
    .language_version:
      - 2
      - 0
    .max_flat_workgroup_size: 256
    .name:           _ZN2at6native6mbtopk29computeBlockwiseWithinKCountsIjaEEvPT_PsPjjibS6_PT0_S6_S4_S6_j
    .private_segment_fixed_size: 0
    .sgpr_count:     29
    .sgpr_spill_count: 0
    .symbol:         _ZN2at6native6mbtopk29computeBlockwiseWithinKCountsIjaEEvPT_PsPjjibS6_PT0_S6_S4_S6_j.kd
    .uniform_work_group_size: 1
    .uses_dynamic_stack: false
    .vgpr_count:     15
    .vgpr_spill_count: 0
    .wavefront_size: 32
  - .args:
      - .offset:         0
        .size:           216
        .value_kind:     by_value
      - .offset:         216
        .size:           4
        .value_kind:     by_value
      - .offset:         220
        .size:           4
        .value_kind:     by_value
      - .offset:         224
        .size:           1
        .value_kind:     by_value
      - .offset:         228
        .size:           4
        .value_kind:     by_value
      - .offset:         232
        .size:           4
        .value_kind:     by_value
      - .offset:         240
        .size:           216
        .value_kind:     by_value
      - .offset:         456
        .size:           4
        .value_kind:     by_value
      - .offset:         464
        .size:           216
        .value_kind:     by_value
      - .offset:         680
        .size:           4
        .value_kind:     by_value
      - .offset:         684
        .size:           4
        .value_kind:     by_value
      - .offset:         688
        .size:           4
        .value_kind:     by_value
      - .address_space:  global
        .offset:         696
        .size:           8
        .value_kind:     global_buffer
      - .address_space:  global
        .offset:         704
        .size:           8
        .value_kind:     global_buffer
      - .address_space:  global
        .offset:         712
        .size:           8
        .value_kind:     global_buffer
      - .offset:         720
        .size:           4
        .value_kind:     by_value
      - .offset:         728
        .size:           4
        .value_kind:     hidden_block_count_x
      - .offset:         732
        .size:           4
        .value_kind:     hidden_block_count_y
      - .offset:         736
        .size:           4
        .value_kind:     hidden_block_count_z
      - .offset:         740
        .size:           2
        .value_kind:     hidden_group_size_x
      - .offset:         742
        .size:           2
        .value_kind:     hidden_group_size_y
      - .offset:         744
        .size:           2
        .value_kind:     hidden_group_size_z
      - .offset:         746
        .size:           2
        .value_kind:     hidden_remainder_x
      - .offset:         748
        .size:           2
        .value_kind:     hidden_remainder_y
      - .offset:         750
        .size:           2
        .value_kind:     hidden_remainder_z
      - .offset:         768
        .size:           8
        .value_kind:     hidden_global_offset_x
      - .offset:         776
        .size:           8
        .value_kind:     hidden_global_offset_y
      - .offset:         784
        .size:           8
        .value_kind:     hidden_global_offset_z
      - .offset:         792
        .size:           2
        .value_kind:     hidden_grid_dims
    .group_segment_fixed_size: 1068
    .kernarg_segment_align: 8
    .kernarg_segment_size: 984
    .language:       OpenCL C
    .language_version:
      - 2
      - 0
    .max_flat_workgroup_size: 256
    .name:           _ZN2at6native6mbtopk10gatherTopKIajLi1EEEvNS_4cuda6detail10TensorInfoIKT_T0_EES8_S8_bjS8_NS5_IS6_S8_EES8_NS5_IlS8_EES8_jjPS6_PjSD_j
    .private_segment_fixed_size: 0
    .sgpr_count:     30
    .sgpr_spill_count: 0
    .symbol:         _ZN2at6native6mbtopk10gatherTopKIajLi1EEEvNS_4cuda6detail10TensorInfoIKT_T0_EES8_S8_bjS8_NS5_IS6_S8_EES8_NS5_IlS8_EES8_jjPS6_PjSD_j.kd
    .uniform_work_group_size: 1
    .uses_dynamic_stack: false
    .vgpr_count:     26
    .vgpr_spill_count: 0
    .wavefront_size: 32
  - .args:
      - .offset:         0
        .size:           216
        .value_kind:     by_value
      - .offset:         216
        .size:           4
        .value_kind:     by_value
      - .offset:         220
        .size:           4
        .value_kind:     by_value
      - .offset:         224
        .size:           1
        .value_kind:     by_value
      - .offset:         228
        .size:           4
        .value_kind:     by_value
      - .offset:         232
        .size:           4
        .value_kind:     by_value
      - .offset:         240
        .size:           216
        .value_kind:     by_value
      - .offset:         456
        .size:           4
        .value_kind:     by_value
      - .offset:         464
        .size:           216
        .value_kind:     by_value
      - .offset:         680
        .size:           4
        .value_kind:     by_value
      - .address_space:  global
        .offset:         688
        .size:           8
        .value_kind:     global_buffer
      - .offset:         696
        .size:           4
        .value_kind:     hidden_block_count_x
      - .offset:         700
        .size:           4
        .value_kind:     hidden_block_count_y
      - .offset:         704
        .size:           4
        .value_kind:     hidden_block_count_z
      - .offset:         708
        .size:           2
        .value_kind:     hidden_group_size_x
      - .offset:         710
        .size:           2
        .value_kind:     hidden_group_size_y
      - .offset:         712
        .size:           2
        .value_kind:     hidden_group_size_z
      - .offset:         714
        .size:           2
        .value_kind:     hidden_remainder_x
      - .offset:         716
        .size:           2
        .value_kind:     hidden_remainder_y
      - .offset:         718
        .size:           2
        .value_kind:     hidden_remainder_z
      - .offset:         736
        .size:           8
        .value_kind:     hidden_global_offset_x
      - .offset:         744
        .size:           8
        .value_kind:     hidden_global_offset_y
      - .offset:         752
        .size:           8
        .value_kind:     hidden_global_offset_z
      - .offset:         760
        .size:           2
        .value_kind:     hidden_grid_dims
    .group_segment_fixed_size: 4112
    .kernarg_segment_align: 8
    .kernarg_segment_size: 952
    .language:       OpenCL C
    .language_version:
      - 2
      - 0
    .max_flat_workgroup_size: 1024
    .name:           _ZN2at6native6sbtopk10gatherTopKIajLi1ELb0EEEvNS_4cuda6detail10TensorInfoIKT_T0_EES8_S8_bS8_S8_NS5_IS6_S8_EES8_NS5_IlS8_EES8_PS6_
    .private_segment_fixed_size: 0
    .sgpr_count:     107
    .sgpr_spill_count: 0
    .symbol:         _ZN2at6native6sbtopk10gatherTopKIajLi1ELb0EEEvNS_4cuda6detail10TensorInfoIKT_T0_EES8_S8_bS8_S8_NS5_IS6_S8_EES8_NS5_IlS8_EES8_PS6_.kd
    .uniform_work_group_size: 1
    .uses_dynamic_stack: false
    .vgpr_count:     68
    .vgpr_spill_count: 0
    .wavefront_size: 32
  - .args:
      - .offset:         0
        .size:           216
        .value_kind:     by_value
      - .offset:         216
        .size:           4
        .value_kind:     by_value
      - .address_space:  global
        .offset:         224
        .size:           8
        .value_kind:     global_buffer
      - .offset:         232
        .size:           4
        .value_kind:     by_value
      - .offset:         236
        .size:           4
        .value_kind:     by_value
      - .offset:         240
        .size:           4
        .value_kind:     by_value
      - .offset:         244
        .size:           4
        .value_kind:     by_value
      - .offset:         248
        .size:           4
        .value_kind:     by_value
      - .offset:         252
        .size:           4
        .value_kind:     by_value
      - .address_space:  global
        .offset:         256
        .size:           8
        .value_kind:     global_buffer
      - .address_space:  global
        .offset:         264
        .size:           8
        .value_kind:     global_buffer
      - .offset:         272
        .size:           4
        .value_kind:     hidden_block_count_x
      - .offset:         276
        .size:           4
        .value_kind:     hidden_block_count_y
      - .offset:         280
        .size:           4
        .value_kind:     hidden_block_count_z
      - .offset:         284
        .size:           2
        .value_kind:     hidden_group_size_x
      - .offset:         286
        .size:           2
        .value_kind:     hidden_group_size_y
      - .offset:         288
        .size:           2
        .value_kind:     hidden_group_size_z
      - .offset:         290
        .size:           2
        .value_kind:     hidden_remainder_x
      - .offset:         292
        .size:           2
        .value_kind:     hidden_remainder_y
      - .offset:         294
        .size:           2
        .value_kind:     hidden_remainder_z
      - .offset:         312
        .size:           8
        .value_kind:     hidden_global_offset_x
      - .offset:         320
        .size:           8
        .value_kind:     hidden_global_offset_y
      - .offset:         328
        .size:           8
        .value_kind:     hidden_global_offset_z
      - .offset:         336
        .size:           2
        .value_kind:     hidden_grid_dims
    .group_segment_fixed_size: 1024
    .kernarg_segment_align: 8
    .kernarg_segment_size: 528
    .language:       OpenCL C
    .language_version:
      - 2
      - 0
    .max_flat_workgroup_size: 256
    .name:           _ZN2at6native6mbtopk23computeBlockDigitCountsIajjLi2EEEvNS_4cuda6detail10TensorInfoIKT_T0_EEjPjjS8_iijT1_PSB_Ps
    .private_segment_fixed_size: 0
    .sgpr_count:     28
    .sgpr_spill_count: 0
    .symbol:         _ZN2at6native6mbtopk23computeBlockDigitCountsIajjLi2EEEvNS_4cuda6detail10TensorInfoIKT_T0_EEjPjjS8_iijT1_PSB_Ps.kd
    .uniform_work_group_size: 1
    .uses_dynamic_stack: false
    .vgpr_count:     10
    .vgpr_spill_count: 0
    .wavefront_size: 32
  - .args:
      - .offset:         0
        .size:           216
        .value_kind:     by_value
      - .offset:         216
        .size:           4
        .value_kind:     by_value
      - .offset:         220
        .size:           4
        .value_kind:     by_value
      - .offset:         224
        .size:           1
        .value_kind:     by_value
      - .offset:         228
        .size:           4
        .value_kind:     by_value
      - .offset:         232
        .size:           4
        .value_kind:     by_value
      - .offset:         240
        .size:           216
        .value_kind:     by_value
      - .offset:         456
        .size:           4
        .value_kind:     by_value
      - .offset:         464
        .size:           216
        .value_kind:     by_value
      - .offset:         680
        .size:           4
        .value_kind:     by_value
      - .offset:         684
        .size:           4
        .value_kind:     by_value
      - .offset:         688
        .size:           4
        .value_kind:     by_value
      - .address_space:  global
        .offset:         696
        .size:           8
        .value_kind:     global_buffer
      - .address_space:  global
        .offset:         704
        .size:           8
        .value_kind:     global_buffer
      - .address_space:  global
        .offset:         712
        .size:           8
        .value_kind:     global_buffer
      - .offset:         720
        .size:           4
        .value_kind:     by_value
      - .offset:         728
        .size:           4
        .value_kind:     hidden_block_count_x
      - .offset:         732
        .size:           4
        .value_kind:     hidden_block_count_y
      - .offset:         736
        .size:           4
        .value_kind:     hidden_block_count_z
      - .offset:         740
        .size:           2
        .value_kind:     hidden_group_size_x
      - .offset:         742
        .size:           2
        .value_kind:     hidden_group_size_y
      - .offset:         744
        .size:           2
        .value_kind:     hidden_group_size_z
      - .offset:         746
        .size:           2
        .value_kind:     hidden_remainder_x
      - .offset:         748
        .size:           2
        .value_kind:     hidden_remainder_y
      - .offset:         750
        .size:           2
        .value_kind:     hidden_remainder_z
      - .offset:         768
        .size:           8
        .value_kind:     hidden_global_offset_x
      - .offset:         776
        .size:           8
        .value_kind:     hidden_global_offset_y
      - .offset:         784
        .size:           8
        .value_kind:     hidden_global_offset_z
      - .offset:         792
        .size:           2
        .value_kind:     hidden_grid_dims
    .group_segment_fixed_size: 1068
    .kernarg_segment_align: 8
    .kernarg_segment_size: 984
    .language:       OpenCL C
    .language_version:
      - 2
      - 0
    .max_flat_workgroup_size: 256
    .name:           _ZN2at6native6mbtopk10gatherTopKIajLi2EEEvNS_4cuda6detail10TensorInfoIKT_T0_EES8_S8_bjS8_NS5_IS6_S8_EES8_NS5_IlS8_EES8_jjPS6_PjSD_j
    .private_segment_fixed_size: 0
    .sgpr_count:     47
    .sgpr_spill_count: 0
    .symbol:         _ZN2at6native6mbtopk10gatherTopKIajLi2EEEvNS_4cuda6detail10TensorInfoIKT_T0_EES8_S8_bjS8_NS5_IS6_S8_EES8_NS5_IlS8_EES8_jjPS6_PjSD_j.kd
    .uniform_work_group_size: 1
    .uses_dynamic_stack: false
    .vgpr_count:     26
    .vgpr_spill_count: 0
    .wavefront_size: 32
  - .args:
      - .offset:         0
        .size:           216
        .value_kind:     by_value
      - .offset:         216
        .size:           4
        .value_kind:     by_value
      - .offset:         220
        .size:           4
        .value_kind:     by_value
      - .offset:         224
        .size:           1
        .value_kind:     by_value
      - .offset:         228
        .size:           4
        .value_kind:     by_value
      - .offset:         232
        .size:           4
        .value_kind:     by_value
      - .offset:         240
        .size:           216
        .value_kind:     by_value
      - .offset:         456
        .size:           4
        .value_kind:     by_value
      - .offset:         464
        .size:           216
        .value_kind:     by_value
      - .offset:         680
        .size:           4
        .value_kind:     by_value
      - .address_space:  global
        .offset:         688
        .size:           8
        .value_kind:     global_buffer
      - .offset:         696
        .size:           4
        .value_kind:     hidden_block_count_x
      - .offset:         700
        .size:           4
        .value_kind:     hidden_block_count_y
      - .offset:         704
        .size:           4
        .value_kind:     hidden_block_count_z
      - .offset:         708
        .size:           2
        .value_kind:     hidden_group_size_x
      - .offset:         710
        .size:           2
        .value_kind:     hidden_group_size_y
      - .offset:         712
        .size:           2
        .value_kind:     hidden_group_size_z
      - .offset:         714
        .size:           2
        .value_kind:     hidden_remainder_x
      - .offset:         716
        .size:           2
        .value_kind:     hidden_remainder_y
      - .offset:         718
        .size:           2
        .value_kind:     hidden_remainder_z
      - .offset:         736
        .size:           8
        .value_kind:     hidden_global_offset_x
      - .offset:         744
        .size:           8
        .value_kind:     hidden_global_offset_y
      - .offset:         752
        .size:           8
        .value_kind:     hidden_global_offset_z
      - .offset:         760
        .size:           2
        .value_kind:     hidden_grid_dims
    .group_segment_fixed_size: 4112
    .kernarg_segment_align: 8
    .kernarg_segment_size: 952
    .language:       OpenCL C
    .language_version:
      - 2
      - 0
    .max_flat_workgroup_size: 1024
    .name:           _ZN2at6native6sbtopk10gatherTopKIajLi2ELb0EEEvNS_4cuda6detail10TensorInfoIKT_T0_EES8_S8_bS8_S8_NS5_IS6_S8_EES8_NS5_IlS8_EES8_PS6_
    .private_segment_fixed_size: 0
    .sgpr_count:     107
    .sgpr_spill_count: 6
    .symbol:         _ZN2at6native6sbtopk10gatherTopKIajLi2ELb0EEEvNS_4cuda6detail10TensorInfoIKT_T0_EES8_S8_bS8_S8_NS5_IS6_S8_EES8_NS5_IlS8_EES8_PS6_.kd
    .uniform_work_group_size: 1
    .uses_dynamic_stack: false
    .vgpr_count:     69
    .vgpr_spill_count: 0
    .wavefront_size: 32
  - .args:
      - .offset:         0
        .size:           216
        .value_kind:     by_value
      - .offset:         216
        .size:           4
        .value_kind:     by_value
      - .address_space:  global
        .offset:         224
        .size:           8
        .value_kind:     global_buffer
      - .offset:         232
        .size:           4
        .value_kind:     by_value
      - .offset:         236
        .size:           4
        .value_kind:     by_value
      - .offset:         240
        .size:           4
        .value_kind:     by_value
      - .offset:         244
        .size:           4
        .value_kind:     by_value
      - .offset:         248
        .size:           4
        .value_kind:     by_value
      - .offset:         252
        .size:           4
        .value_kind:     by_value
      - .address_space:  global
        .offset:         256
        .size:           8
        .value_kind:     global_buffer
      - .address_space:  global
        .offset:         264
        .size:           8
        .value_kind:     global_buffer
      - .offset:         272
        .size:           4
        .value_kind:     hidden_block_count_x
      - .offset:         276
        .size:           4
        .value_kind:     hidden_block_count_y
      - .offset:         280
        .size:           4
        .value_kind:     hidden_block_count_z
      - .offset:         284
        .size:           2
        .value_kind:     hidden_group_size_x
      - .offset:         286
        .size:           2
        .value_kind:     hidden_group_size_y
      - .offset:         288
        .size:           2
        .value_kind:     hidden_group_size_z
      - .offset:         290
        .size:           2
        .value_kind:     hidden_remainder_x
      - .offset:         292
        .size:           2
        .value_kind:     hidden_remainder_y
      - .offset:         294
        .size:           2
        .value_kind:     hidden_remainder_z
      - .offset:         312
        .size:           8
        .value_kind:     hidden_global_offset_x
      - .offset:         320
        .size:           8
        .value_kind:     hidden_global_offset_y
      - .offset:         328
        .size:           8
        .value_kind:     hidden_global_offset_z
      - .offset:         336
        .size:           2
        .value_kind:     hidden_grid_dims
    .group_segment_fixed_size: 1024
    .kernarg_segment_align: 8
    .kernarg_segment_size: 528
    .language:       OpenCL C
    .language_version:
      - 2
      - 0
    .max_flat_workgroup_size: 256
    .name:           _ZN2at6native6mbtopk23computeBlockDigitCountsIajjLi3EEEvNS_4cuda6detail10TensorInfoIKT_T0_EEjPjjS8_iijT1_PSB_Ps
    .private_segment_fixed_size: 0
    .sgpr_count:     32
    .sgpr_spill_count: 0
    .symbol:         _ZN2at6native6mbtopk23computeBlockDigitCountsIajjLi3EEEvNS_4cuda6detail10TensorInfoIKT_T0_EEjPjjS8_iijT1_PSB_Ps.kd
    .uniform_work_group_size: 1
    .uses_dynamic_stack: false
    .vgpr_count:     10
    .vgpr_spill_count: 0
    .wavefront_size: 32
  - .args:
      - .offset:         0
        .size:           216
        .value_kind:     by_value
      - .offset:         216
        .size:           4
        .value_kind:     by_value
      - .offset:         220
        .size:           4
        .value_kind:     by_value
      - .offset:         224
        .size:           1
        .value_kind:     by_value
      - .offset:         228
        .size:           4
        .value_kind:     by_value
      - .offset:         232
        .size:           4
        .value_kind:     by_value
      - .offset:         240
        .size:           216
        .value_kind:     by_value
      - .offset:         456
        .size:           4
        .value_kind:     by_value
      - .offset:         464
        .size:           216
        .value_kind:     by_value
      - .offset:         680
        .size:           4
        .value_kind:     by_value
      - .offset:         684
        .size:           4
        .value_kind:     by_value
      - .offset:         688
        .size:           4
        .value_kind:     by_value
      - .address_space:  global
        .offset:         696
        .size:           8
        .value_kind:     global_buffer
      - .address_space:  global
        .offset:         704
        .size:           8
        .value_kind:     global_buffer
      - .address_space:  global
        .offset:         712
        .size:           8
        .value_kind:     global_buffer
      - .offset:         720
        .size:           4
        .value_kind:     by_value
      - .offset:         728
        .size:           4
        .value_kind:     hidden_block_count_x
      - .offset:         732
        .size:           4
        .value_kind:     hidden_block_count_y
      - .offset:         736
        .size:           4
        .value_kind:     hidden_block_count_z
      - .offset:         740
        .size:           2
        .value_kind:     hidden_group_size_x
      - .offset:         742
        .size:           2
        .value_kind:     hidden_group_size_y
      - .offset:         744
        .size:           2
        .value_kind:     hidden_group_size_z
      - .offset:         746
        .size:           2
        .value_kind:     hidden_remainder_x
      - .offset:         748
        .size:           2
        .value_kind:     hidden_remainder_y
      - .offset:         750
        .size:           2
        .value_kind:     hidden_remainder_z
      - .offset:         768
        .size:           8
        .value_kind:     hidden_global_offset_x
      - .offset:         776
        .size:           8
        .value_kind:     hidden_global_offset_y
      - .offset:         784
        .size:           8
        .value_kind:     hidden_global_offset_z
      - .offset:         792
        .size:           2
        .value_kind:     hidden_grid_dims
    .group_segment_fixed_size: 1068
    .kernarg_segment_align: 8
    .kernarg_segment_size: 984
    .language:       OpenCL C
    .language_version:
      - 2
      - 0
    .max_flat_workgroup_size: 256
    .name:           _ZN2at6native6mbtopk10gatherTopKIajLi3EEEvNS_4cuda6detail10TensorInfoIKT_T0_EES8_S8_bjS8_NS5_IS6_S8_EES8_NS5_IlS8_EES8_jjPS6_PjSD_j
    .private_segment_fixed_size: 0
    .sgpr_count:     54
    .sgpr_spill_count: 0
    .symbol:         _ZN2at6native6mbtopk10gatherTopKIajLi3EEEvNS_4cuda6detail10TensorInfoIKT_T0_EES8_S8_bjS8_NS5_IS6_S8_EES8_NS5_IlS8_EES8_jjPS6_PjSD_j.kd
    .uniform_work_group_size: 1
    .uses_dynamic_stack: false
    .vgpr_count:     26
    .vgpr_spill_count: 0
    .wavefront_size: 32
  - .args:
      - .offset:         0
        .size:           216
        .value_kind:     by_value
      - .offset:         216
        .size:           4
        .value_kind:     by_value
      - .offset:         220
        .size:           4
        .value_kind:     by_value
      - .offset:         224
        .size:           1
        .value_kind:     by_value
      - .offset:         228
        .size:           4
        .value_kind:     by_value
      - .offset:         232
        .size:           4
        .value_kind:     by_value
      - .offset:         240
        .size:           216
        .value_kind:     by_value
      - .offset:         456
        .size:           4
        .value_kind:     by_value
      - .offset:         464
        .size:           216
        .value_kind:     by_value
      - .offset:         680
        .size:           4
        .value_kind:     by_value
      - .address_space:  global
        .offset:         688
        .size:           8
        .value_kind:     global_buffer
      - .offset:         696
        .size:           4
        .value_kind:     hidden_block_count_x
      - .offset:         700
        .size:           4
        .value_kind:     hidden_block_count_y
      - .offset:         704
        .size:           4
        .value_kind:     hidden_block_count_z
      - .offset:         708
        .size:           2
        .value_kind:     hidden_group_size_x
      - .offset:         710
        .size:           2
        .value_kind:     hidden_group_size_y
      - .offset:         712
        .size:           2
        .value_kind:     hidden_group_size_z
      - .offset:         714
        .size:           2
        .value_kind:     hidden_remainder_x
      - .offset:         716
        .size:           2
        .value_kind:     hidden_remainder_y
      - .offset:         718
        .size:           2
        .value_kind:     hidden_remainder_z
      - .offset:         736
        .size:           8
        .value_kind:     hidden_global_offset_x
      - .offset:         744
        .size:           8
        .value_kind:     hidden_global_offset_y
      - .offset:         752
        .size:           8
        .value_kind:     hidden_global_offset_z
      - .offset:         760
        .size:           2
        .value_kind:     hidden_grid_dims
    .group_segment_fixed_size: 4112
    .kernarg_segment_align: 8
    .kernarg_segment_size: 952
    .language:       OpenCL C
    .language_version:
      - 2
      - 0
    .max_flat_workgroup_size: 1024
    .name:           _ZN2at6native6sbtopk10gatherTopKIajLi3ELb0EEEvNS_4cuda6detail10TensorInfoIKT_T0_EES8_S8_bS8_S8_NS5_IS6_S8_EES8_NS5_IlS8_EES8_PS6_
    .private_segment_fixed_size: 0
    .sgpr_count:     107
    .sgpr_spill_count: 13
    .symbol:         _ZN2at6native6sbtopk10gatherTopKIajLi3ELb0EEEvNS_4cuda6detail10TensorInfoIKT_T0_EES8_S8_bS8_S8_NS5_IS6_S8_EES8_NS5_IlS8_EES8_PS6_.kd
    .uniform_work_group_size: 1
    .uses_dynamic_stack: false
    .vgpr_count:     69
    .vgpr_spill_count: 0
    .wavefront_size: 32
  - .args:
      - .offset:         0
        .size:           216
        .value_kind:     by_value
      - .offset:         216
        .size:           4
        .value_kind:     by_value
      - .address_space:  global
        .offset:         224
        .size:           8
        .value_kind:     global_buffer
      - .offset:         232
        .size:           4
        .value_kind:     by_value
      - .offset:         236
        .size:           4
        .value_kind:     by_value
      - .offset:         240
        .size:           4
        .value_kind:     by_value
      - .offset:         244
        .size:           4
        .value_kind:     by_value
      - .offset:         248
        .size:           4
        .value_kind:     by_value
      - .offset:         252
        .size:           4
        .value_kind:     by_value
      - .address_space:  global
        .offset:         256
        .size:           8
        .value_kind:     global_buffer
      - .address_space:  global
        .offset:         264
        .size:           8
        .value_kind:     global_buffer
      - .offset:         272
        .size:           4
        .value_kind:     hidden_block_count_x
      - .offset:         276
        .size:           4
        .value_kind:     hidden_block_count_y
      - .offset:         280
        .size:           4
        .value_kind:     hidden_block_count_z
      - .offset:         284
        .size:           2
        .value_kind:     hidden_group_size_x
      - .offset:         286
        .size:           2
        .value_kind:     hidden_group_size_y
      - .offset:         288
        .size:           2
        .value_kind:     hidden_group_size_z
      - .offset:         290
        .size:           2
        .value_kind:     hidden_remainder_x
      - .offset:         292
        .size:           2
        .value_kind:     hidden_remainder_y
      - .offset:         294
        .size:           2
        .value_kind:     hidden_remainder_z
      - .offset:         312
        .size:           8
        .value_kind:     hidden_global_offset_x
      - .offset:         320
        .size:           8
        .value_kind:     hidden_global_offset_y
      - .offset:         328
        .size:           8
        .value_kind:     hidden_global_offset_z
      - .offset:         336
        .size:           2
        .value_kind:     hidden_grid_dims
    .group_segment_fixed_size: 1024
    .kernarg_segment_align: 8
    .kernarg_segment_size: 528
    .language:       OpenCL C
    .language_version:
      - 2
      - 0
    .max_flat_workgroup_size: 256
    .name:           _ZN2at6native6mbtopk23computeBlockDigitCountsIajjLin1EEEvNS_4cuda6detail10TensorInfoIKT_T0_EEjPjjS8_iijT1_PSB_Ps
    .private_segment_fixed_size: 0
    .sgpr_count:     26
    .sgpr_spill_count: 0
    .symbol:         _ZN2at6native6mbtopk23computeBlockDigitCountsIajjLin1EEEvNS_4cuda6detail10TensorInfoIKT_T0_EEjPjjS8_iijT1_PSB_Ps.kd
    .uniform_work_group_size: 1
    .uses_dynamic_stack: false
    .vgpr_count:     10
    .vgpr_spill_count: 0
    .wavefront_size: 32
  - .args:
      - .offset:         0
        .size:           216
        .value_kind:     by_value
      - .offset:         216
        .size:           4
        .value_kind:     by_value
      - .offset:         220
        .size:           4
        .value_kind:     by_value
      - .offset:         224
        .size:           1
        .value_kind:     by_value
      - .offset:         228
        .size:           4
        .value_kind:     by_value
      - .offset:         232
        .size:           4
        .value_kind:     by_value
      - .offset:         240
        .size:           216
        .value_kind:     by_value
      - .offset:         456
        .size:           4
        .value_kind:     by_value
      - .offset:         464
        .size:           216
        .value_kind:     by_value
      - .offset:         680
        .size:           4
        .value_kind:     by_value
      - .offset:         684
        .size:           4
        .value_kind:     by_value
      - .offset:         688
        .size:           4
        .value_kind:     by_value
      - .address_space:  global
        .offset:         696
        .size:           8
        .value_kind:     global_buffer
      - .address_space:  global
        .offset:         704
        .size:           8
        .value_kind:     global_buffer
      - .address_space:  global
        .offset:         712
        .size:           8
        .value_kind:     global_buffer
      - .offset:         720
        .size:           4
        .value_kind:     by_value
      - .offset:         728
        .size:           4
        .value_kind:     hidden_block_count_x
      - .offset:         732
        .size:           4
        .value_kind:     hidden_block_count_y
      - .offset:         736
        .size:           4
        .value_kind:     hidden_block_count_z
      - .offset:         740
        .size:           2
        .value_kind:     hidden_group_size_x
      - .offset:         742
        .size:           2
        .value_kind:     hidden_group_size_y
      - .offset:         744
        .size:           2
        .value_kind:     hidden_group_size_z
      - .offset:         746
        .size:           2
        .value_kind:     hidden_remainder_x
      - .offset:         748
        .size:           2
        .value_kind:     hidden_remainder_y
      - .offset:         750
        .size:           2
        .value_kind:     hidden_remainder_z
      - .offset:         768
        .size:           8
        .value_kind:     hidden_global_offset_x
      - .offset:         776
        .size:           8
        .value_kind:     hidden_global_offset_y
      - .offset:         784
        .size:           8
        .value_kind:     hidden_global_offset_z
      - .offset:         792
        .size:           2
        .value_kind:     hidden_grid_dims
    .group_segment_fixed_size: 1068
    .kernarg_segment_align: 8
    .kernarg_segment_size: 984
    .language:       OpenCL C
    .language_version:
      - 2
      - 0
    .max_flat_workgroup_size: 256
    .name:           _ZN2at6native6mbtopk10gatherTopKIajLin1EEEvNS_4cuda6detail10TensorInfoIKT_T0_EES8_S8_bjS8_NS5_IS6_S8_EES8_NS5_IlS8_EES8_jjPS6_PjSD_j
    .private_segment_fixed_size: 0
    .sgpr_count:     38
    .sgpr_spill_count: 0
    .symbol:         _ZN2at6native6mbtopk10gatherTopKIajLin1EEEvNS_4cuda6detail10TensorInfoIKT_T0_EES8_S8_bjS8_NS5_IS6_S8_EES8_NS5_IlS8_EES8_jjPS6_PjSD_j.kd
    .uniform_work_group_size: 1
    .uses_dynamic_stack: false
    .vgpr_count:     26
    .vgpr_spill_count: 0
    .wavefront_size: 32
  - .args:
      - .offset:         0
        .size:           216
        .value_kind:     by_value
      - .offset:         216
        .size:           4
        .value_kind:     by_value
      - .offset:         220
        .size:           4
        .value_kind:     by_value
      - .offset:         224
        .size:           1
        .value_kind:     by_value
      - .offset:         228
        .size:           4
        .value_kind:     by_value
      - .offset:         232
        .size:           4
        .value_kind:     by_value
      - .offset:         240
        .size:           216
        .value_kind:     by_value
      - .offset:         456
        .size:           4
        .value_kind:     by_value
      - .offset:         464
        .size:           216
        .value_kind:     by_value
      - .offset:         680
        .size:           4
        .value_kind:     by_value
      - .address_space:  global
        .offset:         688
        .size:           8
        .value_kind:     global_buffer
      - .offset:         696
        .size:           4
        .value_kind:     hidden_block_count_x
      - .offset:         700
        .size:           4
        .value_kind:     hidden_block_count_y
      - .offset:         704
        .size:           4
        .value_kind:     hidden_block_count_z
      - .offset:         708
        .size:           2
        .value_kind:     hidden_group_size_x
      - .offset:         710
        .size:           2
        .value_kind:     hidden_group_size_y
      - .offset:         712
        .size:           2
        .value_kind:     hidden_group_size_z
      - .offset:         714
        .size:           2
        .value_kind:     hidden_remainder_x
      - .offset:         716
        .size:           2
        .value_kind:     hidden_remainder_y
      - .offset:         718
        .size:           2
        .value_kind:     hidden_remainder_z
      - .offset:         736
        .size:           8
        .value_kind:     hidden_global_offset_x
      - .offset:         744
        .size:           8
        .value_kind:     hidden_global_offset_y
      - .offset:         752
        .size:           8
        .value_kind:     hidden_global_offset_z
      - .offset:         760
        .size:           2
        .value_kind:     hidden_grid_dims
    .group_segment_fixed_size: 4112
    .kernarg_segment_align: 8
    .kernarg_segment_size: 952
    .language:       OpenCL C
    .language_version:
      - 2
      - 0
    .max_flat_workgroup_size: 1024
    .name:           _ZN2at6native6sbtopk10gatherTopKIajLin1ELb0EEEvNS_4cuda6detail10TensorInfoIKT_T0_EES8_S8_bS8_S8_NS5_IS6_S8_EES8_NS5_IlS8_EES8_PS6_
    .private_segment_fixed_size: 0
    .sgpr_count:     107
    .sgpr_spill_count: 4
    .symbol:         _ZN2at6native6sbtopk10gatherTopKIajLin1ELb0EEEvNS_4cuda6detail10TensorInfoIKT_T0_EES8_S8_bS8_S8_NS5_IS6_S8_EES8_NS5_IlS8_EES8_PS6_.kd
    .uniform_work_group_size: 1
    .uses_dynamic_stack: false
    .vgpr_count:     69
    .vgpr_spill_count: 0
    .wavefront_size: 32
  - .args:
      - .offset:         0
        .size:           216
        .value_kind:     by_value
      - .offset:         216
        .size:           4
        .value_kind:     by_value
      - .address_space:  global
        .offset:         224
        .size:           8
        .value_kind:     global_buffer
      - .offset:         232
        .size:           4
        .value_kind:     by_value
      - .offset:         236
        .size:           4
        .value_kind:     by_value
      - .offset:         240
        .size:           4
        .value_kind:     by_value
      - .offset:         244
        .size:           4
        .value_kind:     by_value
      - .offset:         248
        .size:           4
        .value_kind:     by_value
      - .offset:         252
        .size:           4
        .value_kind:     by_value
      - .address_space:  global
        .offset:         256
        .size:           8
        .value_kind:     global_buffer
      - .address_space:  global
        .offset:         264
        .size:           8
        .value_kind:     global_buffer
      - .offset:         272
        .size:           4
        .value_kind:     hidden_block_count_x
      - .offset:         276
        .size:           4
        .value_kind:     hidden_block_count_y
      - .offset:         280
        .size:           4
        .value_kind:     hidden_block_count_z
      - .offset:         284
        .size:           2
        .value_kind:     hidden_group_size_x
      - .offset:         286
        .size:           2
        .value_kind:     hidden_group_size_y
      - .offset:         288
        .size:           2
        .value_kind:     hidden_group_size_z
      - .offset:         290
        .size:           2
        .value_kind:     hidden_remainder_x
      - .offset:         292
        .size:           2
        .value_kind:     hidden_remainder_y
      - .offset:         294
        .size:           2
        .value_kind:     hidden_remainder_z
      - .offset:         312
        .size:           8
        .value_kind:     hidden_global_offset_x
      - .offset:         320
        .size:           8
        .value_kind:     hidden_global_offset_y
      - .offset:         328
        .size:           8
        .value_kind:     hidden_global_offset_z
      - .offset:         336
        .size:           2
        .value_kind:     hidden_grid_dims
    .group_segment_fixed_size: 1024
    .kernarg_segment_align: 8
    .kernarg_segment_size: 528
    .language:       OpenCL C
    .language_version:
      - 2
      - 0
    .max_flat_workgroup_size: 256
    .name:           _ZN2at6native6mbtopk23computeBlockDigitCountsIijjLi1EEEvNS_4cuda6detail10TensorInfoIKT_T0_EEjPjjS8_iijT1_PSB_Ps
    .private_segment_fixed_size: 0
    .sgpr_count:     22
    .sgpr_spill_count: 0
    .symbol:         _ZN2at6native6mbtopk23computeBlockDigitCountsIijjLi1EEEvNS_4cuda6detail10TensorInfoIKT_T0_EEjPjjS8_iijT1_PSB_Ps.kd
    .uniform_work_group_size: 1
    .uses_dynamic_stack: false
    .vgpr_count:     10
    .vgpr_spill_count: 0
    .wavefront_size: 32
  - .args:
      - .address_space:  global
        .offset:         0
        .size:           8
        .value_kind:     global_buffer
      - .address_space:  global
        .offset:         8
        .size:           8
        .value_kind:     global_buffer
      - .address_space:  global
        .offset:         16
        .size:           8
        .value_kind:     global_buffer
      - .offset:         24
        .size:           4
        .value_kind:     by_value
      - .offset:         28
        .size:           4
        .value_kind:     by_value
      - .offset:         32
        .size:           1
        .value_kind:     by_value
      - .address_space:  global
        .offset:         40
        .size:           8
        .value_kind:     global_buffer
      - .address_space:  global
        .offset:         48
        .size:           8
        .value_kind:     global_buffer
      - .address_space:  global
        .offset:         56
        .size:           8
        .value_kind:     global_buffer
      - .address_space:  global
        .offset:         64
        .size:           8
        .value_kind:     global_buffer
      - .address_space:  global
        .offset:         72
        .size:           8
        .value_kind:     global_buffer
      - .offset:         80
        .size:           4
        .value_kind:     by_value
      - .offset:         88
        .size:           4
        .value_kind:     hidden_block_count_x
      - .offset:         92
        .size:           4
        .value_kind:     hidden_block_count_y
      - .offset:         96
        .size:           4
        .value_kind:     hidden_block_count_z
      - .offset:         100
        .size:           2
        .value_kind:     hidden_group_size_x
      - .offset:         102
        .size:           2
        .value_kind:     hidden_group_size_y
      - .offset:         104
        .size:           2
        .value_kind:     hidden_group_size_z
      - .offset:         106
        .size:           2
        .value_kind:     hidden_remainder_x
      - .offset:         108
        .size:           2
        .value_kind:     hidden_remainder_y
      - .offset:         110
        .size:           2
        .value_kind:     hidden_remainder_z
      - .offset:         128
        .size:           8
        .value_kind:     hidden_global_offset_x
      - .offset:         136
        .size:           8
        .value_kind:     hidden_global_offset_y
      - .offset:         144
        .size:           8
        .value_kind:     hidden_global_offset_z
      - .offset:         152
        .size:           2
        .value_kind:     hidden_grid_dims
    .group_segment_fixed_size: 2116
    .kernarg_segment_align: 8
    .kernarg_segment_size: 344
    .language:       OpenCL C
    .language_version:
      - 2
      - 0
    .max_flat_workgroup_size: 256
    .name:           _ZN2at6native6mbtopk29computeBlockwiseWithinKCountsIjiEEvPT_PsPjjibS6_PT0_S6_S4_S6_j
    .private_segment_fixed_size: 0
    .sgpr_count:     29
    .sgpr_spill_count: 0
    .symbol:         _ZN2at6native6mbtopk29computeBlockwiseWithinKCountsIjiEEvPT_PsPjjibS6_PT0_S6_S4_S6_j.kd
    .uniform_work_group_size: 1
    .uses_dynamic_stack: false
    .vgpr_count:     15
    .vgpr_spill_count: 0
    .wavefront_size: 32
  - .args:
      - .offset:         0
        .size:           216
        .value_kind:     by_value
      - .offset:         216
        .size:           4
        .value_kind:     by_value
      - .offset:         220
        .size:           4
        .value_kind:     by_value
      - .offset:         224
        .size:           1
        .value_kind:     by_value
      - .offset:         228
        .size:           4
        .value_kind:     by_value
      - .offset:         232
        .size:           4
        .value_kind:     by_value
      - .offset:         240
        .size:           216
        .value_kind:     by_value
      - .offset:         456
        .size:           4
        .value_kind:     by_value
      - .offset:         464
        .size:           216
        .value_kind:     by_value
      - .offset:         680
        .size:           4
        .value_kind:     by_value
      - .offset:         684
        .size:           4
        .value_kind:     by_value
      - .offset:         688
        .size:           4
        .value_kind:     by_value
      - .address_space:  global
        .offset:         696
        .size:           8
        .value_kind:     global_buffer
      - .address_space:  global
        .offset:         704
        .size:           8
        .value_kind:     global_buffer
      - .address_space:  global
        .offset:         712
        .size:           8
        .value_kind:     global_buffer
      - .offset:         720
        .size:           4
        .value_kind:     by_value
      - .offset:         728
        .size:           4
        .value_kind:     hidden_block_count_x
      - .offset:         732
        .size:           4
        .value_kind:     hidden_block_count_y
      - .offset:         736
        .size:           4
        .value_kind:     hidden_block_count_z
      - .offset:         740
        .size:           2
        .value_kind:     hidden_group_size_x
      - .offset:         742
        .size:           2
        .value_kind:     hidden_group_size_y
      - .offset:         744
        .size:           2
        .value_kind:     hidden_group_size_z
      - .offset:         746
        .size:           2
        .value_kind:     hidden_remainder_x
      - .offset:         748
        .size:           2
        .value_kind:     hidden_remainder_y
      - .offset:         750
        .size:           2
        .value_kind:     hidden_remainder_z
      - .offset:         768
        .size:           8
        .value_kind:     hidden_global_offset_x
      - .offset:         776
        .size:           8
        .value_kind:     hidden_global_offset_y
      - .offset:         784
        .size:           8
        .value_kind:     hidden_global_offset_z
      - .offset:         792
        .size:           2
        .value_kind:     hidden_grid_dims
    .group_segment_fixed_size: 1068
    .kernarg_segment_align: 8
    .kernarg_segment_size: 984
    .language:       OpenCL C
    .language_version:
      - 2
      - 0
    .max_flat_workgroup_size: 256
    .name:           _ZN2at6native6mbtopk10gatherTopKIijLi1EEEvNS_4cuda6detail10TensorInfoIKT_T0_EES8_S8_bjS8_NS5_IS6_S8_EES8_NS5_IlS8_EES8_jjPS6_PjSD_j
    .private_segment_fixed_size: 0
    .sgpr_count:     31
    .sgpr_spill_count: 0
    .symbol:         _ZN2at6native6mbtopk10gatherTopKIijLi1EEEvNS_4cuda6detail10TensorInfoIKT_T0_EES8_S8_bjS8_NS5_IS6_S8_EES8_NS5_IlS8_EES8_jjPS6_PjSD_j.kd
    .uniform_work_group_size: 1
    .uses_dynamic_stack: false
    .vgpr_count:     24
    .vgpr_spill_count: 0
    .wavefront_size: 32
  - .args:
      - .offset:         0
        .size:           216
        .value_kind:     by_value
      - .offset:         216
        .size:           4
        .value_kind:     by_value
      - .offset:         220
        .size:           4
        .value_kind:     by_value
      - .offset:         224
        .size:           1
        .value_kind:     by_value
      - .offset:         228
        .size:           4
        .value_kind:     by_value
      - .offset:         232
        .size:           4
        .value_kind:     by_value
      - .offset:         240
        .size:           216
        .value_kind:     by_value
      - .offset:         456
        .size:           4
        .value_kind:     by_value
      - .offset:         464
        .size:           216
        .value_kind:     by_value
      - .offset:         680
        .size:           4
        .value_kind:     by_value
      - .address_space:  global
        .offset:         688
        .size:           8
        .value_kind:     global_buffer
      - .offset:         696
        .size:           4
        .value_kind:     hidden_block_count_x
      - .offset:         700
        .size:           4
        .value_kind:     hidden_block_count_y
      - .offset:         704
        .size:           4
        .value_kind:     hidden_block_count_z
      - .offset:         708
        .size:           2
        .value_kind:     hidden_group_size_x
      - .offset:         710
        .size:           2
        .value_kind:     hidden_group_size_y
      - .offset:         712
        .size:           2
        .value_kind:     hidden_group_size_z
      - .offset:         714
        .size:           2
        .value_kind:     hidden_remainder_x
      - .offset:         716
        .size:           2
        .value_kind:     hidden_remainder_y
      - .offset:         718
        .size:           2
        .value_kind:     hidden_remainder_z
      - .offset:         736
        .size:           8
        .value_kind:     hidden_global_offset_x
      - .offset:         744
        .size:           8
        .value_kind:     hidden_global_offset_y
      - .offset:         752
        .size:           8
        .value_kind:     hidden_global_offset_z
      - .offset:         760
        .size:           2
        .value_kind:     hidden_grid_dims
    .group_segment_fixed_size: 4112
    .kernarg_segment_align: 8
    .kernarg_segment_size: 952
    .language:       OpenCL C
    .language_version:
      - 2
      - 0
    .max_flat_workgroup_size: 1024
    .name:           _ZN2at6native6sbtopk10gatherTopKIijLi1ELb0EEEvNS_4cuda6detail10TensorInfoIKT_T0_EES8_S8_bS8_S8_NS5_IS6_S8_EES8_NS5_IlS8_EES8_PS6_
    .private_segment_fixed_size: 0
    .sgpr_count:     103
    .sgpr_spill_count: 0
    .symbol:         _ZN2at6native6sbtopk10gatherTopKIijLi1ELb0EEEvNS_4cuda6detail10TensorInfoIKT_T0_EES8_S8_bS8_S8_NS5_IS6_S8_EES8_NS5_IlS8_EES8_PS6_.kd
    .uniform_work_group_size: 1
    .uses_dynamic_stack: false
    .vgpr_count:     64
    .vgpr_spill_count: 0
    .wavefront_size: 32
  - .args:
      - .offset:         0
        .size:           216
        .value_kind:     by_value
      - .offset:         216
        .size:           4
        .value_kind:     by_value
      - .address_space:  global
        .offset:         224
        .size:           8
        .value_kind:     global_buffer
      - .offset:         232
        .size:           4
        .value_kind:     by_value
      - .offset:         236
        .size:           4
        .value_kind:     by_value
      - .offset:         240
        .size:           4
        .value_kind:     by_value
      - .offset:         244
        .size:           4
        .value_kind:     by_value
      - .offset:         248
        .size:           4
        .value_kind:     by_value
      - .offset:         252
        .size:           4
        .value_kind:     by_value
      - .address_space:  global
        .offset:         256
        .size:           8
        .value_kind:     global_buffer
      - .address_space:  global
        .offset:         264
        .size:           8
        .value_kind:     global_buffer
      - .offset:         272
        .size:           4
        .value_kind:     hidden_block_count_x
      - .offset:         276
        .size:           4
        .value_kind:     hidden_block_count_y
      - .offset:         280
        .size:           4
        .value_kind:     hidden_block_count_z
      - .offset:         284
        .size:           2
        .value_kind:     hidden_group_size_x
      - .offset:         286
        .size:           2
        .value_kind:     hidden_group_size_y
      - .offset:         288
        .size:           2
        .value_kind:     hidden_group_size_z
      - .offset:         290
        .size:           2
        .value_kind:     hidden_remainder_x
      - .offset:         292
        .size:           2
        .value_kind:     hidden_remainder_y
      - .offset:         294
        .size:           2
        .value_kind:     hidden_remainder_z
      - .offset:         312
        .size:           8
        .value_kind:     hidden_global_offset_x
      - .offset:         320
        .size:           8
        .value_kind:     hidden_global_offset_y
      - .offset:         328
        .size:           8
        .value_kind:     hidden_global_offset_z
      - .offset:         336
        .size:           2
        .value_kind:     hidden_grid_dims
    .group_segment_fixed_size: 1024
    .kernarg_segment_align: 8
    .kernarg_segment_size: 528
    .language:       OpenCL C
    .language_version:
      - 2
      - 0
    .max_flat_workgroup_size: 256
    .name:           _ZN2at6native6mbtopk23computeBlockDigitCountsIijjLi2EEEvNS_4cuda6detail10TensorInfoIKT_T0_EEjPjjS8_iijT1_PSB_Ps
    .private_segment_fixed_size: 0
    .sgpr_count:     28
    .sgpr_spill_count: 0
    .symbol:         _ZN2at6native6mbtopk23computeBlockDigitCountsIijjLi2EEEvNS_4cuda6detail10TensorInfoIKT_T0_EEjPjjS8_iijT1_PSB_Ps.kd
    .uniform_work_group_size: 1
    .uses_dynamic_stack: false
    .vgpr_count:     10
    .vgpr_spill_count: 0
    .wavefront_size: 32
  - .args:
      - .offset:         0
        .size:           216
        .value_kind:     by_value
      - .offset:         216
        .size:           4
        .value_kind:     by_value
      - .offset:         220
        .size:           4
        .value_kind:     by_value
      - .offset:         224
        .size:           1
        .value_kind:     by_value
      - .offset:         228
        .size:           4
        .value_kind:     by_value
      - .offset:         232
        .size:           4
        .value_kind:     by_value
      - .offset:         240
        .size:           216
        .value_kind:     by_value
      - .offset:         456
        .size:           4
        .value_kind:     by_value
      - .offset:         464
        .size:           216
        .value_kind:     by_value
      - .offset:         680
        .size:           4
        .value_kind:     by_value
      - .offset:         684
        .size:           4
        .value_kind:     by_value
      - .offset:         688
        .size:           4
        .value_kind:     by_value
      - .address_space:  global
        .offset:         696
        .size:           8
        .value_kind:     global_buffer
      - .address_space:  global
        .offset:         704
        .size:           8
        .value_kind:     global_buffer
      - .address_space:  global
        .offset:         712
        .size:           8
        .value_kind:     global_buffer
      - .offset:         720
        .size:           4
        .value_kind:     by_value
      - .offset:         728
        .size:           4
        .value_kind:     hidden_block_count_x
      - .offset:         732
        .size:           4
        .value_kind:     hidden_block_count_y
      - .offset:         736
        .size:           4
        .value_kind:     hidden_block_count_z
      - .offset:         740
        .size:           2
        .value_kind:     hidden_group_size_x
      - .offset:         742
        .size:           2
        .value_kind:     hidden_group_size_y
      - .offset:         744
        .size:           2
        .value_kind:     hidden_group_size_z
      - .offset:         746
        .size:           2
        .value_kind:     hidden_remainder_x
      - .offset:         748
        .size:           2
        .value_kind:     hidden_remainder_y
      - .offset:         750
        .size:           2
        .value_kind:     hidden_remainder_z
      - .offset:         768
        .size:           8
        .value_kind:     hidden_global_offset_x
      - .offset:         776
        .size:           8
        .value_kind:     hidden_global_offset_y
      - .offset:         784
        .size:           8
        .value_kind:     hidden_global_offset_z
      - .offset:         792
        .size:           2
        .value_kind:     hidden_grid_dims
    .group_segment_fixed_size: 1068
    .kernarg_segment_align: 8
    .kernarg_segment_size: 984
    .language:       OpenCL C
    .language_version:
      - 2
      - 0
    .max_flat_workgroup_size: 256
    .name:           _ZN2at6native6mbtopk10gatherTopKIijLi2EEEvNS_4cuda6detail10TensorInfoIKT_T0_EES8_S8_bjS8_NS5_IS6_S8_EES8_NS5_IlS8_EES8_jjPS6_PjSD_j
    .private_segment_fixed_size: 0
    .sgpr_count:     48
    .sgpr_spill_count: 0
    .symbol:         _ZN2at6native6mbtopk10gatherTopKIijLi2EEEvNS_4cuda6detail10TensorInfoIKT_T0_EES8_S8_bjS8_NS5_IS6_S8_EES8_NS5_IlS8_EES8_jjPS6_PjSD_j.kd
    .uniform_work_group_size: 1
    .uses_dynamic_stack: false
    .vgpr_count:     24
    .vgpr_spill_count: 0
    .wavefront_size: 32
  - .args:
      - .offset:         0
        .size:           216
        .value_kind:     by_value
      - .offset:         216
        .size:           4
        .value_kind:     by_value
      - .offset:         220
        .size:           4
        .value_kind:     by_value
      - .offset:         224
        .size:           1
        .value_kind:     by_value
      - .offset:         228
        .size:           4
        .value_kind:     by_value
      - .offset:         232
        .size:           4
        .value_kind:     by_value
      - .offset:         240
        .size:           216
        .value_kind:     by_value
      - .offset:         456
        .size:           4
        .value_kind:     by_value
      - .offset:         464
        .size:           216
        .value_kind:     by_value
      - .offset:         680
        .size:           4
        .value_kind:     by_value
      - .address_space:  global
        .offset:         688
        .size:           8
        .value_kind:     global_buffer
      - .offset:         696
        .size:           4
        .value_kind:     hidden_block_count_x
      - .offset:         700
        .size:           4
        .value_kind:     hidden_block_count_y
      - .offset:         704
        .size:           4
        .value_kind:     hidden_block_count_z
      - .offset:         708
        .size:           2
        .value_kind:     hidden_group_size_x
      - .offset:         710
        .size:           2
        .value_kind:     hidden_group_size_y
      - .offset:         712
        .size:           2
        .value_kind:     hidden_group_size_z
      - .offset:         714
        .size:           2
        .value_kind:     hidden_remainder_x
      - .offset:         716
        .size:           2
        .value_kind:     hidden_remainder_y
      - .offset:         718
        .size:           2
        .value_kind:     hidden_remainder_z
      - .offset:         736
        .size:           8
        .value_kind:     hidden_global_offset_x
      - .offset:         744
        .size:           8
        .value_kind:     hidden_global_offset_y
      - .offset:         752
        .size:           8
        .value_kind:     hidden_global_offset_z
      - .offset:         760
        .size:           2
        .value_kind:     hidden_grid_dims
    .group_segment_fixed_size: 4112
    .kernarg_segment_align: 8
    .kernarg_segment_size: 952
    .language:       OpenCL C
    .language_version:
      - 2
      - 0
    .max_flat_workgroup_size: 1024
    .name:           _ZN2at6native6sbtopk10gatherTopKIijLi2ELb0EEEvNS_4cuda6detail10TensorInfoIKT_T0_EES8_S8_bS8_S8_NS5_IS6_S8_EES8_NS5_IlS8_EES8_PS6_
    .private_segment_fixed_size: 0
    .sgpr_count:     107
    .sgpr_spill_count: 0
    .symbol:         _ZN2at6native6sbtopk10gatherTopKIijLi2ELb0EEEvNS_4cuda6detail10TensorInfoIKT_T0_EES8_S8_bS8_S8_NS5_IS6_S8_EES8_NS5_IlS8_EES8_PS6_.kd
    .uniform_work_group_size: 1
    .uses_dynamic_stack: false
    .vgpr_count:     64
    .vgpr_spill_count: 0
    .wavefront_size: 32
  - .args:
      - .offset:         0
        .size:           216
        .value_kind:     by_value
      - .offset:         216
        .size:           4
        .value_kind:     by_value
      - .address_space:  global
        .offset:         224
        .size:           8
        .value_kind:     global_buffer
      - .offset:         232
        .size:           4
        .value_kind:     by_value
      - .offset:         236
        .size:           4
        .value_kind:     by_value
      - .offset:         240
        .size:           4
        .value_kind:     by_value
      - .offset:         244
        .size:           4
        .value_kind:     by_value
      - .offset:         248
        .size:           4
        .value_kind:     by_value
      - .offset:         252
        .size:           4
        .value_kind:     by_value
      - .address_space:  global
        .offset:         256
        .size:           8
        .value_kind:     global_buffer
      - .address_space:  global
        .offset:         264
        .size:           8
        .value_kind:     global_buffer
      - .offset:         272
        .size:           4
        .value_kind:     hidden_block_count_x
      - .offset:         276
        .size:           4
        .value_kind:     hidden_block_count_y
      - .offset:         280
        .size:           4
        .value_kind:     hidden_block_count_z
      - .offset:         284
        .size:           2
        .value_kind:     hidden_group_size_x
      - .offset:         286
        .size:           2
        .value_kind:     hidden_group_size_y
      - .offset:         288
        .size:           2
        .value_kind:     hidden_group_size_z
      - .offset:         290
        .size:           2
        .value_kind:     hidden_remainder_x
      - .offset:         292
        .size:           2
        .value_kind:     hidden_remainder_y
      - .offset:         294
        .size:           2
        .value_kind:     hidden_remainder_z
      - .offset:         312
        .size:           8
        .value_kind:     hidden_global_offset_x
      - .offset:         320
        .size:           8
        .value_kind:     hidden_global_offset_y
      - .offset:         328
        .size:           8
        .value_kind:     hidden_global_offset_z
      - .offset:         336
        .size:           2
        .value_kind:     hidden_grid_dims
    .group_segment_fixed_size: 1024
    .kernarg_segment_align: 8
    .kernarg_segment_size: 528
    .language:       OpenCL C
    .language_version:
      - 2
      - 0
    .max_flat_workgroup_size: 256
    .name:           _ZN2at6native6mbtopk23computeBlockDigitCountsIijjLi3EEEvNS_4cuda6detail10TensorInfoIKT_T0_EEjPjjS8_iijT1_PSB_Ps
    .private_segment_fixed_size: 0
    .sgpr_count:     32
    .sgpr_spill_count: 0
    .symbol:         _ZN2at6native6mbtopk23computeBlockDigitCountsIijjLi3EEEvNS_4cuda6detail10TensorInfoIKT_T0_EEjPjjS8_iijT1_PSB_Ps.kd
    .uniform_work_group_size: 1
    .uses_dynamic_stack: false
    .vgpr_count:     10
    .vgpr_spill_count: 0
    .wavefront_size: 32
  - .args:
      - .offset:         0
        .size:           216
        .value_kind:     by_value
      - .offset:         216
        .size:           4
        .value_kind:     by_value
      - .offset:         220
        .size:           4
        .value_kind:     by_value
      - .offset:         224
        .size:           1
        .value_kind:     by_value
      - .offset:         228
        .size:           4
        .value_kind:     by_value
      - .offset:         232
        .size:           4
        .value_kind:     by_value
      - .offset:         240
        .size:           216
        .value_kind:     by_value
      - .offset:         456
        .size:           4
        .value_kind:     by_value
      - .offset:         464
        .size:           216
        .value_kind:     by_value
      - .offset:         680
        .size:           4
        .value_kind:     by_value
      - .offset:         684
        .size:           4
        .value_kind:     by_value
      - .offset:         688
        .size:           4
        .value_kind:     by_value
      - .address_space:  global
        .offset:         696
        .size:           8
        .value_kind:     global_buffer
      - .address_space:  global
        .offset:         704
        .size:           8
        .value_kind:     global_buffer
      - .address_space:  global
        .offset:         712
        .size:           8
        .value_kind:     global_buffer
      - .offset:         720
        .size:           4
        .value_kind:     by_value
      - .offset:         728
        .size:           4
        .value_kind:     hidden_block_count_x
      - .offset:         732
        .size:           4
        .value_kind:     hidden_block_count_y
      - .offset:         736
        .size:           4
        .value_kind:     hidden_block_count_z
      - .offset:         740
        .size:           2
        .value_kind:     hidden_group_size_x
      - .offset:         742
        .size:           2
        .value_kind:     hidden_group_size_y
      - .offset:         744
        .size:           2
        .value_kind:     hidden_group_size_z
      - .offset:         746
        .size:           2
        .value_kind:     hidden_remainder_x
      - .offset:         748
        .size:           2
        .value_kind:     hidden_remainder_y
      - .offset:         750
        .size:           2
        .value_kind:     hidden_remainder_z
      - .offset:         768
        .size:           8
        .value_kind:     hidden_global_offset_x
      - .offset:         776
        .size:           8
        .value_kind:     hidden_global_offset_y
      - .offset:         784
        .size:           8
        .value_kind:     hidden_global_offset_z
      - .offset:         792
        .size:           2
        .value_kind:     hidden_grid_dims
    .group_segment_fixed_size: 1068
    .kernarg_segment_align: 8
    .kernarg_segment_size: 984
    .language:       OpenCL C
    .language_version:
      - 2
      - 0
    .max_flat_workgroup_size: 256
    .name:           _ZN2at6native6mbtopk10gatherTopKIijLi3EEEvNS_4cuda6detail10TensorInfoIKT_T0_EES8_S8_bjS8_NS5_IS6_S8_EES8_NS5_IlS8_EES8_jjPS6_PjSD_j
    .private_segment_fixed_size: 0
    .sgpr_count:     56
    .sgpr_spill_count: 0
    .symbol:         _ZN2at6native6mbtopk10gatherTopKIijLi3EEEvNS_4cuda6detail10TensorInfoIKT_T0_EES8_S8_bjS8_NS5_IS6_S8_EES8_NS5_IlS8_EES8_jjPS6_PjSD_j.kd
    .uniform_work_group_size: 1
    .uses_dynamic_stack: false
    .vgpr_count:     24
    .vgpr_spill_count: 0
    .wavefront_size: 32
  - .args:
      - .offset:         0
        .size:           216
        .value_kind:     by_value
      - .offset:         216
        .size:           4
        .value_kind:     by_value
      - .offset:         220
        .size:           4
        .value_kind:     by_value
      - .offset:         224
        .size:           1
        .value_kind:     by_value
      - .offset:         228
        .size:           4
        .value_kind:     by_value
      - .offset:         232
        .size:           4
        .value_kind:     by_value
      - .offset:         240
        .size:           216
        .value_kind:     by_value
      - .offset:         456
        .size:           4
        .value_kind:     by_value
      - .offset:         464
        .size:           216
        .value_kind:     by_value
      - .offset:         680
        .size:           4
        .value_kind:     by_value
      - .address_space:  global
        .offset:         688
        .size:           8
        .value_kind:     global_buffer
      - .offset:         696
        .size:           4
        .value_kind:     hidden_block_count_x
      - .offset:         700
        .size:           4
        .value_kind:     hidden_block_count_y
      - .offset:         704
        .size:           4
        .value_kind:     hidden_block_count_z
      - .offset:         708
        .size:           2
        .value_kind:     hidden_group_size_x
      - .offset:         710
        .size:           2
        .value_kind:     hidden_group_size_y
      - .offset:         712
        .size:           2
        .value_kind:     hidden_group_size_z
      - .offset:         714
        .size:           2
        .value_kind:     hidden_remainder_x
      - .offset:         716
        .size:           2
        .value_kind:     hidden_remainder_y
      - .offset:         718
        .size:           2
        .value_kind:     hidden_remainder_z
      - .offset:         736
        .size:           8
        .value_kind:     hidden_global_offset_x
      - .offset:         744
        .size:           8
        .value_kind:     hidden_global_offset_y
      - .offset:         752
        .size:           8
        .value_kind:     hidden_global_offset_z
      - .offset:         760
        .size:           2
        .value_kind:     hidden_grid_dims
    .group_segment_fixed_size: 4112
    .kernarg_segment_align: 8
    .kernarg_segment_size: 952
    .language:       OpenCL C
    .language_version:
      - 2
      - 0
    .max_flat_workgroup_size: 1024
    .name:           _ZN2at6native6sbtopk10gatherTopKIijLi3ELb0EEEvNS_4cuda6detail10TensorInfoIKT_T0_EES8_S8_bS8_S8_NS5_IS6_S8_EES8_NS5_IlS8_EES8_PS6_
    .private_segment_fixed_size: 0
    .sgpr_count:     107
    .sgpr_spill_count: 2
    .symbol:         _ZN2at6native6sbtopk10gatherTopKIijLi3ELb0EEEvNS_4cuda6detail10TensorInfoIKT_T0_EES8_S8_bS8_S8_NS5_IS6_S8_EES8_NS5_IlS8_EES8_PS6_.kd
    .uniform_work_group_size: 1
    .uses_dynamic_stack: false
    .vgpr_count:     69
    .vgpr_spill_count: 0
    .wavefront_size: 32
  - .args:
      - .offset:         0
        .size:           216
        .value_kind:     by_value
      - .offset:         216
        .size:           4
        .value_kind:     by_value
      - .address_space:  global
        .offset:         224
        .size:           8
        .value_kind:     global_buffer
      - .offset:         232
        .size:           4
        .value_kind:     by_value
      - .offset:         236
        .size:           4
        .value_kind:     by_value
      - .offset:         240
        .size:           4
        .value_kind:     by_value
      - .offset:         244
        .size:           4
        .value_kind:     by_value
      - .offset:         248
        .size:           4
        .value_kind:     by_value
      - .offset:         252
        .size:           4
        .value_kind:     by_value
      - .address_space:  global
        .offset:         256
        .size:           8
        .value_kind:     global_buffer
      - .address_space:  global
        .offset:         264
        .size:           8
        .value_kind:     global_buffer
      - .offset:         272
        .size:           4
        .value_kind:     hidden_block_count_x
      - .offset:         276
        .size:           4
        .value_kind:     hidden_block_count_y
      - .offset:         280
        .size:           4
        .value_kind:     hidden_block_count_z
      - .offset:         284
        .size:           2
        .value_kind:     hidden_group_size_x
      - .offset:         286
        .size:           2
        .value_kind:     hidden_group_size_y
      - .offset:         288
        .size:           2
        .value_kind:     hidden_group_size_z
      - .offset:         290
        .size:           2
        .value_kind:     hidden_remainder_x
      - .offset:         292
        .size:           2
        .value_kind:     hidden_remainder_y
      - .offset:         294
        .size:           2
        .value_kind:     hidden_remainder_z
      - .offset:         312
        .size:           8
        .value_kind:     hidden_global_offset_x
      - .offset:         320
        .size:           8
        .value_kind:     hidden_global_offset_y
      - .offset:         328
        .size:           8
        .value_kind:     hidden_global_offset_z
      - .offset:         336
        .size:           2
        .value_kind:     hidden_grid_dims
    .group_segment_fixed_size: 1024
    .kernarg_segment_align: 8
    .kernarg_segment_size: 528
    .language:       OpenCL C
    .language_version:
      - 2
      - 0
    .max_flat_workgroup_size: 256
    .name:           _ZN2at6native6mbtopk23computeBlockDigitCountsIijjLin1EEEvNS_4cuda6detail10TensorInfoIKT_T0_EEjPjjS8_iijT1_PSB_Ps
    .private_segment_fixed_size: 0
    .sgpr_count:     26
    .sgpr_spill_count: 0
    .symbol:         _ZN2at6native6mbtopk23computeBlockDigitCountsIijjLin1EEEvNS_4cuda6detail10TensorInfoIKT_T0_EEjPjjS8_iijT1_PSB_Ps.kd
    .uniform_work_group_size: 1
    .uses_dynamic_stack: false
    .vgpr_count:     10
    .vgpr_spill_count: 0
    .wavefront_size: 32
  - .args:
      - .offset:         0
        .size:           216
        .value_kind:     by_value
      - .offset:         216
        .size:           4
        .value_kind:     by_value
      - .offset:         220
        .size:           4
        .value_kind:     by_value
      - .offset:         224
        .size:           1
        .value_kind:     by_value
      - .offset:         228
        .size:           4
        .value_kind:     by_value
      - .offset:         232
        .size:           4
        .value_kind:     by_value
      - .offset:         240
        .size:           216
        .value_kind:     by_value
      - .offset:         456
        .size:           4
        .value_kind:     by_value
      - .offset:         464
        .size:           216
        .value_kind:     by_value
      - .offset:         680
        .size:           4
        .value_kind:     by_value
      - .offset:         684
        .size:           4
        .value_kind:     by_value
      - .offset:         688
        .size:           4
        .value_kind:     by_value
      - .address_space:  global
        .offset:         696
        .size:           8
        .value_kind:     global_buffer
      - .address_space:  global
        .offset:         704
        .size:           8
        .value_kind:     global_buffer
      - .address_space:  global
        .offset:         712
        .size:           8
        .value_kind:     global_buffer
      - .offset:         720
        .size:           4
        .value_kind:     by_value
      - .offset:         728
        .size:           4
        .value_kind:     hidden_block_count_x
      - .offset:         732
        .size:           4
        .value_kind:     hidden_block_count_y
      - .offset:         736
        .size:           4
        .value_kind:     hidden_block_count_z
      - .offset:         740
        .size:           2
        .value_kind:     hidden_group_size_x
      - .offset:         742
        .size:           2
        .value_kind:     hidden_group_size_y
      - .offset:         744
        .size:           2
        .value_kind:     hidden_group_size_z
      - .offset:         746
        .size:           2
        .value_kind:     hidden_remainder_x
      - .offset:         748
        .size:           2
        .value_kind:     hidden_remainder_y
      - .offset:         750
        .size:           2
        .value_kind:     hidden_remainder_z
      - .offset:         768
        .size:           8
        .value_kind:     hidden_global_offset_x
      - .offset:         776
        .size:           8
        .value_kind:     hidden_global_offset_y
      - .offset:         784
        .size:           8
        .value_kind:     hidden_global_offset_z
      - .offset:         792
        .size:           2
        .value_kind:     hidden_grid_dims
    .group_segment_fixed_size: 1068
    .kernarg_segment_align: 8
    .kernarg_segment_size: 984
    .language:       OpenCL C
    .language_version:
      - 2
      - 0
    .max_flat_workgroup_size: 256
    .name:           _ZN2at6native6mbtopk10gatherTopKIijLin1EEEvNS_4cuda6detail10TensorInfoIKT_T0_EES8_S8_bjS8_NS5_IS6_S8_EES8_NS5_IlS8_EES8_jjPS6_PjSD_j
    .private_segment_fixed_size: 0
    .sgpr_count:     39
    .sgpr_spill_count: 0
    .symbol:         _ZN2at6native6mbtopk10gatherTopKIijLin1EEEvNS_4cuda6detail10TensorInfoIKT_T0_EES8_S8_bjS8_NS5_IS6_S8_EES8_NS5_IlS8_EES8_jjPS6_PjSD_j.kd
    .uniform_work_group_size: 1
    .uses_dynamic_stack: false
    .vgpr_count:     24
    .vgpr_spill_count: 0
    .wavefront_size: 32
  - .args:
      - .offset:         0
        .size:           216
        .value_kind:     by_value
      - .offset:         216
        .size:           4
        .value_kind:     by_value
      - .offset:         220
        .size:           4
        .value_kind:     by_value
      - .offset:         224
        .size:           1
        .value_kind:     by_value
      - .offset:         228
        .size:           4
        .value_kind:     by_value
      - .offset:         232
        .size:           4
        .value_kind:     by_value
      - .offset:         240
        .size:           216
        .value_kind:     by_value
      - .offset:         456
        .size:           4
        .value_kind:     by_value
      - .offset:         464
        .size:           216
        .value_kind:     by_value
      - .offset:         680
        .size:           4
        .value_kind:     by_value
      - .address_space:  global
        .offset:         688
        .size:           8
        .value_kind:     global_buffer
      - .offset:         696
        .size:           4
        .value_kind:     hidden_block_count_x
      - .offset:         700
        .size:           4
        .value_kind:     hidden_block_count_y
      - .offset:         704
        .size:           4
        .value_kind:     hidden_block_count_z
      - .offset:         708
        .size:           2
        .value_kind:     hidden_group_size_x
      - .offset:         710
        .size:           2
        .value_kind:     hidden_group_size_y
      - .offset:         712
        .size:           2
        .value_kind:     hidden_group_size_z
      - .offset:         714
        .size:           2
        .value_kind:     hidden_remainder_x
      - .offset:         716
        .size:           2
        .value_kind:     hidden_remainder_y
      - .offset:         718
        .size:           2
        .value_kind:     hidden_remainder_z
      - .offset:         736
        .size:           8
        .value_kind:     hidden_global_offset_x
      - .offset:         744
        .size:           8
        .value_kind:     hidden_global_offset_y
      - .offset:         752
        .size:           8
        .value_kind:     hidden_global_offset_z
      - .offset:         760
        .size:           2
        .value_kind:     hidden_grid_dims
    .group_segment_fixed_size: 4112
    .kernarg_segment_align: 8
    .kernarg_segment_size: 952
    .language:       OpenCL C
    .language_version:
      - 2
      - 0
    .max_flat_workgroup_size: 1024
    .name:           _ZN2at6native6sbtopk10gatherTopKIijLin1ELb0EEEvNS_4cuda6detail10TensorInfoIKT_T0_EES8_S8_bS8_S8_NS5_IS6_S8_EES8_NS5_IlS8_EES8_PS6_
    .private_segment_fixed_size: 0
    .sgpr_count:     106
    .sgpr_spill_count: 0
    .symbol:         _ZN2at6native6sbtopk10gatherTopKIijLin1ELb0EEEvNS_4cuda6detail10TensorInfoIKT_T0_EES8_S8_bS8_S8_NS5_IS6_S8_EES8_NS5_IlS8_EES8_PS6_.kd
    .uniform_work_group_size: 1
    .uses_dynamic_stack: false
    .vgpr_count:     64
    .vgpr_spill_count: 0
    .wavefront_size: 32
  - .args:
      - .offset:         0
        .size:           216
        .value_kind:     by_value
      - .offset:         216
        .size:           4
        .value_kind:     by_value
      - .address_space:  global
        .offset:         224
        .size:           8
        .value_kind:     global_buffer
      - .offset:         232
        .size:           4
        .value_kind:     by_value
      - .offset:         236
        .size:           4
        .value_kind:     by_value
      - .offset:         240
        .size:           4
        .value_kind:     by_value
      - .offset:         244
        .size:           4
        .value_kind:     by_value
      - .offset:         248
        .size:           4
        .value_kind:     by_value
      - .offset:         256
        .size:           8
        .value_kind:     by_value
      - .address_space:  global
        .offset:         264
        .size:           8
        .value_kind:     global_buffer
      - .address_space:  global
        .offset:         272
        .size:           8
        .value_kind:     global_buffer
      - .offset:         280
        .size:           4
        .value_kind:     hidden_block_count_x
      - .offset:         284
        .size:           4
        .value_kind:     hidden_block_count_y
      - .offset:         288
        .size:           4
        .value_kind:     hidden_block_count_z
      - .offset:         292
        .size:           2
        .value_kind:     hidden_group_size_x
      - .offset:         294
        .size:           2
        .value_kind:     hidden_group_size_y
      - .offset:         296
        .size:           2
        .value_kind:     hidden_group_size_z
      - .offset:         298
        .size:           2
        .value_kind:     hidden_remainder_x
      - .offset:         300
        .size:           2
        .value_kind:     hidden_remainder_y
      - .offset:         302
        .size:           2
        .value_kind:     hidden_remainder_z
      - .offset:         320
        .size:           8
        .value_kind:     hidden_global_offset_x
      - .offset:         328
        .size:           8
        .value_kind:     hidden_global_offset_y
      - .offset:         336
        .size:           8
        .value_kind:     hidden_global_offset_z
      - .offset:         344
        .size:           2
        .value_kind:     hidden_grid_dims
    .group_segment_fixed_size: 1024
    .kernarg_segment_align: 8
    .kernarg_segment_size: 536
    .language:       OpenCL C
    .language_version:
      - 2
      - 0
    .max_flat_workgroup_size: 256
    .name:           _ZN2at6native6mbtopk23computeBlockDigitCountsIljmLi1EEEvNS_4cuda6detail10TensorInfoIKT_T0_EEjPjjS8_iijT1_PSB_Ps
    .private_segment_fixed_size: 0
    .sgpr_count:     24
    .sgpr_spill_count: 0
    .symbol:         _ZN2at6native6mbtopk23computeBlockDigitCountsIljmLi1EEEvNS_4cuda6detail10TensorInfoIKT_T0_EEjPjjS8_iijT1_PSB_Ps.kd
    .uniform_work_group_size: 1
    .uses_dynamic_stack: false
    .vgpr_count:     13
    .vgpr_spill_count: 0
    .wavefront_size: 32
  - .args:
      - .address_space:  global
        .offset:         0
        .size:           8
        .value_kind:     global_buffer
      - .address_space:  global
        .offset:         8
        .size:           8
        .value_kind:     global_buffer
      - .address_space:  global
        .offset:         16
        .size:           8
        .value_kind:     global_buffer
      - .offset:         24
        .size:           4
        .value_kind:     by_value
      - .offset:         28
        .size:           4
        .value_kind:     by_value
      - .offset:         32
        .size:           1
        .value_kind:     by_value
      - .address_space:  global
        .offset:         40
        .size:           8
        .value_kind:     global_buffer
      - .address_space:  global
        .offset:         48
        .size:           8
        .value_kind:     global_buffer
      - .address_space:  global
        .offset:         56
        .size:           8
        .value_kind:     global_buffer
      - .address_space:  global
        .offset:         64
        .size:           8
        .value_kind:     global_buffer
      - .address_space:  global
        .offset:         72
        .size:           8
        .value_kind:     global_buffer
      - .offset:         80
        .size:           4
        .value_kind:     by_value
      - .offset:         88
        .size:           4
        .value_kind:     hidden_block_count_x
      - .offset:         92
        .size:           4
        .value_kind:     hidden_block_count_y
      - .offset:         96
        .size:           4
        .value_kind:     hidden_block_count_z
      - .offset:         100
        .size:           2
        .value_kind:     hidden_group_size_x
      - .offset:         102
        .size:           2
        .value_kind:     hidden_group_size_y
      - .offset:         104
        .size:           2
        .value_kind:     hidden_group_size_z
      - .offset:         106
        .size:           2
        .value_kind:     hidden_remainder_x
      - .offset:         108
        .size:           2
        .value_kind:     hidden_remainder_y
      - .offset:         110
        .size:           2
        .value_kind:     hidden_remainder_z
      - .offset:         128
        .size:           8
        .value_kind:     hidden_global_offset_x
      - .offset:         136
        .size:           8
        .value_kind:     hidden_global_offset_y
      - .offset:         144
        .size:           8
        .value_kind:     hidden_global_offset_z
      - .offset:         152
        .size:           2
        .value_kind:     hidden_grid_dims
    .group_segment_fixed_size: 2120
    .kernarg_segment_align: 8
    .kernarg_segment_size: 344
    .language:       OpenCL C
    .language_version:
      - 2
      - 0
    .max_flat_workgroup_size: 256
    .name:           _ZN2at6native6mbtopk29computeBlockwiseWithinKCountsImlEEvPT_PsPjjibS6_PT0_S6_S4_S6_j
    .private_segment_fixed_size: 0
    .sgpr_count:     29
    .sgpr_spill_count: 0
    .symbol:         _ZN2at6native6mbtopk29computeBlockwiseWithinKCountsImlEEvPT_PsPjjibS6_PT0_S6_S4_S6_j.kd
    .uniform_work_group_size: 1
    .uses_dynamic_stack: false
    .vgpr_count:     16
    .vgpr_spill_count: 0
    .wavefront_size: 32
  - .args:
      - .offset:         0
        .size:           216
        .value_kind:     by_value
      - .offset:         216
        .size:           4
        .value_kind:     by_value
      - .offset:         220
        .size:           4
        .value_kind:     by_value
      - .offset:         224
        .size:           1
        .value_kind:     by_value
      - .offset:         228
        .size:           4
        .value_kind:     by_value
      - .offset:         232
        .size:           4
        .value_kind:     by_value
      - .offset:         240
        .size:           216
        .value_kind:     by_value
      - .offset:         456
        .size:           4
        .value_kind:     by_value
      - .offset:         464
        .size:           216
        .value_kind:     by_value
      - .offset:         680
        .size:           4
        .value_kind:     by_value
      - .offset:         684
        .size:           4
        .value_kind:     by_value
      - .offset:         688
        .size:           4
        .value_kind:     by_value
      - .address_space:  global
        .offset:         696
        .size:           8
        .value_kind:     global_buffer
      - .address_space:  global
        .offset:         704
        .size:           8
        .value_kind:     global_buffer
      - .address_space:  global
        .offset:         712
        .size:           8
        .value_kind:     global_buffer
      - .offset:         720
        .size:           4
        .value_kind:     by_value
      - .offset:         728
        .size:           4
        .value_kind:     hidden_block_count_x
      - .offset:         732
        .size:           4
        .value_kind:     hidden_block_count_y
      - .offset:         736
        .size:           4
        .value_kind:     hidden_block_count_z
      - .offset:         740
        .size:           2
        .value_kind:     hidden_group_size_x
      - .offset:         742
        .size:           2
        .value_kind:     hidden_group_size_y
      - .offset:         744
        .size:           2
        .value_kind:     hidden_group_size_z
      - .offset:         746
        .size:           2
        .value_kind:     hidden_remainder_x
      - .offset:         748
        .size:           2
        .value_kind:     hidden_remainder_y
      - .offset:         750
        .size:           2
        .value_kind:     hidden_remainder_z
      - .offset:         768
        .size:           8
        .value_kind:     hidden_global_offset_x
      - .offset:         776
        .size:           8
        .value_kind:     hidden_global_offset_y
      - .offset:         784
        .size:           8
        .value_kind:     hidden_global_offset_z
      - .offset:         792
        .size:           2
        .value_kind:     hidden_grid_dims
    .group_segment_fixed_size: 1068
    .kernarg_segment_align: 8
    .kernarg_segment_size: 984
    .language:       OpenCL C
    .language_version:
      - 2
      - 0
    .max_flat_workgroup_size: 256
    .name:           _ZN2at6native6mbtopk10gatherTopKIljLi1EEEvNS_4cuda6detail10TensorInfoIKT_T0_EES8_S8_bjS8_NS5_IS6_S8_EES8_NS5_IlS8_EES8_jjPS6_PjSD_j
    .private_segment_fixed_size: 0
    .sgpr_count:     32
    .sgpr_spill_count: 0
    .symbol:         _ZN2at6native6mbtopk10gatherTopKIljLi1EEEvNS_4cuda6detail10TensorInfoIKT_T0_EES8_S8_bjS8_NS5_IS6_S8_EES8_NS5_IlS8_EES8_jjPS6_PjSD_j.kd
    .uniform_work_group_size: 1
    .uses_dynamic_stack: false
    .vgpr_count:     26
    .vgpr_spill_count: 0
    .wavefront_size: 32
  - .args:
      - .offset:         0
        .size:           216
        .value_kind:     by_value
      - .offset:         216
        .size:           4
        .value_kind:     by_value
      - .offset:         220
        .size:           4
        .value_kind:     by_value
      - .offset:         224
        .size:           1
        .value_kind:     by_value
      - .offset:         228
        .size:           4
        .value_kind:     by_value
      - .offset:         232
        .size:           4
        .value_kind:     by_value
      - .offset:         240
        .size:           216
        .value_kind:     by_value
      - .offset:         456
        .size:           4
        .value_kind:     by_value
      - .offset:         464
        .size:           216
        .value_kind:     by_value
      - .offset:         680
        .size:           4
        .value_kind:     by_value
      - .address_space:  global
        .offset:         688
        .size:           8
        .value_kind:     global_buffer
      - .offset:         696
        .size:           4
        .value_kind:     hidden_block_count_x
      - .offset:         700
        .size:           4
        .value_kind:     hidden_block_count_y
      - .offset:         704
        .size:           4
        .value_kind:     hidden_block_count_z
      - .offset:         708
        .size:           2
        .value_kind:     hidden_group_size_x
      - .offset:         710
        .size:           2
        .value_kind:     hidden_group_size_y
      - .offset:         712
        .size:           2
        .value_kind:     hidden_group_size_z
      - .offset:         714
        .size:           2
        .value_kind:     hidden_remainder_x
      - .offset:         716
        .size:           2
        .value_kind:     hidden_remainder_y
      - .offset:         718
        .size:           2
        .value_kind:     hidden_remainder_z
      - .offset:         736
        .size:           8
        .value_kind:     hidden_global_offset_x
      - .offset:         744
        .size:           8
        .value_kind:     hidden_global_offset_y
      - .offset:         752
        .size:           8
        .value_kind:     hidden_global_offset_z
      - .offset:         760
        .size:           2
        .value_kind:     hidden_grid_dims
    .group_segment_fixed_size: 4112
    .kernarg_segment_align: 8
    .kernarg_segment_size: 952
    .language:       OpenCL C
    .language_version:
      - 2
      - 0
    .max_flat_workgroup_size: 1024
    .name:           _ZN2at6native6sbtopk10gatherTopKIljLi1ELb0EEEvNS_4cuda6detail10TensorInfoIKT_T0_EES8_S8_bS8_S8_NS5_IS6_S8_EES8_NS5_IlS8_EES8_PS6_
    .private_segment_fixed_size: 0
    .sgpr_count:     101
    .sgpr_spill_count: 0
    .symbol:         _ZN2at6native6sbtopk10gatherTopKIljLi1ELb0EEEvNS_4cuda6detail10TensorInfoIKT_T0_EES8_S8_bS8_S8_NS5_IS6_S8_EES8_NS5_IlS8_EES8_PS6_.kd
    .uniform_work_group_size: 1
    .uses_dynamic_stack: false
    .vgpr_count:     58
    .vgpr_spill_count: 0
    .wavefront_size: 32
  - .args:
      - .offset:         0
        .size:           216
        .value_kind:     by_value
      - .offset:         216
        .size:           4
        .value_kind:     by_value
      - .address_space:  global
        .offset:         224
        .size:           8
        .value_kind:     global_buffer
      - .offset:         232
        .size:           4
        .value_kind:     by_value
      - .offset:         236
        .size:           4
        .value_kind:     by_value
      - .offset:         240
        .size:           4
        .value_kind:     by_value
      - .offset:         244
        .size:           4
        .value_kind:     by_value
      - .offset:         248
        .size:           4
        .value_kind:     by_value
      - .offset:         256
        .size:           8
        .value_kind:     by_value
      - .address_space:  global
        .offset:         264
        .size:           8
        .value_kind:     global_buffer
      - .address_space:  global
        .offset:         272
        .size:           8
        .value_kind:     global_buffer
      - .offset:         280
        .size:           4
        .value_kind:     hidden_block_count_x
      - .offset:         284
        .size:           4
        .value_kind:     hidden_block_count_y
      - .offset:         288
        .size:           4
        .value_kind:     hidden_block_count_z
      - .offset:         292
        .size:           2
        .value_kind:     hidden_group_size_x
      - .offset:         294
        .size:           2
        .value_kind:     hidden_group_size_y
      - .offset:         296
        .size:           2
        .value_kind:     hidden_group_size_z
      - .offset:         298
        .size:           2
        .value_kind:     hidden_remainder_x
      - .offset:         300
        .size:           2
        .value_kind:     hidden_remainder_y
      - .offset:         302
        .size:           2
        .value_kind:     hidden_remainder_z
      - .offset:         320
        .size:           8
        .value_kind:     hidden_global_offset_x
      - .offset:         328
        .size:           8
        .value_kind:     hidden_global_offset_y
      - .offset:         336
        .size:           8
        .value_kind:     hidden_global_offset_z
      - .offset:         344
        .size:           2
        .value_kind:     hidden_grid_dims
    .group_segment_fixed_size: 1024
    .kernarg_segment_align: 8
    .kernarg_segment_size: 536
    .language:       OpenCL C
    .language_version:
      - 2
      - 0
    .max_flat_workgroup_size: 256
    .name:           _ZN2at6native6mbtopk23computeBlockDigitCountsIljmLi2EEEvNS_4cuda6detail10TensorInfoIKT_T0_EEjPjjS8_iijT1_PSB_Ps
    .private_segment_fixed_size: 0
    .sgpr_count:     28
    .sgpr_spill_count: 0
    .symbol:         _ZN2at6native6mbtopk23computeBlockDigitCountsIljmLi2EEEvNS_4cuda6detail10TensorInfoIKT_T0_EEjPjjS8_iijT1_PSB_Ps.kd
    .uniform_work_group_size: 1
    .uses_dynamic_stack: false
    .vgpr_count:     13
    .vgpr_spill_count: 0
    .wavefront_size: 32
  - .args:
      - .offset:         0
        .size:           216
        .value_kind:     by_value
      - .offset:         216
        .size:           4
        .value_kind:     by_value
      - .offset:         220
        .size:           4
        .value_kind:     by_value
      - .offset:         224
        .size:           1
        .value_kind:     by_value
      - .offset:         228
        .size:           4
        .value_kind:     by_value
      - .offset:         232
        .size:           4
        .value_kind:     by_value
      - .offset:         240
        .size:           216
        .value_kind:     by_value
      - .offset:         456
        .size:           4
        .value_kind:     by_value
      - .offset:         464
        .size:           216
        .value_kind:     by_value
      - .offset:         680
        .size:           4
        .value_kind:     by_value
      - .offset:         684
        .size:           4
        .value_kind:     by_value
      - .offset:         688
        .size:           4
        .value_kind:     by_value
      - .address_space:  global
        .offset:         696
        .size:           8
        .value_kind:     global_buffer
      - .address_space:  global
        .offset:         704
        .size:           8
        .value_kind:     global_buffer
      - .address_space:  global
        .offset:         712
        .size:           8
        .value_kind:     global_buffer
      - .offset:         720
        .size:           4
        .value_kind:     by_value
      - .offset:         728
        .size:           4
        .value_kind:     hidden_block_count_x
      - .offset:         732
        .size:           4
        .value_kind:     hidden_block_count_y
      - .offset:         736
        .size:           4
        .value_kind:     hidden_block_count_z
      - .offset:         740
        .size:           2
        .value_kind:     hidden_group_size_x
      - .offset:         742
        .size:           2
        .value_kind:     hidden_group_size_y
      - .offset:         744
        .size:           2
        .value_kind:     hidden_group_size_z
      - .offset:         746
        .size:           2
        .value_kind:     hidden_remainder_x
      - .offset:         748
        .size:           2
        .value_kind:     hidden_remainder_y
      - .offset:         750
        .size:           2
        .value_kind:     hidden_remainder_z
      - .offset:         768
        .size:           8
        .value_kind:     hidden_global_offset_x
      - .offset:         776
        .size:           8
        .value_kind:     hidden_global_offset_y
      - .offset:         784
        .size:           8
        .value_kind:     hidden_global_offset_z
      - .offset:         792
        .size:           2
        .value_kind:     hidden_grid_dims
    .group_segment_fixed_size: 1068
    .kernarg_segment_align: 8
    .kernarg_segment_size: 984
    .language:       OpenCL C
    .language_version:
      - 2
      - 0
    .max_flat_workgroup_size: 256
    .name:           _ZN2at6native6mbtopk10gatherTopKIljLi2EEEvNS_4cuda6detail10TensorInfoIKT_T0_EES8_S8_bjS8_NS5_IS6_S8_EES8_NS5_IlS8_EES8_jjPS6_PjSD_j
    .private_segment_fixed_size: 0
    .sgpr_count:     49
    .sgpr_spill_count: 0
    .symbol:         _ZN2at6native6mbtopk10gatherTopKIljLi2EEEvNS_4cuda6detail10TensorInfoIKT_T0_EES8_S8_bjS8_NS5_IS6_S8_EES8_NS5_IlS8_EES8_jjPS6_PjSD_j.kd
    .uniform_work_group_size: 1
    .uses_dynamic_stack: false
    .vgpr_count:     26
    .vgpr_spill_count: 0
    .wavefront_size: 32
  - .args:
      - .offset:         0
        .size:           216
        .value_kind:     by_value
      - .offset:         216
        .size:           4
        .value_kind:     by_value
      - .offset:         220
        .size:           4
        .value_kind:     by_value
      - .offset:         224
        .size:           1
        .value_kind:     by_value
      - .offset:         228
        .size:           4
        .value_kind:     by_value
      - .offset:         232
        .size:           4
        .value_kind:     by_value
      - .offset:         240
        .size:           216
        .value_kind:     by_value
      - .offset:         456
        .size:           4
        .value_kind:     by_value
      - .offset:         464
        .size:           216
        .value_kind:     by_value
      - .offset:         680
        .size:           4
        .value_kind:     by_value
      - .address_space:  global
        .offset:         688
        .size:           8
        .value_kind:     global_buffer
      - .offset:         696
        .size:           4
        .value_kind:     hidden_block_count_x
      - .offset:         700
        .size:           4
        .value_kind:     hidden_block_count_y
      - .offset:         704
        .size:           4
        .value_kind:     hidden_block_count_z
      - .offset:         708
        .size:           2
        .value_kind:     hidden_group_size_x
      - .offset:         710
        .size:           2
        .value_kind:     hidden_group_size_y
      - .offset:         712
        .size:           2
        .value_kind:     hidden_group_size_z
      - .offset:         714
        .size:           2
        .value_kind:     hidden_remainder_x
      - .offset:         716
        .size:           2
        .value_kind:     hidden_remainder_y
      - .offset:         718
        .size:           2
        .value_kind:     hidden_remainder_z
      - .offset:         736
        .size:           8
        .value_kind:     hidden_global_offset_x
      - .offset:         744
        .size:           8
        .value_kind:     hidden_global_offset_y
      - .offset:         752
        .size:           8
        .value_kind:     hidden_global_offset_z
      - .offset:         760
        .size:           2
        .value_kind:     hidden_grid_dims
    .group_segment_fixed_size: 4112
    .kernarg_segment_align: 8
    .kernarg_segment_size: 952
    .language:       OpenCL C
    .language_version:
      - 2
      - 0
    .max_flat_workgroup_size: 1024
    .name:           _ZN2at6native6sbtopk10gatherTopKIljLi2ELb0EEEvNS_4cuda6detail10TensorInfoIKT_T0_EES8_S8_bS8_S8_NS5_IS6_S8_EES8_NS5_IlS8_EES8_PS6_
    .private_segment_fixed_size: 0
    .sgpr_count:     107
    .sgpr_spill_count: 0
    .symbol:         _ZN2at6native6sbtopk10gatherTopKIljLi2ELb0EEEvNS_4cuda6detail10TensorInfoIKT_T0_EES8_S8_bS8_S8_NS5_IS6_S8_EES8_NS5_IlS8_EES8_PS6_.kd
    .uniform_work_group_size: 1
    .uses_dynamic_stack: false
    .vgpr_count:     58
    .vgpr_spill_count: 0
    .wavefront_size: 32
  - .args:
      - .offset:         0
        .size:           216
        .value_kind:     by_value
      - .offset:         216
        .size:           4
        .value_kind:     by_value
      - .address_space:  global
        .offset:         224
        .size:           8
        .value_kind:     global_buffer
      - .offset:         232
        .size:           4
        .value_kind:     by_value
      - .offset:         236
        .size:           4
        .value_kind:     by_value
      - .offset:         240
        .size:           4
        .value_kind:     by_value
      - .offset:         244
        .size:           4
        .value_kind:     by_value
      - .offset:         248
        .size:           4
        .value_kind:     by_value
      - .offset:         256
        .size:           8
        .value_kind:     by_value
      - .address_space:  global
        .offset:         264
        .size:           8
        .value_kind:     global_buffer
      - .address_space:  global
        .offset:         272
        .size:           8
        .value_kind:     global_buffer
      - .offset:         280
        .size:           4
        .value_kind:     hidden_block_count_x
      - .offset:         284
        .size:           4
        .value_kind:     hidden_block_count_y
      - .offset:         288
        .size:           4
        .value_kind:     hidden_block_count_z
      - .offset:         292
        .size:           2
        .value_kind:     hidden_group_size_x
      - .offset:         294
        .size:           2
        .value_kind:     hidden_group_size_y
      - .offset:         296
        .size:           2
        .value_kind:     hidden_group_size_z
      - .offset:         298
        .size:           2
        .value_kind:     hidden_remainder_x
      - .offset:         300
        .size:           2
        .value_kind:     hidden_remainder_y
      - .offset:         302
        .size:           2
        .value_kind:     hidden_remainder_z
      - .offset:         320
        .size:           8
        .value_kind:     hidden_global_offset_x
      - .offset:         328
        .size:           8
        .value_kind:     hidden_global_offset_y
      - .offset:         336
        .size:           8
        .value_kind:     hidden_global_offset_z
      - .offset:         344
        .size:           2
        .value_kind:     hidden_grid_dims
    .group_segment_fixed_size: 1024
    .kernarg_segment_align: 8
    .kernarg_segment_size: 536
    .language:       OpenCL C
    .language_version:
      - 2
      - 0
    .max_flat_workgroup_size: 256
    .name:           _ZN2at6native6mbtopk23computeBlockDigitCountsIljmLi3EEEvNS_4cuda6detail10TensorInfoIKT_T0_EEjPjjS8_iijT1_PSB_Ps
    .private_segment_fixed_size: 0
    .sgpr_count:     32
    .sgpr_spill_count: 0
    .symbol:         _ZN2at6native6mbtopk23computeBlockDigitCountsIljmLi3EEEvNS_4cuda6detail10TensorInfoIKT_T0_EEjPjjS8_iijT1_PSB_Ps.kd
    .uniform_work_group_size: 1
    .uses_dynamic_stack: false
    .vgpr_count:     13
    .vgpr_spill_count: 0
    .wavefront_size: 32
  - .args:
      - .offset:         0
        .size:           216
        .value_kind:     by_value
      - .offset:         216
        .size:           4
        .value_kind:     by_value
      - .offset:         220
        .size:           4
        .value_kind:     by_value
      - .offset:         224
        .size:           1
        .value_kind:     by_value
      - .offset:         228
        .size:           4
        .value_kind:     by_value
      - .offset:         232
        .size:           4
        .value_kind:     by_value
      - .offset:         240
        .size:           216
        .value_kind:     by_value
      - .offset:         456
        .size:           4
        .value_kind:     by_value
      - .offset:         464
        .size:           216
        .value_kind:     by_value
      - .offset:         680
        .size:           4
        .value_kind:     by_value
      - .offset:         684
        .size:           4
        .value_kind:     by_value
      - .offset:         688
        .size:           4
        .value_kind:     by_value
      - .address_space:  global
        .offset:         696
        .size:           8
        .value_kind:     global_buffer
      - .address_space:  global
        .offset:         704
        .size:           8
        .value_kind:     global_buffer
      - .address_space:  global
        .offset:         712
        .size:           8
        .value_kind:     global_buffer
      - .offset:         720
        .size:           4
        .value_kind:     by_value
      - .offset:         728
        .size:           4
        .value_kind:     hidden_block_count_x
      - .offset:         732
        .size:           4
        .value_kind:     hidden_block_count_y
      - .offset:         736
        .size:           4
        .value_kind:     hidden_block_count_z
      - .offset:         740
        .size:           2
        .value_kind:     hidden_group_size_x
      - .offset:         742
        .size:           2
        .value_kind:     hidden_group_size_y
      - .offset:         744
        .size:           2
        .value_kind:     hidden_group_size_z
      - .offset:         746
        .size:           2
        .value_kind:     hidden_remainder_x
      - .offset:         748
        .size:           2
        .value_kind:     hidden_remainder_y
      - .offset:         750
        .size:           2
        .value_kind:     hidden_remainder_z
      - .offset:         768
        .size:           8
        .value_kind:     hidden_global_offset_x
      - .offset:         776
        .size:           8
        .value_kind:     hidden_global_offset_y
      - .offset:         784
        .size:           8
        .value_kind:     hidden_global_offset_z
      - .offset:         792
        .size:           2
        .value_kind:     hidden_grid_dims
    .group_segment_fixed_size: 1068
    .kernarg_segment_align: 8
    .kernarg_segment_size: 984
    .language:       OpenCL C
    .language_version:
      - 2
      - 0
    .max_flat_workgroup_size: 256
    .name:           _ZN2at6native6mbtopk10gatherTopKIljLi3EEEvNS_4cuda6detail10TensorInfoIKT_T0_EES8_S8_bjS8_NS5_IS6_S8_EES8_NS5_IlS8_EES8_jjPS6_PjSD_j
    .private_segment_fixed_size: 0
    .sgpr_count:     56
    .sgpr_spill_count: 0
    .symbol:         _ZN2at6native6mbtopk10gatherTopKIljLi3EEEvNS_4cuda6detail10TensorInfoIKT_T0_EES8_S8_bjS8_NS5_IS6_S8_EES8_NS5_IlS8_EES8_jjPS6_PjSD_j.kd
    .uniform_work_group_size: 1
    .uses_dynamic_stack: false
    .vgpr_count:     26
    .vgpr_spill_count: 0
    .wavefront_size: 32
  - .args:
      - .offset:         0
        .size:           216
        .value_kind:     by_value
      - .offset:         216
        .size:           4
        .value_kind:     by_value
      - .offset:         220
        .size:           4
        .value_kind:     by_value
      - .offset:         224
        .size:           1
        .value_kind:     by_value
      - .offset:         228
        .size:           4
        .value_kind:     by_value
      - .offset:         232
        .size:           4
        .value_kind:     by_value
      - .offset:         240
        .size:           216
        .value_kind:     by_value
      - .offset:         456
        .size:           4
        .value_kind:     by_value
      - .offset:         464
        .size:           216
        .value_kind:     by_value
      - .offset:         680
        .size:           4
        .value_kind:     by_value
      - .address_space:  global
        .offset:         688
        .size:           8
        .value_kind:     global_buffer
      - .offset:         696
        .size:           4
        .value_kind:     hidden_block_count_x
      - .offset:         700
        .size:           4
        .value_kind:     hidden_block_count_y
      - .offset:         704
        .size:           4
        .value_kind:     hidden_block_count_z
      - .offset:         708
        .size:           2
        .value_kind:     hidden_group_size_x
      - .offset:         710
        .size:           2
        .value_kind:     hidden_group_size_y
      - .offset:         712
        .size:           2
        .value_kind:     hidden_group_size_z
      - .offset:         714
        .size:           2
        .value_kind:     hidden_remainder_x
      - .offset:         716
        .size:           2
        .value_kind:     hidden_remainder_y
      - .offset:         718
        .size:           2
        .value_kind:     hidden_remainder_z
      - .offset:         736
        .size:           8
        .value_kind:     hidden_global_offset_x
      - .offset:         744
        .size:           8
        .value_kind:     hidden_global_offset_y
      - .offset:         752
        .size:           8
        .value_kind:     hidden_global_offset_z
      - .offset:         760
        .size:           2
        .value_kind:     hidden_grid_dims
    .group_segment_fixed_size: 4112
    .kernarg_segment_align: 8
    .kernarg_segment_size: 952
    .language:       OpenCL C
    .language_version:
      - 2
      - 0
    .max_flat_workgroup_size: 1024
    .name:           _ZN2at6native6sbtopk10gatherTopKIljLi3ELb0EEEvNS_4cuda6detail10TensorInfoIKT_T0_EES8_S8_bS8_S8_NS5_IS6_S8_EES8_NS5_IlS8_EES8_PS6_
    .private_segment_fixed_size: 0
    .sgpr_count:     107
    .sgpr_spill_count: 2
    .symbol:         _ZN2at6native6sbtopk10gatherTopKIljLi3ELb0EEEvNS_4cuda6detail10TensorInfoIKT_T0_EES8_S8_bS8_S8_NS5_IS6_S8_EES8_NS5_IlS8_EES8_PS6_.kd
    .uniform_work_group_size: 1
    .uses_dynamic_stack: false
    .vgpr_count:     59
    .vgpr_spill_count: 0
    .wavefront_size: 32
  - .args:
      - .offset:         0
        .size:           216
        .value_kind:     by_value
      - .offset:         216
        .size:           4
        .value_kind:     by_value
      - .address_space:  global
        .offset:         224
        .size:           8
        .value_kind:     global_buffer
      - .offset:         232
        .size:           4
        .value_kind:     by_value
      - .offset:         236
        .size:           4
        .value_kind:     by_value
      - .offset:         240
        .size:           4
        .value_kind:     by_value
      - .offset:         244
        .size:           4
        .value_kind:     by_value
      - .offset:         248
        .size:           4
        .value_kind:     by_value
      - .offset:         256
        .size:           8
        .value_kind:     by_value
      - .address_space:  global
        .offset:         264
        .size:           8
        .value_kind:     global_buffer
      - .address_space:  global
        .offset:         272
        .size:           8
        .value_kind:     global_buffer
      - .offset:         280
        .size:           4
        .value_kind:     hidden_block_count_x
      - .offset:         284
        .size:           4
        .value_kind:     hidden_block_count_y
      - .offset:         288
        .size:           4
        .value_kind:     hidden_block_count_z
      - .offset:         292
        .size:           2
        .value_kind:     hidden_group_size_x
      - .offset:         294
        .size:           2
        .value_kind:     hidden_group_size_y
      - .offset:         296
        .size:           2
        .value_kind:     hidden_group_size_z
      - .offset:         298
        .size:           2
        .value_kind:     hidden_remainder_x
      - .offset:         300
        .size:           2
        .value_kind:     hidden_remainder_y
      - .offset:         302
        .size:           2
        .value_kind:     hidden_remainder_z
      - .offset:         320
        .size:           8
        .value_kind:     hidden_global_offset_x
      - .offset:         328
        .size:           8
        .value_kind:     hidden_global_offset_y
      - .offset:         336
        .size:           8
        .value_kind:     hidden_global_offset_z
      - .offset:         344
        .size:           2
        .value_kind:     hidden_grid_dims
    .group_segment_fixed_size: 1024
    .kernarg_segment_align: 8
    .kernarg_segment_size: 536
    .language:       OpenCL C
    .language_version:
      - 2
      - 0
    .max_flat_workgroup_size: 256
    .name:           _ZN2at6native6mbtopk23computeBlockDigitCountsIljmLin1EEEvNS_4cuda6detail10TensorInfoIKT_T0_EEjPjjS8_iijT1_PSB_Ps
    .private_segment_fixed_size: 0
    .sgpr_count:     27
    .sgpr_spill_count: 0
    .symbol:         _ZN2at6native6mbtopk23computeBlockDigitCountsIljmLin1EEEvNS_4cuda6detail10TensorInfoIKT_T0_EEjPjjS8_iijT1_PSB_Ps.kd
    .uniform_work_group_size: 1
    .uses_dynamic_stack: false
    .vgpr_count:     13
    .vgpr_spill_count: 0
    .wavefront_size: 32
  - .args:
      - .offset:         0
        .size:           216
        .value_kind:     by_value
      - .offset:         216
        .size:           4
        .value_kind:     by_value
      - .offset:         220
        .size:           4
        .value_kind:     by_value
      - .offset:         224
        .size:           1
        .value_kind:     by_value
      - .offset:         228
        .size:           4
        .value_kind:     by_value
      - .offset:         232
        .size:           4
        .value_kind:     by_value
      - .offset:         240
        .size:           216
        .value_kind:     by_value
      - .offset:         456
        .size:           4
        .value_kind:     by_value
      - .offset:         464
        .size:           216
        .value_kind:     by_value
      - .offset:         680
        .size:           4
        .value_kind:     by_value
      - .offset:         684
        .size:           4
        .value_kind:     by_value
      - .offset:         688
        .size:           4
        .value_kind:     by_value
      - .address_space:  global
        .offset:         696
        .size:           8
        .value_kind:     global_buffer
      - .address_space:  global
        .offset:         704
        .size:           8
        .value_kind:     global_buffer
      - .address_space:  global
        .offset:         712
        .size:           8
        .value_kind:     global_buffer
      - .offset:         720
        .size:           4
        .value_kind:     by_value
      - .offset:         728
        .size:           4
        .value_kind:     hidden_block_count_x
      - .offset:         732
        .size:           4
        .value_kind:     hidden_block_count_y
      - .offset:         736
        .size:           4
        .value_kind:     hidden_block_count_z
      - .offset:         740
        .size:           2
        .value_kind:     hidden_group_size_x
      - .offset:         742
        .size:           2
        .value_kind:     hidden_group_size_y
      - .offset:         744
        .size:           2
        .value_kind:     hidden_group_size_z
      - .offset:         746
        .size:           2
        .value_kind:     hidden_remainder_x
      - .offset:         748
        .size:           2
        .value_kind:     hidden_remainder_y
      - .offset:         750
        .size:           2
        .value_kind:     hidden_remainder_z
      - .offset:         768
        .size:           8
        .value_kind:     hidden_global_offset_x
      - .offset:         776
        .size:           8
        .value_kind:     hidden_global_offset_y
      - .offset:         784
        .size:           8
        .value_kind:     hidden_global_offset_z
      - .offset:         792
        .size:           2
        .value_kind:     hidden_grid_dims
    .group_segment_fixed_size: 1068
    .kernarg_segment_align: 8
    .kernarg_segment_size: 984
    .language:       OpenCL C
    .language_version:
      - 2
      - 0
    .max_flat_workgroup_size: 256
    .name:           _ZN2at6native6mbtopk10gatherTopKIljLin1EEEvNS_4cuda6detail10TensorInfoIKT_T0_EES8_S8_bjS8_NS5_IS6_S8_EES8_NS5_IlS8_EES8_jjPS6_PjSD_j
    .private_segment_fixed_size: 0
    .sgpr_count:     40
    .sgpr_spill_count: 0
    .symbol:         _ZN2at6native6mbtopk10gatherTopKIljLin1EEEvNS_4cuda6detail10TensorInfoIKT_T0_EES8_S8_bjS8_NS5_IS6_S8_EES8_NS5_IlS8_EES8_jjPS6_PjSD_j.kd
    .uniform_work_group_size: 1
    .uses_dynamic_stack: false
    .vgpr_count:     26
    .vgpr_spill_count: 0
    .wavefront_size: 32
  - .args:
      - .offset:         0
        .size:           216
        .value_kind:     by_value
      - .offset:         216
        .size:           4
        .value_kind:     by_value
      - .offset:         220
        .size:           4
        .value_kind:     by_value
      - .offset:         224
        .size:           1
        .value_kind:     by_value
      - .offset:         228
        .size:           4
        .value_kind:     by_value
      - .offset:         232
        .size:           4
        .value_kind:     by_value
      - .offset:         240
        .size:           216
        .value_kind:     by_value
      - .offset:         456
        .size:           4
        .value_kind:     by_value
      - .offset:         464
        .size:           216
        .value_kind:     by_value
      - .offset:         680
        .size:           4
        .value_kind:     by_value
      - .address_space:  global
        .offset:         688
        .size:           8
        .value_kind:     global_buffer
      - .offset:         696
        .size:           4
        .value_kind:     hidden_block_count_x
      - .offset:         700
        .size:           4
        .value_kind:     hidden_block_count_y
      - .offset:         704
        .size:           4
        .value_kind:     hidden_block_count_z
      - .offset:         708
        .size:           2
        .value_kind:     hidden_group_size_x
      - .offset:         710
        .size:           2
        .value_kind:     hidden_group_size_y
      - .offset:         712
        .size:           2
        .value_kind:     hidden_group_size_z
      - .offset:         714
        .size:           2
        .value_kind:     hidden_remainder_x
      - .offset:         716
        .size:           2
        .value_kind:     hidden_remainder_y
      - .offset:         718
        .size:           2
        .value_kind:     hidden_remainder_z
      - .offset:         736
        .size:           8
        .value_kind:     hidden_global_offset_x
      - .offset:         744
        .size:           8
        .value_kind:     hidden_global_offset_y
      - .offset:         752
        .size:           8
        .value_kind:     hidden_global_offset_z
      - .offset:         760
        .size:           2
        .value_kind:     hidden_grid_dims
    .group_segment_fixed_size: 4112
    .kernarg_segment_align: 8
    .kernarg_segment_size: 952
    .language:       OpenCL C
    .language_version:
      - 2
      - 0
    .max_flat_workgroup_size: 1024
    .name:           _ZN2at6native6sbtopk10gatherTopKIljLin1ELb0EEEvNS_4cuda6detail10TensorInfoIKT_T0_EES8_S8_bS8_S8_NS5_IS6_S8_EES8_NS5_IlS8_EES8_PS6_
    .private_segment_fixed_size: 0
    .sgpr_count:     104
    .sgpr_spill_count: 0
    .symbol:         _ZN2at6native6sbtopk10gatherTopKIljLin1ELb0EEEvNS_4cuda6detail10TensorInfoIKT_T0_EES8_S8_bS8_S8_NS5_IS6_S8_EES8_NS5_IlS8_EES8_PS6_.kd
    .uniform_work_group_size: 1
    .uses_dynamic_stack: false
    .vgpr_count:     58
    .vgpr_spill_count: 0
    .wavefront_size: 32
  - .args:
      - .offset:         0
        .size:           216
        .value_kind:     by_value
      - .offset:         216
        .size:           4
        .value_kind:     by_value
      - .address_space:  global
        .offset:         224
        .size:           8
        .value_kind:     global_buffer
      - .offset:         232
        .size:           4
        .value_kind:     by_value
      - .offset:         236
        .size:           4
        .value_kind:     by_value
      - .offset:         240
        .size:           4
        .value_kind:     by_value
      - .offset:         244
        .size:           4
        .value_kind:     by_value
      - .offset:         248
        .size:           4
        .value_kind:     by_value
      - .offset:         252
        .size:           4
        .value_kind:     by_value
      - .address_space:  global
        .offset:         256
        .size:           8
        .value_kind:     global_buffer
      - .address_space:  global
        .offset:         264
        .size:           8
        .value_kind:     global_buffer
      - .offset:         272
        .size:           4
        .value_kind:     hidden_block_count_x
      - .offset:         276
        .size:           4
        .value_kind:     hidden_block_count_y
      - .offset:         280
        .size:           4
        .value_kind:     hidden_block_count_z
      - .offset:         284
        .size:           2
        .value_kind:     hidden_group_size_x
      - .offset:         286
        .size:           2
        .value_kind:     hidden_group_size_y
      - .offset:         288
        .size:           2
        .value_kind:     hidden_group_size_z
      - .offset:         290
        .size:           2
        .value_kind:     hidden_remainder_x
      - .offset:         292
        .size:           2
        .value_kind:     hidden_remainder_y
      - .offset:         294
        .size:           2
        .value_kind:     hidden_remainder_z
      - .offset:         312
        .size:           8
        .value_kind:     hidden_global_offset_x
      - .offset:         320
        .size:           8
        .value_kind:     hidden_global_offset_y
      - .offset:         328
        .size:           8
        .value_kind:     hidden_global_offset_z
      - .offset:         336
        .size:           2
        .value_kind:     hidden_grid_dims
    .group_segment_fixed_size: 1024
    .kernarg_segment_align: 8
    .kernarg_segment_size: 528
    .language:       OpenCL C
    .language_version:
      - 2
      - 0
    .max_flat_workgroup_size: 256
    .name:           _ZN2at6native6mbtopk23computeBlockDigitCountsIsjjLi1EEEvNS_4cuda6detail10TensorInfoIKT_T0_EEjPjjS8_iijT1_PSB_Ps
    .private_segment_fixed_size: 0
    .sgpr_count:     22
    .sgpr_spill_count: 0
    .symbol:         _ZN2at6native6mbtopk23computeBlockDigitCountsIsjjLi1EEEvNS_4cuda6detail10TensorInfoIKT_T0_EEjPjjS8_iijT1_PSB_Ps.kd
    .uniform_work_group_size: 1
    .uses_dynamic_stack: false
    .vgpr_count:     10
    .vgpr_spill_count: 0
    .wavefront_size: 32
  - .args:
      - .address_space:  global
        .offset:         0
        .size:           8
        .value_kind:     global_buffer
      - .address_space:  global
        .offset:         8
        .size:           8
        .value_kind:     global_buffer
      - .address_space:  global
        .offset:         16
        .size:           8
        .value_kind:     global_buffer
      - .offset:         24
        .size:           4
        .value_kind:     by_value
      - .offset:         28
        .size:           4
        .value_kind:     by_value
      - .offset:         32
        .size:           1
        .value_kind:     by_value
      - .address_space:  global
        .offset:         40
        .size:           8
        .value_kind:     global_buffer
      - .address_space:  global
        .offset:         48
        .size:           8
        .value_kind:     global_buffer
      - .address_space:  global
        .offset:         56
        .size:           8
        .value_kind:     global_buffer
      - .address_space:  global
        .offset:         64
        .size:           8
        .value_kind:     global_buffer
      - .address_space:  global
        .offset:         72
        .size:           8
        .value_kind:     global_buffer
      - .offset:         80
        .size:           4
        .value_kind:     by_value
      - .offset:         88
        .size:           4
        .value_kind:     hidden_block_count_x
      - .offset:         92
        .size:           4
        .value_kind:     hidden_block_count_y
      - .offset:         96
        .size:           4
        .value_kind:     hidden_block_count_z
      - .offset:         100
        .size:           2
        .value_kind:     hidden_group_size_x
      - .offset:         102
        .size:           2
        .value_kind:     hidden_group_size_y
      - .offset:         104
        .size:           2
        .value_kind:     hidden_group_size_z
      - .offset:         106
        .size:           2
        .value_kind:     hidden_remainder_x
      - .offset:         108
        .size:           2
        .value_kind:     hidden_remainder_y
      - .offset:         110
        .size:           2
        .value_kind:     hidden_remainder_z
      - .offset:         128
        .size:           8
        .value_kind:     hidden_global_offset_x
      - .offset:         136
        .size:           8
        .value_kind:     hidden_global_offset_y
      - .offset:         144
        .size:           8
        .value_kind:     hidden_global_offset_z
      - .offset:         152
        .size:           2
        .value_kind:     hidden_grid_dims
    .group_segment_fixed_size: 2116
    .kernarg_segment_align: 8
    .kernarg_segment_size: 344
    .language:       OpenCL C
    .language_version:
      - 2
      - 0
    .max_flat_workgroup_size: 256
    .name:           _ZN2at6native6mbtopk29computeBlockwiseWithinKCountsIjsEEvPT_PsPjjibS6_PT0_S6_S4_S6_j
    .private_segment_fixed_size: 0
    .sgpr_count:     29
    .sgpr_spill_count: 0
    .symbol:         _ZN2at6native6mbtopk29computeBlockwiseWithinKCountsIjsEEvPT_PsPjjibS6_PT0_S6_S4_S6_j.kd
    .uniform_work_group_size: 1
    .uses_dynamic_stack: false
    .vgpr_count:     15
    .vgpr_spill_count: 0
    .wavefront_size: 32
  - .args:
      - .offset:         0
        .size:           216
        .value_kind:     by_value
      - .offset:         216
        .size:           4
        .value_kind:     by_value
      - .offset:         220
        .size:           4
        .value_kind:     by_value
      - .offset:         224
        .size:           1
        .value_kind:     by_value
      - .offset:         228
        .size:           4
        .value_kind:     by_value
      - .offset:         232
        .size:           4
        .value_kind:     by_value
      - .offset:         240
        .size:           216
        .value_kind:     by_value
      - .offset:         456
        .size:           4
        .value_kind:     by_value
      - .offset:         464
        .size:           216
        .value_kind:     by_value
      - .offset:         680
        .size:           4
        .value_kind:     by_value
      - .offset:         684
        .size:           4
        .value_kind:     by_value
      - .offset:         688
        .size:           4
        .value_kind:     by_value
      - .address_space:  global
        .offset:         696
        .size:           8
        .value_kind:     global_buffer
      - .address_space:  global
        .offset:         704
        .size:           8
        .value_kind:     global_buffer
      - .address_space:  global
        .offset:         712
        .size:           8
        .value_kind:     global_buffer
      - .offset:         720
        .size:           4
        .value_kind:     by_value
      - .offset:         728
        .size:           4
        .value_kind:     hidden_block_count_x
      - .offset:         732
        .size:           4
        .value_kind:     hidden_block_count_y
      - .offset:         736
        .size:           4
        .value_kind:     hidden_block_count_z
      - .offset:         740
        .size:           2
        .value_kind:     hidden_group_size_x
      - .offset:         742
        .size:           2
        .value_kind:     hidden_group_size_y
      - .offset:         744
        .size:           2
        .value_kind:     hidden_group_size_z
      - .offset:         746
        .size:           2
        .value_kind:     hidden_remainder_x
      - .offset:         748
        .size:           2
        .value_kind:     hidden_remainder_y
      - .offset:         750
        .size:           2
        .value_kind:     hidden_remainder_z
      - .offset:         768
        .size:           8
        .value_kind:     hidden_global_offset_x
      - .offset:         776
        .size:           8
        .value_kind:     hidden_global_offset_y
      - .offset:         784
        .size:           8
        .value_kind:     hidden_global_offset_z
      - .offset:         792
        .size:           2
        .value_kind:     hidden_grid_dims
    .group_segment_fixed_size: 1068
    .kernarg_segment_align: 8
    .kernarg_segment_size: 984
    .language:       OpenCL C
    .language_version:
      - 2
      - 0
    .max_flat_workgroup_size: 256
    .name:           _ZN2at6native6mbtopk10gatherTopKIsjLi1EEEvNS_4cuda6detail10TensorInfoIKT_T0_EES8_S8_bjS8_NS5_IS6_S8_EES8_NS5_IlS8_EES8_jjPS6_PjSD_j
    .private_segment_fixed_size: 0
    .sgpr_count:     30
    .sgpr_spill_count: 0
    .symbol:         _ZN2at6native6mbtopk10gatherTopKIsjLi1EEEvNS_4cuda6detail10TensorInfoIKT_T0_EES8_S8_bjS8_NS5_IS6_S8_EES8_NS5_IlS8_EES8_jjPS6_PjSD_j.kd
    .uniform_work_group_size: 1
    .uses_dynamic_stack: false
    .vgpr_count:     26
    .vgpr_spill_count: 0
    .wavefront_size: 32
  - .args:
      - .offset:         0
        .size:           216
        .value_kind:     by_value
      - .offset:         216
        .size:           4
        .value_kind:     by_value
      - .offset:         220
        .size:           4
        .value_kind:     by_value
      - .offset:         224
        .size:           1
        .value_kind:     by_value
      - .offset:         228
        .size:           4
        .value_kind:     by_value
      - .offset:         232
        .size:           4
        .value_kind:     by_value
      - .offset:         240
        .size:           216
        .value_kind:     by_value
      - .offset:         456
        .size:           4
        .value_kind:     by_value
      - .offset:         464
        .size:           216
        .value_kind:     by_value
      - .offset:         680
        .size:           4
        .value_kind:     by_value
      - .address_space:  global
        .offset:         688
        .size:           8
        .value_kind:     global_buffer
      - .offset:         696
        .size:           4
        .value_kind:     hidden_block_count_x
      - .offset:         700
        .size:           4
        .value_kind:     hidden_block_count_y
      - .offset:         704
        .size:           4
        .value_kind:     hidden_block_count_z
      - .offset:         708
        .size:           2
        .value_kind:     hidden_group_size_x
      - .offset:         710
        .size:           2
        .value_kind:     hidden_group_size_y
      - .offset:         712
        .size:           2
        .value_kind:     hidden_group_size_z
      - .offset:         714
        .size:           2
        .value_kind:     hidden_remainder_x
      - .offset:         716
        .size:           2
        .value_kind:     hidden_remainder_y
      - .offset:         718
        .size:           2
        .value_kind:     hidden_remainder_z
      - .offset:         736
        .size:           8
        .value_kind:     hidden_global_offset_x
      - .offset:         744
        .size:           8
        .value_kind:     hidden_global_offset_y
      - .offset:         752
        .size:           8
        .value_kind:     hidden_global_offset_z
      - .offset:         760
        .size:           2
        .value_kind:     hidden_grid_dims
    .group_segment_fixed_size: 4112
    .kernarg_segment_align: 8
    .kernarg_segment_size: 952
    .language:       OpenCL C
    .language_version:
      - 2
      - 0
    .max_flat_workgroup_size: 1024
    .name:           _ZN2at6native6sbtopk10gatherTopKIsjLi1ELb0EEEvNS_4cuda6detail10TensorInfoIKT_T0_EES8_S8_bS8_S8_NS5_IS6_S8_EES8_NS5_IlS8_EES8_PS6_
    .private_segment_fixed_size: 0
    .sgpr_count:     106
    .sgpr_spill_count: 0
    .symbol:         _ZN2at6native6sbtopk10gatherTopKIsjLi1ELb0EEEvNS_4cuda6detail10TensorInfoIKT_T0_EES8_S8_bS8_S8_NS5_IS6_S8_EES8_NS5_IlS8_EES8_PS6_.kd
    .uniform_work_group_size: 1
    .uses_dynamic_stack: false
    .vgpr_count:     65
    .vgpr_spill_count: 0
    .wavefront_size: 32
  - .args:
      - .offset:         0
        .size:           216
        .value_kind:     by_value
      - .offset:         216
        .size:           4
        .value_kind:     by_value
      - .address_space:  global
        .offset:         224
        .size:           8
        .value_kind:     global_buffer
      - .offset:         232
        .size:           4
        .value_kind:     by_value
      - .offset:         236
        .size:           4
        .value_kind:     by_value
      - .offset:         240
        .size:           4
        .value_kind:     by_value
      - .offset:         244
        .size:           4
        .value_kind:     by_value
      - .offset:         248
        .size:           4
        .value_kind:     by_value
      - .offset:         252
        .size:           4
        .value_kind:     by_value
      - .address_space:  global
        .offset:         256
        .size:           8
        .value_kind:     global_buffer
      - .address_space:  global
        .offset:         264
        .size:           8
        .value_kind:     global_buffer
      - .offset:         272
        .size:           4
        .value_kind:     hidden_block_count_x
      - .offset:         276
        .size:           4
        .value_kind:     hidden_block_count_y
      - .offset:         280
        .size:           4
        .value_kind:     hidden_block_count_z
      - .offset:         284
        .size:           2
        .value_kind:     hidden_group_size_x
      - .offset:         286
        .size:           2
        .value_kind:     hidden_group_size_y
      - .offset:         288
        .size:           2
        .value_kind:     hidden_group_size_z
      - .offset:         290
        .size:           2
        .value_kind:     hidden_remainder_x
      - .offset:         292
        .size:           2
        .value_kind:     hidden_remainder_y
      - .offset:         294
        .size:           2
        .value_kind:     hidden_remainder_z
      - .offset:         312
        .size:           8
        .value_kind:     hidden_global_offset_x
      - .offset:         320
        .size:           8
        .value_kind:     hidden_global_offset_y
      - .offset:         328
        .size:           8
        .value_kind:     hidden_global_offset_z
      - .offset:         336
        .size:           2
        .value_kind:     hidden_grid_dims
    .group_segment_fixed_size: 1024
    .kernarg_segment_align: 8
    .kernarg_segment_size: 528
    .language:       OpenCL C
    .language_version:
      - 2
      - 0
    .max_flat_workgroup_size: 256
    .name:           _ZN2at6native6mbtopk23computeBlockDigitCountsIsjjLi2EEEvNS_4cuda6detail10TensorInfoIKT_T0_EEjPjjS8_iijT1_PSB_Ps
    .private_segment_fixed_size: 0
    .sgpr_count:     28
    .sgpr_spill_count: 0
    .symbol:         _ZN2at6native6mbtopk23computeBlockDigitCountsIsjjLi2EEEvNS_4cuda6detail10TensorInfoIKT_T0_EEjPjjS8_iijT1_PSB_Ps.kd
    .uniform_work_group_size: 1
    .uses_dynamic_stack: false
    .vgpr_count:     10
    .vgpr_spill_count: 0
    .wavefront_size: 32
  - .args:
      - .offset:         0
        .size:           216
        .value_kind:     by_value
      - .offset:         216
        .size:           4
        .value_kind:     by_value
      - .offset:         220
        .size:           4
        .value_kind:     by_value
      - .offset:         224
        .size:           1
        .value_kind:     by_value
      - .offset:         228
        .size:           4
        .value_kind:     by_value
      - .offset:         232
        .size:           4
        .value_kind:     by_value
      - .offset:         240
        .size:           216
        .value_kind:     by_value
      - .offset:         456
        .size:           4
        .value_kind:     by_value
      - .offset:         464
        .size:           216
        .value_kind:     by_value
      - .offset:         680
        .size:           4
        .value_kind:     by_value
      - .offset:         684
        .size:           4
        .value_kind:     by_value
      - .offset:         688
        .size:           4
        .value_kind:     by_value
      - .address_space:  global
        .offset:         696
        .size:           8
        .value_kind:     global_buffer
      - .address_space:  global
        .offset:         704
        .size:           8
        .value_kind:     global_buffer
      - .address_space:  global
        .offset:         712
        .size:           8
        .value_kind:     global_buffer
      - .offset:         720
        .size:           4
        .value_kind:     by_value
      - .offset:         728
        .size:           4
        .value_kind:     hidden_block_count_x
      - .offset:         732
        .size:           4
        .value_kind:     hidden_block_count_y
      - .offset:         736
        .size:           4
        .value_kind:     hidden_block_count_z
      - .offset:         740
        .size:           2
        .value_kind:     hidden_group_size_x
      - .offset:         742
        .size:           2
        .value_kind:     hidden_group_size_y
      - .offset:         744
        .size:           2
        .value_kind:     hidden_group_size_z
      - .offset:         746
        .size:           2
        .value_kind:     hidden_remainder_x
      - .offset:         748
        .size:           2
        .value_kind:     hidden_remainder_y
      - .offset:         750
        .size:           2
        .value_kind:     hidden_remainder_z
      - .offset:         768
        .size:           8
        .value_kind:     hidden_global_offset_x
      - .offset:         776
        .size:           8
        .value_kind:     hidden_global_offset_y
      - .offset:         784
        .size:           8
        .value_kind:     hidden_global_offset_z
      - .offset:         792
        .size:           2
        .value_kind:     hidden_grid_dims
    .group_segment_fixed_size: 1068
    .kernarg_segment_align: 8
    .kernarg_segment_size: 984
    .language:       OpenCL C
    .language_version:
      - 2
      - 0
    .max_flat_workgroup_size: 256
    .name:           _ZN2at6native6mbtopk10gatherTopKIsjLi2EEEvNS_4cuda6detail10TensorInfoIKT_T0_EES8_S8_bjS8_NS5_IS6_S8_EES8_NS5_IlS8_EES8_jjPS6_PjSD_j
    .private_segment_fixed_size: 0
    .sgpr_count:     47
    .sgpr_spill_count: 0
    .symbol:         _ZN2at6native6mbtopk10gatherTopKIsjLi2EEEvNS_4cuda6detail10TensorInfoIKT_T0_EES8_S8_bjS8_NS5_IS6_S8_EES8_NS5_IlS8_EES8_jjPS6_PjSD_j.kd
    .uniform_work_group_size: 1
    .uses_dynamic_stack: false
    .vgpr_count:     26
    .vgpr_spill_count: 0
    .wavefront_size: 32
  - .args:
      - .offset:         0
        .size:           216
        .value_kind:     by_value
      - .offset:         216
        .size:           4
        .value_kind:     by_value
      - .offset:         220
        .size:           4
        .value_kind:     by_value
      - .offset:         224
        .size:           1
        .value_kind:     by_value
      - .offset:         228
        .size:           4
        .value_kind:     by_value
      - .offset:         232
        .size:           4
        .value_kind:     by_value
      - .offset:         240
        .size:           216
        .value_kind:     by_value
      - .offset:         456
        .size:           4
        .value_kind:     by_value
      - .offset:         464
        .size:           216
        .value_kind:     by_value
      - .offset:         680
        .size:           4
        .value_kind:     by_value
      - .address_space:  global
        .offset:         688
        .size:           8
        .value_kind:     global_buffer
      - .offset:         696
        .size:           4
        .value_kind:     hidden_block_count_x
      - .offset:         700
        .size:           4
        .value_kind:     hidden_block_count_y
      - .offset:         704
        .size:           4
        .value_kind:     hidden_block_count_z
      - .offset:         708
        .size:           2
        .value_kind:     hidden_group_size_x
      - .offset:         710
        .size:           2
        .value_kind:     hidden_group_size_y
      - .offset:         712
        .size:           2
        .value_kind:     hidden_group_size_z
      - .offset:         714
        .size:           2
        .value_kind:     hidden_remainder_x
      - .offset:         716
        .size:           2
        .value_kind:     hidden_remainder_y
      - .offset:         718
        .size:           2
        .value_kind:     hidden_remainder_z
      - .offset:         736
        .size:           8
        .value_kind:     hidden_global_offset_x
      - .offset:         744
        .size:           8
        .value_kind:     hidden_global_offset_y
      - .offset:         752
        .size:           8
        .value_kind:     hidden_global_offset_z
      - .offset:         760
        .size:           2
        .value_kind:     hidden_grid_dims
    .group_segment_fixed_size: 4112
    .kernarg_segment_align: 8
    .kernarg_segment_size: 952
    .language:       OpenCL C
    .language_version:
      - 2
      - 0
    .max_flat_workgroup_size: 1024
    .name:           _ZN2at6native6sbtopk10gatherTopKIsjLi2ELb0EEEvNS_4cuda6detail10TensorInfoIKT_T0_EES8_S8_bS8_S8_NS5_IS6_S8_EES8_NS5_IlS8_EES8_PS6_
    .private_segment_fixed_size: 0
    .sgpr_count:     107
    .sgpr_spill_count: 0
    .symbol:         _ZN2at6native6sbtopk10gatherTopKIsjLi2ELb0EEEvNS_4cuda6detail10TensorInfoIKT_T0_EES8_S8_bS8_S8_NS5_IS6_S8_EES8_NS5_IlS8_EES8_PS6_.kd
    .uniform_work_group_size: 1
    .uses_dynamic_stack: false
    .vgpr_count:     71
    .vgpr_spill_count: 0
    .wavefront_size: 32
  - .args:
      - .offset:         0
        .size:           216
        .value_kind:     by_value
      - .offset:         216
        .size:           4
        .value_kind:     by_value
      - .address_space:  global
        .offset:         224
        .size:           8
        .value_kind:     global_buffer
      - .offset:         232
        .size:           4
        .value_kind:     by_value
      - .offset:         236
        .size:           4
        .value_kind:     by_value
      - .offset:         240
        .size:           4
        .value_kind:     by_value
      - .offset:         244
        .size:           4
        .value_kind:     by_value
      - .offset:         248
        .size:           4
        .value_kind:     by_value
      - .offset:         252
        .size:           4
        .value_kind:     by_value
      - .address_space:  global
        .offset:         256
        .size:           8
        .value_kind:     global_buffer
      - .address_space:  global
        .offset:         264
        .size:           8
        .value_kind:     global_buffer
      - .offset:         272
        .size:           4
        .value_kind:     hidden_block_count_x
      - .offset:         276
        .size:           4
        .value_kind:     hidden_block_count_y
      - .offset:         280
        .size:           4
        .value_kind:     hidden_block_count_z
      - .offset:         284
        .size:           2
        .value_kind:     hidden_group_size_x
      - .offset:         286
        .size:           2
        .value_kind:     hidden_group_size_y
      - .offset:         288
        .size:           2
        .value_kind:     hidden_group_size_z
      - .offset:         290
        .size:           2
        .value_kind:     hidden_remainder_x
      - .offset:         292
        .size:           2
        .value_kind:     hidden_remainder_y
      - .offset:         294
        .size:           2
        .value_kind:     hidden_remainder_z
      - .offset:         312
        .size:           8
        .value_kind:     hidden_global_offset_x
      - .offset:         320
        .size:           8
        .value_kind:     hidden_global_offset_y
      - .offset:         328
        .size:           8
        .value_kind:     hidden_global_offset_z
      - .offset:         336
        .size:           2
        .value_kind:     hidden_grid_dims
    .group_segment_fixed_size: 1024
    .kernarg_segment_align: 8
    .kernarg_segment_size: 528
    .language:       OpenCL C
    .language_version:
      - 2
      - 0
    .max_flat_workgroup_size: 256
    .name:           _ZN2at6native6mbtopk23computeBlockDigitCountsIsjjLi3EEEvNS_4cuda6detail10TensorInfoIKT_T0_EEjPjjS8_iijT1_PSB_Ps
    .private_segment_fixed_size: 0
    .sgpr_count:     32
    .sgpr_spill_count: 0
    .symbol:         _ZN2at6native6mbtopk23computeBlockDigitCountsIsjjLi3EEEvNS_4cuda6detail10TensorInfoIKT_T0_EEjPjjS8_iijT1_PSB_Ps.kd
    .uniform_work_group_size: 1
    .uses_dynamic_stack: false
    .vgpr_count:     10
    .vgpr_spill_count: 0
    .wavefront_size: 32
  - .args:
      - .offset:         0
        .size:           216
        .value_kind:     by_value
      - .offset:         216
        .size:           4
        .value_kind:     by_value
      - .offset:         220
        .size:           4
        .value_kind:     by_value
      - .offset:         224
        .size:           1
        .value_kind:     by_value
      - .offset:         228
        .size:           4
        .value_kind:     by_value
      - .offset:         232
        .size:           4
        .value_kind:     by_value
      - .offset:         240
        .size:           216
        .value_kind:     by_value
      - .offset:         456
        .size:           4
        .value_kind:     by_value
      - .offset:         464
        .size:           216
        .value_kind:     by_value
      - .offset:         680
        .size:           4
        .value_kind:     by_value
      - .offset:         684
        .size:           4
        .value_kind:     by_value
      - .offset:         688
        .size:           4
        .value_kind:     by_value
      - .address_space:  global
        .offset:         696
        .size:           8
        .value_kind:     global_buffer
      - .address_space:  global
        .offset:         704
        .size:           8
        .value_kind:     global_buffer
      - .address_space:  global
        .offset:         712
        .size:           8
        .value_kind:     global_buffer
      - .offset:         720
        .size:           4
        .value_kind:     by_value
      - .offset:         728
        .size:           4
        .value_kind:     hidden_block_count_x
      - .offset:         732
        .size:           4
        .value_kind:     hidden_block_count_y
      - .offset:         736
        .size:           4
        .value_kind:     hidden_block_count_z
      - .offset:         740
        .size:           2
        .value_kind:     hidden_group_size_x
      - .offset:         742
        .size:           2
        .value_kind:     hidden_group_size_y
      - .offset:         744
        .size:           2
        .value_kind:     hidden_group_size_z
      - .offset:         746
        .size:           2
        .value_kind:     hidden_remainder_x
      - .offset:         748
        .size:           2
        .value_kind:     hidden_remainder_y
      - .offset:         750
        .size:           2
        .value_kind:     hidden_remainder_z
      - .offset:         768
        .size:           8
        .value_kind:     hidden_global_offset_x
      - .offset:         776
        .size:           8
        .value_kind:     hidden_global_offset_y
      - .offset:         784
        .size:           8
        .value_kind:     hidden_global_offset_z
      - .offset:         792
        .size:           2
        .value_kind:     hidden_grid_dims
    .group_segment_fixed_size: 1068
    .kernarg_segment_align: 8
    .kernarg_segment_size: 984
    .language:       OpenCL C
    .language_version:
      - 2
      - 0
    .max_flat_workgroup_size: 256
    .name:           _ZN2at6native6mbtopk10gatherTopKIsjLi3EEEvNS_4cuda6detail10TensorInfoIKT_T0_EES8_S8_bjS8_NS5_IS6_S8_EES8_NS5_IlS8_EES8_jjPS6_PjSD_j
    .private_segment_fixed_size: 0
    .sgpr_count:     54
    .sgpr_spill_count: 0
    .symbol:         _ZN2at6native6mbtopk10gatherTopKIsjLi3EEEvNS_4cuda6detail10TensorInfoIKT_T0_EES8_S8_bjS8_NS5_IS6_S8_EES8_NS5_IlS8_EES8_jjPS6_PjSD_j.kd
    .uniform_work_group_size: 1
    .uses_dynamic_stack: false
    .vgpr_count:     26
    .vgpr_spill_count: 0
    .wavefront_size: 32
  - .args:
      - .offset:         0
        .size:           216
        .value_kind:     by_value
      - .offset:         216
        .size:           4
        .value_kind:     by_value
      - .offset:         220
        .size:           4
        .value_kind:     by_value
      - .offset:         224
        .size:           1
        .value_kind:     by_value
      - .offset:         228
        .size:           4
        .value_kind:     by_value
      - .offset:         232
        .size:           4
        .value_kind:     by_value
      - .offset:         240
        .size:           216
        .value_kind:     by_value
      - .offset:         456
        .size:           4
        .value_kind:     by_value
      - .offset:         464
        .size:           216
        .value_kind:     by_value
      - .offset:         680
        .size:           4
        .value_kind:     by_value
      - .address_space:  global
        .offset:         688
        .size:           8
        .value_kind:     global_buffer
      - .offset:         696
        .size:           4
        .value_kind:     hidden_block_count_x
      - .offset:         700
        .size:           4
        .value_kind:     hidden_block_count_y
      - .offset:         704
        .size:           4
        .value_kind:     hidden_block_count_z
      - .offset:         708
        .size:           2
        .value_kind:     hidden_group_size_x
      - .offset:         710
        .size:           2
        .value_kind:     hidden_group_size_y
      - .offset:         712
        .size:           2
        .value_kind:     hidden_group_size_z
      - .offset:         714
        .size:           2
        .value_kind:     hidden_remainder_x
      - .offset:         716
        .size:           2
        .value_kind:     hidden_remainder_y
      - .offset:         718
        .size:           2
        .value_kind:     hidden_remainder_z
      - .offset:         736
        .size:           8
        .value_kind:     hidden_global_offset_x
      - .offset:         744
        .size:           8
        .value_kind:     hidden_global_offset_y
      - .offset:         752
        .size:           8
        .value_kind:     hidden_global_offset_z
      - .offset:         760
        .size:           2
        .value_kind:     hidden_grid_dims
    .group_segment_fixed_size: 4112
    .kernarg_segment_align: 8
    .kernarg_segment_size: 952
    .language:       OpenCL C
    .language_version:
      - 2
      - 0
    .max_flat_workgroup_size: 1024
    .name:           _ZN2at6native6sbtopk10gatherTopKIsjLi3ELb0EEEvNS_4cuda6detail10TensorInfoIKT_T0_EES8_S8_bS8_S8_NS5_IS6_S8_EES8_NS5_IlS8_EES8_PS6_
    .private_segment_fixed_size: 0
    .sgpr_count:     107
    .sgpr_spill_count: 7
    .symbol:         _ZN2at6native6sbtopk10gatherTopKIsjLi3ELb0EEEvNS_4cuda6detail10TensorInfoIKT_T0_EES8_S8_bS8_S8_NS5_IS6_S8_EES8_NS5_IlS8_EES8_PS6_.kd
    .uniform_work_group_size: 1
    .uses_dynamic_stack: false
    .vgpr_count:     72
    .vgpr_spill_count: 0
    .wavefront_size: 32
  - .args:
      - .offset:         0
        .size:           216
        .value_kind:     by_value
      - .offset:         216
        .size:           4
        .value_kind:     by_value
      - .address_space:  global
        .offset:         224
        .size:           8
        .value_kind:     global_buffer
      - .offset:         232
        .size:           4
        .value_kind:     by_value
      - .offset:         236
        .size:           4
        .value_kind:     by_value
      - .offset:         240
        .size:           4
        .value_kind:     by_value
      - .offset:         244
        .size:           4
        .value_kind:     by_value
      - .offset:         248
        .size:           4
        .value_kind:     by_value
      - .offset:         252
        .size:           4
        .value_kind:     by_value
      - .address_space:  global
        .offset:         256
        .size:           8
        .value_kind:     global_buffer
      - .address_space:  global
        .offset:         264
        .size:           8
        .value_kind:     global_buffer
      - .offset:         272
        .size:           4
        .value_kind:     hidden_block_count_x
      - .offset:         276
        .size:           4
        .value_kind:     hidden_block_count_y
      - .offset:         280
        .size:           4
        .value_kind:     hidden_block_count_z
      - .offset:         284
        .size:           2
        .value_kind:     hidden_group_size_x
      - .offset:         286
        .size:           2
        .value_kind:     hidden_group_size_y
      - .offset:         288
        .size:           2
        .value_kind:     hidden_group_size_z
      - .offset:         290
        .size:           2
        .value_kind:     hidden_remainder_x
      - .offset:         292
        .size:           2
        .value_kind:     hidden_remainder_y
      - .offset:         294
        .size:           2
        .value_kind:     hidden_remainder_z
      - .offset:         312
        .size:           8
        .value_kind:     hidden_global_offset_x
      - .offset:         320
        .size:           8
        .value_kind:     hidden_global_offset_y
      - .offset:         328
        .size:           8
        .value_kind:     hidden_global_offset_z
      - .offset:         336
        .size:           2
        .value_kind:     hidden_grid_dims
    .group_segment_fixed_size: 1024
    .kernarg_segment_align: 8
    .kernarg_segment_size: 528
    .language:       OpenCL C
    .language_version:
      - 2
      - 0
    .max_flat_workgroup_size: 256
    .name:           _ZN2at6native6mbtopk23computeBlockDigitCountsIsjjLin1EEEvNS_4cuda6detail10TensorInfoIKT_T0_EEjPjjS8_iijT1_PSB_Ps
    .private_segment_fixed_size: 0
    .sgpr_count:     26
    .sgpr_spill_count: 0
    .symbol:         _ZN2at6native6mbtopk23computeBlockDigitCountsIsjjLin1EEEvNS_4cuda6detail10TensorInfoIKT_T0_EEjPjjS8_iijT1_PSB_Ps.kd
    .uniform_work_group_size: 1
    .uses_dynamic_stack: false
    .vgpr_count:     10
    .vgpr_spill_count: 0
    .wavefront_size: 32
  - .args:
      - .offset:         0
        .size:           216
        .value_kind:     by_value
      - .offset:         216
        .size:           4
        .value_kind:     by_value
      - .offset:         220
        .size:           4
        .value_kind:     by_value
      - .offset:         224
        .size:           1
        .value_kind:     by_value
      - .offset:         228
        .size:           4
        .value_kind:     by_value
      - .offset:         232
        .size:           4
        .value_kind:     by_value
      - .offset:         240
        .size:           216
        .value_kind:     by_value
      - .offset:         456
        .size:           4
        .value_kind:     by_value
      - .offset:         464
        .size:           216
        .value_kind:     by_value
      - .offset:         680
        .size:           4
        .value_kind:     by_value
      - .offset:         684
        .size:           4
        .value_kind:     by_value
      - .offset:         688
        .size:           4
        .value_kind:     by_value
      - .address_space:  global
        .offset:         696
        .size:           8
        .value_kind:     global_buffer
      - .address_space:  global
        .offset:         704
        .size:           8
        .value_kind:     global_buffer
      - .address_space:  global
        .offset:         712
        .size:           8
        .value_kind:     global_buffer
      - .offset:         720
        .size:           4
        .value_kind:     by_value
      - .offset:         728
        .size:           4
        .value_kind:     hidden_block_count_x
      - .offset:         732
        .size:           4
        .value_kind:     hidden_block_count_y
      - .offset:         736
        .size:           4
        .value_kind:     hidden_block_count_z
      - .offset:         740
        .size:           2
        .value_kind:     hidden_group_size_x
      - .offset:         742
        .size:           2
        .value_kind:     hidden_group_size_y
      - .offset:         744
        .size:           2
        .value_kind:     hidden_group_size_z
      - .offset:         746
        .size:           2
        .value_kind:     hidden_remainder_x
      - .offset:         748
        .size:           2
        .value_kind:     hidden_remainder_y
      - .offset:         750
        .size:           2
        .value_kind:     hidden_remainder_z
      - .offset:         768
        .size:           8
        .value_kind:     hidden_global_offset_x
      - .offset:         776
        .size:           8
        .value_kind:     hidden_global_offset_y
      - .offset:         784
        .size:           8
        .value_kind:     hidden_global_offset_z
      - .offset:         792
        .size:           2
        .value_kind:     hidden_grid_dims
    .group_segment_fixed_size: 1068
    .kernarg_segment_align: 8
    .kernarg_segment_size: 984
    .language:       OpenCL C
    .language_version:
      - 2
      - 0
    .max_flat_workgroup_size: 256
    .name:           _ZN2at6native6mbtopk10gatherTopKIsjLin1EEEvNS_4cuda6detail10TensorInfoIKT_T0_EES8_S8_bjS8_NS5_IS6_S8_EES8_NS5_IlS8_EES8_jjPS6_PjSD_j
    .private_segment_fixed_size: 0
    .sgpr_count:     38
    .sgpr_spill_count: 0
    .symbol:         _ZN2at6native6mbtopk10gatherTopKIsjLin1EEEvNS_4cuda6detail10TensorInfoIKT_T0_EES8_S8_bjS8_NS5_IS6_S8_EES8_NS5_IlS8_EES8_jjPS6_PjSD_j.kd
    .uniform_work_group_size: 1
    .uses_dynamic_stack: false
    .vgpr_count:     26
    .vgpr_spill_count: 0
    .wavefront_size: 32
  - .args:
      - .offset:         0
        .size:           216
        .value_kind:     by_value
      - .offset:         216
        .size:           4
        .value_kind:     by_value
      - .offset:         220
        .size:           4
        .value_kind:     by_value
      - .offset:         224
        .size:           1
        .value_kind:     by_value
      - .offset:         228
        .size:           4
        .value_kind:     by_value
      - .offset:         232
        .size:           4
        .value_kind:     by_value
      - .offset:         240
        .size:           216
        .value_kind:     by_value
      - .offset:         456
        .size:           4
        .value_kind:     by_value
      - .offset:         464
        .size:           216
        .value_kind:     by_value
      - .offset:         680
        .size:           4
        .value_kind:     by_value
      - .address_space:  global
        .offset:         688
        .size:           8
        .value_kind:     global_buffer
      - .offset:         696
        .size:           4
        .value_kind:     hidden_block_count_x
      - .offset:         700
        .size:           4
        .value_kind:     hidden_block_count_y
      - .offset:         704
        .size:           4
        .value_kind:     hidden_block_count_z
      - .offset:         708
        .size:           2
        .value_kind:     hidden_group_size_x
      - .offset:         710
        .size:           2
        .value_kind:     hidden_group_size_y
      - .offset:         712
        .size:           2
        .value_kind:     hidden_group_size_z
      - .offset:         714
        .size:           2
        .value_kind:     hidden_remainder_x
      - .offset:         716
        .size:           2
        .value_kind:     hidden_remainder_y
      - .offset:         718
        .size:           2
        .value_kind:     hidden_remainder_z
      - .offset:         736
        .size:           8
        .value_kind:     hidden_global_offset_x
      - .offset:         744
        .size:           8
        .value_kind:     hidden_global_offset_y
      - .offset:         752
        .size:           8
        .value_kind:     hidden_global_offset_z
      - .offset:         760
        .size:           2
        .value_kind:     hidden_grid_dims
    .group_segment_fixed_size: 4112
    .kernarg_segment_align: 8
    .kernarg_segment_size: 952
    .language:       OpenCL C
    .language_version:
      - 2
      - 0
    .max_flat_workgroup_size: 1024
    .name:           _ZN2at6native6sbtopk10gatherTopKIsjLin1ELb0EEEvNS_4cuda6detail10TensorInfoIKT_T0_EES8_S8_bS8_S8_NS5_IS6_S8_EES8_NS5_IlS8_EES8_PS6_
    .private_segment_fixed_size: 0
    .sgpr_count:     107
    .sgpr_spill_count: 0
    .symbol:         _ZN2at6native6sbtopk10gatherTopKIsjLin1ELb0EEEvNS_4cuda6detail10TensorInfoIKT_T0_EES8_S8_bS8_S8_NS5_IS6_S8_EES8_NS5_IlS8_EES8_PS6_.kd
    .uniform_work_group_size: 1
    .uses_dynamic_stack: false
    .vgpr_count:     71
    .vgpr_spill_count: 0
    .wavefront_size: 32
  - .args:
      - .offset:         0
        .size:           216
        .value_kind:     by_value
      - .offset:         216
        .size:           4
        .value_kind:     by_value
      - .address_space:  global
        .offset:         224
        .size:           8
        .value_kind:     global_buffer
      - .offset:         232
        .size:           4
        .value_kind:     by_value
      - .offset:         236
        .size:           4
        .value_kind:     by_value
      - .offset:         240
        .size:           4
        .value_kind:     by_value
      - .offset:         244
        .size:           4
        .value_kind:     by_value
      - .offset:         248
        .size:           4
        .value_kind:     by_value
      - .offset:         256
        .size:           8
        .value_kind:     by_value
      - .address_space:  global
        .offset:         264
        .size:           8
        .value_kind:     global_buffer
      - .address_space:  global
        .offset:         272
        .size:           8
        .value_kind:     global_buffer
      - .offset:         280
        .size:           4
        .value_kind:     hidden_block_count_x
      - .offset:         284
        .size:           4
        .value_kind:     hidden_block_count_y
      - .offset:         288
        .size:           4
        .value_kind:     hidden_block_count_z
      - .offset:         292
        .size:           2
        .value_kind:     hidden_group_size_x
      - .offset:         294
        .size:           2
        .value_kind:     hidden_group_size_y
      - .offset:         296
        .size:           2
        .value_kind:     hidden_group_size_z
      - .offset:         298
        .size:           2
        .value_kind:     hidden_remainder_x
      - .offset:         300
        .size:           2
        .value_kind:     hidden_remainder_y
      - .offset:         302
        .size:           2
        .value_kind:     hidden_remainder_z
      - .offset:         320
        .size:           8
        .value_kind:     hidden_global_offset_x
      - .offset:         328
        .size:           8
        .value_kind:     hidden_global_offset_y
      - .offset:         336
        .size:           8
        .value_kind:     hidden_global_offset_z
      - .offset:         344
        .size:           2
        .value_kind:     hidden_grid_dims
    .group_segment_fixed_size: 1024
    .kernarg_segment_align: 8
    .kernarg_segment_size: 536
    .language:       OpenCL C
    .language_version:
      - 2
      - 0
    .max_flat_workgroup_size: 256
    .name:           _ZN2at6native6mbtopk23computeBlockDigitCountsIdjmLi1EEEvNS_4cuda6detail10TensorInfoIKT_T0_EEjPjjS8_iijT1_PSB_Ps
    .private_segment_fixed_size: 0
    .sgpr_count:     24
    .sgpr_spill_count: 0
    .symbol:         _ZN2at6native6mbtopk23computeBlockDigitCountsIdjmLi1EEEvNS_4cuda6detail10TensorInfoIKT_T0_EEjPjjS8_iijT1_PSB_Ps.kd
    .uniform_work_group_size: 1
    .uses_dynamic_stack: false
    .vgpr_count:     12
    .vgpr_spill_count: 0
    .wavefront_size: 32
  - .args:
      - .address_space:  global
        .offset:         0
        .size:           8
        .value_kind:     global_buffer
      - .address_space:  global
        .offset:         8
        .size:           8
        .value_kind:     global_buffer
      - .address_space:  global
        .offset:         16
        .size:           8
        .value_kind:     global_buffer
      - .offset:         24
        .size:           4
        .value_kind:     by_value
      - .offset:         28
        .size:           4
        .value_kind:     by_value
      - .offset:         32
        .size:           1
        .value_kind:     by_value
      - .address_space:  global
        .offset:         40
        .size:           8
        .value_kind:     global_buffer
      - .address_space:  global
        .offset:         48
        .size:           8
        .value_kind:     global_buffer
      - .address_space:  global
        .offset:         56
        .size:           8
        .value_kind:     global_buffer
      - .address_space:  global
        .offset:         64
        .size:           8
        .value_kind:     global_buffer
      - .address_space:  global
        .offset:         72
        .size:           8
        .value_kind:     global_buffer
      - .offset:         80
        .size:           4
        .value_kind:     by_value
      - .offset:         88
        .size:           4
        .value_kind:     hidden_block_count_x
      - .offset:         92
        .size:           4
        .value_kind:     hidden_block_count_y
      - .offset:         96
        .size:           4
        .value_kind:     hidden_block_count_z
      - .offset:         100
        .size:           2
        .value_kind:     hidden_group_size_x
      - .offset:         102
        .size:           2
        .value_kind:     hidden_group_size_y
      - .offset:         104
        .size:           2
        .value_kind:     hidden_group_size_z
      - .offset:         106
        .size:           2
        .value_kind:     hidden_remainder_x
      - .offset:         108
        .size:           2
        .value_kind:     hidden_remainder_y
      - .offset:         110
        .size:           2
        .value_kind:     hidden_remainder_z
      - .offset:         128
        .size:           8
        .value_kind:     hidden_global_offset_x
      - .offset:         136
        .size:           8
        .value_kind:     hidden_global_offset_y
      - .offset:         144
        .size:           8
        .value_kind:     hidden_global_offset_z
      - .offset:         152
        .size:           2
        .value_kind:     hidden_grid_dims
    .group_segment_fixed_size: 2120
    .kernarg_segment_align: 8
    .kernarg_segment_size: 344
    .language:       OpenCL C
    .language_version:
      - 2
      - 0
    .max_flat_workgroup_size: 256
    .name:           _ZN2at6native6mbtopk29computeBlockwiseWithinKCountsImdEEvPT_PsPjjibS6_PT0_S6_S4_S6_j
    .private_segment_fixed_size: 0
    .sgpr_count:     29
    .sgpr_spill_count: 0
    .symbol:         _ZN2at6native6mbtopk29computeBlockwiseWithinKCountsImdEEvPT_PsPjjibS6_PT0_S6_S4_S6_j.kd
    .uniform_work_group_size: 1
    .uses_dynamic_stack: false
    .vgpr_count:     16
    .vgpr_spill_count: 0
    .wavefront_size: 32
  - .args:
      - .offset:         0
        .size:           216
        .value_kind:     by_value
      - .offset:         216
        .size:           4
        .value_kind:     by_value
      - .offset:         220
        .size:           4
        .value_kind:     by_value
      - .offset:         224
        .size:           1
        .value_kind:     by_value
      - .offset:         228
        .size:           4
        .value_kind:     by_value
      - .offset:         232
        .size:           4
        .value_kind:     by_value
      - .offset:         240
        .size:           216
        .value_kind:     by_value
      - .offset:         456
        .size:           4
        .value_kind:     by_value
      - .offset:         464
        .size:           216
        .value_kind:     by_value
      - .offset:         680
        .size:           4
        .value_kind:     by_value
      - .offset:         684
        .size:           4
        .value_kind:     by_value
      - .offset:         688
        .size:           4
        .value_kind:     by_value
      - .address_space:  global
        .offset:         696
        .size:           8
        .value_kind:     global_buffer
      - .address_space:  global
        .offset:         704
        .size:           8
        .value_kind:     global_buffer
      - .address_space:  global
        .offset:         712
        .size:           8
        .value_kind:     global_buffer
      - .offset:         720
        .size:           4
        .value_kind:     by_value
      - .offset:         728
        .size:           4
        .value_kind:     hidden_block_count_x
      - .offset:         732
        .size:           4
        .value_kind:     hidden_block_count_y
      - .offset:         736
        .size:           4
        .value_kind:     hidden_block_count_z
      - .offset:         740
        .size:           2
        .value_kind:     hidden_group_size_x
      - .offset:         742
        .size:           2
        .value_kind:     hidden_group_size_y
      - .offset:         744
        .size:           2
        .value_kind:     hidden_group_size_z
      - .offset:         746
        .size:           2
        .value_kind:     hidden_remainder_x
      - .offset:         748
        .size:           2
        .value_kind:     hidden_remainder_y
      - .offset:         750
        .size:           2
        .value_kind:     hidden_remainder_z
      - .offset:         768
        .size:           8
        .value_kind:     hidden_global_offset_x
      - .offset:         776
        .size:           8
        .value_kind:     hidden_global_offset_y
      - .offset:         784
        .size:           8
        .value_kind:     hidden_global_offset_z
      - .offset:         792
        .size:           2
        .value_kind:     hidden_grid_dims
    .group_segment_fixed_size: 1068
    .kernarg_segment_align: 8
    .kernarg_segment_size: 984
    .language:       OpenCL C
    .language_version:
      - 2
      - 0
    .max_flat_workgroup_size: 256
    .name:           _ZN2at6native6mbtopk10gatherTopKIdjLi1EEEvNS_4cuda6detail10TensorInfoIKT_T0_EES8_S8_bjS8_NS5_IS6_S8_EES8_NS5_IlS8_EES8_jjPS6_PjSD_j
    .private_segment_fixed_size: 0
    .sgpr_count:     32
    .sgpr_spill_count: 0
    .symbol:         _ZN2at6native6mbtopk10gatherTopKIdjLi1EEEvNS_4cuda6detail10TensorInfoIKT_T0_EES8_S8_bjS8_NS5_IS6_S8_EES8_NS5_IlS8_EES8_jjPS6_PjSD_j.kd
    .uniform_work_group_size: 1
    .uses_dynamic_stack: false
    .vgpr_count:     26
    .vgpr_spill_count: 0
    .wavefront_size: 32
  - .args:
      - .offset:         0
        .size:           216
        .value_kind:     by_value
      - .offset:         216
        .size:           4
        .value_kind:     by_value
      - .offset:         220
        .size:           4
        .value_kind:     by_value
      - .offset:         224
        .size:           1
        .value_kind:     by_value
      - .offset:         228
        .size:           4
        .value_kind:     by_value
      - .offset:         232
        .size:           4
        .value_kind:     by_value
      - .offset:         240
        .size:           216
        .value_kind:     by_value
      - .offset:         456
        .size:           4
        .value_kind:     by_value
      - .offset:         464
        .size:           216
        .value_kind:     by_value
      - .offset:         680
        .size:           4
        .value_kind:     by_value
      - .address_space:  global
        .offset:         688
        .size:           8
        .value_kind:     global_buffer
      - .offset:         696
        .size:           4
        .value_kind:     hidden_block_count_x
      - .offset:         700
        .size:           4
        .value_kind:     hidden_block_count_y
      - .offset:         704
        .size:           4
        .value_kind:     hidden_block_count_z
      - .offset:         708
        .size:           2
        .value_kind:     hidden_group_size_x
      - .offset:         710
        .size:           2
        .value_kind:     hidden_group_size_y
      - .offset:         712
        .size:           2
        .value_kind:     hidden_group_size_z
      - .offset:         714
        .size:           2
        .value_kind:     hidden_remainder_x
      - .offset:         716
        .size:           2
        .value_kind:     hidden_remainder_y
      - .offset:         718
        .size:           2
        .value_kind:     hidden_remainder_z
      - .offset:         736
        .size:           8
        .value_kind:     hidden_global_offset_x
      - .offset:         744
        .size:           8
        .value_kind:     hidden_global_offset_y
      - .offset:         752
        .size:           8
        .value_kind:     hidden_global_offset_z
      - .offset:         760
        .size:           2
        .value_kind:     hidden_grid_dims
    .group_segment_fixed_size: 4112
    .kernarg_segment_align: 8
    .kernarg_segment_size: 952
    .language:       OpenCL C
    .language_version:
      - 2
      - 0
    .max_flat_workgroup_size: 1024
    .name:           _ZN2at6native6sbtopk10gatherTopKIdjLi1ELb0EEEvNS_4cuda6detail10TensorInfoIKT_T0_EES8_S8_bS8_S8_NS5_IS6_S8_EES8_NS5_IlS8_EES8_PS6_
    .private_segment_fixed_size: 0
    .sgpr_count:     101
    .sgpr_spill_count: 0
    .symbol:         _ZN2at6native6sbtopk10gatherTopKIdjLi1ELb0EEEvNS_4cuda6detail10TensorInfoIKT_T0_EES8_S8_bS8_S8_NS5_IS6_S8_EES8_NS5_IlS8_EES8_PS6_.kd
    .uniform_work_group_size: 1
    .uses_dynamic_stack: false
    .vgpr_count:     58
    .vgpr_spill_count: 0
    .wavefront_size: 32
  - .args:
      - .offset:         0
        .size:           216
        .value_kind:     by_value
      - .offset:         216
        .size:           4
        .value_kind:     by_value
      - .address_space:  global
        .offset:         224
        .size:           8
        .value_kind:     global_buffer
      - .offset:         232
        .size:           4
        .value_kind:     by_value
      - .offset:         236
        .size:           4
        .value_kind:     by_value
      - .offset:         240
        .size:           4
        .value_kind:     by_value
      - .offset:         244
        .size:           4
        .value_kind:     by_value
      - .offset:         248
        .size:           4
        .value_kind:     by_value
      - .offset:         256
        .size:           8
        .value_kind:     by_value
      - .address_space:  global
        .offset:         264
        .size:           8
        .value_kind:     global_buffer
      - .address_space:  global
        .offset:         272
        .size:           8
        .value_kind:     global_buffer
      - .offset:         280
        .size:           4
        .value_kind:     hidden_block_count_x
      - .offset:         284
        .size:           4
        .value_kind:     hidden_block_count_y
      - .offset:         288
        .size:           4
        .value_kind:     hidden_block_count_z
      - .offset:         292
        .size:           2
        .value_kind:     hidden_group_size_x
      - .offset:         294
        .size:           2
        .value_kind:     hidden_group_size_y
      - .offset:         296
        .size:           2
        .value_kind:     hidden_group_size_z
      - .offset:         298
        .size:           2
        .value_kind:     hidden_remainder_x
      - .offset:         300
        .size:           2
        .value_kind:     hidden_remainder_y
      - .offset:         302
        .size:           2
        .value_kind:     hidden_remainder_z
      - .offset:         320
        .size:           8
        .value_kind:     hidden_global_offset_x
      - .offset:         328
        .size:           8
        .value_kind:     hidden_global_offset_y
      - .offset:         336
        .size:           8
        .value_kind:     hidden_global_offset_z
      - .offset:         344
        .size:           2
        .value_kind:     hidden_grid_dims
    .group_segment_fixed_size: 1024
    .kernarg_segment_align: 8
    .kernarg_segment_size: 536
    .language:       OpenCL C
    .language_version:
      - 2
      - 0
    .max_flat_workgroup_size: 256
    .name:           _ZN2at6native6mbtopk23computeBlockDigitCountsIdjmLi2EEEvNS_4cuda6detail10TensorInfoIKT_T0_EEjPjjS8_iijT1_PSB_Ps
    .private_segment_fixed_size: 0
    .sgpr_count:     28
    .sgpr_spill_count: 0
    .symbol:         _ZN2at6native6mbtopk23computeBlockDigitCountsIdjmLi2EEEvNS_4cuda6detail10TensorInfoIKT_T0_EEjPjjS8_iijT1_PSB_Ps.kd
    .uniform_work_group_size: 1
    .uses_dynamic_stack: false
    .vgpr_count:     12
    .vgpr_spill_count: 0
    .wavefront_size: 32
  - .args:
      - .offset:         0
        .size:           216
        .value_kind:     by_value
      - .offset:         216
        .size:           4
        .value_kind:     by_value
      - .offset:         220
        .size:           4
        .value_kind:     by_value
      - .offset:         224
        .size:           1
        .value_kind:     by_value
      - .offset:         228
        .size:           4
        .value_kind:     by_value
      - .offset:         232
        .size:           4
        .value_kind:     by_value
      - .offset:         240
        .size:           216
        .value_kind:     by_value
      - .offset:         456
        .size:           4
        .value_kind:     by_value
      - .offset:         464
        .size:           216
        .value_kind:     by_value
      - .offset:         680
        .size:           4
        .value_kind:     by_value
      - .offset:         684
        .size:           4
        .value_kind:     by_value
      - .offset:         688
        .size:           4
        .value_kind:     by_value
      - .address_space:  global
        .offset:         696
        .size:           8
        .value_kind:     global_buffer
      - .address_space:  global
        .offset:         704
        .size:           8
        .value_kind:     global_buffer
      - .address_space:  global
        .offset:         712
        .size:           8
        .value_kind:     global_buffer
      - .offset:         720
        .size:           4
        .value_kind:     by_value
      - .offset:         728
        .size:           4
        .value_kind:     hidden_block_count_x
      - .offset:         732
        .size:           4
        .value_kind:     hidden_block_count_y
      - .offset:         736
        .size:           4
        .value_kind:     hidden_block_count_z
      - .offset:         740
        .size:           2
        .value_kind:     hidden_group_size_x
      - .offset:         742
        .size:           2
        .value_kind:     hidden_group_size_y
      - .offset:         744
        .size:           2
        .value_kind:     hidden_group_size_z
      - .offset:         746
        .size:           2
        .value_kind:     hidden_remainder_x
      - .offset:         748
        .size:           2
        .value_kind:     hidden_remainder_y
      - .offset:         750
        .size:           2
        .value_kind:     hidden_remainder_z
      - .offset:         768
        .size:           8
        .value_kind:     hidden_global_offset_x
      - .offset:         776
        .size:           8
        .value_kind:     hidden_global_offset_y
      - .offset:         784
        .size:           8
        .value_kind:     hidden_global_offset_z
      - .offset:         792
        .size:           2
        .value_kind:     hidden_grid_dims
    .group_segment_fixed_size: 1068
    .kernarg_segment_align: 8
    .kernarg_segment_size: 984
    .language:       OpenCL C
    .language_version:
      - 2
      - 0
    .max_flat_workgroup_size: 256
    .name:           _ZN2at6native6mbtopk10gatherTopKIdjLi2EEEvNS_4cuda6detail10TensorInfoIKT_T0_EES8_S8_bjS8_NS5_IS6_S8_EES8_NS5_IlS8_EES8_jjPS6_PjSD_j
    .private_segment_fixed_size: 0
    .sgpr_count:     49
    .sgpr_spill_count: 0
    .symbol:         _ZN2at6native6mbtopk10gatherTopKIdjLi2EEEvNS_4cuda6detail10TensorInfoIKT_T0_EES8_S8_bjS8_NS5_IS6_S8_EES8_NS5_IlS8_EES8_jjPS6_PjSD_j.kd
    .uniform_work_group_size: 1
    .uses_dynamic_stack: false
    .vgpr_count:     26
    .vgpr_spill_count: 0
    .wavefront_size: 32
  - .args:
      - .offset:         0
        .size:           216
        .value_kind:     by_value
      - .offset:         216
        .size:           4
        .value_kind:     by_value
      - .offset:         220
        .size:           4
        .value_kind:     by_value
      - .offset:         224
        .size:           1
        .value_kind:     by_value
      - .offset:         228
        .size:           4
        .value_kind:     by_value
      - .offset:         232
        .size:           4
        .value_kind:     by_value
      - .offset:         240
        .size:           216
        .value_kind:     by_value
      - .offset:         456
        .size:           4
        .value_kind:     by_value
      - .offset:         464
        .size:           216
        .value_kind:     by_value
      - .offset:         680
        .size:           4
        .value_kind:     by_value
      - .address_space:  global
        .offset:         688
        .size:           8
        .value_kind:     global_buffer
      - .offset:         696
        .size:           4
        .value_kind:     hidden_block_count_x
      - .offset:         700
        .size:           4
        .value_kind:     hidden_block_count_y
      - .offset:         704
        .size:           4
        .value_kind:     hidden_block_count_z
      - .offset:         708
        .size:           2
        .value_kind:     hidden_group_size_x
      - .offset:         710
        .size:           2
        .value_kind:     hidden_group_size_y
      - .offset:         712
        .size:           2
        .value_kind:     hidden_group_size_z
      - .offset:         714
        .size:           2
        .value_kind:     hidden_remainder_x
      - .offset:         716
        .size:           2
        .value_kind:     hidden_remainder_y
      - .offset:         718
        .size:           2
        .value_kind:     hidden_remainder_z
      - .offset:         736
        .size:           8
        .value_kind:     hidden_global_offset_x
      - .offset:         744
        .size:           8
        .value_kind:     hidden_global_offset_y
      - .offset:         752
        .size:           8
        .value_kind:     hidden_global_offset_z
      - .offset:         760
        .size:           2
        .value_kind:     hidden_grid_dims
    .group_segment_fixed_size: 4112
    .kernarg_segment_align: 8
    .kernarg_segment_size: 952
    .language:       OpenCL C
    .language_version:
      - 2
      - 0
    .max_flat_workgroup_size: 1024
    .name:           _ZN2at6native6sbtopk10gatherTopKIdjLi2ELb0EEEvNS_4cuda6detail10TensorInfoIKT_T0_EES8_S8_bS8_S8_NS5_IS6_S8_EES8_NS5_IlS8_EES8_PS6_
    .private_segment_fixed_size: 0
    .sgpr_count:     107
    .sgpr_spill_count: 0
    .symbol:         _ZN2at6native6sbtopk10gatherTopKIdjLi2ELb0EEEvNS_4cuda6detail10TensorInfoIKT_T0_EES8_S8_bS8_S8_NS5_IS6_S8_EES8_NS5_IlS8_EES8_PS6_.kd
    .uniform_work_group_size: 1
    .uses_dynamic_stack: false
    .vgpr_count:     58
    .vgpr_spill_count: 0
    .wavefront_size: 32
  - .args:
      - .offset:         0
        .size:           216
        .value_kind:     by_value
      - .offset:         216
        .size:           4
        .value_kind:     by_value
      - .address_space:  global
        .offset:         224
        .size:           8
        .value_kind:     global_buffer
      - .offset:         232
        .size:           4
        .value_kind:     by_value
      - .offset:         236
        .size:           4
        .value_kind:     by_value
      - .offset:         240
        .size:           4
        .value_kind:     by_value
      - .offset:         244
        .size:           4
        .value_kind:     by_value
      - .offset:         248
        .size:           4
        .value_kind:     by_value
      - .offset:         256
        .size:           8
        .value_kind:     by_value
      - .address_space:  global
        .offset:         264
        .size:           8
        .value_kind:     global_buffer
      - .address_space:  global
        .offset:         272
        .size:           8
        .value_kind:     global_buffer
      - .offset:         280
        .size:           4
        .value_kind:     hidden_block_count_x
      - .offset:         284
        .size:           4
        .value_kind:     hidden_block_count_y
      - .offset:         288
        .size:           4
        .value_kind:     hidden_block_count_z
      - .offset:         292
        .size:           2
        .value_kind:     hidden_group_size_x
      - .offset:         294
        .size:           2
        .value_kind:     hidden_group_size_y
      - .offset:         296
        .size:           2
        .value_kind:     hidden_group_size_z
      - .offset:         298
        .size:           2
        .value_kind:     hidden_remainder_x
      - .offset:         300
        .size:           2
        .value_kind:     hidden_remainder_y
      - .offset:         302
        .size:           2
        .value_kind:     hidden_remainder_z
      - .offset:         320
        .size:           8
        .value_kind:     hidden_global_offset_x
      - .offset:         328
        .size:           8
        .value_kind:     hidden_global_offset_y
      - .offset:         336
        .size:           8
        .value_kind:     hidden_global_offset_z
      - .offset:         344
        .size:           2
        .value_kind:     hidden_grid_dims
    .group_segment_fixed_size: 1024
    .kernarg_segment_align: 8
    .kernarg_segment_size: 536
    .language:       OpenCL C
    .language_version:
      - 2
      - 0
    .max_flat_workgroup_size: 256
    .name:           _ZN2at6native6mbtopk23computeBlockDigitCountsIdjmLi3EEEvNS_4cuda6detail10TensorInfoIKT_T0_EEjPjjS8_iijT1_PSB_Ps
    .private_segment_fixed_size: 0
    .sgpr_count:     32
    .sgpr_spill_count: 0
    .symbol:         _ZN2at6native6mbtopk23computeBlockDigitCountsIdjmLi3EEEvNS_4cuda6detail10TensorInfoIKT_T0_EEjPjjS8_iijT1_PSB_Ps.kd
    .uniform_work_group_size: 1
    .uses_dynamic_stack: false
    .vgpr_count:     12
    .vgpr_spill_count: 0
    .wavefront_size: 32
  - .args:
      - .offset:         0
        .size:           216
        .value_kind:     by_value
      - .offset:         216
        .size:           4
        .value_kind:     by_value
      - .offset:         220
        .size:           4
        .value_kind:     by_value
      - .offset:         224
        .size:           1
        .value_kind:     by_value
      - .offset:         228
        .size:           4
        .value_kind:     by_value
      - .offset:         232
        .size:           4
        .value_kind:     by_value
      - .offset:         240
        .size:           216
        .value_kind:     by_value
      - .offset:         456
        .size:           4
        .value_kind:     by_value
      - .offset:         464
        .size:           216
        .value_kind:     by_value
      - .offset:         680
        .size:           4
        .value_kind:     by_value
      - .offset:         684
        .size:           4
        .value_kind:     by_value
      - .offset:         688
        .size:           4
        .value_kind:     by_value
      - .address_space:  global
        .offset:         696
        .size:           8
        .value_kind:     global_buffer
      - .address_space:  global
        .offset:         704
        .size:           8
        .value_kind:     global_buffer
      - .address_space:  global
        .offset:         712
        .size:           8
        .value_kind:     global_buffer
      - .offset:         720
        .size:           4
        .value_kind:     by_value
      - .offset:         728
        .size:           4
        .value_kind:     hidden_block_count_x
      - .offset:         732
        .size:           4
        .value_kind:     hidden_block_count_y
      - .offset:         736
        .size:           4
        .value_kind:     hidden_block_count_z
      - .offset:         740
        .size:           2
        .value_kind:     hidden_group_size_x
      - .offset:         742
        .size:           2
        .value_kind:     hidden_group_size_y
      - .offset:         744
        .size:           2
        .value_kind:     hidden_group_size_z
      - .offset:         746
        .size:           2
        .value_kind:     hidden_remainder_x
      - .offset:         748
        .size:           2
        .value_kind:     hidden_remainder_y
      - .offset:         750
        .size:           2
        .value_kind:     hidden_remainder_z
      - .offset:         768
        .size:           8
        .value_kind:     hidden_global_offset_x
      - .offset:         776
        .size:           8
        .value_kind:     hidden_global_offset_y
      - .offset:         784
        .size:           8
        .value_kind:     hidden_global_offset_z
      - .offset:         792
        .size:           2
        .value_kind:     hidden_grid_dims
    .group_segment_fixed_size: 1068
    .kernarg_segment_align: 8
    .kernarg_segment_size: 984
    .language:       OpenCL C
    .language_version:
      - 2
      - 0
    .max_flat_workgroup_size: 256
    .name:           _ZN2at6native6mbtopk10gatherTopKIdjLi3EEEvNS_4cuda6detail10TensorInfoIKT_T0_EES8_S8_bjS8_NS5_IS6_S8_EES8_NS5_IlS8_EES8_jjPS6_PjSD_j
    .private_segment_fixed_size: 0
    .sgpr_count:     56
    .sgpr_spill_count: 0
    .symbol:         _ZN2at6native6mbtopk10gatherTopKIdjLi3EEEvNS_4cuda6detail10TensorInfoIKT_T0_EES8_S8_bjS8_NS5_IS6_S8_EES8_NS5_IlS8_EES8_jjPS6_PjSD_j.kd
    .uniform_work_group_size: 1
    .uses_dynamic_stack: false
    .vgpr_count:     26
    .vgpr_spill_count: 0
    .wavefront_size: 32
  - .args:
      - .offset:         0
        .size:           216
        .value_kind:     by_value
      - .offset:         216
        .size:           4
        .value_kind:     by_value
      - .offset:         220
        .size:           4
        .value_kind:     by_value
      - .offset:         224
        .size:           1
        .value_kind:     by_value
      - .offset:         228
        .size:           4
        .value_kind:     by_value
      - .offset:         232
        .size:           4
        .value_kind:     by_value
      - .offset:         240
        .size:           216
        .value_kind:     by_value
      - .offset:         456
        .size:           4
        .value_kind:     by_value
      - .offset:         464
        .size:           216
        .value_kind:     by_value
      - .offset:         680
        .size:           4
        .value_kind:     by_value
      - .address_space:  global
        .offset:         688
        .size:           8
        .value_kind:     global_buffer
      - .offset:         696
        .size:           4
        .value_kind:     hidden_block_count_x
      - .offset:         700
        .size:           4
        .value_kind:     hidden_block_count_y
      - .offset:         704
        .size:           4
        .value_kind:     hidden_block_count_z
      - .offset:         708
        .size:           2
        .value_kind:     hidden_group_size_x
      - .offset:         710
        .size:           2
        .value_kind:     hidden_group_size_y
      - .offset:         712
        .size:           2
        .value_kind:     hidden_group_size_z
      - .offset:         714
        .size:           2
        .value_kind:     hidden_remainder_x
      - .offset:         716
        .size:           2
        .value_kind:     hidden_remainder_y
      - .offset:         718
        .size:           2
        .value_kind:     hidden_remainder_z
      - .offset:         736
        .size:           8
        .value_kind:     hidden_global_offset_x
      - .offset:         744
        .size:           8
        .value_kind:     hidden_global_offset_y
      - .offset:         752
        .size:           8
        .value_kind:     hidden_global_offset_z
      - .offset:         760
        .size:           2
        .value_kind:     hidden_grid_dims
    .group_segment_fixed_size: 4112
    .kernarg_segment_align: 8
    .kernarg_segment_size: 952
    .language:       OpenCL C
    .language_version:
      - 2
      - 0
    .max_flat_workgroup_size: 1024
    .name:           _ZN2at6native6sbtopk10gatherTopKIdjLi3ELb0EEEvNS_4cuda6detail10TensorInfoIKT_T0_EES8_S8_bS8_S8_NS5_IS6_S8_EES8_NS5_IlS8_EES8_PS6_
    .private_segment_fixed_size: 0
    .sgpr_count:     107
    .sgpr_spill_count: 2
    .symbol:         _ZN2at6native6sbtopk10gatherTopKIdjLi3ELb0EEEvNS_4cuda6detail10TensorInfoIKT_T0_EES8_S8_bS8_S8_NS5_IS6_S8_EES8_NS5_IlS8_EES8_PS6_.kd
    .uniform_work_group_size: 1
    .uses_dynamic_stack: false
    .vgpr_count:     59
    .vgpr_spill_count: 0
    .wavefront_size: 32
  - .args:
      - .offset:         0
        .size:           216
        .value_kind:     by_value
      - .offset:         216
        .size:           4
        .value_kind:     by_value
      - .address_space:  global
        .offset:         224
        .size:           8
        .value_kind:     global_buffer
      - .offset:         232
        .size:           4
        .value_kind:     by_value
      - .offset:         236
        .size:           4
        .value_kind:     by_value
      - .offset:         240
        .size:           4
        .value_kind:     by_value
      - .offset:         244
        .size:           4
        .value_kind:     by_value
      - .offset:         248
        .size:           4
        .value_kind:     by_value
      - .offset:         256
        .size:           8
        .value_kind:     by_value
      - .address_space:  global
        .offset:         264
        .size:           8
        .value_kind:     global_buffer
      - .address_space:  global
        .offset:         272
        .size:           8
        .value_kind:     global_buffer
      - .offset:         280
        .size:           4
        .value_kind:     hidden_block_count_x
      - .offset:         284
        .size:           4
        .value_kind:     hidden_block_count_y
      - .offset:         288
        .size:           4
        .value_kind:     hidden_block_count_z
      - .offset:         292
        .size:           2
        .value_kind:     hidden_group_size_x
      - .offset:         294
        .size:           2
        .value_kind:     hidden_group_size_y
      - .offset:         296
        .size:           2
        .value_kind:     hidden_group_size_z
      - .offset:         298
        .size:           2
        .value_kind:     hidden_remainder_x
      - .offset:         300
        .size:           2
        .value_kind:     hidden_remainder_y
      - .offset:         302
        .size:           2
        .value_kind:     hidden_remainder_z
      - .offset:         320
        .size:           8
        .value_kind:     hidden_global_offset_x
      - .offset:         328
        .size:           8
        .value_kind:     hidden_global_offset_y
      - .offset:         336
        .size:           8
        .value_kind:     hidden_global_offset_z
      - .offset:         344
        .size:           2
        .value_kind:     hidden_grid_dims
    .group_segment_fixed_size: 1024
    .kernarg_segment_align: 8
    .kernarg_segment_size: 536
    .language:       OpenCL C
    .language_version:
      - 2
      - 0
    .max_flat_workgroup_size: 256
    .name:           _ZN2at6native6mbtopk23computeBlockDigitCountsIdjmLin1EEEvNS_4cuda6detail10TensorInfoIKT_T0_EEjPjjS8_iijT1_PSB_Ps
    .private_segment_fixed_size: 0
    .sgpr_count:     27
    .sgpr_spill_count: 0
    .symbol:         _ZN2at6native6mbtopk23computeBlockDigitCountsIdjmLin1EEEvNS_4cuda6detail10TensorInfoIKT_T0_EEjPjjS8_iijT1_PSB_Ps.kd
    .uniform_work_group_size: 1
    .uses_dynamic_stack: false
    .vgpr_count:     12
    .vgpr_spill_count: 0
    .wavefront_size: 32
  - .args:
      - .offset:         0
        .size:           216
        .value_kind:     by_value
      - .offset:         216
        .size:           4
        .value_kind:     by_value
      - .offset:         220
        .size:           4
        .value_kind:     by_value
      - .offset:         224
        .size:           1
        .value_kind:     by_value
      - .offset:         228
        .size:           4
        .value_kind:     by_value
      - .offset:         232
        .size:           4
        .value_kind:     by_value
      - .offset:         240
        .size:           216
        .value_kind:     by_value
      - .offset:         456
        .size:           4
        .value_kind:     by_value
      - .offset:         464
        .size:           216
        .value_kind:     by_value
      - .offset:         680
        .size:           4
        .value_kind:     by_value
      - .offset:         684
        .size:           4
        .value_kind:     by_value
      - .offset:         688
        .size:           4
        .value_kind:     by_value
      - .address_space:  global
        .offset:         696
        .size:           8
        .value_kind:     global_buffer
      - .address_space:  global
        .offset:         704
        .size:           8
        .value_kind:     global_buffer
      - .address_space:  global
        .offset:         712
        .size:           8
        .value_kind:     global_buffer
      - .offset:         720
        .size:           4
        .value_kind:     by_value
      - .offset:         728
        .size:           4
        .value_kind:     hidden_block_count_x
      - .offset:         732
        .size:           4
        .value_kind:     hidden_block_count_y
      - .offset:         736
        .size:           4
        .value_kind:     hidden_block_count_z
      - .offset:         740
        .size:           2
        .value_kind:     hidden_group_size_x
      - .offset:         742
        .size:           2
        .value_kind:     hidden_group_size_y
      - .offset:         744
        .size:           2
        .value_kind:     hidden_group_size_z
      - .offset:         746
        .size:           2
        .value_kind:     hidden_remainder_x
      - .offset:         748
        .size:           2
        .value_kind:     hidden_remainder_y
      - .offset:         750
        .size:           2
        .value_kind:     hidden_remainder_z
      - .offset:         768
        .size:           8
        .value_kind:     hidden_global_offset_x
      - .offset:         776
        .size:           8
        .value_kind:     hidden_global_offset_y
      - .offset:         784
        .size:           8
        .value_kind:     hidden_global_offset_z
      - .offset:         792
        .size:           2
        .value_kind:     hidden_grid_dims
    .group_segment_fixed_size: 1068
    .kernarg_segment_align: 8
    .kernarg_segment_size: 984
    .language:       OpenCL C
    .language_version:
      - 2
      - 0
    .max_flat_workgroup_size: 256
    .name:           _ZN2at6native6mbtopk10gatherTopKIdjLin1EEEvNS_4cuda6detail10TensorInfoIKT_T0_EES8_S8_bjS8_NS5_IS6_S8_EES8_NS5_IlS8_EES8_jjPS6_PjSD_j
    .private_segment_fixed_size: 0
    .sgpr_count:     40
    .sgpr_spill_count: 0
    .symbol:         _ZN2at6native6mbtopk10gatherTopKIdjLin1EEEvNS_4cuda6detail10TensorInfoIKT_T0_EES8_S8_bjS8_NS5_IS6_S8_EES8_NS5_IlS8_EES8_jjPS6_PjSD_j.kd
    .uniform_work_group_size: 1
    .uses_dynamic_stack: false
    .vgpr_count:     26
    .vgpr_spill_count: 0
    .wavefront_size: 32
  - .args:
      - .offset:         0
        .size:           216
        .value_kind:     by_value
      - .offset:         216
        .size:           4
        .value_kind:     by_value
      - .offset:         220
        .size:           4
        .value_kind:     by_value
      - .offset:         224
        .size:           1
        .value_kind:     by_value
      - .offset:         228
        .size:           4
        .value_kind:     by_value
      - .offset:         232
        .size:           4
        .value_kind:     by_value
      - .offset:         240
        .size:           216
        .value_kind:     by_value
      - .offset:         456
        .size:           4
        .value_kind:     by_value
      - .offset:         464
        .size:           216
        .value_kind:     by_value
      - .offset:         680
        .size:           4
        .value_kind:     by_value
      - .address_space:  global
        .offset:         688
        .size:           8
        .value_kind:     global_buffer
      - .offset:         696
        .size:           4
        .value_kind:     hidden_block_count_x
      - .offset:         700
        .size:           4
        .value_kind:     hidden_block_count_y
      - .offset:         704
        .size:           4
        .value_kind:     hidden_block_count_z
      - .offset:         708
        .size:           2
        .value_kind:     hidden_group_size_x
      - .offset:         710
        .size:           2
        .value_kind:     hidden_group_size_y
      - .offset:         712
        .size:           2
        .value_kind:     hidden_group_size_z
      - .offset:         714
        .size:           2
        .value_kind:     hidden_remainder_x
      - .offset:         716
        .size:           2
        .value_kind:     hidden_remainder_y
      - .offset:         718
        .size:           2
        .value_kind:     hidden_remainder_z
      - .offset:         736
        .size:           8
        .value_kind:     hidden_global_offset_x
      - .offset:         744
        .size:           8
        .value_kind:     hidden_global_offset_y
      - .offset:         752
        .size:           8
        .value_kind:     hidden_global_offset_z
      - .offset:         760
        .size:           2
        .value_kind:     hidden_grid_dims
    .group_segment_fixed_size: 4112
    .kernarg_segment_align: 8
    .kernarg_segment_size: 952
    .language:       OpenCL C
    .language_version:
      - 2
      - 0
    .max_flat_workgroup_size: 1024
    .name:           _ZN2at6native6sbtopk10gatherTopKIdjLin1ELb0EEEvNS_4cuda6detail10TensorInfoIKT_T0_EES8_S8_bS8_S8_NS5_IS6_S8_EES8_NS5_IlS8_EES8_PS6_
    .private_segment_fixed_size: 0
    .sgpr_count:     104
    .sgpr_spill_count: 0
    .symbol:         _ZN2at6native6sbtopk10gatherTopKIdjLin1ELb0EEEvNS_4cuda6detail10TensorInfoIKT_T0_EES8_S8_bS8_S8_NS5_IS6_S8_EES8_NS5_IlS8_EES8_PS6_.kd
    .uniform_work_group_size: 1
    .uses_dynamic_stack: false
    .vgpr_count:     58
    .vgpr_spill_count: 0
    .wavefront_size: 32
  - .args:
      - .offset:         0
        .size:           216
        .value_kind:     by_value
      - .offset:         216
        .size:           4
        .value_kind:     by_value
      - .address_space:  global
        .offset:         224
        .size:           8
        .value_kind:     global_buffer
      - .offset:         232
        .size:           4
        .value_kind:     by_value
      - .offset:         236
        .size:           4
        .value_kind:     by_value
      - .offset:         240
        .size:           4
        .value_kind:     by_value
      - .offset:         244
        .size:           4
        .value_kind:     by_value
      - .offset:         248
        .size:           4
        .value_kind:     by_value
      - .offset:         252
        .size:           4
        .value_kind:     by_value
      - .address_space:  global
        .offset:         256
        .size:           8
        .value_kind:     global_buffer
      - .address_space:  global
        .offset:         264
        .size:           8
        .value_kind:     global_buffer
      - .offset:         272
        .size:           4
        .value_kind:     hidden_block_count_x
      - .offset:         276
        .size:           4
        .value_kind:     hidden_block_count_y
      - .offset:         280
        .size:           4
        .value_kind:     hidden_block_count_z
      - .offset:         284
        .size:           2
        .value_kind:     hidden_group_size_x
      - .offset:         286
        .size:           2
        .value_kind:     hidden_group_size_y
      - .offset:         288
        .size:           2
        .value_kind:     hidden_group_size_z
      - .offset:         290
        .size:           2
        .value_kind:     hidden_remainder_x
      - .offset:         292
        .size:           2
        .value_kind:     hidden_remainder_y
      - .offset:         294
        .size:           2
        .value_kind:     hidden_remainder_z
      - .offset:         312
        .size:           8
        .value_kind:     hidden_global_offset_x
      - .offset:         320
        .size:           8
        .value_kind:     hidden_global_offset_y
      - .offset:         328
        .size:           8
        .value_kind:     hidden_global_offset_z
      - .offset:         336
        .size:           2
        .value_kind:     hidden_grid_dims
    .group_segment_fixed_size: 1024
    .kernarg_segment_align: 8
    .kernarg_segment_size: 528
    .language:       OpenCL C
    .language_version:
      - 2
      - 0
    .max_flat_workgroup_size: 256
    .name:           _ZN2at6native6mbtopk23computeBlockDigitCountsIfjjLi1EEEvNS_4cuda6detail10TensorInfoIKT_T0_EEjPjjS8_iijT1_PSB_Ps
    .private_segment_fixed_size: 0
    .sgpr_count:     22
    .sgpr_spill_count: 0
    .symbol:         _ZN2at6native6mbtopk23computeBlockDigitCountsIfjjLi1EEEvNS_4cuda6detail10TensorInfoIKT_T0_EEjPjjS8_iijT1_PSB_Ps.kd
    .uniform_work_group_size: 1
    .uses_dynamic_stack: false
    .vgpr_count:     10
    .vgpr_spill_count: 0
    .wavefront_size: 32
  - .args:
      - .address_space:  global
        .offset:         0
        .size:           8
        .value_kind:     global_buffer
      - .address_space:  global
        .offset:         8
        .size:           8
        .value_kind:     global_buffer
      - .address_space:  global
        .offset:         16
        .size:           8
        .value_kind:     global_buffer
      - .offset:         24
        .size:           4
        .value_kind:     by_value
      - .offset:         28
        .size:           4
        .value_kind:     by_value
      - .offset:         32
        .size:           1
        .value_kind:     by_value
      - .address_space:  global
        .offset:         40
        .size:           8
        .value_kind:     global_buffer
      - .address_space:  global
        .offset:         48
        .size:           8
        .value_kind:     global_buffer
      - .address_space:  global
        .offset:         56
        .size:           8
        .value_kind:     global_buffer
      - .address_space:  global
        .offset:         64
        .size:           8
        .value_kind:     global_buffer
      - .address_space:  global
        .offset:         72
        .size:           8
        .value_kind:     global_buffer
      - .offset:         80
        .size:           4
        .value_kind:     by_value
      - .offset:         88
        .size:           4
        .value_kind:     hidden_block_count_x
      - .offset:         92
        .size:           4
        .value_kind:     hidden_block_count_y
      - .offset:         96
        .size:           4
        .value_kind:     hidden_block_count_z
      - .offset:         100
        .size:           2
        .value_kind:     hidden_group_size_x
      - .offset:         102
        .size:           2
        .value_kind:     hidden_group_size_y
      - .offset:         104
        .size:           2
        .value_kind:     hidden_group_size_z
      - .offset:         106
        .size:           2
        .value_kind:     hidden_remainder_x
      - .offset:         108
        .size:           2
        .value_kind:     hidden_remainder_y
      - .offset:         110
        .size:           2
        .value_kind:     hidden_remainder_z
      - .offset:         128
        .size:           8
        .value_kind:     hidden_global_offset_x
      - .offset:         136
        .size:           8
        .value_kind:     hidden_global_offset_y
      - .offset:         144
        .size:           8
        .value_kind:     hidden_global_offset_z
      - .offset:         152
        .size:           2
        .value_kind:     hidden_grid_dims
    .group_segment_fixed_size: 2116
    .kernarg_segment_align: 8
    .kernarg_segment_size: 344
    .language:       OpenCL C
    .language_version:
      - 2
      - 0
    .max_flat_workgroup_size: 256
    .name:           _ZN2at6native6mbtopk29computeBlockwiseWithinKCountsIjfEEvPT_PsPjjibS6_PT0_S6_S4_S6_j
    .private_segment_fixed_size: 0
    .sgpr_count:     29
    .sgpr_spill_count: 0
    .symbol:         _ZN2at6native6mbtopk29computeBlockwiseWithinKCountsIjfEEvPT_PsPjjibS6_PT0_S6_S4_S6_j.kd
    .uniform_work_group_size: 1
    .uses_dynamic_stack: false
    .vgpr_count:     15
    .vgpr_spill_count: 0
    .wavefront_size: 32
  - .args:
      - .offset:         0
        .size:           216
        .value_kind:     by_value
      - .offset:         216
        .size:           4
        .value_kind:     by_value
      - .offset:         220
        .size:           4
        .value_kind:     by_value
      - .offset:         224
        .size:           1
        .value_kind:     by_value
      - .offset:         228
        .size:           4
        .value_kind:     by_value
      - .offset:         232
        .size:           4
        .value_kind:     by_value
      - .offset:         240
        .size:           216
        .value_kind:     by_value
      - .offset:         456
        .size:           4
        .value_kind:     by_value
      - .offset:         464
        .size:           216
        .value_kind:     by_value
      - .offset:         680
        .size:           4
        .value_kind:     by_value
      - .offset:         684
        .size:           4
        .value_kind:     by_value
      - .offset:         688
        .size:           4
        .value_kind:     by_value
      - .address_space:  global
        .offset:         696
        .size:           8
        .value_kind:     global_buffer
      - .address_space:  global
        .offset:         704
        .size:           8
        .value_kind:     global_buffer
      - .address_space:  global
        .offset:         712
        .size:           8
        .value_kind:     global_buffer
      - .offset:         720
        .size:           4
        .value_kind:     by_value
      - .offset:         728
        .size:           4
        .value_kind:     hidden_block_count_x
      - .offset:         732
        .size:           4
        .value_kind:     hidden_block_count_y
      - .offset:         736
        .size:           4
        .value_kind:     hidden_block_count_z
      - .offset:         740
        .size:           2
        .value_kind:     hidden_group_size_x
      - .offset:         742
        .size:           2
        .value_kind:     hidden_group_size_y
      - .offset:         744
        .size:           2
        .value_kind:     hidden_group_size_z
      - .offset:         746
        .size:           2
        .value_kind:     hidden_remainder_x
      - .offset:         748
        .size:           2
        .value_kind:     hidden_remainder_y
      - .offset:         750
        .size:           2
        .value_kind:     hidden_remainder_z
      - .offset:         768
        .size:           8
        .value_kind:     hidden_global_offset_x
      - .offset:         776
        .size:           8
        .value_kind:     hidden_global_offset_y
      - .offset:         784
        .size:           8
        .value_kind:     hidden_global_offset_z
      - .offset:         792
        .size:           2
        .value_kind:     hidden_grid_dims
    .group_segment_fixed_size: 1068
    .kernarg_segment_align: 8
    .kernarg_segment_size: 984
    .language:       OpenCL C
    .language_version:
      - 2
      - 0
    .max_flat_workgroup_size: 256
    .name:           _ZN2at6native6mbtopk10gatherTopKIfjLi1EEEvNS_4cuda6detail10TensorInfoIKT_T0_EES8_S8_bjS8_NS5_IS6_S8_EES8_NS5_IlS8_EES8_jjPS6_PjSD_j
    .private_segment_fixed_size: 0
    .sgpr_count:     31
    .sgpr_spill_count: 0
    .symbol:         _ZN2at6native6mbtopk10gatherTopKIfjLi1EEEvNS_4cuda6detail10TensorInfoIKT_T0_EES8_S8_bjS8_NS5_IS6_S8_EES8_NS5_IlS8_EES8_jjPS6_PjSD_j.kd
    .uniform_work_group_size: 1
    .uses_dynamic_stack: false
    .vgpr_count:     24
    .vgpr_spill_count: 0
    .wavefront_size: 32
  - .args:
      - .offset:         0
        .size:           216
        .value_kind:     by_value
      - .offset:         216
        .size:           4
        .value_kind:     by_value
      - .offset:         220
        .size:           4
        .value_kind:     by_value
      - .offset:         224
        .size:           1
        .value_kind:     by_value
      - .offset:         228
        .size:           4
        .value_kind:     by_value
      - .offset:         232
        .size:           4
        .value_kind:     by_value
      - .offset:         240
        .size:           216
        .value_kind:     by_value
      - .offset:         456
        .size:           4
        .value_kind:     by_value
      - .offset:         464
        .size:           216
        .value_kind:     by_value
      - .offset:         680
        .size:           4
        .value_kind:     by_value
      - .address_space:  global
        .offset:         688
        .size:           8
        .value_kind:     global_buffer
      - .offset:         696
        .size:           4
        .value_kind:     hidden_block_count_x
      - .offset:         700
        .size:           4
        .value_kind:     hidden_block_count_y
      - .offset:         704
        .size:           4
        .value_kind:     hidden_block_count_z
      - .offset:         708
        .size:           2
        .value_kind:     hidden_group_size_x
      - .offset:         710
        .size:           2
        .value_kind:     hidden_group_size_y
      - .offset:         712
        .size:           2
        .value_kind:     hidden_group_size_z
      - .offset:         714
        .size:           2
        .value_kind:     hidden_remainder_x
      - .offset:         716
        .size:           2
        .value_kind:     hidden_remainder_y
      - .offset:         718
        .size:           2
        .value_kind:     hidden_remainder_z
      - .offset:         736
        .size:           8
        .value_kind:     hidden_global_offset_x
      - .offset:         744
        .size:           8
        .value_kind:     hidden_global_offset_y
      - .offset:         752
        .size:           8
        .value_kind:     hidden_global_offset_z
      - .offset:         760
        .size:           2
        .value_kind:     hidden_grid_dims
    .group_segment_fixed_size: 4112
    .kernarg_segment_align: 8
    .kernarg_segment_size: 952
    .language:       OpenCL C
    .language_version:
      - 2
      - 0
    .max_flat_workgroup_size: 1024
    .name:           _ZN2at6native6sbtopk10gatherTopKIfjLi1ELb0EEEvNS_4cuda6detail10TensorInfoIKT_T0_EES8_S8_bS8_S8_NS5_IS6_S8_EES8_NS5_IlS8_EES8_PS6_
    .private_segment_fixed_size: 0
    .sgpr_count:     103
    .sgpr_spill_count: 0
    .symbol:         _ZN2at6native6sbtopk10gatherTopKIfjLi1ELb0EEEvNS_4cuda6detail10TensorInfoIKT_T0_EES8_S8_bS8_S8_NS5_IS6_S8_EES8_NS5_IlS8_EES8_PS6_.kd
    .uniform_work_group_size: 1
    .uses_dynamic_stack: false
    .vgpr_count:     64
    .vgpr_spill_count: 0
    .wavefront_size: 32
  - .args:
      - .offset:         0
        .size:           216
        .value_kind:     by_value
      - .offset:         216
        .size:           4
        .value_kind:     by_value
      - .address_space:  global
        .offset:         224
        .size:           8
        .value_kind:     global_buffer
      - .offset:         232
        .size:           4
        .value_kind:     by_value
      - .offset:         236
        .size:           4
        .value_kind:     by_value
      - .offset:         240
        .size:           4
        .value_kind:     by_value
      - .offset:         244
        .size:           4
        .value_kind:     by_value
      - .offset:         248
        .size:           4
        .value_kind:     by_value
      - .offset:         252
        .size:           4
        .value_kind:     by_value
      - .address_space:  global
        .offset:         256
        .size:           8
        .value_kind:     global_buffer
      - .address_space:  global
        .offset:         264
        .size:           8
        .value_kind:     global_buffer
      - .offset:         272
        .size:           4
        .value_kind:     hidden_block_count_x
      - .offset:         276
        .size:           4
        .value_kind:     hidden_block_count_y
      - .offset:         280
        .size:           4
        .value_kind:     hidden_block_count_z
      - .offset:         284
        .size:           2
        .value_kind:     hidden_group_size_x
      - .offset:         286
        .size:           2
        .value_kind:     hidden_group_size_y
      - .offset:         288
        .size:           2
        .value_kind:     hidden_group_size_z
      - .offset:         290
        .size:           2
        .value_kind:     hidden_remainder_x
      - .offset:         292
        .size:           2
        .value_kind:     hidden_remainder_y
      - .offset:         294
        .size:           2
        .value_kind:     hidden_remainder_z
      - .offset:         312
        .size:           8
        .value_kind:     hidden_global_offset_x
      - .offset:         320
        .size:           8
        .value_kind:     hidden_global_offset_y
      - .offset:         328
        .size:           8
        .value_kind:     hidden_global_offset_z
      - .offset:         336
        .size:           2
        .value_kind:     hidden_grid_dims
    .group_segment_fixed_size: 1024
    .kernarg_segment_align: 8
    .kernarg_segment_size: 528
    .language:       OpenCL C
    .language_version:
      - 2
      - 0
    .max_flat_workgroup_size: 256
    .name:           _ZN2at6native6mbtopk23computeBlockDigitCountsIfjjLi2EEEvNS_4cuda6detail10TensorInfoIKT_T0_EEjPjjS8_iijT1_PSB_Ps
    .private_segment_fixed_size: 0
    .sgpr_count:     28
    .sgpr_spill_count: 0
    .symbol:         _ZN2at6native6mbtopk23computeBlockDigitCountsIfjjLi2EEEvNS_4cuda6detail10TensorInfoIKT_T0_EEjPjjS8_iijT1_PSB_Ps.kd
    .uniform_work_group_size: 1
    .uses_dynamic_stack: false
    .vgpr_count:     10
    .vgpr_spill_count: 0
    .wavefront_size: 32
  - .args:
      - .offset:         0
        .size:           216
        .value_kind:     by_value
      - .offset:         216
        .size:           4
        .value_kind:     by_value
      - .offset:         220
        .size:           4
        .value_kind:     by_value
      - .offset:         224
        .size:           1
        .value_kind:     by_value
      - .offset:         228
        .size:           4
        .value_kind:     by_value
      - .offset:         232
        .size:           4
        .value_kind:     by_value
      - .offset:         240
        .size:           216
        .value_kind:     by_value
      - .offset:         456
        .size:           4
        .value_kind:     by_value
      - .offset:         464
        .size:           216
        .value_kind:     by_value
      - .offset:         680
        .size:           4
        .value_kind:     by_value
      - .offset:         684
        .size:           4
        .value_kind:     by_value
      - .offset:         688
        .size:           4
        .value_kind:     by_value
      - .address_space:  global
        .offset:         696
        .size:           8
        .value_kind:     global_buffer
      - .address_space:  global
        .offset:         704
        .size:           8
        .value_kind:     global_buffer
      - .address_space:  global
        .offset:         712
        .size:           8
        .value_kind:     global_buffer
      - .offset:         720
        .size:           4
        .value_kind:     by_value
      - .offset:         728
        .size:           4
        .value_kind:     hidden_block_count_x
      - .offset:         732
        .size:           4
        .value_kind:     hidden_block_count_y
      - .offset:         736
        .size:           4
        .value_kind:     hidden_block_count_z
      - .offset:         740
        .size:           2
        .value_kind:     hidden_group_size_x
      - .offset:         742
        .size:           2
        .value_kind:     hidden_group_size_y
      - .offset:         744
        .size:           2
        .value_kind:     hidden_group_size_z
      - .offset:         746
        .size:           2
        .value_kind:     hidden_remainder_x
      - .offset:         748
        .size:           2
        .value_kind:     hidden_remainder_y
      - .offset:         750
        .size:           2
        .value_kind:     hidden_remainder_z
      - .offset:         768
        .size:           8
        .value_kind:     hidden_global_offset_x
      - .offset:         776
        .size:           8
        .value_kind:     hidden_global_offset_y
      - .offset:         784
        .size:           8
        .value_kind:     hidden_global_offset_z
      - .offset:         792
        .size:           2
        .value_kind:     hidden_grid_dims
    .group_segment_fixed_size: 1068
    .kernarg_segment_align: 8
    .kernarg_segment_size: 984
    .language:       OpenCL C
    .language_version:
      - 2
      - 0
    .max_flat_workgroup_size: 256
    .name:           _ZN2at6native6mbtopk10gatherTopKIfjLi2EEEvNS_4cuda6detail10TensorInfoIKT_T0_EES8_S8_bjS8_NS5_IS6_S8_EES8_NS5_IlS8_EES8_jjPS6_PjSD_j
    .private_segment_fixed_size: 0
    .sgpr_count:     48
    .sgpr_spill_count: 0
    .symbol:         _ZN2at6native6mbtopk10gatherTopKIfjLi2EEEvNS_4cuda6detail10TensorInfoIKT_T0_EES8_S8_bjS8_NS5_IS6_S8_EES8_NS5_IlS8_EES8_jjPS6_PjSD_j.kd
    .uniform_work_group_size: 1
    .uses_dynamic_stack: false
    .vgpr_count:     24
    .vgpr_spill_count: 0
    .wavefront_size: 32
  - .args:
      - .offset:         0
        .size:           216
        .value_kind:     by_value
      - .offset:         216
        .size:           4
        .value_kind:     by_value
      - .offset:         220
        .size:           4
        .value_kind:     by_value
      - .offset:         224
        .size:           1
        .value_kind:     by_value
      - .offset:         228
        .size:           4
        .value_kind:     by_value
      - .offset:         232
        .size:           4
        .value_kind:     by_value
      - .offset:         240
        .size:           216
        .value_kind:     by_value
      - .offset:         456
        .size:           4
        .value_kind:     by_value
      - .offset:         464
        .size:           216
        .value_kind:     by_value
      - .offset:         680
        .size:           4
        .value_kind:     by_value
      - .address_space:  global
        .offset:         688
        .size:           8
        .value_kind:     global_buffer
      - .offset:         696
        .size:           4
        .value_kind:     hidden_block_count_x
      - .offset:         700
        .size:           4
        .value_kind:     hidden_block_count_y
      - .offset:         704
        .size:           4
        .value_kind:     hidden_block_count_z
      - .offset:         708
        .size:           2
        .value_kind:     hidden_group_size_x
      - .offset:         710
        .size:           2
        .value_kind:     hidden_group_size_y
      - .offset:         712
        .size:           2
        .value_kind:     hidden_group_size_z
      - .offset:         714
        .size:           2
        .value_kind:     hidden_remainder_x
      - .offset:         716
        .size:           2
        .value_kind:     hidden_remainder_y
      - .offset:         718
        .size:           2
        .value_kind:     hidden_remainder_z
      - .offset:         736
        .size:           8
        .value_kind:     hidden_global_offset_x
      - .offset:         744
        .size:           8
        .value_kind:     hidden_global_offset_y
      - .offset:         752
        .size:           8
        .value_kind:     hidden_global_offset_z
      - .offset:         760
        .size:           2
        .value_kind:     hidden_grid_dims
    .group_segment_fixed_size: 4112
    .kernarg_segment_align: 8
    .kernarg_segment_size: 952
    .language:       OpenCL C
    .language_version:
      - 2
      - 0
    .max_flat_workgroup_size: 1024
    .name:           _ZN2at6native6sbtopk10gatherTopKIfjLi2ELb0EEEvNS_4cuda6detail10TensorInfoIKT_T0_EES8_S8_bS8_S8_NS5_IS6_S8_EES8_NS5_IlS8_EES8_PS6_
    .private_segment_fixed_size: 0
    .sgpr_count:     107
    .sgpr_spill_count: 0
    .symbol:         _ZN2at6native6sbtopk10gatherTopKIfjLi2ELb0EEEvNS_4cuda6detail10TensorInfoIKT_T0_EES8_S8_bS8_S8_NS5_IS6_S8_EES8_NS5_IlS8_EES8_PS6_.kd
    .uniform_work_group_size: 1
    .uses_dynamic_stack: false
    .vgpr_count:     64
    .vgpr_spill_count: 0
    .wavefront_size: 32
  - .args:
      - .offset:         0
        .size:           216
        .value_kind:     by_value
      - .offset:         216
        .size:           4
        .value_kind:     by_value
      - .address_space:  global
        .offset:         224
        .size:           8
        .value_kind:     global_buffer
      - .offset:         232
        .size:           4
        .value_kind:     by_value
      - .offset:         236
        .size:           4
        .value_kind:     by_value
      - .offset:         240
        .size:           4
        .value_kind:     by_value
      - .offset:         244
        .size:           4
        .value_kind:     by_value
      - .offset:         248
        .size:           4
        .value_kind:     by_value
      - .offset:         252
        .size:           4
        .value_kind:     by_value
      - .address_space:  global
        .offset:         256
        .size:           8
        .value_kind:     global_buffer
      - .address_space:  global
        .offset:         264
        .size:           8
        .value_kind:     global_buffer
      - .offset:         272
        .size:           4
        .value_kind:     hidden_block_count_x
      - .offset:         276
        .size:           4
        .value_kind:     hidden_block_count_y
      - .offset:         280
        .size:           4
        .value_kind:     hidden_block_count_z
      - .offset:         284
        .size:           2
        .value_kind:     hidden_group_size_x
      - .offset:         286
        .size:           2
        .value_kind:     hidden_group_size_y
      - .offset:         288
        .size:           2
        .value_kind:     hidden_group_size_z
      - .offset:         290
        .size:           2
        .value_kind:     hidden_remainder_x
      - .offset:         292
        .size:           2
        .value_kind:     hidden_remainder_y
      - .offset:         294
        .size:           2
        .value_kind:     hidden_remainder_z
      - .offset:         312
        .size:           8
        .value_kind:     hidden_global_offset_x
      - .offset:         320
        .size:           8
        .value_kind:     hidden_global_offset_y
      - .offset:         328
        .size:           8
        .value_kind:     hidden_global_offset_z
      - .offset:         336
        .size:           2
        .value_kind:     hidden_grid_dims
    .group_segment_fixed_size: 1024
    .kernarg_segment_align: 8
    .kernarg_segment_size: 528
    .language:       OpenCL C
    .language_version:
      - 2
      - 0
    .max_flat_workgroup_size: 256
    .name:           _ZN2at6native6mbtopk23computeBlockDigitCountsIfjjLi3EEEvNS_4cuda6detail10TensorInfoIKT_T0_EEjPjjS8_iijT1_PSB_Ps
    .private_segment_fixed_size: 0
    .sgpr_count:     32
    .sgpr_spill_count: 0
    .symbol:         _ZN2at6native6mbtopk23computeBlockDigitCountsIfjjLi3EEEvNS_4cuda6detail10TensorInfoIKT_T0_EEjPjjS8_iijT1_PSB_Ps.kd
    .uniform_work_group_size: 1
    .uses_dynamic_stack: false
    .vgpr_count:     10
    .vgpr_spill_count: 0
    .wavefront_size: 32
  - .args:
      - .offset:         0
        .size:           216
        .value_kind:     by_value
      - .offset:         216
        .size:           4
        .value_kind:     by_value
      - .offset:         220
        .size:           4
        .value_kind:     by_value
      - .offset:         224
        .size:           1
        .value_kind:     by_value
      - .offset:         228
        .size:           4
        .value_kind:     by_value
      - .offset:         232
        .size:           4
        .value_kind:     by_value
      - .offset:         240
        .size:           216
        .value_kind:     by_value
      - .offset:         456
        .size:           4
        .value_kind:     by_value
      - .offset:         464
        .size:           216
        .value_kind:     by_value
      - .offset:         680
        .size:           4
        .value_kind:     by_value
      - .offset:         684
        .size:           4
        .value_kind:     by_value
      - .offset:         688
        .size:           4
        .value_kind:     by_value
      - .address_space:  global
        .offset:         696
        .size:           8
        .value_kind:     global_buffer
      - .address_space:  global
        .offset:         704
        .size:           8
        .value_kind:     global_buffer
      - .address_space:  global
        .offset:         712
        .size:           8
        .value_kind:     global_buffer
      - .offset:         720
        .size:           4
        .value_kind:     by_value
      - .offset:         728
        .size:           4
        .value_kind:     hidden_block_count_x
      - .offset:         732
        .size:           4
        .value_kind:     hidden_block_count_y
      - .offset:         736
        .size:           4
        .value_kind:     hidden_block_count_z
      - .offset:         740
        .size:           2
        .value_kind:     hidden_group_size_x
      - .offset:         742
        .size:           2
        .value_kind:     hidden_group_size_y
      - .offset:         744
        .size:           2
        .value_kind:     hidden_group_size_z
      - .offset:         746
        .size:           2
        .value_kind:     hidden_remainder_x
      - .offset:         748
        .size:           2
        .value_kind:     hidden_remainder_y
      - .offset:         750
        .size:           2
        .value_kind:     hidden_remainder_z
      - .offset:         768
        .size:           8
        .value_kind:     hidden_global_offset_x
      - .offset:         776
        .size:           8
        .value_kind:     hidden_global_offset_y
      - .offset:         784
        .size:           8
        .value_kind:     hidden_global_offset_z
      - .offset:         792
        .size:           2
        .value_kind:     hidden_grid_dims
    .group_segment_fixed_size: 1068
    .kernarg_segment_align: 8
    .kernarg_segment_size: 984
    .language:       OpenCL C
    .language_version:
      - 2
      - 0
    .max_flat_workgroup_size: 256
    .name:           _ZN2at6native6mbtopk10gatherTopKIfjLi3EEEvNS_4cuda6detail10TensorInfoIKT_T0_EES8_S8_bjS8_NS5_IS6_S8_EES8_NS5_IlS8_EES8_jjPS6_PjSD_j
    .private_segment_fixed_size: 0
    .sgpr_count:     56
    .sgpr_spill_count: 0
    .symbol:         _ZN2at6native6mbtopk10gatherTopKIfjLi3EEEvNS_4cuda6detail10TensorInfoIKT_T0_EES8_S8_bjS8_NS5_IS6_S8_EES8_NS5_IlS8_EES8_jjPS6_PjSD_j.kd
    .uniform_work_group_size: 1
    .uses_dynamic_stack: false
    .vgpr_count:     24
    .vgpr_spill_count: 0
    .wavefront_size: 32
  - .args:
      - .offset:         0
        .size:           216
        .value_kind:     by_value
      - .offset:         216
        .size:           4
        .value_kind:     by_value
      - .offset:         220
        .size:           4
        .value_kind:     by_value
      - .offset:         224
        .size:           1
        .value_kind:     by_value
      - .offset:         228
        .size:           4
        .value_kind:     by_value
      - .offset:         232
        .size:           4
        .value_kind:     by_value
      - .offset:         240
        .size:           216
        .value_kind:     by_value
      - .offset:         456
        .size:           4
        .value_kind:     by_value
      - .offset:         464
        .size:           216
        .value_kind:     by_value
      - .offset:         680
        .size:           4
        .value_kind:     by_value
      - .address_space:  global
        .offset:         688
        .size:           8
        .value_kind:     global_buffer
      - .offset:         696
        .size:           4
        .value_kind:     hidden_block_count_x
      - .offset:         700
        .size:           4
        .value_kind:     hidden_block_count_y
      - .offset:         704
        .size:           4
        .value_kind:     hidden_block_count_z
      - .offset:         708
        .size:           2
        .value_kind:     hidden_group_size_x
      - .offset:         710
        .size:           2
        .value_kind:     hidden_group_size_y
      - .offset:         712
        .size:           2
        .value_kind:     hidden_group_size_z
      - .offset:         714
        .size:           2
        .value_kind:     hidden_remainder_x
      - .offset:         716
        .size:           2
        .value_kind:     hidden_remainder_y
      - .offset:         718
        .size:           2
        .value_kind:     hidden_remainder_z
      - .offset:         736
        .size:           8
        .value_kind:     hidden_global_offset_x
      - .offset:         744
        .size:           8
        .value_kind:     hidden_global_offset_y
      - .offset:         752
        .size:           8
        .value_kind:     hidden_global_offset_z
      - .offset:         760
        .size:           2
        .value_kind:     hidden_grid_dims
    .group_segment_fixed_size: 4112
    .kernarg_segment_align: 8
    .kernarg_segment_size: 952
    .language:       OpenCL C
    .language_version:
      - 2
      - 0
    .max_flat_workgroup_size: 1024
    .name:           _ZN2at6native6sbtopk10gatherTopKIfjLi3ELb0EEEvNS_4cuda6detail10TensorInfoIKT_T0_EES8_S8_bS8_S8_NS5_IS6_S8_EES8_NS5_IlS8_EES8_PS6_
    .private_segment_fixed_size: 0
    .sgpr_count:     107
    .sgpr_spill_count: 2
    .symbol:         _ZN2at6native6sbtopk10gatherTopKIfjLi3ELb0EEEvNS_4cuda6detail10TensorInfoIKT_T0_EES8_S8_bS8_S8_NS5_IS6_S8_EES8_NS5_IlS8_EES8_PS6_.kd
    .uniform_work_group_size: 1
    .uses_dynamic_stack: false
    .vgpr_count:     69
    .vgpr_spill_count: 0
    .wavefront_size: 32
  - .args:
      - .offset:         0
        .size:           216
        .value_kind:     by_value
      - .offset:         216
        .size:           4
        .value_kind:     by_value
      - .address_space:  global
        .offset:         224
        .size:           8
        .value_kind:     global_buffer
      - .offset:         232
        .size:           4
        .value_kind:     by_value
      - .offset:         236
        .size:           4
        .value_kind:     by_value
      - .offset:         240
        .size:           4
        .value_kind:     by_value
      - .offset:         244
        .size:           4
        .value_kind:     by_value
      - .offset:         248
        .size:           4
        .value_kind:     by_value
      - .offset:         252
        .size:           4
        .value_kind:     by_value
      - .address_space:  global
        .offset:         256
        .size:           8
        .value_kind:     global_buffer
      - .address_space:  global
        .offset:         264
        .size:           8
        .value_kind:     global_buffer
      - .offset:         272
        .size:           4
        .value_kind:     hidden_block_count_x
      - .offset:         276
        .size:           4
        .value_kind:     hidden_block_count_y
      - .offset:         280
        .size:           4
        .value_kind:     hidden_block_count_z
      - .offset:         284
        .size:           2
        .value_kind:     hidden_group_size_x
      - .offset:         286
        .size:           2
        .value_kind:     hidden_group_size_y
      - .offset:         288
        .size:           2
        .value_kind:     hidden_group_size_z
      - .offset:         290
        .size:           2
        .value_kind:     hidden_remainder_x
      - .offset:         292
        .size:           2
        .value_kind:     hidden_remainder_y
      - .offset:         294
        .size:           2
        .value_kind:     hidden_remainder_z
      - .offset:         312
        .size:           8
        .value_kind:     hidden_global_offset_x
      - .offset:         320
        .size:           8
        .value_kind:     hidden_global_offset_y
      - .offset:         328
        .size:           8
        .value_kind:     hidden_global_offset_z
      - .offset:         336
        .size:           2
        .value_kind:     hidden_grid_dims
    .group_segment_fixed_size: 1024
    .kernarg_segment_align: 8
    .kernarg_segment_size: 528
    .language:       OpenCL C
    .language_version:
      - 2
      - 0
    .max_flat_workgroup_size: 256
    .name:           _ZN2at6native6mbtopk23computeBlockDigitCountsIfjjLin1EEEvNS_4cuda6detail10TensorInfoIKT_T0_EEjPjjS8_iijT1_PSB_Ps
    .private_segment_fixed_size: 0
    .sgpr_count:     26
    .sgpr_spill_count: 0
    .symbol:         _ZN2at6native6mbtopk23computeBlockDigitCountsIfjjLin1EEEvNS_4cuda6detail10TensorInfoIKT_T0_EEjPjjS8_iijT1_PSB_Ps.kd
    .uniform_work_group_size: 1
    .uses_dynamic_stack: false
    .vgpr_count:     10
    .vgpr_spill_count: 0
    .wavefront_size: 32
  - .args:
      - .offset:         0
        .size:           216
        .value_kind:     by_value
      - .offset:         216
        .size:           4
        .value_kind:     by_value
      - .offset:         220
        .size:           4
        .value_kind:     by_value
      - .offset:         224
        .size:           1
        .value_kind:     by_value
      - .offset:         228
        .size:           4
        .value_kind:     by_value
      - .offset:         232
        .size:           4
        .value_kind:     by_value
      - .offset:         240
        .size:           216
        .value_kind:     by_value
      - .offset:         456
        .size:           4
        .value_kind:     by_value
      - .offset:         464
        .size:           216
        .value_kind:     by_value
      - .offset:         680
        .size:           4
        .value_kind:     by_value
      - .offset:         684
        .size:           4
        .value_kind:     by_value
      - .offset:         688
        .size:           4
        .value_kind:     by_value
      - .address_space:  global
        .offset:         696
        .size:           8
        .value_kind:     global_buffer
      - .address_space:  global
        .offset:         704
        .size:           8
        .value_kind:     global_buffer
      - .address_space:  global
        .offset:         712
        .size:           8
        .value_kind:     global_buffer
      - .offset:         720
        .size:           4
        .value_kind:     by_value
      - .offset:         728
        .size:           4
        .value_kind:     hidden_block_count_x
      - .offset:         732
        .size:           4
        .value_kind:     hidden_block_count_y
      - .offset:         736
        .size:           4
        .value_kind:     hidden_block_count_z
      - .offset:         740
        .size:           2
        .value_kind:     hidden_group_size_x
      - .offset:         742
        .size:           2
        .value_kind:     hidden_group_size_y
      - .offset:         744
        .size:           2
        .value_kind:     hidden_group_size_z
      - .offset:         746
        .size:           2
        .value_kind:     hidden_remainder_x
      - .offset:         748
        .size:           2
        .value_kind:     hidden_remainder_y
      - .offset:         750
        .size:           2
        .value_kind:     hidden_remainder_z
      - .offset:         768
        .size:           8
        .value_kind:     hidden_global_offset_x
      - .offset:         776
        .size:           8
        .value_kind:     hidden_global_offset_y
      - .offset:         784
        .size:           8
        .value_kind:     hidden_global_offset_z
      - .offset:         792
        .size:           2
        .value_kind:     hidden_grid_dims
    .group_segment_fixed_size: 1068
    .kernarg_segment_align: 8
    .kernarg_segment_size: 984
    .language:       OpenCL C
    .language_version:
      - 2
      - 0
    .max_flat_workgroup_size: 256
    .name:           _ZN2at6native6mbtopk10gatherTopKIfjLin1EEEvNS_4cuda6detail10TensorInfoIKT_T0_EES8_S8_bjS8_NS5_IS6_S8_EES8_NS5_IlS8_EES8_jjPS6_PjSD_j
    .private_segment_fixed_size: 0
    .sgpr_count:     39
    .sgpr_spill_count: 0
    .symbol:         _ZN2at6native6mbtopk10gatherTopKIfjLin1EEEvNS_4cuda6detail10TensorInfoIKT_T0_EES8_S8_bjS8_NS5_IS6_S8_EES8_NS5_IlS8_EES8_jjPS6_PjSD_j.kd
    .uniform_work_group_size: 1
    .uses_dynamic_stack: false
    .vgpr_count:     24
    .vgpr_spill_count: 0
    .wavefront_size: 32
  - .args:
      - .offset:         0
        .size:           216
        .value_kind:     by_value
      - .offset:         216
        .size:           4
        .value_kind:     by_value
      - .offset:         220
        .size:           4
        .value_kind:     by_value
      - .offset:         224
        .size:           1
        .value_kind:     by_value
      - .offset:         228
        .size:           4
        .value_kind:     by_value
      - .offset:         232
        .size:           4
        .value_kind:     by_value
      - .offset:         240
        .size:           216
        .value_kind:     by_value
      - .offset:         456
        .size:           4
        .value_kind:     by_value
      - .offset:         464
        .size:           216
        .value_kind:     by_value
      - .offset:         680
        .size:           4
        .value_kind:     by_value
      - .address_space:  global
        .offset:         688
        .size:           8
        .value_kind:     global_buffer
      - .offset:         696
        .size:           4
        .value_kind:     hidden_block_count_x
      - .offset:         700
        .size:           4
        .value_kind:     hidden_block_count_y
      - .offset:         704
        .size:           4
        .value_kind:     hidden_block_count_z
      - .offset:         708
        .size:           2
        .value_kind:     hidden_group_size_x
      - .offset:         710
        .size:           2
        .value_kind:     hidden_group_size_y
      - .offset:         712
        .size:           2
        .value_kind:     hidden_group_size_z
      - .offset:         714
        .size:           2
        .value_kind:     hidden_remainder_x
      - .offset:         716
        .size:           2
        .value_kind:     hidden_remainder_y
      - .offset:         718
        .size:           2
        .value_kind:     hidden_remainder_z
      - .offset:         736
        .size:           8
        .value_kind:     hidden_global_offset_x
      - .offset:         744
        .size:           8
        .value_kind:     hidden_global_offset_y
      - .offset:         752
        .size:           8
        .value_kind:     hidden_global_offset_z
      - .offset:         760
        .size:           2
        .value_kind:     hidden_grid_dims
    .group_segment_fixed_size: 4112
    .kernarg_segment_align: 8
    .kernarg_segment_size: 952
    .language:       OpenCL C
    .language_version:
      - 2
      - 0
    .max_flat_workgroup_size: 1024
    .name:           _ZN2at6native6sbtopk10gatherTopKIfjLin1ELb0EEEvNS_4cuda6detail10TensorInfoIKT_T0_EES8_S8_bS8_S8_NS5_IS6_S8_EES8_NS5_IlS8_EES8_PS6_
    .private_segment_fixed_size: 0
    .sgpr_count:     106
    .sgpr_spill_count: 0
    .symbol:         _ZN2at6native6sbtopk10gatherTopKIfjLin1ELb0EEEvNS_4cuda6detail10TensorInfoIKT_T0_EES8_S8_bS8_S8_NS5_IS6_S8_EES8_NS5_IlS8_EES8_PS6_.kd
    .uniform_work_group_size: 1
    .uses_dynamic_stack: false
    .vgpr_count:     64
    .vgpr_spill_count: 0
    .wavefront_size: 32
  - .args:
      - .offset:         0
        .size:           216
        .value_kind:     by_value
      - .offset:         216
        .size:           4
        .value_kind:     by_value
      - .address_space:  global
        .offset:         224
        .size:           8
        .value_kind:     global_buffer
      - .offset:         232
        .size:           4
        .value_kind:     by_value
      - .offset:         236
        .size:           4
        .value_kind:     by_value
      - .offset:         240
        .size:           4
        .value_kind:     by_value
      - .offset:         244
        .size:           4
        .value_kind:     by_value
      - .offset:         248
        .size:           4
        .value_kind:     by_value
      - .offset:         252
        .size:           4
        .value_kind:     by_value
      - .address_space:  global
        .offset:         256
        .size:           8
        .value_kind:     global_buffer
      - .address_space:  global
        .offset:         264
        .size:           8
        .value_kind:     global_buffer
      - .offset:         272
        .size:           4
        .value_kind:     hidden_block_count_x
      - .offset:         276
        .size:           4
        .value_kind:     hidden_block_count_y
      - .offset:         280
        .size:           4
        .value_kind:     hidden_block_count_z
      - .offset:         284
        .size:           2
        .value_kind:     hidden_group_size_x
      - .offset:         286
        .size:           2
        .value_kind:     hidden_group_size_y
      - .offset:         288
        .size:           2
        .value_kind:     hidden_group_size_z
      - .offset:         290
        .size:           2
        .value_kind:     hidden_remainder_x
      - .offset:         292
        .size:           2
        .value_kind:     hidden_remainder_y
      - .offset:         294
        .size:           2
        .value_kind:     hidden_remainder_z
      - .offset:         312
        .size:           8
        .value_kind:     hidden_global_offset_x
      - .offset:         320
        .size:           8
        .value_kind:     hidden_global_offset_y
      - .offset:         328
        .size:           8
        .value_kind:     hidden_global_offset_z
      - .offset:         336
        .size:           2
        .value_kind:     hidden_grid_dims
    .group_segment_fixed_size: 1024
    .kernarg_segment_align: 8
    .kernarg_segment_size: 528
    .language:       OpenCL C
    .language_version:
      - 2
      - 0
    .max_flat_workgroup_size: 256
    .name:           _ZN2at6native6mbtopk23computeBlockDigitCountsIN3c104HalfEjjLi1EEEvNS_4cuda6detail10TensorInfoIKT_T0_EEjPjjSA_iijT1_PSD_Ps
    .private_segment_fixed_size: 0
    .sgpr_count:     22
    .sgpr_spill_count: 0
    .symbol:         _ZN2at6native6mbtopk23computeBlockDigitCountsIN3c104HalfEjjLi1EEEvNS_4cuda6detail10TensorInfoIKT_T0_EEjPjjSA_iijT1_PSD_Ps.kd
    .uniform_work_group_size: 1
    .uses_dynamic_stack: false
    .vgpr_count:     12
    .vgpr_spill_count: 0
    .wavefront_size: 32
  - .args:
      - .address_space:  global
        .offset:         0
        .size:           8
        .value_kind:     global_buffer
      - .address_space:  global
        .offset:         8
        .size:           8
        .value_kind:     global_buffer
      - .address_space:  global
        .offset:         16
        .size:           8
        .value_kind:     global_buffer
      - .offset:         24
        .size:           4
        .value_kind:     by_value
      - .offset:         28
        .size:           4
        .value_kind:     by_value
      - .offset:         32
        .size:           1
        .value_kind:     by_value
      - .address_space:  global
        .offset:         40
        .size:           8
        .value_kind:     global_buffer
      - .address_space:  global
        .offset:         48
        .size:           8
        .value_kind:     global_buffer
      - .address_space:  global
        .offset:         56
        .size:           8
        .value_kind:     global_buffer
      - .address_space:  global
        .offset:         64
        .size:           8
        .value_kind:     global_buffer
      - .address_space:  global
        .offset:         72
        .size:           8
        .value_kind:     global_buffer
      - .offset:         80
        .size:           4
        .value_kind:     by_value
      - .offset:         88
        .size:           4
        .value_kind:     hidden_block_count_x
      - .offset:         92
        .size:           4
        .value_kind:     hidden_block_count_y
      - .offset:         96
        .size:           4
        .value_kind:     hidden_block_count_z
      - .offset:         100
        .size:           2
        .value_kind:     hidden_group_size_x
      - .offset:         102
        .size:           2
        .value_kind:     hidden_group_size_y
      - .offset:         104
        .size:           2
        .value_kind:     hidden_group_size_z
      - .offset:         106
        .size:           2
        .value_kind:     hidden_remainder_x
      - .offset:         108
        .size:           2
        .value_kind:     hidden_remainder_y
      - .offset:         110
        .size:           2
        .value_kind:     hidden_remainder_z
      - .offset:         128
        .size:           8
        .value_kind:     hidden_global_offset_x
      - .offset:         136
        .size:           8
        .value_kind:     hidden_global_offset_y
      - .offset:         144
        .size:           8
        .value_kind:     hidden_global_offset_z
      - .offset:         152
        .size:           2
        .value_kind:     hidden_grid_dims
    .group_segment_fixed_size: 2116
    .kernarg_segment_align: 8
    .kernarg_segment_size: 344
    .language:       OpenCL C
    .language_version:
      - 2
      - 0
    .max_flat_workgroup_size: 256
    .name:           _ZN2at6native6mbtopk29computeBlockwiseWithinKCountsIjN3c104HalfEEEvPT_PsPjjibS8_PT0_S8_S6_S8_j
    .private_segment_fixed_size: 0
    .sgpr_count:     29
    .sgpr_spill_count: 0
    .symbol:         _ZN2at6native6mbtopk29computeBlockwiseWithinKCountsIjN3c104HalfEEEvPT_PsPjjibS8_PT0_S8_S6_S8_j.kd
    .uniform_work_group_size: 1
    .uses_dynamic_stack: false
    .vgpr_count:     15
    .vgpr_spill_count: 0
    .wavefront_size: 32
  - .args:
      - .offset:         0
        .size:           216
        .value_kind:     by_value
      - .offset:         216
        .size:           4
        .value_kind:     by_value
      - .offset:         220
        .size:           4
        .value_kind:     by_value
      - .offset:         224
        .size:           1
        .value_kind:     by_value
      - .offset:         228
        .size:           4
        .value_kind:     by_value
      - .offset:         232
        .size:           4
        .value_kind:     by_value
      - .offset:         240
        .size:           216
        .value_kind:     by_value
      - .offset:         456
        .size:           4
        .value_kind:     by_value
      - .offset:         464
        .size:           216
        .value_kind:     by_value
      - .offset:         680
        .size:           4
        .value_kind:     by_value
      - .offset:         684
        .size:           4
        .value_kind:     by_value
      - .offset:         688
        .size:           4
        .value_kind:     by_value
      - .address_space:  global
        .offset:         696
        .size:           8
        .value_kind:     global_buffer
      - .address_space:  global
        .offset:         704
        .size:           8
        .value_kind:     global_buffer
      - .address_space:  global
        .offset:         712
        .size:           8
        .value_kind:     global_buffer
      - .offset:         720
        .size:           4
        .value_kind:     by_value
      - .offset:         728
        .size:           4
        .value_kind:     hidden_block_count_x
      - .offset:         732
        .size:           4
        .value_kind:     hidden_block_count_y
      - .offset:         736
        .size:           4
        .value_kind:     hidden_block_count_z
      - .offset:         740
        .size:           2
        .value_kind:     hidden_group_size_x
      - .offset:         742
        .size:           2
        .value_kind:     hidden_group_size_y
      - .offset:         744
        .size:           2
        .value_kind:     hidden_group_size_z
      - .offset:         746
        .size:           2
        .value_kind:     hidden_remainder_x
      - .offset:         748
        .size:           2
        .value_kind:     hidden_remainder_y
      - .offset:         750
        .size:           2
        .value_kind:     hidden_remainder_z
      - .offset:         768
        .size:           8
        .value_kind:     hidden_global_offset_x
      - .offset:         776
        .size:           8
        .value_kind:     hidden_global_offset_y
      - .offset:         784
        .size:           8
        .value_kind:     hidden_global_offset_z
      - .offset:         792
        .size:           2
        .value_kind:     hidden_grid_dims
    .group_segment_fixed_size: 1068
    .kernarg_segment_align: 8
    .kernarg_segment_size: 984
    .language:       OpenCL C
    .language_version:
      - 2
      - 0
    .max_flat_workgroup_size: 256
    .name:           _ZN2at6native6mbtopk10gatherTopKIN3c104HalfEjLi1EEEvNS_4cuda6detail10TensorInfoIKT_T0_EESA_SA_bjSA_NS7_IS8_SA_EESA_NS7_IlSA_EESA_jjPS8_PjSF_j
    .private_segment_fixed_size: 0
    .sgpr_count:     31
    .sgpr_spill_count: 0
    .symbol:         _ZN2at6native6mbtopk10gatherTopKIN3c104HalfEjLi1EEEvNS_4cuda6detail10TensorInfoIKT_T0_EESA_SA_bjSA_NS7_IS8_SA_EESA_NS7_IlSA_EESA_jjPS8_PjSF_j.kd
    .uniform_work_group_size: 1
    .uses_dynamic_stack: false
    .vgpr_count:     26
    .vgpr_spill_count: 0
    .wavefront_size: 32
  - .args:
      - .offset:         0
        .size:           216
        .value_kind:     by_value
      - .offset:         216
        .size:           4
        .value_kind:     by_value
      - .offset:         220
        .size:           4
        .value_kind:     by_value
      - .offset:         224
        .size:           1
        .value_kind:     by_value
      - .offset:         228
        .size:           4
        .value_kind:     by_value
      - .offset:         232
        .size:           4
        .value_kind:     by_value
      - .offset:         240
        .size:           216
        .value_kind:     by_value
      - .offset:         456
        .size:           4
        .value_kind:     by_value
      - .offset:         464
        .size:           216
        .value_kind:     by_value
      - .offset:         680
        .size:           4
        .value_kind:     by_value
      - .address_space:  global
        .offset:         688
        .size:           8
        .value_kind:     global_buffer
      - .offset:         696
        .size:           4
        .value_kind:     hidden_block_count_x
      - .offset:         700
        .size:           4
        .value_kind:     hidden_block_count_y
      - .offset:         704
        .size:           4
        .value_kind:     hidden_block_count_z
      - .offset:         708
        .size:           2
        .value_kind:     hidden_group_size_x
      - .offset:         710
        .size:           2
        .value_kind:     hidden_group_size_y
      - .offset:         712
        .size:           2
        .value_kind:     hidden_group_size_z
      - .offset:         714
        .size:           2
        .value_kind:     hidden_remainder_x
      - .offset:         716
        .size:           2
        .value_kind:     hidden_remainder_y
      - .offset:         718
        .size:           2
        .value_kind:     hidden_remainder_z
      - .offset:         736
        .size:           8
        .value_kind:     hidden_global_offset_x
      - .offset:         744
        .size:           8
        .value_kind:     hidden_global_offset_y
      - .offset:         752
        .size:           8
        .value_kind:     hidden_global_offset_z
      - .offset:         760
        .size:           2
        .value_kind:     hidden_grid_dims
    .group_segment_fixed_size: 4112
    .kernarg_segment_align: 8
    .kernarg_segment_size: 952
    .language:       OpenCL C
    .language_version:
      - 2
      - 0
    .max_flat_workgroup_size: 1024
    .name:           _ZN2at6native6sbtopk10gatherTopKIN3c104HalfEjLi1ELb0EEEvNS_4cuda6detail10TensorInfoIKT_T0_EESA_SA_bSA_SA_NS7_IS8_SA_EESA_NS7_IlSA_EESA_PS8_
    .private_segment_fixed_size: 0
    .sgpr_count:     107
    .sgpr_spill_count: 0
    .symbol:         _ZN2at6native6sbtopk10gatherTopKIN3c104HalfEjLi1ELb0EEEvNS_4cuda6detail10TensorInfoIKT_T0_EESA_SA_bSA_SA_NS7_IS8_SA_EESA_NS7_IlSA_EESA_PS8_.kd
    .uniform_work_group_size: 1
    .uses_dynamic_stack: false
    .vgpr_count:     65
    .vgpr_spill_count: 0
    .wavefront_size: 32
  - .args:
      - .offset:         0
        .size:           216
        .value_kind:     by_value
      - .offset:         216
        .size:           4
        .value_kind:     by_value
      - .address_space:  global
        .offset:         224
        .size:           8
        .value_kind:     global_buffer
      - .offset:         232
        .size:           4
        .value_kind:     by_value
      - .offset:         236
        .size:           4
        .value_kind:     by_value
      - .offset:         240
        .size:           4
        .value_kind:     by_value
      - .offset:         244
        .size:           4
        .value_kind:     by_value
      - .offset:         248
        .size:           4
        .value_kind:     by_value
      - .offset:         252
        .size:           4
        .value_kind:     by_value
      - .address_space:  global
        .offset:         256
        .size:           8
        .value_kind:     global_buffer
      - .address_space:  global
        .offset:         264
        .size:           8
        .value_kind:     global_buffer
      - .offset:         272
        .size:           4
        .value_kind:     hidden_block_count_x
      - .offset:         276
        .size:           4
        .value_kind:     hidden_block_count_y
      - .offset:         280
        .size:           4
        .value_kind:     hidden_block_count_z
      - .offset:         284
        .size:           2
        .value_kind:     hidden_group_size_x
      - .offset:         286
        .size:           2
        .value_kind:     hidden_group_size_y
      - .offset:         288
        .size:           2
        .value_kind:     hidden_group_size_z
      - .offset:         290
        .size:           2
        .value_kind:     hidden_remainder_x
      - .offset:         292
        .size:           2
        .value_kind:     hidden_remainder_y
      - .offset:         294
        .size:           2
        .value_kind:     hidden_remainder_z
      - .offset:         312
        .size:           8
        .value_kind:     hidden_global_offset_x
      - .offset:         320
        .size:           8
        .value_kind:     hidden_global_offset_y
      - .offset:         328
        .size:           8
        .value_kind:     hidden_global_offset_z
      - .offset:         336
        .size:           2
        .value_kind:     hidden_grid_dims
    .group_segment_fixed_size: 1024
    .kernarg_segment_align: 8
    .kernarg_segment_size: 528
    .language:       OpenCL C
    .language_version:
      - 2
      - 0
    .max_flat_workgroup_size: 256
    .name:           _ZN2at6native6mbtopk23computeBlockDigitCountsIN3c104HalfEjjLi2EEEvNS_4cuda6detail10TensorInfoIKT_T0_EEjPjjSA_iijT1_PSD_Ps
    .private_segment_fixed_size: 0
    .sgpr_count:     28
    .sgpr_spill_count: 0
    .symbol:         _ZN2at6native6mbtopk23computeBlockDigitCountsIN3c104HalfEjjLi2EEEvNS_4cuda6detail10TensorInfoIKT_T0_EEjPjjSA_iijT1_PSD_Ps.kd
    .uniform_work_group_size: 1
    .uses_dynamic_stack: false
    .vgpr_count:     12
    .vgpr_spill_count: 0
    .wavefront_size: 32
  - .args:
      - .offset:         0
        .size:           216
        .value_kind:     by_value
      - .offset:         216
        .size:           4
        .value_kind:     by_value
      - .offset:         220
        .size:           4
        .value_kind:     by_value
      - .offset:         224
        .size:           1
        .value_kind:     by_value
      - .offset:         228
        .size:           4
        .value_kind:     by_value
      - .offset:         232
        .size:           4
        .value_kind:     by_value
      - .offset:         240
        .size:           216
        .value_kind:     by_value
      - .offset:         456
        .size:           4
        .value_kind:     by_value
      - .offset:         464
        .size:           216
        .value_kind:     by_value
      - .offset:         680
        .size:           4
        .value_kind:     by_value
      - .offset:         684
        .size:           4
        .value_kind:     by_value
      - .offset:         688
        .size:           4
        .value_kind:     by_value
      - .address_space:  global
        .offset:         696
        .size:           8
        .value_kind:     global_buffer
      - .address_space:  global
        .offset:         704
        .size:           8
        .value_kind:     global_buffer
      - .address_space:  global
        .offset:         712
        .size:           8
        .value_kind:     global_buffer
      - .offset:         720
        .size:           4
        .value_kind:     by_value
      - .offset:         728
        .size:           4
        .value_kind:     hidden_block_count_x
      - .offset:         732
        .size:           4
        .value_kind:     hidden_block_count_y
      - .offset:         736
        .size:           4
        .value_kind:     hidden_block_count_z
      - .offset:         740
        .size:           2
        .value_kind:     hidden_group_size_x
      - .offset:         742
        .size:           2
        .value_kind:     hidden_group_size_y
      - .offset:         744
        .size:           2
        .value_kind:     hidden_group_size_z
      - .offset:         746
        .size:           2
        .value_kind:     hidden_remainder_x
      - .offset:         748
        .size:           2
        .value_kind:     hidden_remainder_y
      - .offset:         750
        .size:           2
        .value_kind:     hidden_remainder_z
      - .offset:         768
        .size:           8
        .value_kind:     hidden_global_offset_x
      - .offset:         776
        .size:           8
        .value_kind:     hidden_global_offset_y
      - .offset:         784
        .size:           8
        .value_kind:     hidden_global_offset_z
      - .offset:         792
        .size:           2
        .value_kind:     hidden_grid_dims
    .group_segment_fixed_size: 1068
    .kernarg_segment_align: 8
    .kernarg_segment_size: 984
    .language:       OpenCL C
    .language_version:
      - 2
      - 0
    .max_flat_workgroup_size: 256
    .name:           _ZN2at6native6mbtopk10gatherTopKIN3c104HalfEjLi2EEEvNS_4cuda6detail10TensorInfoIKT_T0_EESA_SA_bjSA_NS7_IS8_SA_EESA_NS7_IlSA_EESA_jjPS8_PjSF_j
    .private_segment_fixed_size: 0
    .sgpr_count:     48
    .sgpr_spill_count: 0
    .symbol:         _ZN2at6native6mbtopk10gatherTopKIN3c104HalfEjLi2EEEvNS_4cuda6detail10TensorInfoIKT_T0_EESA_SA_bjSA_NS7_IS8_SA_EESA_NS7_IlSA_EESA_jjPS8_PjSF_j.kd
    .uniform_work_group_size: 1
    .uses_dynamic_stack: false
    .vgpr_count:     26
    .vgpr_spill_count: 0
    .wavefront_size: 32
  - .args:
      - .offset:         0
        .size:           216
        .value_kind:     by_value
      - .offset:         216
        .size:           4
        .value_kind:     by_value
      - .offset:         220
        .size:           4
        .value_kind:     by_value
      - .offset:         224
        .size:           1
        .value_kind:     by_value
      - .offset:         228
        .size:           4
        .value_kind:     by_value
      - .offset:         232
        .size:           4
        .value_kind:     by_value
      - .offset:         240
        .size:           216
        .value_kind:     by_value
      - .offset:         456
        .size:           4
        .value_kind:     by_value
      - .offset:         464
        .size:           216
        .value_kind:     by_value
      - .offset:         680
        .size:           4
        .value_kind:     by_value
      - .address_space:  global
        .offset:         688
        .size:           8
        .value_kind:     global_buffer
      - .offset:         696
        .size:           4
        .value_kind:     hidden_block_count_x
      - .offset:         700
        .size:           4
        .value_kind:     hidden_block_count_y
      - .offset:         704
        .size:           4
        .value_kind:     hidden_block_count_z
      - .offset:         708
        .size:           2
        .value_kind:     hidden_group_size_x
      - .offset:         710
        .size:           2
        .value_kind:     hidden_group_size_y
      - .offset:         712
        .size:           2
        .value_kind:     hidden_group_size_z
      - .offset:         714
        .size:           2
        .value_kind:     hidden_remainder_x
      - .offset:         716
        .size:           2
        .value_kind:     hidden_remainder_y
      - .offset:         718
        .size:           2
        .value_kind:     hidden_remainder_z
      - .offset:         736
        .size:           8
        .value_kind:     hidden_global_offset_x
      - .offset:         744
        .size:           8
        .value_kind:     hidden_global_offset_y
      - .offset:         752
        .size:           8
        .value_kind:     hidden_global_offset_z
      - .offset:         760
        .size:           2
        .value_kind:     hidden_grid_dims
    .group_segment_fixed_size: 4112
    .kernarg_segment_align: 8
    .kernarg_segment_size: 952
    .language:       OpenCL C
    .language_version:
      - 2
      - 0
    .max_flat_workgroup_size: 1024
    .name:           _ZN2at6native6sbtopk10gatherTopKIN3c104HalfEjLi2ELb0EEEvNS_4cuda6detail10TensorInfoIKT_T0_EESA_SA_bSA_SA_NS7_IS8_SA_EESA_NS7_IlSA_EESA_PS8_
    .private_segment_fixed_size: 0
    .sgpr_count:     107
    .sgpr_spill_count: 2
    .symbol:         _ZN2at6native6sbtopk10gatherTopKIN3c104HalfEjLi2ELb0EEEvNS_4cuda6detail10TensorInfoIKT_T0_EESA_SA_bSA_SA_NS7_IS8_SA_EESA_NS7_IlSA_EESA_PS8_.kd
    .uniform_work_group_size: 1
    .uses_dynamic_stack: false
    .vgpr_count:     72
    .vgpr_spill_count: 0
    .wavefront_size: 32
  - .args:
      - .offset:         0
        .size:           216
        .value_kind:     by_value
      - .offset:         216
        .size:           4
        .value_kind:     by_value
      - .address_space:  global
        .offset:         224
        .size:           8
        .value_kind:     global_buffer
      - .offset:         232
        .size:           4
        .value_kind:     by_value
      - .offset:         236
        .size:           4
        .value_kind:     by_value
      - .offset:         240
        .size:           4
        .value_kind:     by_value
      - .offset:         244
        .size:           4
        .value_kind:     by_value
      - .offset:         248
        .size:           4
        .value_kind:     by_value
      - .offset:         252
        .size:           4
        .value_kind:     by_value
      - .address_space:  global
        .offset:         256
        .size:           8
        .value_kind:     global_buffer
      - .address_space:  global
        .offset:         264
        .size:           8
        .value_kind:     global_buffer
      - .offset:         272
        .size:           4
        .value_kind:     hidden_block_count_x
      - .offset:         276
        .size:           4
        .value_kind:     hidden_block_count_y
      - .offset:         280
        .size:           4
        .value_kind:     hidden_block_count_z
      - .offset:         284
        .size:           2
        .value_kind:     hidden_group_size_x
      - .offset:         286
        .size:           2
        .value_kind:     hidden_group_size_y
      - .offset:         288
        .size:           2
        .value_kind:     hidden_group_size_z
      - .offset:         290
        .size:           2
        .value_kind:     hidden_remainder_x
      - .offset:         292
        .size:           2
        .value_kind:     hidden_remainder_y
      - .offset:         294
        .size:           2
        .value_kind:     hidden_remainder_z
      - .offset:         312
        .size:           8
        .value_kind:     hidden_global_offset_x
      - .offset:         320
        .size:           8
        .value_kind:     hidden_global_offset_y
      - .offset:         328
        .size:           8
        .value_kind:     hidden_global_offset_z
      - .offset:         336
        .size:           2
        .value_kind:     hidden_grid_dims
    .group_segment_fixed_size: 1024
    .kernarg_segment_align: 8
    .kernarg_segment_size: 528
    .language:       OpenCL C
    .language_version:
      - 2
      - 0
    .max_flat_workgroup_size: 256
    .name:           _ZN2at6native6mbtopk23computeBlockDigitCountsIN3c104HalfEjjLi3EEEvNS_4cuda6detail10TensorInfoIKT_T0_EEjPjjSA_iijT1_PSD_Ps
    .private_segment_fixed_size: 0
    .sgpr_count:     32
    .sgpr_spill_count: 0
    .symbol:         _ZN2at6native6mbtopk23computeBlockDigitCountsIN3c104HalfEjjLi3EEEvNS_4cuda6detail10TensorInfoIKT_T0_EEjPjjSA_iijT1_PSD_Ps.kd
    .uniform_work_group_size: 1
    .uses_dynamic_stack: false
    .vgpr_count:     12
    .vgpr_spill_count: 0
    .wavefront_size: 32
  - .args:
      - .offset:         0
        .size:           216
        .value_kind:     by_value
      - .offset:         216
        .size:           4
        .value_kind:     by_value
      - .offset:         220
        .size:           4
        .value_kind:     by_value
      - .offset:         224
        .size:           1
        .value_kind:     by_value
      - .offset:         228
        .size:           4
        .value_kind:     by_value
      - .offset:         232
        .size:           4
        .value_kind:     by_value
      - .offset:         240
        .size:           216
        .value_kind:     by_value
      - .offset:         456
        .size:           4
        .value_kind:     by_value
      - .offset:         464
        .size:           216
        .value_kind:     by_value
      - .offset:         680
        .size:           4
        .value_kind:     by_value
      - .offset:         684
        .size:           4
        .value_kind:     by_value
      - .offset:         688
        .size:           4
        .value_kind:     by_value
      - .address_space:  global
        .offset:         696
        .size:           8
        .value_kind:     global_buffer
      - .address_space:  global
        .offset:         704
        .size:           8
        .value_kind:     global_buffer
      - .address_space:  global
        .offset:         712
        .size:           8
        .value_kind:     global_buffer
      - .offset:         720
        .size:           4
        .value_kind:     by_value
      - .offset:         728
        .size:           4
        .value_kind:     hidden_block_count_x
      - .offset:         732
        .size:           4
        .value_kind:     hidden_block_count_y
      - .offset:         736
        .size:           4
        .value_kind:     hidden_block_count_z
      - .offset:         740
        .size:           2
        .value_kind:     hidden_group_size_x
      - .offset:         742
        .size:           2
        .value_kind:     hidden_group_size_y
      - .offset:         744
        .size:           2
        .value_kind:     hidden_group_size_z
      - .offset:         746
        .size:           2
        .value_kind:     hidden_remainder_x
      - .offset:         748
        .size:           2
        .value_kind:     hidden_remainder_y
      - .offset:         750
        .size:           2
        .value_kind:     hidden_remainder_z
      - .offset:         768
        .size:           8
        .value_kind:     hidden_global_offset_x
      - .offset:         776
        .size:           8
        .value_kind:     hidden_global_offset_y
      - .offset:         784
        .size:           8
        .value_kind:     hidden_global_offset_z
      - .offset:         792
        .size:           2
        .value_kind:     hidden_grid_dims
    .group_segment_fixed_size: 1068
    .kernarg_segment_align: 8
    .kernarg_segment_size: 984
    .language:       OpenCL C
    .language_version:
      - 2
      - 0
    .max_flat_workgroup_size: 256
    .name:           _ZN2at6native6mbtopk10gatherTopKIN3c104HalfEjLi3EEEvNS_4cuda6detail10TensorInfoIKT_T0_EESA_SA_bjSA_NS7_IS8_SA_EESA_NS7_IlSA_EESA_jjPS8_PjSF_j
    .private_segment_fixed_size: 0
    .sgpr_count:     55
    .sgpr_spill_count: 0
    .symbol:         _ZN2at6native6mbtopk10gatherTopKIN3c104HalfEjLi3EEEvNS_4cuda6detail10TensorInfoIKT_T0_EESA_SA_bjSA_NS7_IS8_SA_EESA_NS7_IlSA_EESA_jjPS8_PjSF_j.kd
    .uniform_work_group_size: 1
    .uses_dynamic_stack: false
    .vgpr_count:     26
    .vgpr_spill_count: 0
    .wavefront_size: 32
  - .args:
      - .offset:         0
        .size:           216
        .value_kind:     by_value
      - .offset:         216
        .size:           4
        .value_kind:     by_value
      - .offset:         220
        .size:           4
        .value_kind:     by_value
      - .offset:         224
        .size:           1
        .value_kind:     by_value
      - .offset:         228
        .size:           4
        .value_kind:     by_value
      - .offset:         232
        .size:           4
        .value_kind:     by_value
      - .offset:         240
        .size:           216
        .value_kind:     by_value
      - .offset:         456
        .size:           4
        .value_kind:     by_value
      - .offset:         464
        .size:           216
        .value_kind:     by_value
      - .offset:         680
        .size:           4
        .value_kind:     by_value
      - .address_space:  global
        .offset:         688
        .size:           8
        .value_kind:     global_buffer
      - .offset:         696
        .size:           4
        .value_kind:     hidden_block_count_x
      - .offset:         700
        .size:           4
        .value_kind:     hidden_block_count_y
      - .offset:         704
        .size:           4
        .value_kind:     hidden_block_count_z
      - .offset:         708
        .size:           2
        .value_kind:     hidden_group_size_x
      - .offset:         710
        .size:           2
        .value_kind:     hidden_group_size_y
      - .offset:         712
        .size:           2
        .value_kind:     hidden_group_size_z
      - .offset:         714
        .size:           2
        .value_kind:     hidden_remainder_x
      - .offset:         716
        .size:           2
        .value_kind:     hidden_remainder_y
      - .offset:         718
        .size:           2
        .value_kind:     hidden_remainder_z
      - .offset:         736
        .size:           8
        .value_kind:     hidden_global_offset_x
      - .offset:         744
        .size:           8
        .value_kind:     hidden_global_offset_y
      - .offset:         752
        .size:           8
        .value_kind:     hidden_global_offset_z
      - .offset:         760
        .size:           2
        .value_kind:     hidden_grid_dims
    .group_segment_fixed_size: 4112
    .kernarg_segment_align: 8
    .kernarg_segment_size: 952
    .language:       OpenCL C
    .language_version:
      - 2
      - 0
    .max_flat_workgroup_size: 1024
    .name:           _ZN2at6native6sbtopk10gatherTopKIN3c104HalfEjLi3ELb0EEEvNS_4cuda6detail10TensorInfoIKT_T0_EESA_SA_bSA_SA_NS7_IS8_SA_EESA_NS7_IlSA_EESA_PS8_
    .private_segment_fixed_size: 0
    .sgpr_count:     107
    .sgpr_spill_count: 7
    .symbol:         _ZN2at6native6sbtopk10gatherTopKIN3c104HalfEjLi3ELb0EEEvNS_4cuda6detail10TensorInfoIKT_T0_EESA_SA_bSA_SA_NS7_IS8_SA_EESA_NS7_IlSA_EESA_PS8_.kd
    .uniform_work_group_size: 1
    .uses_dynamic_stack: false
    .vgpr_count:     72
    .vgpr_spill_count: 0
    .wavefront_size: 32
  - .args:
      - .offset:         0
        .size:           216
        .value_kind:     by_value
      - .offset:         216
        .size:           4
        .value_kind:     by_value
      - .address_space:  global
        .offset:         224
        .size:           8
        .value_kind:     global_buffer
      - .offset:         232
        .size:           4
        .value_kind:     by_value
      - .offset:         236
        .size:           4
        .value_kind:     by_value
      - .offset:         240
        .size:           4
        .value_kind:     by_value
      - .offset:         244
        .size:           4
        .value_kind:     by_value
      - .offset:         248
        .size:           4
        .value_kind:     by_value
      - .offset:         252
        .size:           4
        .value_kind:     by_value
      - .address_space:  global
        .offset:         256
        .size:           8
        .value_kind:     global_buffer
      - .address_space:  global
        .offset:         264
        .size:           8
        .value_kind:     global_buffer
      - .offset:         272
        .size:           4
        .value_kind:     hidden_block_count_x
      - .offset:         276
        .size:           4
        .value_kind:     hidden_block_count_y
      - .offset:         280
        .size:           4
        .value_kind:     hidden_block_count_z
      - .offset:         284
        .size:           2
        .value_kind:     hidden_group_size_x
      - .offset:         286
        .size:           2
        .value_kind:     hidden_group_size_y
      - .offset:         288
        .size:           2
        .value_kind:     hidden_group_size_z
      - .offset:         290
        .size:           2
        .value_kind:     hidden_remainder_x
      - .offset:         292
        .size:           2
        .value_kind:     hidden_remainder_y
      - .offset:         294
        .size:           2
        .value_kind:     hidden_remainder_z
      - .offset:         312
        .size:           8
        .value_kind:     hidden_global_offset_x
      - .offset:         320
        .size:           8
        .value_kind:     hidden_global_offset_y
      - .offset:         328
        .size:           8
        .value_kind:     hidden_global_offset_z
      - .offset:         336
        .size:           2
        .value_kind:     hidden_grid_dims
    .group_segment_fixed_size: 1024
    .kernarg_segment_align: 8
    .kernarg_segment_size: 528
    .language:       OpenCL C
    .language_version:
      - 2
      - 0
    .max_flat_workgroup_size: 256
    .name:           _ZN2at6native6mbtopk23computeBlockDigitCountsIN3c104HalfEjjLin1EEEvNS_4cuda6detail10TensorInfoIKT_T0_EEjPjjSA_iijT1_PSD_Ps
    .private_segment_fixed_size: 0
    .sgpr_count:     26
    .sgpr_spill_count: 0
    .symbol:         _ZN2at6native6mbtopk23computeBlockDigitCountsIN3c104HalfEjjLin1EEEvNS_4cuda6detail10TensorInfoIKT_T0_EEjPjjSA_iijT1_PSD_Ps.kd
    .uniform_work_group_size: 1
    .uses_dynamic_stack: false
    .vgpr_count:     12
    .vgpr_spill_count: 0
    .wavefront_size: 32
  - .args:
      - .offset:         0
        .size:           216
        .value_kind:     by_value
      - .offset:         216
        .size:           4
        .value_kind:     by_value
      - .offset:         220
        .size:           4
        .value_kind:     by_value
      - .offset:         224
        .size:           1
        .value_kind:     by_value
      - .offset:         228
        .size:           4
        .value_kind:     by_value
      - .offset:         232
        .size:           4
        .value_kind:     by_value
      - .offset:         240
        .size:           216
        .value_kind:     by_value
      - .offset:         456
        .size:           4
        .value_kind:     by_value
      - .offset:         464
        .size:           216
        .value_kind:     by_value
      - .offset:         680
        .size:           4
        .value_kind:     by_value
      - .offset:         684
        .size:           4
        .value_kind:     by_value
      - .offset:         688
        .size:           4
        .value_kind:     by_value
      - .address_space:  global
        .offset:         696
        .size:           8
        .value_kind:     global_buffer
      - .address_space:  global
        .offset:         704
        .size:           8
        .value_kind:     global_buffer
      - .address_space:  global
        .offset:         712
        .size:           8
        .value_kind:     global_buffer
      - .offset:         720
        .size:           4
        .value_kind:     by_value
      - .offset:         728
        .size:           4
        .value_kind:     hidden_block_count_x
      - .offset:         732
        .size:           4
        .value_kind:     hidden_block_count_y
      - .offset:         736
        .size:           4
        .value_kind:     hidden_block_count_z
      - .offset:         740
        .size:           2
        .value_kind:     hidden_group_size_x
      - .offset:         742
        .size:           2
        .value_kind:     hidden_group_size_y
      - .offset:         744
        .size:           2
        .value_kind:     hidden_group_size_z
      - .offset:         746
        .size:           2
        .value_kind:     hidden_remainder_x
      - .offset:         748
        .size:           2
        .value_kind:     hidden_remainder_y
      - .offset:         750
        .size:           2
        .value_kind:     hidden_remainder_z
      - .offset:         768
        .size:           8
        .value_kind:     hidden_global_offset_x
      - .offset:         776
        .size:           8
        .value_kind:     hidden_global_offset_y
      - .offset:         784
        .size:           8
        .value_kind:     hidden_global_offset_z
      - .offset:         792
        .size:           2
        .value_kind:     hidden_grid_dims
    .group_segment_fixed_size: 1068
    .kernarg_segment_align: 8
    .kernarg_segment_size: 984
    .language:       OpenCL C
    .language_version:
      - 2
      - 0
    .max_flat_workgroup_size: 256
    .name:           _ZN2at6native6mbtopk10gatherTopKIN3c104HalfEjLin1EEEvNS_4cuda6detail10TensorInfoIKT_T0_EESA_SA_bjSA_NS7_IS8_SA_EESA_NS7_IlSA_EESA_jjPS8_PjSF_j
    .private_segment_fixed_size: 0
    .sgpr_count:     39
    .sgpr_spill_count: 0
    .symbol:         _ZN2at6native6mbtopk10gatherTopKIN3c104HalfEjLin1EEEvNS_4cuda6detail10TensorInfoIKT_T0_EESA_SA_bjSA_NS7_IS8_SA_EESA_NS7_IlSA_EESA_jjPS8_PjSF_j.kd
    .uniform_work_group_size: 1
    .uses_dynamic_stack: false
    .vgpr_count:     26
    .vgpr_spill_count: 0
    .wavefront_size: 32
  - .args:
      - .offset:         0
        .size:           216
        .value_kind:     by_value
      - .offset:         216
        .size:           4
        .value_kind:     by_value
      - .offset:         220
        .size:           4
        .value_kind:     by_value
      - .offset:         224
        .size:           1
        .value_kind:     by_value
      - .offset:         228
        .size:           4
        .value_kind:     by_value
      - .offset:         232
        .size:           4
        .value_kind:     by_value
      - .offset:         240
        .size:           216
        .value_kind:     by_value
      - .offset:         456
        .size:           4
        .value_kind:     by_value
      - .offset:         464
        .size:           216
        .value_kind:     by_value
      - .offset:         680
        .size:           4
        .value_kind:     by_value
      - .address_space:  global
        .offset:         688
        .size:           8
        .value_kind:     global_buffer
      - .offset:         696
        .size:           4
        .value_kind:     hidden_block_count_x
      - .offset:         700
        .size:           4
        .value_kind:     hidden_block_count_y
      - .offset:         704
        .size:           4
        .value_kind:     hidden_block_count_z
      - .offset:         708
        .size:           2
        .value_kind:     hidden_group_size_x
      - .offset:         710
        .size:           2
        .value_kind:     hidden_group_size_y
      - .offset:         712
        .size:           2
        .value_kind:     hidden_group_size_z
      - .offset:         714
        .size:           2
        .value_kind:     hidden_remainder_x
      - .offset:         716
        .size:           2
        .value_kind:     hidden_remainder_y
      - .offset:         718
        .size:           2
        .value_kind:     hidden_remainder_z
      - .offset:         736
        .size:           8
        .value_kind:     hidden_global_offset_x
      - .offset:         744
        .size:           8
        .value_kind:     hidden_global_offset_y
      - .offset:         752
        .size:           8
        .value_kind:     hidden_global_offset_z
      - .offset:         760
        .size:           2
        .value_kind:     hidden_grid_dims
    .group_segment_fixed_size: 4112
    .kernarg_segment_align: 8
    .kernarg_segment_size: 952
    .language:       OpenCL C
    .language_version:
      - 2
      - 0
    .max_flat_workgroup_size: 1024
    .name:           _ZN2at6native6sbtopk10gatherTopKIN3c104HalfEjLin1ELb0EEEvNS_4cuda6detail10TensorInfoIKT_T0_EESA_SA_bSA_SA_NS7_IS8_SA_EESA_NS7_IlSA_EESA_PS8_
    .private_segment_fixed_size: 0
    .sgpr_count:     107
    .sgpr_spill_count: 0
    .symbol:         _ZN2at6native6sbtopk10gatherTopKIN3c104HalfEjLin1ELb0EEEvNS_4cuda6detail10TensorInfoIKT_T0_EESA_SA_bSA_SA_NS7_IS8_SA_EESA_NS7_IlSA_EESA_PS8_.kd
    .uniform_work_group_size: 1
    .uses_dynamic_stack: false
    .vgpr_count:     71
    .vgpr_spill_count: 0
    .wavefront_size: 32
  - .args:
      - .offset:         0
        .size:           216
        .value_kind:     by_value
      - .offset:         216
        .size:           4
        .value_kind:     by_value
      - .address_space:  global
        .offset:         224
        .size:           8
        .value_kind:     global_buffer
      - .offset:         232
        .size:           4
        .value_kind:     by_value
      - .offset:         236
        .size:           4
        .value_kind:     by_value
      - .offset:         240
        .size:           4
        .value_kind:     by_value
      - .offset:         244
        .size:           4
        .value_kind:     by_value
      - .offset:         248
        .size:           4
        .value_kind:     by_value
      - .offset:         252
        .size:           4
        .value_kind:     by_value
      - .address_space:  global
        .offset:         256
        .size:           8
        .value_kind:     global_buffer
      - .address_space:  global
        .offset:         264
        .size:           8
        .value_kind:     global_buffer
      - .offset:         272
        .size:           4
        .value_kind:     hidden_block_count_x
      - .offset:         276
        .size:           4
        .value_kind:     hidden_block_count_y
      - .offset:         280
        .size:           4
        .value_kind:     hidden_block_count_z
      - .offset:         284
        .size:           2
        .value_kind:     hidden_group_size_x
      - .offset:         286
        .size:           2
        .value_kind:     hidden_group_size_y
      - .offset:         288
        .size:           2
        .value_kind:     hidden_group_size_z
      - .offset:         290
        .size:           2
        .value_kind:     hidden_remainder_x
      - .offset:         292
        .size:           2
        .value_kind:     hidden_remainder_y
      - .offset:         294
        .size:           2
        .value_kind:     hidden_remainder_z
      - .offset:         312
        .size:           8
        .value_kind:     hidden_global_offset_x
      - .offset:         320
        .size:           8
        .value_kind:     hidden_global_offset_y
      - .offset:         328
        .size:           8
        .value_kind:     hidden_global_offset_z
      - .offset:         336
        .size:           2
        .value_kind:     hidden_grid_dims
    .group_segment_fixed_size: 1024
    .kernarg_segment_align: 8
    .kernarg_segment_size: 528
    .language:       OpenCL C
    .language_version:
      - 2
      - 0
    .max_flat_workgroup_size: 256
    .name:           _ZN2at6native6mbtopk23computeBlockDigitCountsIN3c108BFloat16EjjLi1EEEvNS_4cuda6detail10TensorInfoIKT_T0_EEjPjjSA_iijT1_PSD_Ps
    .private_segment_fixed_size: 0
    .sgpr_count:     22
    .sgpr_spill_count: 0
    .symbol:         _ZN2at6native6mbtopk23computeBlockDigitCountsIN3c108BFloat16EjjLi1EEEvNS_4cuda6detail10TensorInfoIKT_T0_EEjPjjSA_iijT1_PSD_Ps.kd
    .uniform_work_group_size: 1
    .uses_dynamic_stack: false
    .vgpr_count:     12
    .vgpr_spill_count: 0
    .wavefront_size: 32
  - .args:
      - .address_space:  global
        .offset:         0
        .size:           8
        .value_kind:     global_buffer
      - .address_space:  global
        .offset:         8
        .size:           8
        .value_kind:     global_buffer
      - .address_space:  global
        .offset:         16
        .size:           8
        .value_kind:     global_buffer
      - .offset:         24
        .size:           4
        .value_kind:     by_value
      - .offset:         28
        .size:           4
        .value_kind:     by_value
      - .offset:         32
        .size:           1
        .value_kind:     by_value
      - .address_space:  global
        .offset:         40
        .size:           8
        .value_kind:     global_buffer
      - .address_space:  global
        .offset:         48
        .size:           8
        .value_kind:     global_buffer
      - .address_space:  global
        .offset:         56
        .size:           8
        .value_kind:     global_buffer
      - .address_space:  global
        .offset:         64
        .size:           8
        .value_kind:     global_buffer
      - .address_space:  global
        .offset:         72
        .size:           8
        .value_kind:     global_buffer
      - .offset:         80
        .size:           4
        .value_kind:     by_value
      - .offset:         88
        .size:           4
        .value_kind:     hidden_block_count_x
      - .offset:         92
        .size:           4
        .value_kind:     hidden_block_count_y
      - .offset:         96
        .size:           4
        .value_kind:     hidden_block_count_z
      - .offset:         100
        .size:           2
        .value_kind:     hidden_group_size_x
      - .offset:         102
        .size:           2
        .value_kind:     hidden_group_size_y
      - .offset:         104
        .size:           2
        .value_kind:     hidden_group_size_z
      - .offset:         106
        .size:           2
        .value_kind:     hidden_remainder_x
      - .offset:         108
        .size:           2
        .value_kind:     hidden_remainder_y
      - .offset:         110
        .size:           2
        .value_kind:     hidden_remainder_z
      - .offset:         128
        .size:           8
        .value_kind:     hidden_global_offset_x
      - .offset:         136
        .size:           8
        .value_kind:     hidden_global_offset_y
      - .offset:         144
        .size:           8
        .value_kind:     hidden_global_offset_z
      - .offset:         152
        .size:           2
        .value_kind:     hidden_grid_dims
    .group_segment_fixed_size: 2116
    .kernarg_segment_align: 8
    .kernarg_segment_size: 344
    .language:       OpenCL C
    .language_version:
      - 2
      - 0
    .max_flat_workgroup_size: 256
    .name:           _ZN2at6native6mbtopk29computeBlockwiseWithinKCountsIjN3c108BFloat16EEEvPT_PsPjjibS8_PT0_S8_S6_S8_j
    .private_segment_fixed_size: 0
    .sgpr_count:     29
    .sgpr_spill_count: 0
    .symbol:         _ZN2at6native6mbtopk29computeBlockwiseWithinKCountsIjN3c108BFloat16EEEvPT_PsPjjibS8_PT0_S8_S6_S8_j.kd
    .uniform_work_group_size: 1
    .uses_dynamic_stack: false
    .vgpr_count:     15
    .vgpr_spill_count: 0
    .wavefront_size: 32
  - .args:
      - .offset:         0
        .size:           216
        .value_kind:     by_value
      - .offset:         216
        .size:           4
        .value_kind:     by_value
      - .offset:         220
        .size:           4
        .value_kind:     by_value
      - .offset:         224
        .size:           1
        .value_kind:     by_value
      - .offset:         228
        .size:           4
        .value_kind:     by_value
      - .offset:         232
        .size:           4
        .value_kind:     by_value
      - .offset:         240
        .size:           216
        .value_kind:     by_value
      - .offset:         456
        .size:           4
        .value_kind:     by_value
      - .offset:         464
        .size:           216
        .value_kind:     by_value
      - .offset:         680
        .size:           4
        .value_kind:     by_value
      - .offset:         684
        .size:           4
        .value_kind:     by_value
      - .offset:         688
        .size:           4
        .value_kind:     by_value
      - .address_space:  global
        .offset:         696
        .size:           8
        .value_kind:     global_buffer
      - .address_space:  global
        .offset:         704
        .size:           8
        .value_kind:     global_buffer
      - .address_space:  global
        .offset:         712
        .size:           8
        .value_kind:     global_buffer
      - .offset:         720
        .size:           4
        .value_kind:     by_value
      - .offset:         728
        .size:           4
        .value_kind:     hidden_block_count_x
      - .offset:         732
        .size:           4
        .value_kind:     hidden_block_count_y
      - .offset:         736
        .size:           4
        .value_kind:     hidden_block_count_z
      - .offset:         740
        .size:           2
        .value_kind:     hidden_group_size_x
      - .offset:         742
        .size:           2
        .value_kind:     hidden_group_size_y
      - .offset:         744
        .size:           2
        .value_kind:     hidden_group_size_z
      - .offset:         746
        .size:           2
        .value_kind:     hidden_remainder_x
      - .offset:         748
        .size:           2
        .value_kind:     hidden_remainder_y
      - .offset:         750
        .size:           2
        .value_kind:     hidden_remainder_z
      - .offset:         768
        .size:           8
        .value_kind:     hidden_global_offset_x
      - .offset:         776
        .size:           8
        .value_kind:     hidden_global_offset_y
      - .offset:         784
        .size:           8
        .value_kind:     hidden_global_offset_z
      - .offset:         792
        .size:           2
        .value_kind:     hidden_grid_dims
    .group_segment_fixed_size: 1068
    .kernarg_segment_align: 8
    .kernarg_segment_size: 984
    .language:       OpenCL C
    .language_version:
      - 2
      - 0
    .max_flat_workgroup_size: 256
    .name:           _ZN2at6native6mbtopk10gatherTopKIN3c108BFloat16EjLi1EEEvNS_4cuda6detail10TensorInfoIKT_T0_EESA_SA_bjSA_NS7_IS8_SA_EESA_NS7_IlSA_EESA_jjPS8_PjSF_j
    .private_segment_fixed_size: 0
    .sgpr_count:     31
    .sgpr_spill_count: 0
    .symbol:         _ZN2at6native6mbtopk10gatherTopKIN3c108BFloat16EjLi1EEEvNS_4cuda6detail10TensorInfoIKT_T0_EESA_SA_bjSA_NS7_IS8_SA_EESA_NS7_IlSA_EESA_jjPS8_PjSF_j.kd
    .uniform_work_group_size: 1
    .uses_dynamic_stack: false
    .vgpr_count:     26
    .vgpr_spill_count: 0
    .wavefront_size: 32
  - .args:
      - .offset:         0
        .size:           216
        .value_kind:     by_value
      - .offset:         216
        .size:           4
        .value_kind:     by_value
      - .offset:         220
        .size:           4
        .value_kind:     by_value
      - .offset:         224
        .size:           1
        .value_kind:     by_value
      - .offset:         228
        .size:           4
        .value_kind:     by_value
      - .offset:         232
        .size:           4
        .value_kind:     by_value
      - .offset:         240
        .size:           216
        .value_kind:     by_value
      - .offset:         456
        .size:           4
        .value_kind:     by_value
      - .offset:         464
        .size:           216
        .value_kind:     by_value
      - .offset:         680
        .size:           4
        .value_kind:     by_value
      - .address_space:  global
        .offset:         688
        .size:           8
        .value_kind:     global_buffer
      - .offset:         696
        .size:           4
        .value_kind:     hidden_block_count_x
      - .offset:         700
        .size:           4
        .value_kind:     hidden_block_count_y
      - .offset:         704
        .size:           4
        .value_kind:     hidden_block_count_z
      - .offset:         708
        .size:           2
        .value_kind:     hidden_group_size_x
      - .offset:         710
        .size:           2
        .value_kind:     hidden_group_size_y
      - .offset:         712
        .size:           2
        .value_kind:     hidden_group_size_z
      - .offset:         714
        .size:           2
        .value_kind:     hidden_remainder_x
      - .offset:         716
        .size:           2
        .value_kind:     hidden_remainder_y
      - .offset:         718
        .size:           2
        .value_kind:     hidden_remainder_z
      - .offset:         736
        .size:           8
        .value_kind:     hidden_global_offset_x
      - .offset:         744
        .size:           8
        .value_kind:     hidden_global_offset_y
      - .offset:         752
        .size:           8
        .value_kind:     hidden_global_offset_z
      - .offset:         760
        .size:           2
        .value_kind:     hidden_grid_dims
    .group_segment_fixed_size: 4112
    .kernarg_segment_align: 8
    .kernarg_segment_size: 952
    .language:       OpenCL C
    .language_version:
      - 2
      - 0
    .max_flat_workgroup_size: 1024
    .name:           _ZN2at6native6sbtopk10gatherTopKIN3c108BFloat16EjLi1ELb0EEEvNS_4cuda6detail10TensorInfoIKT_T0_EESA_SA_bSA_SA_NS7_IS8_SA_EESA_NS7_IlSA_EESA_PS8_
    .private_segment_fixed_size: 0
    .sgpr_count:     107
    .sgpr_spill_count: 0
    .symbol:         _ZN2at6native6sbtopk10gatherTopKIN3c108BFloat16EjLi1ELb0EEEvNS_4cuda6detail10TensorInfoIKT_T0_EESA_SA_bSA_SA_NS7_IS8_SA_EESA_NS7_IlSA_EESA_PS8_.kd
    .uniform_work_group_size: 1
    .uses_dynamic_stack: false
    .vgpr_count:     65
    .vgpr_spill_count: 0
    .wavefront_size: 32
  - .args:
      - .offset:         0
        .size:           216
        .value_kind:     by_value
      - .offset:         216
        .size:           4
        .value_kind:     by_value
      - .address_space:  global
        .offset:         224
        .size:           8
        .value_kind:     global_buffer
      - .offset:         232
        .size:           4
        .value_kind:     by_value
      - .offset:         236
        .size:           4
        .value_kind:     by_value
      - .offset:         240
        .size:           4
        .value_kind:     by_value
      - .offset:         244
        .size:           4
        .value_kind:     by_value
      - .offset:         248
        .size:           4
        .value_kind:     by_value
      - .offset:         252
        .size:           4
        .value_kind:     by_value
      - .address_space:  global
        .offset:         256
        .size:           8
        .value_kind:     global_buffer
      - .address_space:  global
        .offset:         264
        .size:           8
        .value_kind:     global_buffer
      - .offset:         272
        .size:           4
        .value_kind:     hidden_block_count_x
      - .offset:         276
        .size:           4
        .value_kind:     hidden_block_count_y
      - .offset:         280
        .size:           4
        .value_kind:     hidden_block_count_z
      - .offset:         284
        .size:           2
        .value_kind:     hidden_group_size_x
      - .offset:         286
        .size:           2
        .value_kind:     hidden_group_size_y
      - .offset:         288
        .size:           2
        .value_kind:     hidden_group_size_z
      - .offset:         290
        .size:           2
        .value_kind:     hidden_remainder_x
      - .offset:         292
        .size:           2
        .value_kind:     hidden_remainder_y
      - .offset:         294
        .size:           2
        .value_kind:     hidden_remainder_z
      - .offset:         312
        .size:           8
        .value_kind:     hidden_global_offset_x
      - .offset:         320
        .size:           8
        .value_kind:     hidden_global_offset_y
      - .offset:         328
        .size:           8
        .value_kind:     hidden_global_offset_z
      - .offset:         336
        .size:           2
        .value_kind:     hidden_grid_dims
    .group_segment_fixed_size: 1024
    .kernarg_segment_align: 8
    .kernarg_segment_size: 528
    .language:       OpenCL C
    .language_version:
      - 2
      - 0
    .max_flat_workgroup_size: 256
    .name:           _ZN2at6native6mbtopk23computeBlockDigitCountsIN3c108BFloat16EjjLi2EEEvNS_4cuda6detail10TensorInfoIKT_T0_EEjPjjSA_iijT1_PSD_Ps
    .private_segment_fixed_size: 0
    .sgpr_count:     28
    .sgpr_spill_count: 0
    .symbol:         _ZN2at6native6mbtopk23computeBlockDigitCountsIN3c108BFloat16EjjLi2EEEvNS_4cuda6detail10TensorInfoIKT_T0_EEjPjjSA_iijT1_PSD_Ps.kd
    .uniform_work_group_size: 1
    .uses_dynamic_stack: false
    .vgpr_count:     12
    .vgpr_spill_count: 0
    .wavefront_size: 32
  - .args:
      - .offset:         0
        .size:           216
        .value_kind:     by_value
      - .offset:         216
        .size:           4
        .value_kind:     by_value
      - .offset:         220
        .size:           4
        .value_kind:     by_value
      - .offset:         224
        .size:           1
        .value_kind:     by_value
      - .offset:         228
        .size:           4
        .value_kind:     by_value
      - .offset:         232
        .size:           4
        .value_kind:     by_value
      - .offset:         240
        .size:           216
        .value_kind:     by_value
      - .offset:         456
        .size:           4
        .value_kind:     by_value
      - .offset:         464
        .size:           216
        .value_kind:     by_value
      - .offset:         680
        .size:           4
        .value_kind:     by_value
      - .offset:         684
        .size:           4
        .value_kind:     by_value
      - .offset:         688
        .size:           4
        .value_kind:     by_value
      - .address_space:  global
        .offset:         696
        .size:           8
        .value_kind:     global_buffer
      - .address_space:  global
        .offset:         704
        .size:           8
        .value_kind:     global_buffer
      - .address_space:  global
        .offset:         712
        .size:           8
        .value_kind:     global_buffer
      - .offset:         720
        .size:           4
        .value_kind:     by_value
      - .offset:         728
        .size:           4
        .value_kind:     hidden_block_count_x
      - .offset:         732
        .size:           4
        .value_kind:     hidden_block_count_y
      - .offset:         736
        .size:           4
        .value_kind:     hidden_block_count_z
      - .offset:         740
        .size:           2
        .value_kind:     hidden_group_size_x
      - .offset:         742
        .size:           2
        .value_kind:     hidden_group_size_y
      - .offset:         744
        .size:           2
        .value_kind:     hidden_group_size_z
      - .offset:         746
        .size:           2
        .value_kind:     hidden_remainder_x
      - .offset:         748
        .size:           2
        .value_kind:     hidden_remainder_y
      - .offset:         750
        .size:           2
        .value_kind:     hidden_remainder_z
      - .offset:         768
        .size:           8
        .value_kind:     hidden_global_offset_x
      - .offset:         776
        .size:           8
        .value_kind:     hidden_global_offset_y
      - .offset:         784
        .size:           8
        .value_kind:     hidden_global_offset_z
      - .offset:         792
        .size:           2
        .value_kind:     hidden_grid_dims
    .group_segment_fixed_size: 1068
    .kernarg_segment_align: 8
    .kernarg_segment_size: 984
    .language:       OpenCL C
    .language_version:
      - 2
      - 0
    .max_flat_workgroup_size: 256
    .name:           _ZN2at6native6mbtopk10gatherTopKIN3c108BFloat16EjLi2EEEvNS_4cuda6detail10TensorInfoIKT_T0_EESA_SA_bjSA_NS7_IS8_SA_EESA_NS7_IlSA_EESA_jjPS8_PjSF_j
    .private_segment_fixed_size: 0
    .sgpr_count:     48
    .sgpr_spill_count: 0
    .symbol:         _ZN2at6native6mbtopk10gatherTopKIN3c108BFloat16EjLi2EEEvNS_4cuda6detail10TensorInfoIKT_T0_EESA_SA_bjSA_NS7_IS8_SA_EESA_NS7_IlSA_EESA_jjPS8_PjSF_j.kd
    .uniform_work_group_size: 1
    .uses_dynamic_stack: false
    .vgpr_count:     26
    .vgpr_spill_count: 0
    .wavefront_size: 32
  - .args:
      - .offset:         0
        .size:           216
        .value_kind:     by_value
      - .offset:         216
        .size:           4
        .value_kind:     by_value
      - .offset:         220
        .size:           4
        .value_kind:     by_value
      - .offset:         224
        .size:           1
        .value_kind:     by_value
      - .offset:         228
        .size:           4
        .value_kind:     by_value
      - .offset:         232
        .size:           4
        .value_kind:     by_value
      - .offset:         240
        .size:           216
        .value_kind:     by_value
      - .offset:         456
        .size:           4
        .value_kind:     by_value
      - .offset:         464
        .size:           216
        .value_kind:     by_value
      - .offset:         680
        .size:           4
        .value_kind:     by_value
      - .address_space:  global
        .offset:         688
        .size:           8
        .value_kind:     global_buffer
      - .offset:         696
        .size:           4
        .value_kind:     hidden_block_count_x
      - .offset:         700
        .size:           4
        .value_kind:     hidden_block_count_y
      - .offset:         704
        .size:           4
        .value_kind:     hidden_block_count_z
      - .offset:         708
        .size:           2
        .value_kind:     hidden_group_size_x
      - .offset:         710
        .size:           2
        .value_kind:     hidden_group_size_y
      - .offset:         712
        .size:           2
        .value_kind:     hidden_group_size_z
      - .offset:         714
        .size:           2
        .value_kind:     hidden_remainder_x
      - .offset:         716
        .size:           2
        .value_kind:     hidden_remainder_y
      - .offset:         718
        .size:           2
        .value_kind:     hidden_remainder_z
      - .offset:         736
        .size:           8
        .value_kind:     hidden_global_offset_x
      - .offset:         744
        .size:           8
        .value_kind:     hidden_global_offset_y
      - .offset:         752
        .size:           8
        .value_kind:     hidden_global_offset_z
      - .offset:         760
        .size:           2
        .value_kind:     hidden_grid_dims
    .group_segment_fixed_size: 4112
    .kernarg_segment_align: 8
    .kernarg_segment_size: 952
    .language:       OpenCL C
    .language_version:
      - 2
      - 0
    .max_flat_workgroup_size: 1024
    .name:           _ZN2at6native6sbtopk10gatherTopKIN3c108BFloat16EjLi2ELb0EEEvNS_4cuda6detail10TensorInfoIKT_T0_EESA_SA_bSA_SA_NS7_IS8_SA_EESA_NS7_IlSA_EESA_PS8_
    .private_segment_fixed_size: 0
    .sgpr_count:     107
    .sgpr_spill_count: 2
    .symbol:         _ZN2at6native6sbtopk10gatherTopKIN3c108BFloat16EjLi2ELb0EEEvNS_4cuda6detail10TensorInfoIKT_T0_EESA_SA_bSA_SA_NS7_IS8_SA_EESA_NS7_IlSA_EESA_PS8_.kd
    .uniform_work_group_size: 1
    .uses_dynamic_stack: false
    .vgpr_count:     72
    .vgpr_spill_count: 0
    .wavefront_size: 32
  - .args:
      - .offset:         0
        .size:           216
        .value_kind:     by_value
      - .offset:         216
        .size:           4
        .value_kind:     by_value
      - .address_space:  global
        .offset:         224
        .size:           8
        .value_kind:     global_buffer
      - .offset:         232
        .size:           4
        .value_kind:     by_value
      - .offset:         236
        .size:           4
        .value_kind:     by_value
      - .offset:         240
        .size:           4
        .value_kind:     by_value
      - .offset:         244
        .size:           4
        .value_kind:     by_value
      - .offset:         248
        .size:           4
        .value_kind:     by_value
      - .offset:         252
        .size:           4
        .value_kind:     by_value
      - .address_space:  global
        .offset:         256
        .size:           8
        .value_kind:     global_buffer
      - .address_space:  global
        .offset:         264
        .size:           8
        .value_kind:     global_buffer
      - .offset:         272
        .size:           4
        .value_kind:     hidden_block_count_x
      - .offset:         276
        .size:           4
        .value_kind:     hidden_block_count_y
      - .offset:         280
        .size:           4
        .value_kind:     hidden_block_count_z
      - .offset:         284
        .size:           2
        .value_kind:     hidden_group_size_x
      - .offset:         286
        .size:           2
        .value_kind:     hidden_group_size_y
      - .offset:         288
        .size:           2
        .value_kind:     hidden_group_size_z
      - .offset:         290
        .size:           2
        .value_kind:     hidden_remainder_x
      - .offset:         292
        .size:           2
        .value_kind:     hidden_remainder_y
      - .offset:         294
        .size:           2
        .value_kind:     hidden_remainder_z
      - .offset:         312
        .size:           8
        .value_kind:     hidden_global_offset_x
      - .offset:         320
        .size:           8
        .value_kind:     hidden_global_offset_y
      - .offset:         328
        .size:           8
        .value_kind:     hidden_global_offset_z
      - .offset:         336
        .size:           2
        .value_kind:     hidden_grid_dims
    .group_segment_fixed_size: 1024
    .kernarg_segment_align: 8
    .kernarg_segment_size: 528
    .language:       OpenCL C
    .language_version:
      - 2
      - 0
    .max_flat_workgroup_size: 256
    .name:           _ZN2at6native6mbtopk23computeBlockDigitCountsIN3c108BFloat16EjjLi3EEEvNS_4cuda6detail10TensorInfoIKT_T0_EEjPjjSA_iijT1_PSD_Ps
    .private_segment_fixed_size: 0
    .sgpr_count:     32
    .sgpr_spill_count: 0
    .symbol:         _ZN2at6native6mbtopk23computeBlockDigitCountsIN3c108BFloat16EjjLi3EEEvNS_4cuda6detail10TensorInfoIKT_T0_EEjPjjSA_iijT1_PSD_Ps.kd
    .uniform_work_group_size: 1
    .uses_dynamic_stack: false
    .vgpr_count:     12
    .vgpr_spill_count: 0
    .wavefront_size: 32
  - .args:
      - .offset:         0
        .size:           216
        .value_kind:     by_value
      - .offset:         216
        .size:           4
        .value_kind:     by_value
      - .offset:         220
        .size:           4
        .value_kind:     by_value
      - .offset:         224
        .size:           1
        .value_kind:     by_value
      - .offset:         228
        .size:           4
        .value_kind:     by_value
      - .offset:         232
        .size:           4
        .value_kind:     by_value
      - .offset:         240
        .size:           216
        .value_kind:     by_value
      - .offset:         456
        .size:           4
        .value_kind:     by_value
      - .offset:         464
        .size:           216
        .value_kind:     by_value
      - .offset:         680
        .size:           4
        .value_kind:     by_value
      - .offset:         684
        .size:           4
        .value_kind:     by_value
      - .offset:         688
        .size:           4
        .value_kind:     by_value
      - .address_space:  global
        .offset:         696
        .size:           8
        .value_kind:     global_buffer
      - .address_space:  global
        .offset:         704
        .size:           8
        .value_kind:     global_buffer
      - .address_space:  global
        .offset:         712
        .size:           8
        .value_kind:     global_buffer
      - .offset:         720
        .size:           4
        .value_kind:     by_value
      - .offset:         728
        .size:           4
        .value_kind:     hidden_block_count_x
      - .offset:         732
        .size:           4
        .value_kind:     hidden_block_count_y
      - .offset:         736
        .size:           4
        .value_kind:     hidden_block_count_z
      - .offset:         740
        .size:           2
        .value_kind:     hidden_group_size_x
      - .offset:         742
        .size:           2
        .value_kind:     hidden_group_size_y
      - .offset:         744
        .size:           2
        .value_kind:     hidden_group_size_z
      - .offset:         746
        .size:           2
        .value_kind:     hidden_remainder_x
      - .offset:         748
        .size:           2
        .value_kind:     hidden_remainder_y
      - .offset:         750
        .size:           2
        .value_kind:     hidden_remainder_z
      - .offset:         768
        .size:           8
        .value_kind:     hidden_global_offset_x
      - .offset:         776
        .size:           8
        .value_kind:     hidden_global_offset_y
      - .offset:         784
        .size:           8
        .value_kind:     hidden_global_offset_z
      - .offset:         792
        .size:           2
        .value_kind:     hidden_grid_dims
    .group_segment_fixed_size: 1068
    .kernarg_segment_align: 8
    .kernarg_segment_size: 984
    .language:       OpenCL C
    .language_version:
      - 2
      - 0
    .max_flat_workgroup_size: 256
    .name:           _ZN2at6native6mbtopk10gatherTopKIN3c108BFloat16EjLi3EEEvNS_4cuda6detail10TensorInfoIKT_T0_EESA_SA_bjSA_NS7_IS8_SA_EESA_NS7_IlSA_EESA_jjPS8_PjSF_j
    .private_segment_fixed_size: 0
    .sgpr_count:     55
    .sgpr_spill_count: 0
    .symbol:         _ZN2at6native6mbtopk10gatherTopKIN3c108BFloat16EjLi3EEEvNS_4cuda6detail10TensorInfoIKT_T0_EESA_SA_bjSA_NS7_IS8_SA_EESA_NS7_IlSA_EESA_jjPS8_PjSF_j.kd
    .uniform_work_group_size: 1
    .uses_dynamic_stack: false
    .vgpr_count:     26
    .vgpr_spill_count: 0
    .wavefront_size: 32
  - .args:
      - .offset:         0
        .size:           216
        .value_kind:     by_value
      - .offset:         216
        .size:           4
        .value_kind:     by_value
      - .offset:         220
        .size:           4
        .value_kind:     by_value
      - .offset:         224
        .size:           1
        .value_kind:     by_value
      - .offset:         228
        .size:           4
        .value_kind:     by_value
      - .offset:         232
        .size:           4
        .value_kind:     by_value
      - .offset:         240
        .size:           216
        .value_kind:     by_value
      - .offset:         456
        .size:           4
        .value_kind:     by_value
      - .offset:         464
        .size:           216
        .value_kind:     by_value
      - .offset:         680
        .size:           4
        .value_kind:     by_value
      - .address_space:  global
        .offset:         688
        .size:           8
        .value_kind:     global_buffer
      - .offset:         696
        .size:           4
        .value_kind:     hidden_block_count_x
      - .offset:         700
        .size:           4
        .value_kind:     hidden_block_count_y
      - .offset:         704
        .size:           4
        .value_kind:     hidden_block_count_z
      - .offset:         708
        .size:           2
        .value_kind:     hidden_group_size_x
      - .offset:         710
        .size:           2
        .value_kind:     hidden_group_size_y
      - .offset:         712
        .size:           2
        .value_kind:     hidden_group_size_z
      - .offset:         714
        .size:           2
        .value_kind:     hidden_remainder_x
      - .offset:         716
        .size:           2
        .value_kind:     hidden_remainder_y
      - .offset:         718
        .size:           2
        .value_kind:     hidden_remainder_z
      - .offset:         736
        .size:           8
        .value_kind:     hidden_global_offset_x
      - .offset:         744
        .size:           8
        .value_kind:     hidden_global_offset_y
      - .offset:         752
        .size:           8
        .value_kind:     hidden_global_offset_z
      - .offset:         760
        .size:           2
        .value_kind:     hidden_grid_dims
    .group_segment_fixed_size: 4112
    .kernarg_segment_align: 8
    .kernarg_segment_size: 952
    .language:       OpenCL C
    .language_version:
      - 2
      - 0
    .max_flat_workgroup_size: 1024
    .name:           _ZN2at6native6sbtopk10gatherTopKIN3c108BFloat16EjLi3ELb0EEEvNS_4cuda6detail10TensorInfoIKT_T0_EESA_SA_bSA_SA_NS7_IS8_SA_EESA_NS7_IlSA_EESA_PS8_
    .private_segment_fixed_size: 0
    .sgpr_count:     107
    .sgpr_spill_count: 7
    .symbol:         _ZN2at6native6sbtopk10gatherTopKIN3c108BFloat16EjLi3ELb0EEEvNS_4cuda6detail10TensorInfoIKT_T0_EESA_SA_bSA_SA_NS7_IS8_SA_EESA_NS7_IlSA_EESA_PS8_.kd
    .uniform_work_group_size: 1
    .uses_dynamic_stack: false
    .vgpr_count:     72
    .vgpr_spill_count: 0
    .wavefront_size: 32
  - .args:
      - .offset:         0
        .size:           216
        .value_kind:     by_value
      - .offset:         216
        .size:           4
        .value_kind:     by_value
      - .address_space:  global
        .offset:         224
        .size:           8
        .value_kind:     global_buffer
      - .offset:         232
        .size:           4
        .value_kind:     by_value
      - .offset:         236
        .size:           4
        .value_kind:     by_value
      - .offset:         240
        .size:           4
        .value_kind:     by_value
      - .offset:         244
        .size:           4
        .value_kind:     by_value
      - .offset:         248
        .size:           4
        .value_kind:     by_value
      - .offset:         252
        .size:           4
        .value_kind:     by_value
      - .address_space:  global
        .offset:         256
        .size:           8
        .value_kind:     global_buffer
      - .address_space:  global
        .offset:         264
        .size:           8
        .value_kind:     global_buffer
      - .offset:         272
        .size:           4
        .value_kind:     hidden_block_count_x
      - .offset:         276
        .size:           4
        .value_kind:     hidden_block_count_y
      - .offset:         280
        .size:           4
        .value_kind:     hidden_block_count_z
      - .offset:         284
        .size:           2
        .value_kind:     hidden_group_size_x
      - .offset:         286
        .size:           2
        .value_kind:     hidden_group_size_y
      - .offset:         288
        .size:           2
        .value_kind:     hidden_group_size_z
      - .offset:         290
        .size:           2
        .value_kind:     hidden_remainder_x
      - .offset:         292
        .size:           2
        .value_kind:     hidden_remainder_y
      - .offset:         294
        .size:           2
        .value_kind:     hidden_remainder_z
      - .offset:         312
        .size:           8
        .value_kind:     hidden_global_offset_x
      - .offset:         320
        .size:           8
        .value_kind:     hidden_global_offset_y
      - .offset:         328
        .size:           8
        .value_kind:     hidden_global_offset_z
      - .offset:         336
        .size:           2
        .value_kind:     hidden_grid_dims
    .group_segment_fixed_size: 1024
    .kernarg_segment_align: 8
    .kernarg_segment_size: 528
    .language:       OpenCL C
    .language_version:
      - 2
      - 0
    .max_flat_workgroup_size: 256
    .name:           _ZN2at6native6mbtopk23computeBlockDigitCountsIN3c108BFloat16EjjLin1EEEvNS_4cuda6detail10TensorInfoIKT_T0_EEjPjjSA_iijT1_PSD_Ps
    .private_segment_fixed_size: 0
    .sgpr_count:     26
    .sgpr_spill_count: 0
    .symbol:         _ZN2at6native6mbtopk23computeBlockDigitCountsIN3c108BFloat16EjjLin1EEEvNS_4cuda6detail10TensorInfoIKT_T0_EEjPjjSA_iijT1_PSD_Ps.kd
    .uniform_work_group_size: 1
    .uses_dynamic_stack: false
    .vgpr_count:     12
    .vgpr_spill_count: 0
    .wavefront_size: 32
  - .args:
      - .offset:         0
        .size:           216
        .value_kind:     by_value
      - .offset:         216
        .size:           4
        .value_kind:     by_value
      - .offset:         220
        .size:           4
        .value_kind:     by_value
      - .offset:         224
        .size:           1
        .value_kind:     by_value
      - .offset:         228
        .size:           4
        .value_kind:     by_value
      - .offset:         232
        .size:           4
        .value_kind:     by_value
      - .offset:         240
        .size:           216
        .value_kind:     by_value
      - .offset:         456
        .size:           4
        .value_kind:     by_value
      - .offset:         464
        .size:           216
        .value_kind:     by_value
      - .offset:         680
        .size:           4
        .value_kind:     by_value
      - .offset:         684
        .size:           4
        .value_kind:     by_value
      - .offset:         688
        .size:           4
        .value_kind:     by_value
      - .address_space:  global
        .offset:         696
        .size:           8
        .value_kind:     global_buffer
      - .address_space:  global
        .offset:         704
        .size:           8
        .value_kind:     global_buffer
      - .address_space:  global
        .offset:         712
        .size:           8
        .value_kind:     global_buffer
      - .offset:         720
        .size:           4
        .value_kind:     by_value
      - .offset:         728
        .size:           4
        .value_kind:     hidden_block_count_x
      - .offset:         732
        .size:           4
        .value_kind:     hidden_block_count_y
      - .offset:         736
        .size:           4
        .value_kind:     hidden_block_count_z
      - .offset:         740
        .size:           2
        .value_kind:     hidden_group_size_x
      - .offset:         742
        .size:           2
        .value_kind:     hidden_group_size_y
      - .offset:         744
        .size:           2
        .value_kind:     hidden_group_size_z
      - .offset:         746
        .size:           2
        .value_kind:     hidden_remainder_x
      - .offset:         748
        .size:           2
        .value_kind:     hidden_remainder_y
      - .offset:         750
        .size:           2
        .value_kind:     hidden_remainder_z
      - .offset:         768
        .size:           8
        .value_kind:     hidden_global_offset_x
      - .offset:         776
        .size:           8
        .value_kind:     hidden_global_offset_y
      - .offset:         784
        .size:           8
        .value_kind:     hidden_global_offset_z
      - .offset:         792
        .size:           2
        .value_kind:     hidden_grid_dims
    .group_segment_fixed_size: 1068
    .kernarg_segment_align: 8
    .kernarg_segment_size: 984
    .language:       OpenCL C
    .language_version:
      - 2
      - 0
    .max_flat_workgroup_size: 256
    .name:           _ZN2at6native6mbtopk10gatherTopKIN3c108BFloat16EjLin1EEEvNS_4cuda6detail10TensorInfoIKT_T0_EESA_SA_bjSA_NS7_IS8_SA_EESA_NS7_IlSA_EESA_jjPS8_PjSF_j
    .private_segment_fixed_size: 0
    .sgpr_count:     39
    .sgpr_spill_count: 0
    .symbol:         _ZN2at6native6mbtopk10gatherTopKIN3c108BFloat16EjLin1EEEvNS_4cuda6detail10TensorInfoIKT_T0_EESA_SA_bjSA_NS7_IS8_SA_EESA_NS7_IlSA_EESA_jjPS8_PjSF_j.kd
    .uniform_work_group_size: 1
    .uses_dynamic_stack: false
    .vgpr_count:     26
    .vgpr_spill_count: 0
    .wavefront_size: 32
  - .args:
      - .offset:         0
        .size:           216
        .value_kind:     by_value
      - .offset:         216
        .size:           4
        .value_kind:     by_value
      - .offset:         220
        .size:           4
        .value_kind:     by_value
      - .offset:         224
        .size:           1
        .value_kind:     by_value
      - .offset:         228
        .size:           4
        .value_kind:     by_value
      - .offset:         232
        .size:           4
        .value_kind:     by_value
      - .offset:         240
        .size:           216
        .value_kind:     by_value
      - .offset:         456
        .size:           4
        .value_kind:     by_value
      - .offset:         464
        .size:           216
        .value_kind:     by_value
      - .offset:         680
        .size:           4
        .value_kind:     by_value
      - .address_space:  global
        .offset:         688
        .size:           8
        .value_kind:     global_buffer
      - .offset:         696
        .size:           4
        .value_kind:     hidden_block_count_x
      - .offset:         700
        .size:           4
        .value_kind:     hidden_block_count_y
      - .offset:         704
        .size:           4
        .value_kind:     hidden_block_count_z
      - .offset:         708
        .size:           2
        .value_kind:     hidden_group_size_x
      - .offset:         710
        .size:           2
        .value_kind:     hidden_group_size_y
      - .offset:         712
        .size:           2
        .value_kind:     hidden_group_size_z
      - .offset:         714
        .size:           2
        .value_kind:     hidden_remainder_x
      - .offset:         716
        .size:           2
        .value_kind:     hidden_remainder_y
      - .offset:         718
        .size:           2
        .value_kind:     hidden_remainder_z
      - .offset:         736
        .size:           8
        .value_kind:     hidden_global_offset_x
      - .offset:         744
        .size:           8
        .value_kind:     hidden_global_offset_y
      - .offset:         752
        .size:           8
        .value_kind:     hidden_global_offset_z
      - .offset:         760
        .size:           2
        .value_kind:     hidden_grid_dims
    .group_segment_fixed_size: 4112
    .kernarg_segment_align: 8
    .kernarg_segment_size: 952
    .language:       OpenCL C
    .language_version:
      - 2
      - 0
    .max_flat_workgroup_size: 1024
    .name:           _ZN2at6native6sbtopk10gatherTopKIN3c108BFloat16EjLin1ELb0EEEvNS_4cuda6detail10TensorInfoIKT_T0_EESA_SA_bSA_SA_NS7_IS8_SA_EESA_NS7_IlSA_EESA_PS8_
    .private_segment_fixed_size: 0
    .sgpr_count:     107
    .sgpr_spill_count: 0
    .symbol:         _ZN2at6native6sbtopk10gatherTopKIN3c108BFloat16EjLin1ELb0EEEvNS_4cuda6detail10TensorInfoIKT_T0_EESA_SA_bSA_SA_NS7_IS8_SA_EESA_NS7_IlSA_EESA_PS8_.kd
    .uniform_work_group_size: 1
    .uses_dynamic_stack: false
    .vgpr_count:     71
    .vgpr_spill_count: 0
    .wavefront_size: 32
  - .args:
      - .offset:         0
        .size:           416
        .value_kind:     by_value
      - .offset:         416
        .size:           4
        .value_kind:     by_value
      - .address_space:  global
        .offset:         424
        .size:           8
        .value_kind:     global_buffer
      - .offset:         432
        .size:           4
        .value_kind:     by_value
      - .offset:         440
        .size:           8
        .value_kind:     by_value
      - .offset:         448
        .size:           4
        .value_kind:     by_value
      - .offset:         452
        .size:           4
        .value_kind:     by_value
      - .offset:         456
        .size:           4
        .value_kind:     by_value
      - .offset:         460
        .size:           4
        .value_kind:     by_value
      - .address_space:  global
        .offset:         464
        .size:           8
        .value_kind:     global_buffer
      - .address_space:  global
        .offset:         472
        .size:           8
        .value_kind:     global_buffer
      - .offset:         480
        .size:           4
        .value_kind:     hidden_block_count_x
      - .offset:         484
        .size:           4
        .value_kind:     hidden_block_count_y
      - .offset:         488
        .size:           4
        .value_kind:     hidden_block_count_z
      - .offset:         492
        .size:           2
        .value_kind:     hidden_group_size_x
      - .offset:         494
        .size:           2
        .value_kind:     hidden_group_size_y
      - .offset:         496
        .size:           2
        .value_kind:     hidden_group_size_z
      - .offset:         498
        .size:           2
        .value_kind:     hidden_remainder_x
      - .offset:         500
        .size:           2
        .value_kind:     hidden_remainder_y
      - .offset:         502
        .size:           2
        .value_kind:     hidden_remainder_z
      - .offset:         520
        .size:           8
        .value_kind:     hidden_global_offset_x
      - .offset:         528
        .size:           8
        .value_kind:     hidden_global_offset_y
      - .offset:         536
        .size:           8
        .value_kind:     hidden_global_offset_z
      - .offset:         544
        .size:           2
        .value_kind:     hidden_grid_dims
    .group_segment_fixed_size: 1024
    .kernarg_segment_align: 8
    .kernarg_segment_size: 736
    .language:       OpenCL C
    .language_version:
      - 2
      - 0
    .max_flat_workgroup_size: 256
    .name:           _ZN2at6native6mbtopk23computeBlockDigitCountsIhmjLi1EEEvNS_4cuda6detail10TensorInfoIKT_T0_EEjPjjS8_iijT1_PSB_Ps
    .private_segment_fixed_size: 0
    .sgpr_count:     26
    .sgpr_spill_count: 0
    .symbol:         _ZN2at6native6mbtopk23computeBlockDigitCountsIhmjLi1EEEvNS_4cuda6detail10TensorInfoIKT_T0_EEjPjjS8_iijT1_PSB_Ps.kd
    .uniform_work_group_size: 1
    .uses_dynamic_stack: false
    .vgpr_count:     8
    .vgpr_spill_count: 0
    .wavefront_size: 32
  - .args:
      - .offset:         0
        .size:           416
        .value_kind:     by_value
      - .offset:         416
        .size:           8
        .value_kind:     by_value
      - .offset:         424
        .size:           8
        .value_kind:     by_value
      - .offset:         432
        .size:           1
        .value_kind:     by_value
      - .offset:         436
        .size:           4
        .value_kind:     by_value
      - .offset:         440
        .size:           8
        .value_kind:     by_value
      - .offset:         448
        .size:           416
        .value_kind:     by_value
      - .offset:         864
        .size:           8
        .value_kind:     by_value
      - .offset:         872
        .size:           416
        .value_kind:     by_value
      - .offset:         1288
        .size:           8
        .value_kind:     by_value
      - .offset:         1296
        .size:           4
        .value_kind:     by_value
      - .offset:         1300
        .size:           4
        .value_kind:     by_value
      - .address_space:  global
        .offset:         1304
        .size:           8
        .value_kind:     global_buffer
      - .address_space:  global
        .offset:         1312
        .size:           8
        .value_kind:     global_buffer
      - .address_space:  global
        .offset:         1320
        .size:           8
        .value_kind:     global_buffer
      - .offset:         1328
        .size:           4
        .value_kind:     by_value
      - .offset:         1336
        .size:           4
        .value_kind:     hidden_block_count_x
      - .offset:         1340
        .size:           4
        .value_kind:     hidden_block_count_y
      - .offset:         1344
        .size:           4
        .value_kind:     hidden_block_count_z
      - .offset:         1348
        .size:           2
        .value_kind:     hidden_group_size_x
      - .offset:         1350
        .size:           2
        .value_kind:     hidden_group_size_y
      - .offset:         1352
        .size:           2
        .value_kind:     hidden_group_size_z
      - .offset:         1354
        .size:           2
        .value_kind:     hidden_remainder_x
      - .offset:         1356
        .size:           2
        .value_kind:     hidden_remainder_y
      - .offset:         1358
        .size:           2
        .value_kind:     hidden_remainder_z
      - .offset:         1376
        .size:           8
        .value_kind:     hidden_global_offset_x
      - .offset:         1384
        .size:           8
        .value_kind:     hidden_global_offset_y
      - .offset:         1392
        .size:           8
        .value_kind:     hidden_global_offset_z
      - .offset:         1400
        .size:           2
        .value_kind:     hidden_grid_dims
    .group_segment_fixed_size: 1068
    .kernarg_segment_align: 8
    .kernarg_segment_size: 1592
    .language:       OpenCL C
    .language_version:
      - 2
      - 0
    .max_flat_workgroup_size: 256
    .name:           _ZN2at6native6mbtopk10gatherTopKIhmLi1EEEvNS_4cuda6detail10TensorInfoIKT_T0_EES8_S8_bjS8_NS5_IS6_S8_EES8_NS5_IlS8_EES8_jjPS6_PjSD_j
    .private_segment_fixed_size: 0
    .sgpr_count:     36
    .sgpr_spill_count: 0
    .symbol:         _ZN2at6native6mbtopk10gatherTopKIhmLi1EEEvNS_4cuda6detail10TensorInfoIKT_T0_EES8_S8_bjS8_NS5_IS6_S8_EES8_NS5_IlS8_EES8_jjPS6_PjSD_j.kd
    .uniform_work_group_size: 1
    .uses_dynamic_stack: false
    .vgpr_count:     26
    .vgpr_spill_count: 0
    .wavefront_size: 32
  - .args:
      - .offset:         0
        .size:           416
        .value_kind:     by_value
      - .offset:         416
        .size:           8
        .value_kind:     by_value
      - .offset:         424
        .size:           8
        .value_kind:     by_value
      - .offset:         432
        .size:           1
        .value_kind:     by_value
      - .offset:         440
        .size:           8
        .value_kind:     by_value
      - .offset:         448
        .size:           8
        .value_kind:     by_value
      - .offset:         456
        .size:           416
        .value_kind:     by_value
      - .offset:         872
        .size:           8
        .value_kind:     by_value
      - .offset:         880
        .size:           416
        .value_kind:     by_value
      - .offset:         1296
        .size:           8
        .value_kind:     by_value
      - .address_space:  global
        .offset:         1304
        .size:           8
        .value_kind:     global_buffer
      - .offset:         1312
        .size:           4
        .value_kind:     hidden_block_count_x
      - .offset:         1316
        .size:           4
        .value_kind:     hidden_block_count_y
      - .offset:         1320
        .size:           4
        .value_kind:     hidden_block_count_z
      - .offset:         1324
        .size:           2
        .value_kind:     hidden_group_size_x
      - .offset:         1326
        .size:           2
        .value_kind:     hidden_group_size_y
      - .offset:         1328
        .size:           2
        .value_kind:     hidden_group_size_z
      - .offset:         1330
        .size:           2
        .value_kind:     hidden_remainder_x
      - .offset:         1332
        .size:           2
        .value_kind:     hidden_remainder_y
      - .offset:         1334
        .size:           2
        .value_kind:     hidden_remainder_z
      - .offset:         1352
        .size:           8
        .value_kind:     hidden_global_offset_x
      - .offset:         1360
        .size:           8
        .value_kind:     hidden_global_offset_y
      - .offset:         1368
        .size:           8
        .value_kind:     hidden_global_offset_z
      - .offset:         1376
        .size:           2
        .value_kind:     hidden_grid_dims
    .group_segment_fixed_size: 5152
    .kernarg_segment_align: 8
    .kernarg_segment_size: 1568
    .language:       OpenCL C
    .language_version:
      - 2
      - 0
    .max_flat_workgroup_size: 1024
    .name:           _ZN2at6native6sbtopk10gatherTopKIhmLi1ELb0EEEvNS_4cuda6detail10TensorInfoIKT_T0_EES8_S8_bS8_S8_NS5_IS6_S8_EES8_NS5_IlS8_EES8_PS6_
    .private_segment_fixed_size: 0
    .sgpr_count:     107
    .sgpr_spill_count: 9
    .symbol:         _ZN2at6native6sbtopk10gatherTopKIhmLi1ELb0EEEvNS_4cuda6detail10TensorInfoIKT_T0_EES8_S8_bS8_S8_NS5_IS6_S8_EES8_NS5_IlS8_EES8_PS6_.kd
    .uniform_work_group_size: 1
    .uses_dynamic_stack: false
    .vgpr_count:     53
    .vgpr_spill_count: 0
    .wavefront_size: 32
  - .args:
      - .offset:         0
        .size:           416
        .value_kind:     by_value
      - .offset:         416
        .size:           4
        .value_kind:     by_value
      - .address_space:  global
        .offset:         424
        .size:           8
        .value_kind:     global_buffer
      - .offset:         432
        .size:           4
        .value_kind:     by_value
      - .offset:         440
        .size:           8
        .value_kind:     by_value
      - .offset:         448
        .size:           4
        .value_kind:     by_value
      - .offset:         452
        .size:           4
        .value_kind:     by_value
      - .offset:         456
        .size:           4
        .value_kind:     by_value
      - .offset:         460
        .size:           4
        .value_kind:     by_value
      - .address_space:  global
        .offset:         464
        .size:           8
        .value_kind:     global_buffer
      - .address_space:  global
        .offset:         472
        .size:           8
        .value_kind:     global_buffer
      - .offset:         480
        .size:           4
        .value_kind:     hidden_block_count_x
      - .offset:         484
        .size:           4
        .value_kind:     hidden_block_count_y
      - .offset:         488
        .size:           4
        .value_kind:     hidden_block_count_z
      - .offset:         492
        .size:           2
        .value_kind:     hidden_group_size_x
      - .offset:         494
        .size:           2
        .value_kind:     hidden_group_size_y
      - .offset:         496
        .size:           2
        .value_kind:     hidden_group_size_z
      - .offset:         498
        .size:           2
        .value_kind:     hidden_remainder_x
      - .offset:         500
        .size:           2
        .value_kind:     hidden_remainder_y
      - .offset:         502
        .size:           2
        .value_kind:     hidden_remainder_z
      - .offset:         520
        .size:           8
        .value_kind:     hidden_global_offset_x
      - .offset:         528
        .size:           8
        .value_kind:     hidden_global_offset_y
      - .offset:         536
        .size:           8
        .value_kind:     hidden_global_offset_z
      - .offset:         544
        .size:           2
        .value_kind:     hidden_grid_dims
    .group_segment_fixed_size: 1024
    .kernarg_segment_align: 8
    .kernarg_segment_size: 736
    .language:       OpenCL C
    .language_version:
      - 2
      - 0
    .max_flat_workgroup_size: 256
    .name:           _ZN2at6native6mbtopk23computeBlockDigitCountsIhmjLi2EEEvNS_4cuda6detail10TensorInfoIKT_T0_EEjPjjS8_iijT1_PSB_Ps
    .private_segment_fixed_size: 0
    .sgpr_count:     32
    .sgpr_spill_count: 0
    .symbol:         _ZN2at6native6mbtopk23computeBlockDigitCountsIhmjLi2EEEvNS_4cuda6detail10TensorInfoIKT_T0_EEjPjjS8_iijT1_PSB_Ps.kd
    .uniform_work_group_size: 1
    .uses_dynamic_stack: false
    .vgpr_count:     8
    .vgpr_spill_count: 0
    .wavefront_size: 32
  - .args:
      - .offset:         0
        .size:           416
        .value_kind:     by_value
      - .offset:         416
        .size:           8
        .value_kind:     by_value
      - .offset:         424
        .size:           8
        .value_kind:     by_value
      - .offset:         432
        .size:           1
        .value_kind:     by_value
      - .offset:         436
        .size:           4
        .value_kind:     by_value
      - .offset:         440
        .size:           8
        .value_kind:     by_value
      - .offset:         448
        .size:           416
        .value_kind:     by_value
      - .offset:         864
        .size:           8
        .value_kind:     by_value
      - .offset:         872
        .size:           416
        .value_kind:     by_value
      - .offset:         1288
        .size:           8
        .value_kind:     by_value
      - .offset:         1296
        .size:           4
        .value_kind:     by_value
      - .offset:         1300
        .size:           4
        .value_kind:     by_value
      - .address_space:  global
        .offset:         1304
        .size:           8
        .value_kind:     global_buffer
      - .address_space:  global
        .offset:         1312
        .size:           8
        .value_kind:     global_buffer
      - .address_space:  global
        .offset:         1320
        .size:           8
        .value_kind:     global_buffer
      - .offset:         1328
        .size:           4
        .value_kind:     by_value
      - .offset:         1336
        .size:           4
        .value_kind:     hidden_block_count_x
      - .offset:         1340
        .size:           4
        .value_kind:     hidden_block_count_y
      - .offset:         1344
        .size:           4
        .value_kind:     hidden_block_count_z
      - .offset:         1348
        .size:           2
        .value_kind:     hidden_group_size_x
      - .offset:         1350
        .size:           2
        .value_kind:     hidden_group_size_y
      - .offset:         1352
        .size:           2
        .value_kind:     hidden_group_size_z
      - .offset:         1354
        .size:           2
        .value_kind:     hidden_remainder_x
      - .offset:         1356
        .size:           2
        .value_kind:     hidden_remainder_y
      - .offset:         1358
        .size:           2
        .value_kind:     hidden_remainder_z
      - .offset:         1376
        .size:           8
        .value_kind:     hidden_global_offset_x
      - .offset:         1384
        .size:           8
        .value_kind:     hidden_global_offset_y
      - .offset:         1392
        .size:           8
        .value_kind:     hidden_global_offset_z
      - .offset:         1400
        .size:           2
        .value_kind:     hidden_grid_dims
    .group_segment_fixed_size: 1068
    .kernarg_segment_align: 8
    .kernarg_segment_size: 1592
    .language:       OpenCL C
    .language_version:
      - 2
      - 0
    .max_flat_workgroup_size: 256
    .name:           _ZN2at6native6mbtopk10gatherTopKIhmLi2EEEvNS_4cuda6detail10TensorInfoIKT_T0_EES8_S8_bjS8_NS5_IS6_S8_EES8_NS5_IlS8_EES8_jjPS6_PjSD_j
    .private_segment_fixed_size: 0
    .sgpr_count:     51
    .sgpr_spill_count: 0
    .symbol:         _ZN2at6native6mbtopk10gatherTopKIhmLi2EEEvNS_4cuda6detail10TensorInfoIKT_T0_EES8_S8_bjS8_NS5_IS6_S8_EES8_NS5_IlS8_EES8_jjPS6_PjSD_j.kd
    .uniform_work_group_size: 1
    .uses_dynamic_stack: false
    .vgpr_count:     26
    .vgpr_spill_count: 0
    .wavefront_size: 32
  - .args:
      - .offset:         0
        .size:           416
        .value_kind:     by_value
      - .offset:         416
        .size:           8
        .value_kind:     by_value
      - .offset:         424
        .size:           8
        .value_kind:     by_value
      - .offset:         432
        .size:           1
        .value_kind:     by_value
      - .offset:         440
        .size:           8
        .value_kind:     by_value
      - .offset:         448
        .size:           8
        .value_kind:     by_value
      - .offset:         456
        .size:           416
        .value_kind:     by_value
      - .offset:         872
        .size:           8
        .value_kind:     by_value
      - .offset:         880
        .size:           416
        .value_kind:     by_value
      - .offset:         1296
        .size:           8
        .value_kind:     by_value
      - .address_space:  global
        .offset:         1304
        .size:           8
        .value_kind:     global_buffer
      - .offset:         1312
        .size:           4
        .value_kind:     hidden_block_count_x
      - .offset:         1316
        .size:           4
        .value_kind:     hidden_block_count_y
      - .offset:         1320
        .size:           4
        .value_kind:     hidden_block_count_z
      - .offset:         1324
        .size:           2
        .value_kind:     hidden_group_size_x
      - .offset:         1326
        .size:           2
        .value_kind:     hidden_group_size_y
      - .offset:         1328
        .size:           2
        .value_kind:     hidden_group_size_z
      - .offset:         1330
        .size:           2
        .value_kind:     hidden_remainder_x
      - .offset:         1332
        .size:           2
        .value_kind:     hidden_remainder_y
      - .offset:         1334
        .size:           2
        .value_kind:     hidden_remainder_z
      - .offset:         1352
        .size:           8
        .value_kind:     hidden_global_offset_x
      - .offset:         1360
        .size:           8
        .value_kind:     hidden_global_offset_y
      - .offset:         1368
        .size:           8
        .value_kind:     hidden_global_offset_z
      - .offset:         1376
        .size:           2
        .value_kind:     hidden_grid_dims
    .group_segment_fixed_size: 5152
    .kernarg_segment_align: 8
    .kernarg_segment_size: 1568
    .language:       OpenCL C
    .language_version:
      - 2
      - 0
    .max_flat_workgroup_size: 1024
    .name:           _ZN2at6native6sbtopk10gatherTopKIhmLi2ELb0EEEvNS_4cuda6detail10TensorInfoIKT_T0_EES8_S8_bS8_S8_NS5_IS6_S8_EES8_NS5_IlS8_EES8_PS6_
    .private_segment_fixed_size: 0
    .sgpr_count:     107
    .sgpr_spill_count: 14
    .symbol:         _ZN2at6native6sbtopk10gatherTopKIhmLi2ELb0EEEvNS_4cuda6detail10TensorInfoIKT_T0_EES8_S8_bS8_S8_NS5_IS6_S8_EES8_NS5_IlS8_EES8_PS6_.kd
    .uniform_work_group_size: 1
    .uses_dynamic_stack: false
    .vgpr_count:     43
    .vgpr_spill_count: 0
    .wavefront_size: 32
  - .args:
      - .offset:         0
        .size:           416
        .value_kind:     by_value
      - .offset:         416
        .size:           4
        .value_kind:     by_value
      - .address_space:  global
        .offset:         424
        .size:           8
        .value_kind:     global_buffer
      - .offset:         432
        .size:           4
        .value_kind:     by_value
      - .offset:         440
        .size:           8
        .value_kind:     by_value
      - .offset:         448
        .size:           4
        .value_kind:     by_value
      - .offset:         452
        .size:           4
        .value_kind:     by_value
      - .offset:         456
        .size:           4
        .value_kind:     by_value
      - .offset:         460
        .size:           4
        .value_kind:     by_value
      - .address_space:  global
        .offset:         464
        .size:           8
        .value_kind:     global_buffer
      - .address_space:  global
        .offset:         472
        .size:           8
        .value_kind:     global_buffer
      - .offset:         480
        .size:           4
        .value_kind:     hidden_block_count_x
      - .offset:         484
        .size:           4
        .value_kind:     hidden_block_count_y
      - .offset:         488
        .size:           4
        .value_kind:     hidden_block_count_z
      - .offset:         492
        .size:           2
        .value_kind:     hidden_group_size_x
      - .offset:         494
        .size:           2
        .value_kind:     hidden_group_size_y
      - .offset:         496
        .size:           2
        .value_kind:     hidden_group_size_z
      - .offset:         498
        .size:           2
        .value_kind:     hidden_remainder_x
      - .offset:         500
        .size:           2
        .value_kind:     hidden_remainder_y
      - .offset:         502
        .size:           2
        .value_kind:     hidden_remainder_z
      - .offset:         520
        .size:           8
        .value_kind:     hidden_global_offset_x
      - .offset:         528
        .size:           8
        .value_kind:     hidden_global_offset_y
      - .offset:         536
        .size:           8
        .value_kind:     hidden_global_offset_z
      - .offset:         544
        .size:           2
        .value_kind:     hidden_grid_dims
    .group_segment_fixed_size: 1024
    .kernarg_segment_align: 8
    .kernarg_segment_size: 736
    .language:       OpenCL C
    .language_version:
      - 2
      - 0
    .max_flat_workgroup_size: 256
    .name:           _ZN2at6native6mbtopk23computeBlockDigitCountsIhmjLi3EEEvNS_4cuda6detail10TensorInfoIKT_T0_EEjPjjS8_iijT1_PSB_Ps
    .private_segment_fixed_size: 0
    .sgpr_count:     40
    .sgpr_spill_count: 0
    .symbol:         _ZN2at6native6mbtopk23computeBlockDigitCountsIhmjLi3EEEvNS_4cuda6detail10TensorInfoIKT_T0_EEjPjjS8_iijT1_PSB_Ps.kd
    .uniform_work_group_size: 1
    .uses_dynamic_stack: false
    .vgpr_count:     8
    .vgpr_spill_count: 0
    .wavefront_size: 32
  - .args:
      - .offset:         0
        .size:           416
        .value_kind:     by_value
      - .offset:         416
        .size:           8
        .value_kind:     by_value
      - .offset:         424
        .size:           8
        .value_kind:     by_value
      - .offset:         432
        .size:           1
        .value_kind:     by_value
      - .offset:         436
        .size:           4
        .value_kind:     by_value
      - .offset:         440
        .size:           8
        .value_kind:     by_value
      - .offset:         448
        .size:           416
        .value_kind:     by_value
      - .offset:         864
        .size:           8
        .value_kind:     by_value
      - .offset:         872
        .size:           416
        .value_kind:     by_value
      - .offset:         1288
        .size:           8
        .value_kind:     by_value
      - .offset:         1296
        .size:           4
        .value_kind:     by_value
      - .offset:         1300
        .size:           4
        .value_kind:     by_value
      - .address_space:  global
        .offset:         1304
        .size:           8
        .value_kind:     global_buffer
      - .address_space:  global
        .offset:         1312
        .size:           8
        .value_kind:     global_buffer
      - .address_space:  global
        .offset:         1320
        .size:           8
        .value_kind:     global_buffer
      - .offset:         1328
        .size:           4
        .value_kind:     by_value
      - .offset:         1336
        .size:           4
        .value_kind:     hidden_block_count_x
      - .offset:         1340
        .size:           4
        .value_kind:     hidden_block_count_y
      - .offset:         1344
        .size:           4
        .value_kind:     hidden_block_count_z
      - .offset:         1348
        .size:           2
        .value_kind:     hidden_group_size_x
      - .offset:         1350
        .size:           2
        .value_kind:     hidden_group_size_y
      - .offset:         1352
        .size:           2
        .value_kind:     hidden_group_size_z
      - .offset:         1354
        .size:           2
        .value_kind:     hidden_remainder_x
      - .offset:         1356
        .size:           2
        .value_kind:     hidden_remainder_y
      - .offset:         1358
        .size:           2
        .value_kind:     hidden_remainder_z
      - .offset:         1376
        .size:           8
        .value_kind:     hidden_global_offset_x
      - .offset:         1384
        .size:           8
        .value_kind:     hidden_global_offset_y
      - .offset:         1392
        .size:           8
        .value_kind:     hidden_global_offset_z
      - .offset:         1400
        .size:           2
        .value_kind:     hidden_grid_dims
    .group_segment_fixed_size: 1068
    .kernarg_segment_align: 8
    .kernarg_segment_size: 1592
    .language:       OpenCL C
    .language_version:
      - 2
      - 0
    .max_flat_workgroup_size: 256
    .name:           _ZN2at6native6mbtopk10gatherTopKIhmLi3EEEvNS_4cuda6detail10TensorInfoIKT_T0_EES8_S8_bjS8_NS5_IS6_S8_EES8_NS5_IlS8_EES8_jjPS6_PjSD_j
    .private_segment_fixed_size: 0
    .sgpr_count:     78
    .sgpr_spill_count: 0
    .symbol:         _ZN2at6native6mbtopk10gatherTopKIhmLi3EEEvNS_4cuda6detail10TensorInfoIKT_T0_EES8_S8_bjS8_NS5_IS6_S8_EES8_NS5_IlS8_EES8_jjPS6_PjSD_j.kd
    .uniform_work_group_size: 1
    .uses_dynamic_stack: false
    .vgpr_count:     26
    .vgpr_spill_count: 0
    .wavefront_size: 32
  - .args:
      - .offset:         0
        .size:           416
        .value_kind:     by_value
      - .offset:         416
        .size:           8
        .value_kind:     by_value
      - .offset:         424
        .size:           8
        .value_kind:     by_value
      - .offset:         432
        .size:           1
        .value_kind:     by_value
      - .offset:         440
        .size:           8
        .value_kind:     by_value
      - .offset:         448
        .size:           8
        .value_kind:     by_value
      - .offset:         456
        .size:           416
        .value_kind:     by_value
      - .offset:         872
        .size:           8
        .value_kind:     by_value
      - .offset:         880
        .size:           416
        .value_kind:     by_value
      - .offset:         1296
        .size:           8
        .value_kind:     by_value
      - .address_space:  global
        .offset:         1304
        .size:           8
        .value_kind:     global_buffer
      - .offset:         1312
        .size:           4
        .value_kind:     hidden_block_count_x
      - .offset:         1316
        .size:           4
        .value_kind:     hidden_block_count_y
      - .offset:         1320
        .size:           4
        .value_kind:     hidden_block_count_z
      - .offset:         1324
        .size:           2
        .value_kind:     hidden_group_size_x
      - .offset:         1326
        .size:           2
        .value_kind:     hidden_group_size_y
      - .offset:         1328
        .size:           2
        .value_kind:     hidden_group_size_z
      - .offset:         1330
        .size:           2
        .value_kind:     hidden_remainder_x
      - .offset:         1332
        .size:           2
        .value_kind:     hidden_remainder_y
      - .offset:         1334
        .size:           2
        .value_kind:     hidden_remainder_z
      - .offset:         1352
        .size:           8
        .value_kind:     hidden_global_offset_x
      - .offset:         1360
        .size:           8
        .value_kind:     hidden_global_offset_y
      - .offset:         1368
        .size:           8
        .value_kind:     hidden_global_offset_z
      - .offset:         1376
        .size:           2
        .value_kind:     hidden_grid_dims
    .group_segment_fixed_size: 5152
    .kernarg_segment_align: 8
    .kernarg_segment_size: 1568
    .language:       OpenCL C
    .language_version:
      - 2
      - 0
    .max_flat_workgroup_size: 1024
    .name:           _ZN2at6native6sbtopk10gatherTopKIhmLi3ELb0EEEvNS_4cuda6detail10TensorInfoIKT_T0_EES8_S8_bS8_S8_NS5_IS6_S8_EES8_NS5_IlS8_EES8_PS6_
    .private_segment_fixed_size: 0
    .sgpr_count:     107
    .sgpr_spill_count: 19
    .symbol:         _ZN2at6native6sbtopk10gatherTopKIhmLi3ELb0EEEvNS_4cuda6detail10TensorInfoIKT_T0_EES8_S8_bS8_S8_NS5_IS6_S8_EES8_NS5_IlS8_EES8_PS6_.kd
    .uniform_work_group_size: 1
    .uses_dynamic_stack: false
    .vgpr_count:     43
    .vgpr_spill_count: 0
    .wavefront_size: 32
  - .args:
      - .offset:         0
        .size:           416
        .value_kind:     by_value
      - .offset:         416
        .size:           4
        .value_kind:     by_value
      - .address_space:  global
        .offset:         424
        .size:           8
        .value_kind:     global_buffer
      - .offset:         432
        .size:           4
        .value_kind:     by_value
      - .offset:         440
        .size:           8
        .value_kind:     by_value
      - .offset:         448
        .size:           4
        .value_kind:     by_value
      - .offset:         452
        .size:           4
        .value_kind:     by_value
      - .offset:         456
        .size:           4
        .value_kind:     by_value
      - .offset:         460
        .size:           4
        .value_kind:     by_value
      - .address_space:  global
        .offset:         464
        .size:           8
        .value_kind:     global_buffer
      - .address_space:  global
        .offset:         472
        .size:           8
        .value_kind:     global_buffer
      - .offset:         480
        .size:           4
        .value_kind:     hidden_block_count_x
      - .offset:         484
        .size:           4
        .value_kind:     hidden_block_count_y
      - .offset:         488
        .size:           4
        .value_kind:     hidden_block_count_z
      - .offset:         492
        .size:           2
        .value_kind:     hidden_group_size_x
      - .offset:         494
        .size:           2
        .value_kind:     hidden_group_size_y
      - .offset:         496
        .size:           2
        .value_kind:     hidden_group_size_z
      - .offset:         498
        .size:           2
        .value_kind:     hidden_remainder_x
      - .offset:         500
        .size:           2
        .value_kind:     hidden_remainder_y
      - .offset:         502
        .size:           2
        .value_kind:     hidden_remainder_z
      - .offset:         520
        .size:           8
        .value_kind:     hidden_global_offset_x
      - .offset:         528
        .size:           8
        .value_kind:     hidden_global_offset_y
      - .offset:         536
        .size:           8
        .value_kind:     hidden_global_offset_z
      - .offset:         544
        .size:           2
        .value_kind:     hidden_grid_dims
    .group_segment_fixed_size: 1024
    .kernarg_segment_align: 8
    .kernarg_segment_size: 736
    .language:       OpenCL C
    .language_version:
      - 2
      - 0
    .max_flat_workgroup_size: 256
    .name:           _ZN2at6native6mbtopk23computeBlockDigitCountsIhmjLin1EEEvNS_4cuda6detail10TensorInfoIKT_T0_EEjPjjS8_iijT1_PSB_Ps
    .private_segment_fixed_size: 0
    .sgpr_count:     30
    .sgpr_spill_count: 0
    .symbol:         _ZN2at6native6mbtopk23computeBlockDigitCountsIhmjLin1EEEvNS_4cuda6detail10TensorInfoIKT_T0_EEjPjjS8_iijT1_PSB_Ps.kd
    .uniform_work_group_size: 1
    .uses_dynamic_stack: false
    .vgpr_count:     8
    .vgpr_spill_count: 0
    .wavefront_size: 32
  - .args:
      - .offset:         0
        .size:           416
        .value_kind:     by_value
      - .offset:         416
        .size:           8
        .value_kind:     by_value
      - .offset:         424
        .size:           8
        .value_kind:     by_value
      - .offset:         432
        .size:           1
        .value_kind:     by_value
      - .offset:         436
        .size:           4
        .value_kind:     by_value
      - .offset:         440
        .size:           8
        .value_kind:     by_value
      - .offset:         448
        .size:           416
        .value_kind:     by_value
      - .offset:         864
        .size:           8
        .value_kind:     by_value
      - .offset:         872
        .size:           416
        .value_kind:     by_value
      - .offset:         1288
        .size:           8
        .value_kind:     by_value
      - .offset:         1296
        .size:           4
        .value_kind:     by_value
      - .offset:         1300
        .size:           4
        .value_kind:     by_value
      - .address_space:  global
        .offset:         1304
        .size:           8
        .value_kind:     global_buffer
      - .address_space:  global
        .offset:         1312
        .size:           8
        .value_kind:     global_buffer
      - .address_space:  global
        .offset:         1320
        .size:           8
        .value_kind:     global_buffer
      - .offset:         1328
        .size:           4
        .value_kind:     by_value
      - .offset:         1336
        .size:           4
        .value_kind:     hidden_block_count_x
      - .offset:         1340
        .size:           4
        .value_kind:     hidden_block_count_y
      - .offset:         1344
        .size:           4
        .value_kind:     hidden_block_count_z
      - .offset:         1348
        .size:           2
        .value_kind:     hidden_group_size_x
      - .offset:         1350
        .size:           2
        .value_kind:     hidden_group_size_y
      - .offset:         1352
        .size:           2
        .value_kind:     hidden_group_size_z
      - .offset:         1354
        .size:           2
        .value_kind:     hidden_remainder_x
      - .offset:         1356
        .size:           2
        .value_kind:     hidden_remainder_y
      - .offset:         1358
        .size:           2
        .value_kind:     hidden_remainder_z
      - .offset:         1376
        .size:           8
        .value_kind:     hidden_global_offset_x
      - .offset:         1384
        .size:           8
        .value_kind:     hidden_global_offset_y
      - .offset:         1392
        .size:           8
        .value_kind:     hidden_global_offset_z
      - .offset:         1400
        .size:           2
        .value_kind:     hidden_grid_dims
    .group_segment_fixed_size: 1068
    .kernarg_segment_align: 8
    .kernarg_segment_size: 1592
    .language:       OpenCL C
    .language_version:
      - 2
      - 0
    .max_flat_workgroup_size: 256
    .name:           _ZN2at6native6mbtopk10gatherTopKIhmLin1EEEvNS_4cuda6detail10TensorInfoIKT_T0_EES8_S8_bjS8_NS5_IS6_S8_EES8_NS5_IlS8_EES8_jjPS6_PjSD_j
    .private_segment_fixed_size: 0
    .sgpr_count:     50
    .sgpr_spill_count: 0
    .symbol:         _ZN2at6native6mbtopk10gatherTopKIhmLin1EEEvNS_4cuda6detail10TensorInfoIKT_T0_EES8_S8_bjS8_NS5_IS6_S8_EES8_NS5_IlS8_EES8_jjPS6_PjSD_j.kd
    .uniform_work_group_size: 1
    .uses_dynamic_stack: false
    .vgpr_count:     26
    .vgpr_spill_count: 0
    .wavefront_size: 32
  - .args:
      - .offset:         0
        .size:           416
        .value_kind:     by_value
      - .offset:         416
        .size:           8
        .value_kind:     by_value
      - .offset:         424
        .size:           8
        .value_kind:     by_value
      - .offset:         432
        .size:           1
        .value_kind:     by_value
      - .offset:         440
        .size:           8
        .value_kind:     by_value
      - .offset:         448
        .size:           8
        .value_kind:     by_value
      - .offset:         456
        .size:           416
        .value_kind:     by_value
      - .offset:         872
        .size:           8
        .value_kind:     by_value
      - .offset:         880
        .size:           416
        .value_kind:     by_value
      - .offset:         1296
        .size:           8
        .value_kind:     by_value
      - .address_space:  global
        .offset:         1304
        .size:           8
        .value_kind:     global_buffer
      - .offset:         1312
        .size:           4
        .value_kind:     hidden_block_count_x
      - .offset:         1316
        .size:           4
        .value_kind:     hidden_block_count_y
      - .offset:         1320
        .size:           4
        .value_kind:     hidden_block_count_z
      - .offset:         1324
        .size:           2
        .value_kind:     hidden_group_size_x
      - .offset:         1326
        .size:           2
        .value_kind:     hidden_group_size_y
      - .offset:         1328
        .size:           2
        .value_kind:     hidden_group_size_z
      - .offset:         1330
        .size:           2
        .value_kind:     hidden_remainder_x
      - .offset:         1332
        .size:           2
        .value_kind:     hidden_remainder_y
      - .offset:         1334
        .size:           2
        .value_kind:     hidden_remainder_z
      - .offset:         1352
        .size:           8
        .value_kind:     hidden_global_offset_x
      - .offset:         1360
        .size:           8
        .value_kind:     hidden_global_offset_y
      - .offset:         1368
        .size:           8
        .value_kind:     hidden_global_offset_z
      - .offset:         1376
        .size:           2
        .value_kind:     hidden_grid_dims
    .group_segment_fixed_size: 5152
    .kernarg_segment_align: 8
    .kernarg_segment_size: 1568
    .language:       OpenCL C
    .language_version:
      - 2
      - 0
    .max_flat_workgroup_size: 1024
    .name:           _ZN2at6native6sbtopk10gatherTopKIhmLin1ELb0EEEvNS_4cuda6detail10TensorInfoIKT_T0_EES8_S8_bS8_S8_NS5_IS6_S8_EES8_NS5_IlS8_EES8_PS6_
    .private_segment_fixed_size: 0
    .sgpr_count:     107
    .sgpr_spill_count: 17
    .symbol:         _ZN2at6native6sbtopk10gatherTopKIhmLin1ELb0EEEvNS_4cuda6detail10TensorInfoIKT_T0_EES8_S8_bS8_S8_NS5_IS6_S8_EES8_NS5_IlS8_EES8_PS6_.kd
    .uniform_work_group_size: 1
    .uses_dynamic_stack: false
    .vgpr_count:     55
    .vgpr_spill_count: 0
    .wavefront_size: 32
  - .args:
      - .offset:         0
        .size:           416
        .value_kind:     by_value
      - .offset:         416
        .size:           4
        .value_kind:     by_value
      - .address_space:  global
        .offset:         424
        .size:           8
        .value_kind:     global_buffer
      - .offset:         432
        .size:           4
        .value_kind:     by_value
      - .offset:         440
        .size:           8
        .value_kind:     by_value
      - .offset:         448
        .size:           4
        .value_kind:     by_value
      - .offset:         452
        .size:           4
        .value_kind:     by_value
      - .offset:         456
        .size:           4
        .value_kind:     by_value
      - .offset:         460
        .size:           4
        .value_kind:     by_value
      - .address_space:  global
        .offset:         464
        .size:           8
        .value_kind:     global_buffer
      - .address_space:  global
        .offset:         472
        .size:           8
        .value_kind:     global_buffer
      - .offset:         480
        .size:           4
        .value_kind:     hidden_block_count_x
      - .offset:         484
        .size:           4
        .value_kind:     hidden_block_count_y
      - .offset:         488
        .size:           4
        .value_kind:     hidden_block_count_z
      - .offset:         492
        .size:           2
        .value_kind:     hidden_group_size_x
      - .offset:         494
        .size:           2
        .value_kind:     hidden_group_size_y
      - .offset:         496
        .size:           2
        .value_kind:     hidden_group_size_z
      - .offset:         498
        .size:           2
        .value_kind:     hidden_remainder_x
      - .offset:         500
        .size:           2
        .value_kind:     hidden_remainder_y
      - .offset:         502
        .size:           2
        .value_kind:     hidden_remainder_z
      - .offset:         520
        .size:           8
        .value_kind:     hidden_global_offset_x
      - .offset:         528
        .size:           8
        .value_kind:     hidden_global_offset_y
      - .offset:         536
        .size:           8
        .value_kind:     hidden_global_offset_z
      - .offset:         544
        .size:           2
        .value_kind:     hidden_grid_dims
    .group_segment_fixed_size: 1024
    .kernarg_segment_align: 8
    .kernarg_segment_size: 736
    .language:       OpenCL C
    .language_version:
      - 2
      - 0
    .max_flat_workgroup_size: 256
    .name:           _ZN2at6native6mbtopk23computeBlockDigitCountsIamjLi1EEEvNS_4cuda6detail10TensorInfoIKT_T0_EEjPjjS8_iijT1_PSB_Ps
    .private_segment_fixed_size: 0
    .sgpr_count:     26
    .sgpr_spill_count: 0
    .symbol:         _ZN2at6native6mbtopk23computeBlockDigitCountsIamjLi1EEEvNS_4cuda6detail10TensorInfoIKT_T0_EEjPjjS8_iijT1_PSB_Ps.kd
    .uniform_work_group_size: 1
    .uses_dynamic_stack: false
    .vgpr_count:     8
    .vgpr_spill_count: 0
    .wavefront_size: 32
  - .args:
      - .offset:         0
        .size:           416
        .value_kind:     by_value
      - .offset:         416
        .size:           8
        .value_kind:     by_value
      - .offset:         424
        .size:           8
        .value_kind:     by_value
      - .offset:         432
        .size:           1
        .value_kind:     by_value
      - .offset:         436
        .size:           4
        .value_kind:     by_value
      - .offset:         440
        .size:           8
        .value_kind:     by_value
      - .offset:         448
        .size:           416
        .value_kind:     by_value
      - .offset:         864
        .size:           8
        .value_kind:     by_value
      - .offset:         872
        .size:           416
        .value_kind:     by_value
      - .offset:         1288
        .size:           8
        .value_kind:     by_value
      - .offset:         1296
        .size:           4
        .value_kind:     by_value
      - .offset:         1300
        .size:           4
        .value_kind:     by_value
      - .address_space:  global
        .offset:         1304
        .size:           8
        .value_kind:     global_buffer
      - .address_space:  global
        .offset:         1312
        .size:           8
        .value_kind:     global_buffer
      - .address_space:  global
        .offset:         1320
        .size:           8
        .value_kind:     global_buffer
      - .offset:         1328
        .size:           4
        .value_kind:     by_value
      - .offset:         1336
        .size:           4
        .value_kind:     hidden_block_count_x
      - .offset:         1340
        .size:           4
        .value_kind:     hidden_block_count_y
      - .offset:         1344
        .size:           4
        .value_kind:     hidden_block_count_z
      - .offset:         1348
        .size:           2
        .value_kind:     hidden_group_size_x
      - .offset:         1350
        .size:           2
        .value_kind:     hidden_group_size_y
      - .offset:         1352
        .size:           2
        .value_kind:     hidden_group_size_z
      - .offset:         1354
        .size:           2
        .value_kind:     hidden_remainder_x
      - .offset:         1356
        .size:           2
        .value_kind:     hidden_remainder_y
      - .offset:         1358
        .size:           2
        .value_kind:     hidden_remainder_z
      - .offset:         1376
        .size:           8
        .value_kind:     hidden_global_offset_x
      - .offset:         1384
        .size:           8
        .value_kind:     hidden_global_offset_y
      - .offset:         1392
        .size:           8
        .value_kind:     hidden_global_offset_z
      - .offset:         1400
        .size:           2
        .value_kind:     hidden_grid_dims
    .group_segment_fixed_size: 1068
    .kernarg_segment_align: 8
    .kernarg_segment_size: 1592
    .language:       OpenCL C
    .language_version:
      - 2
      - 0
    .max_flat_workgroup_size: 256
    .name:           _ZN2at6native6mbtopk10gatherTopKIamLi1EEEvNS_4cuda6detail10TensorInfoIKT_T0_EES8_S8_bjS8_NS5_IS6_S8_EES8_NS5_IlS8_EES8_jjPS6_PjSD_j
    .private_segment_fixed_size: 0
    .sgpr_count:     36
    .sgpr_spill_count: 0
    .symbol:         _ZN2at6native6mbtopk10gatherTopKIamLi1EEEvNS_4cuda6detail10TensorInfoIKT_T0_EES8_S8_bjS8_NS5_IS6_S8_EES8_NS5_IlS8_EES8_jjPS6_PjSD_j.kd
    .uniform_work_group_size: 1
    .uses_dynamic_stack: false
    .vgpr_count:     26
    .vgpr_spill_count: 0
    .wavefront_size: 32
  - .args:
      - .offset:         0
        .size:           416
        .value_kind:     by_value
      - .offset:         416
        .size:           8
        .value_kind:     by_value
      - .offset:         424
        .size:           8
        .value_kind:     by_value
      - .offset:         432
        .size:           1
        .value_kind:     by_value
      - .offset:         440
        .size:           8
        .value_kind:     by_value
      - .offset:         448
        .size:           8
        .value_kind:     by_value
      - .offset:         456
        .size:           416
        .value_kind:     by_value
      - .offset:         872
        .size:           8
        .value_kind:     by_value
      - .offset:         880
        .size:           416
        .value_kind:     by_value
      - .offset:         1296
        .size:           8
        .value_kind:     by_value
      - .address_space:  global
        .offset:         1304
        .size:           8
        .value_kind:     global_buffer
      - .offset:         1312
        .size:           4
        .value_kind:     hidden_block_count_x
      - .offset:         1316
        .size:           4
        .value_kind:     hidden_block_count_y
      - .offset:         1320
        .size:           4
        .value_kind:     hidden_block_count_z
      - .offset:         1324
        .size:           2
        .value_kind:     hidden_group_size_x
      - .offset:         1326
        .size:           2
        .value_kind:     hidden_group_size_y
      - .offset:         1328
        .size:           2
        .value_kind:     hidden_group_size_z
      - .offset:         1330
        .size:           2
        .value_kind:     hidden_remainder_x
      - .offset:         1332
        .size:           2
        .value_kind:     hidden_remainder_y
      - .offset:         1334
        .size:           2
        .value_kind:     hidden_remainder_z
      - .offset:         1352
        .size:           8
        .value_kind:     hidden_global_offset_x
      - .offset:         1360
        .size:           8
        .value_kind:     hidden_global_offset_y
      - .offset:         1368
        .size:           8
        .value_kind:     hidden_global_offset_z
      - .offset:         1376
        .size:           2
        .value_kind:     hidden_grid_dims
    .group_segment_fixed_size: 5152
    .kernarg_segment_align: 8
    .kernarg_segment_size: 1568
    .language:       OpenCL C
    .language_version:
      - 2
      - 0
    .max_flat_workgroup_size: 1024
    .name:           _ZN2at6native6sbtopk10gatherTopKIamLi1ELb0EEEvNS_4cuda6detail10TensorInfoIKT_T0_EES8_S8_bS8_S8_NS5_IS6_S8_EES8_NS5_IlS8_EES8_PS6_
    .private_segment_fixed_size: 0
    .sgpr_count:     107
    .sgpr_spill_count: 9
    .symbol:         _ZN2at6native6sbtopk10gatherTopKIamLi1ELb0EEEvNS_4cuda6detail10TensorInfoIKT_T0_EES8_S8_bS8_S8_NS5_IS6_S8_EES8_NS5_IlS8_EES8_PS6_.kd
    .uniform_work_group_size: 1
    .uses_dynamic_stack: false
    .vgpr_count:     53
    .vgpr_spill_count: 0
    .wavefront_size: 32
  - .args:
      - .offset:         0
        .size:           416
        .value_kind:     by_value
      - .offset:         416
        .size:           4
        .value_kind:     by_value
      - .address_space:  global
        .offset:         424
        .size:           8
        .value_kind:     global_buffer
      - .offset:         432
        .size:           4
        .value_kind:     by_value
      - .offset:         440
        .size:           8
        .value_kind:     by_value
      - .offset:         448
        .size:           4
        .value_kind:     by_value
      - .offset:         452
        .size:           4
        .value_kind:     by_value
      - .offset:         456
        .size:           4
        .value_kind:     by_value
      - .offset:         460
        .size:           4
        .value_kind:     by_value
      - .address_space:  global
        .offset:         464
        .size:           8
        .value_kind:     global_buffer
      - .address_space:  global
        .offset:         472
        .size:           8
        .value_kind:     global_buffer
      - .offset:         480
        .size:           4
        .value_kind:     hidden_block_count_x
      - .offset:         484
        .size:           4
        .value_kind:     hidden_block_count_y
      - .offset:         488
        .size:           4
        .value_kind:     hidden_block_count_z
      - .offset:         492
        .size:           2
        .value_kind:     hidden_group_size_x
      - .offset:         494
        .size:           2
        .value_kind:     hidden_group_size_y
      - .offset:         496
        .size:           2
        .value_kind:     hidden_group_size_z
      - .offset:         498
        .size:           2
        .value_kind:     hidden_remainder_x
      - .offset:         500
        .size:           2
        .value_kind:     hidden_remainder_y
      - .offset:         502
        .size:           2
        .value_kind:     hidden_remainder_z
      - .offset:         520
        .size:           8
        .value_kind:     hidden_global_offset_x
      - .offset:         528
        .size:           8
        .value_kind:     hidden_global_offset_y
      - .offset:         536
        .size:           8
        .value_kind:     hidden_global_offset_z
      - .offset:         544
        .size:           2
        .value_kind:     hidden_grid_dims
    .group_segment_fixed_size: 1024
    .kernarg_segment_align: 8
    .kernarg_segment_size: 736
    .language:       OpenCL C
    .language_version:
      - 2
      - 0
    .max_flat_workgroup_size: 256
    .name:           _ZN2at6native6mbtopk23computeBlockDigitCountsIamjLi2EEEvNS_4cuda6detail10TensorInfoIKT_T0_EEjPjjS8_iijT1_PSB_Ps
    .private_segment_fixed_size: 0
    .sgpr_count:     32
    .sgpr_spill_count: 0
    .symbol:         _ZN2at6native6mbtopk23computeBlockDigitCountsIamjLi2EEEvNS_4cuda6detail10TensorInfoIKT_T0_EEjPjjS8_iijT1_PSB_Ps.kd
    .uniform_work_group_size: 1
    .uses_dynamic_stack: false
    .vgpr_count:     8
    .vgpr_spill_count: 0
    .wavefront_size: 32
  - .args:
      - .offset:         0
        .size:           416
        .value_kind:     by_value
      - .offset:         416
        .size:           8
        .value_kind:     by_value
      - .offset:         424
        .size:           8
        .value_kind:     by_value
      - .offset:         432
        .size:           1
        .value_kind:     by_value
      - .offset:         436
        .size:           4
        .value_kind:     by_value
      - .offset:         440
        .size:           8
        .value_kind:     by_value
      - .offset:         448
        .size:           416
        .value_kind:     by_value
      - .offset:         864
        .size:           8
        .value_kind:     by_value
      - .offset:         872
        .size:           416
        .value_kind:     by_value
      - .offset:         1288
        .size:           8
        .value_kind:     by_value
      - .offset:         1296
        .size:           4
        .value_kind:     by_value
      - .offset:         1300
        .size:           4
        .value_kind:     by_value
      - .address_space:  global
        .offset:         1304
        .size:           8
        .value_kind:     global_buffer
      - .address_space:  global
        .offset:         1312
        .size:           8
        .value_kind:     global_buffer
      - .address_space:  global
        .offset:         1320
        .size:           8
        .value_kind:     global_buffer
      - .offset:         1328
        .size:           4
        .value_kind:     by_value
      - .offset:         1336
        .size:           4
        .value_kind:     hidden_block_count_x
      - .offset:         1340
        .size:           4
        .value_kind:     hidden_block_count_y
      - .offset:         1344
        .size:           4
        .value_kind:     hidden_block_count_z
      - .offset:         1348
        .size:           2
        .value_kind:     hidden_group_size_x
      - .offset:         1350
        .size:           2
        .value_kind:     hidden_group_size_y
      - .offset:         1352
        .size:           2
        .value_kind:     hidden_group_size_z
      - .offset:         1354
        .size:           2
        .value_kind:     hidden_remainder_x
      - .offset:         1356
        .size:           2
        .value_kind:     hidden_remainder_y
      - .offset:         1358
        .size:           2
        .value_kind:     hidden_remainder_z
      - .offset:         1376
        .size:           8
        .value_kind:     hidden_global_offset_x
      - .offset:         1384
        .size:           8
        .value_kind:     hidden_global_offset_y
      - .offset:         1392
        .size:           8
        .value_kind:     hidden_global_offset_z
      - .offset:         1400
        .size:           2
        .value_kind:     hidden_grid_dims
    .group_segment_fixed_size: 1068
    .kernarg_segment_align: 8
    .kernarg_segment_size: 1592
    .language:       OpenCL C
    .language_version:
      - 2
      - 0
    .max_flat_workgroup_size: 256
    .name:           _ZN2at6native6mbtopk10gatherTopKIamLi2EEEvNS_4cuda6detail10TensorInfoIKT_T0_EES8_S8_bjS8_NS5_IS6_S8_EES8_NS5_IlS8_EES8_jjPS6_PjSD_j
    .private_segment_fixed_size: 0
    .sgpr_count:     51
    .sgpr_spill_count: 0
    .symbol:         _ZN2at6native6mbtopk10gatherTopKIamLi2EEEvNS_4cuda6detail10TensorInfoIKT_T0_EES8_S8_bjS8_NS5_IS6_S8_EES8_NS5_IlS8_EES8_jjPS6_PjSD_j.kd
    .uniform_work_group_size: 1
    .uses_dynamic_stack: false
    .vgpr_count:     26
    .vgpr_spill_count: 0
    .wavefront_size: 32
  - .args:
      - .offset:         0
        .size:           416
        .value_kind:     by_value
      - .offset:         416
        .size:           8
        .value_kind:     by_value
      - .offset:         424
        .size:           8
        .value_kind:     by_value
      - .offset:         432
        .size:           1
        .value_kind:     by_value
      - .offset:         440
        .size:           8
        .value_kind:     by_value
      - .offset:         448
        .size:           8
        .value_kind:     by_value
      - .offset:         456
        .size:           416
        .value_kind:     by_value
      - .offset:         872
        .size:           8
        .value_kind:     by_value
      - .offset:         880
        .size:           416
        .value_kind:     by_value
      - .offset:         1296
        .size:           8
        .value_kind:     by_value
      - .address_space:  global
        .offset:         1304
        .size:           8
        .value_kind:     global_buffer
      - .offset:         1312
        .size:           4
        .value_kind:     hidden_block_count_x
      - .offset:         1316
        .size:           4
        .value_kind:     hidden_block_count_y
      - .offset:         1320
        .size:           4
        .value_kind:     hidden_block_count_z
      - .offset:         1324
        .size:           2
        .value_kind:     hidden_group_size_x
      - .offset:         1326
        .size:           2
        .value_kind:     hidden_group_size_y
      - .offset:         1328
        .size:           2
        .value_kind:     hidden_group_size_z
      - .offset:         1330
        .size:           2
        .value_kind:     hidden_remainder_x
      - .offset:         1332
        .size:           2
        .value_kind:     hidden_remainder_y
      - .offset:         1334
        .size:           2
        .value_kind:     hidden_remainder_z
      - .offset:         1352
        .size:           8
        .value_kind:     hidden_global_offset_x
      - .offset:         1360
        .size:           8
        .value_kind:     hidden_global_offset_y
      - .offset:         1368
        .size:           8
        .value_kind:     hidden_global_offset_z
      - .offset:         1376
        .size:           2
        .value_kind:     hidden_grid_dims
    .group_segment_fixed_size: 5152
    .kernarg_segment_align: 8
    .kernarg_segment_size: 1568
    .language:       OpenCL C
    .language_version:
      - 2
      - 0
    .max_flat_workgroup_size: 1024
    .name:           _ZN2at6native6sbtopk10gatherTopKIamLi2ELb0EEEvNS_4cuda6detail10TensorInfoIKT_T0_EES8_S8_bS8_S8_NS5_IS6_S8_EES8_NS5_IlS8_EES8_PS6_
    .private_segment_fixed_size: 0
    .sgpr_count:     107
    .sgpr_spill_count: 14
    .symbol:         _ZN2at6native6sbtopk10gatherTopKIamLi2ELb0EEEvNS_4cuda6detail10TensorInfoIKT_T0_EES8_S8_bS8_S8_NS5_IS6_S8_EES8_NS5_IlS8_EES8_PS6_.kd
    .uniform_work_group_size: 1
    .uses_dynamic_stack: false
    .vgpr_count:     43
    .vgpr_spill_count: 0
    .wavefront_size: 32
  - .args:
      - .offset:         0
        .size:           416
        .value_kind:     by_value
      - .offset:         416
        .size:           4
        .value_kind:     by_value
      - .address_space:  global
        .offset:         424
        .size:           8
        .value_kind:     global_buffer
      - .offset:         432
        .size:           4
        .value_kind:     by_value
      - .offset:         440
        .size:           8
        .value_kind:     by_value
      - .offset:         448
        .size:           4
        .value_kind:     by_value
      - .offset:         452
        .size:           4
        .value_kind:     by_value
      - .offset:         456
        .size:           4
        .value_kind:     by_value
      - .offset:         460
        .size:           4
        .value_kind:     by_value
      - .address_space:  global
        .offset:         464
        .size:           8
        .value_kind:     global_buffer
      - .address_space:  global
        .offset:         472
        .size:           8
        .value_kind:     global_buffer
      - .offset:         480
        .size:           4
        .value_kind:     hidden_block_count_x
      - .offset:         484
        .size:           4
        .value_kind:     hidden_block_count_y
      - .offset:         488
        .size:           4
        .value_kind:     hidden_block_count_z
      - .offset:         492
        .size:           2
        .value_kind:     hidden_group_size_x
      - .offset:         494
        .size:           2
        .value_kind:     hidden_group_size_y
      - .offset:         496
        .size:           2
        .value_kind:     hidden_group_size_z
      - .offset:         498
        .size:           2
        .value_kind:     hidden_remainder_x
      - .offset:         500
        .size:           2
        .value_kind:     hidden_remainder_y
      - .offset:         502
        .size:           2
        .value_kind:     hidden_remainder_z
      - .offset:         520
        .size:           8
        .value_kind:     hidden_global_offset_x
      - .offset:         528
        .size:           8
        .value_kind:     hidden_global_offset_y
      - .offset:         536
        .size:           8
        .value_kind:     hidden_global_offset_z
      - .offset:         544
        .size:           2
        .value_kind:     hidden_grid_dims
    .group_segment_fixed_size: 1024
    .kernarg_segment_align: 8
    .kernarg_segment_size: 736
    .language:       OpenCL C
    .language_version:
      - 2
      - 0
    .max_flat_workgroup_size: 256
    .name:           _ZN2at6native6mbtopk23computeBlockDigitCountsIamjLi3EEEvNS_4cuda6detail10TensorInfoIKT_T0_EEjPjjS8_iijT1_PSB_Ps
    .private_segment_fixed_size: 0
    .sgpr_count:     40
    .sgpr_spill_count: 0
    .symbol:         _ZN2at6native6mbtopk23computeBlockDigitCountsIamjLi3EEEvNS_4cuda6detail10TensorInfoIKT_T0_EEjPjjS8_iijT1_PSB_Ps.kd
    .uniform_work_group_size: 1
    .uses_dynamic_stack: false
    .vgpr_count:     8
    .vgpr_spill_count: 0
    .wavefront_size: 32
  - .args:
      - .offset:         0
        .size:           416
        .value_kind:     by_value
      - .offset:         416
        .size:           8
        .value_kind:     by_value
      - .offset:         424
        .size:           8
        .value_kind:     by_value
      - .offset:         432
        .size:           1
        .value_kind:     by_value
      - .offset:         436
        .size:           4
        .value_kind:     by_value
      - .offset:         440
        .size:           8
        .value_kind:     by_value
      - .offset:         448
        .size:           416
        .value_kind:     by_value
      - .offset:         864
        .size:           8
        .value_kind:     by_value
      - .offset:         872
        .size:           416
        .value_kind:     by_value
      - .offset:         1288
        .size:           8
        .value_kind:     by_value
      - .offset:         1296
        .size:           4
        .value_kind:     by_value
      - .offset:         1300
        .size:           4
        .value_kind:     by_value
      - .address_space:  global
        .offset:         1304
        .size:           8
        .value_kind:     global_buffer
      - .address_space:  global
        .offset:         1312
        .size:           8
        .value_kind:     global_buffer
      - .address_space:  global
        .offset:         1320
        .size:           8
        .value_kind:     global_buffer
      - .offset:         1328
        .size:           4
        .value_kind:     by_value
      - .offset:         1336
        .size:           4
        .value_kind:     hidden_block_count_x
      - .offset:         1340
        .size:           4
        .value_kind:     hidden_block_count_y
      - .offset:         1344
        .size:           4
        .value_kind:     hidden_block_count_z
      - .offset:         1348
        .size:           2
        .value_kind:     hidden_group_size_x
      - .offset:         1350
        .size:           2
        .value_kind:     hidden_group_size_y
      - .offset:         1352
        .size:           2
        .value_kind:     hidden_group_size_z
      - .offset:         1354
        .size:           2
        .value_kind:     hidden_remainder_x
      - .offset:         1356
        .size:           2
        .value_kind:     hidden_remainder_y
      - .offset:         1358
        .size:           2
        .value_kind:     hidden_remainder_z
      - .offset:         1376
        .size:           8
        .value_kind:     hidden_global_offset_x
      - .offset:         1384
        .size:           8
        .value_kind:     hidden_global_offset_y
      - .offset:         1392
        .size:           8
        .value_kind:     hidden_global_offset_z
      - .offset:         1400
        .size:           2
        .value_kind:     hidden_grid_dims
    .group_segment_fixed_size: 1068
    .kernarg_segment_align: 8
    .kernarg_segment_size: 1592
    .language:       OpenCL C
    .language_version:
      - 2
      - 0
    .max_flat_workgroup_size: 256
    .name:           _ZN2at6native6mbtopk10gatherTopKIamLi3EEEvNS_4cuda6detail10TensorInfoIKT_T0_EES8_S8_bjS8_NS5_IS6_S8_EES8_NS5_IlS8_EES8_jjPS6_PjSD_j
    .private_segment_fixed_size: 0
    .sgpr_count:     78
    .sgpr_spill_count: 0
    .symbol:         _ZN2at6native6mbtopk10gatherTopKIamLi3EEEvNS_4cuda6detail10TensorInfoIKT_T0_EES8_S8_bjS8_NS5_IS6_S8_EES8_NS5_IlS8_EES8_jjPS6_PjSD_j.kd
    .uniform_work_group_size: 1
    .uses_dynamic_stack: false
    .vgpr_count:     26
    .vgpr_spill_count: 0
    .wavefront_size: 32
  - .args:
      - .offset:         0
        .size:           416
        .value_kind:     by_value
      - .offset:         416
        .size:           8
        .value_kind:     by_value
      - .offset:         424
        .size:           8
        .value_kind:     by_value
      - .offset:         432
        .size:           1
        .value_kind:     by_value
      - .offset:         440
        .size:           8
        .value_kind:     by_value
      - .offset:         448
        .size:           8
        .value_kind:     by_value
      - .offset:         456
        .size:           416
        .value_kind:     by_value
      - .offset:         872
        .size:           8
        .value_kind:     by_value
      - .offset:         880
        .size:           416
        .value_kind:     by_value
      - .offset:         1296
        .size:           8
        .value_kind:     by_value
      - .address_space:  global
        .offset:         1304
        .size:           8
        .value_kind:     global_buffer
      - .offset:         1312
        .size:           4
        .value_kind:     hidden_block_count_x
      - .offset:         1316
        .size:           4
        .value_kind:     hidden_block_count_y
      - .offset:         1320
        .size:           4
        .value_kind:     hidden_block_count_z
      - .offset:         1324
        .size:           2
        .value_kind:     hidden_group_size_x
      - .offset:         1326
        .size:           2
        .value_kind:     hidden_group_size_y
      - .offset:         1328
        .size:           2
        .value_kind:     hidden_group_size_z
      - .offset:         1330
        .size:           2
        .value_kind:     hidden_remainder_x
      - .offset:         1332
        .size:           2
        .value_kind:     hidden_remainder_y
      - .offset:         1334
        .size:           2
        .value_kind:     hidden_remainder_z
      - .offset:         1352
        .size:           8
        .value_kind:     hidden_global_offset_x
      - .offset:         1360
        .size:           8
        .value_kind:     hidden_global_offset_y
      - .offset:         1368
        .size:           8
        .value_kind:     hidden_global_offset_z
      - .offset:         1376
        .size:           2
        .value_kind:     hidden_grid_dims
    .group_segment_fixed_size: 5152
    .kernarg_segment_align: 8
    .kernarg_segment_size: 1568
    .language:       OpenCL C
    .language_version:
      - 2
      - 0
    .max_flat_workgroup_size: 1024
    .name:           _ZN2at6native6sbtopk10gatherTopKIamLi3ELb0EEEvNS_4cuda6detail10TensorInfoIKT_T0_EES8_S8_bS8_S8_NS5_IS6_S8_EES8_NS5_IlS8_EES8_PS6_
    .private_segment_fixed_size: 0
    .sgpr_count:     107
    .sgpr_spill_count: 19
    .symbol:         _ZN2at6native6sbtopk10gatherTopKIamLi3ELb0EEEvNS_4cuda6detail10TensorInfoIKT_T0_EES8_S8_bS8_S8_NS5_IS6_S8_EES8_NS5_IlS8_EES8_PS6_.kd
    .uniform_work_group_size: 1
    .uses_dynamic_stack: false
    .vgpr_count:     43
    .vgpr_spill_count: 0
    .wavefront_size: 32
  - .args:
      - .offset:         0
        .size:           416
        .value_kind:     by_value
      - .offset:         416
        .size:           4
        .value_kind:     by_value
      - .address_space:  global
        .offset:         424
        .size:           8
        .value_kind:     global_buffer
      - .offset:         432
        .size:           4
        .value_kind:     by_value
      - .offset:         440
        .size:           8
        .value_kind:     by_value
      - .offset:         448
        .size:           4
        .value_kind:     by_value
      - .offset:         452
        .size:           4
        .value_kind:     by_value
      - .offset:         456
        .size:           4
        .value_kind:     by_value
      - .offset:         460
        .size:           4
        .value_kind:     by_value
      - .address_space:  global
        .offset:         464
        .size:           8
        .value_kind:     global_buffer
      - .address_space:  global
        .offset:         472
        .size:           8
        .value_kind:     global_buffer
      - .offset:         480
        .size:           4
        .value_kind:     hidden_block_count_x
      - .offset:         484
        .size:           4
        .value_kind:     hidden_block_count_y
      - .offset:         488
        .size:           4
        .value_kind:     hidden_block_count_z
      - .offset:         492
        .size:           2
        .value_kind:     hidden_group_size_x
      - .offset:         494
        .size:           2
        .value_kind:     hidden_group_size_y
      - .offset:         496
        .size:           2
        .value_kind:     hidden_group_size_z
      - .offset:         498
        .size:           2
        .value_kind:     hidden_remainder_x
      - .offset:         500
        .size:           2
        .value_kind:     hidden_remainder_y
      - .offset:         502
        .size:           2
        .value_kind:     hidden_remainder_z
      - .offset:         520
        .size:           8
        .value_kind:     hidden_global_offset_x
      - .offset:         528
        .size:           8
        .value_kind:     hidden_global_offset_y
      - .offset:         536
        .size:           8
        .value_kind:     hidden_global_offset_z
      - .offset:         544
        .size:           2
        .value_kind:     hidden_grid_dims
    .group_segment_fixed_size: 1024
    .kernarg_segment_align: 8
    .kernarg_segment_size: 736
    .language:       OpenCL C
    .language_version:
      - 2
      - 0
    .max_flat_workgroup_size: 256
    .name:           _ZN2at6native6mbtopk23computeBlockDigitCountsIamjLin1EEEvNS_4cuda6detail10TensorInfoIKT_T0_EEjPjjS8_iijT1_PSB_Ps
    .private_segment_fixed_size: 0
    .sgpr_count:     30
    .sgpr_spill_count: 0
    .symbol:         _ZN2at6native6mbtopk23computeBlockDigitCountsIamjLin1EEEvNS_4cuda6detail10TensorInfoIKT_T0_EEjPjjS8_iijT1_PSB_Ps.kd
    .uniform_work_group_size: 1
    .uses_dynamic_stack: false
    .vgpr_count:     8
    .vgpr_spill_count: 0
    .wavefront_size: 32
  - .args:
      - .offset:         0
        .size:           416
        .value_kind:     by_value
      - .offset:         416
        .size:           8
        .value_kind:     by_value
      - .offset:         424
        .size:           8
        .value_kind:     by_value
      - .offset:         432
        .size:           1
        .value_kind:     by_value
      - .offset:         436
        .size:           4
        .value_kind:     by_value
      - .offset:         440
        .size:           8
        .value_kind:     by_value
      - .offset:         448
        .size:           416
        .value_kind:     by_value
      - .offset:         864
        .size:           8
        .value_kind:     by_value
      - .offset:         872
        .size:           416
        .value_kind:     by_value
      - .offset:         1288
        .size:           8
        .value_kind:     by_value
      - .offset:         1296
        .size:           4
        .value_kind:     by_value
      - .offset:         1300
        .size:           4
        .value_kind:     by_value
      - .address_space:  global
        .offset:         1304
        .size:           8
        .value_kind:     global_buffer
      - .address_space:  global
        .offset:         1312
        .size:           8
        .value_kind:     global_buffer
      - .address_space:  global
        .offset:         1320
        .size:           8
        .value_kind:     global_buffer
      - .offset:         1328
        .size:           4
        .value_kind:     by_value
      - .offset:         1336
        .size:           4
        .value_kind:     hidden_block_count_x
      - .offset:         1340
        .size:           4
        .value_kind:     hidden_block_count_y
      - .offset:         1344
        .size:           4
        .value_kind:     hidden_block_count_z
      - .offset:         1348
        .size:           2
        .value_kind:     hidden_group_size_x
      - .offset:         1350
        .size:           2
        .value_kind:     hidden_group_size_y
      - .offset:         1352
        .size:           2
        .value_kind:     hidden_group_size_z
      - .offset:         1354
        .size:           2
        .value_kind:     hidden_remainder_x
      - .offset:         1356
        .size:           2
        .value_kind:     hidden_remainder_y
      - .offset:         1358
        .size:           2
        .value_kind:     hidden_remainder_z
      - .offset:         1376
        .size:           8
        .value_kind:     hidden_global_offset_x
      - .offset:         1384
        .size:           8
        .value_kind:     hidden_global_offset_y
      - .offset:         1392
        .size:           8
        .value_kind:     hidden_global_offset_z
      - .offset:         1400
        .size:           2
        .value_kind:     hidden_grid_dims
    .group_segment_fixed_size: 1068
    .kernarg_segment_align: 8
    .kernarg_segment_size: 1592
    .language:       OpenCL C
    .language_version:
      - 2
      - 0
    .max_flat_workgroup_size: 256
    .name:           _ZN2at6native6mbtopk10gatherTopKIamLin1EEEvNS_4cuda6detail10TensorInfoIKT_T0_EES8_S8_bjS8_NS5_IS6_S8_EES8_NS5_IlS8_EES8_jjPS6_PjSD_j
    .private_segment_fixed_size: 0
    .sgpr_count:     50
    .sgpr_spill_count: 0
    .symbol:         _ZN2at6native6mbtopk10gatherTopKIamLin1EEEvNS_4cuda6detail10TensorInfoIKT_T0_EES8_S8_bjS8_NS5_IS6_S8_EES8_NS5_IlS8_EES8_jjPS6_PjSD_j.kd
    .uniform_work_group_size: 1
    .uses_dynamic_stack: false
    .vgpr_count:     26
    .vgpr_spill_count: 0
    .wavefront_size: 32
  - .args:
      - .offset:         0
        .size:           416
        .value_kind:     by_value
      - .offset:         416
        .size:           8
        .value_kind:     by_value
      - .offset:         424
        .size:           8
        .value_kind:     by_value
      - .offset:         432
        .size:           1
        .value_kind:     by_value
      - .offset:         440
        .size:           8
        .value_kind:     by_value
      - .offset:         448
        .size:           8
        .value_kind:     by_value
      - .offset:         456
        .size:           416
        .value_kind:     by_value
      - .offset:         872
        .size:           8
        .value_kind:     by_value
      - .offset:         880
        .size:           416
        .value_kind:     by_value
      - .offset:         1296
        .size:           8
        .value_kind:     by_value
      - .address_space:  global
        .offset:         1304
        .size:           8
        .value_kind:     global_buffer
      - .offset:         1312
        .size:           4
        .value_kind:     hidden_block_count_x
      - .offset:         1316
        .size:           4
        .value_kind:     hidden_block_count_y
      - .offset:         1320
        .size:           4
        .value_kind:     hidden_block_count_z
      - .offset:         1324
        .size:           2
        .value_kind:     hidden_group_size_x
      - .offset:         1326
        .size:           2
        .value_kind:     hidden_group_size_y
      - .offset:         1328
        .size:           2
        .value_kind:     hidden_group_size_z
      - .offset:         1330
        .size:           2
        .value_kind:     hidden_remainder_x
      - .offset:         1332
        .size:           2
        .value_kind:     hidden_remainder_y
      - .offset:         1334
        .size:           2
        .value_kind:     hidden_remainder_z
      - .offset:         1352
        .size:           8
        .value_kind:     hidden_global_offset_x
      - .offset:         1360
        .size:           8
        .value_kind:     hidden_global_offset_y
      - .offset:         1368
        .size:           8
        .value_kind:     hidden_global_offset_z
      - .offset:         1376
        .size:           2
        .value_kind:     hidden_grid_dims
    .group_segment_fixed_size: 5152
    .kernarg_segment_align: 8
    .kernarg_segment_size: 1568
    .language:       OpenCL C
    .language_version:
      - 2
      - 0
    .max_flat_workgroup_size: 1024
    .name:           _ZN2at6native6sbtopk10gatherTopKIamLin1ELb0EEEvNS_4cuda6detail10TensorInfoIKT_T0_EES8_S8_bS8_S8_NS5_IS6_S8_EES8_NS5_IlS8_EES8_PS6_
    .private_segment_fixed_size: 0
    .sgpr_count:     107
    .sgpr_spill_count: 17
    .symbol:         _ZN2at6native6sbtopk10gatherTopKIamLin1ELb0EEEvNS_4cuda6detail10TensorInfoIKT_T0_EES8_S8_bS8_S8_NS5_IS6_S8_EES8_NS5_IlS8_EES8_PS6_.kd
    .uniform_work_group_size: 1
    .uses_dynamic_stack: false
    .vgpr_count:     55
    .vgpr_spill_count: 0
    .wavefront_size: 32
  - .args:
      - .offset:         0
        .size:           416
        .value_kind:     by_value
      - .offset:         416
        .size:           4
        .value_kind:     by_value
      - .address_space:  global
        .offset:         424
        .size:           8
        .value_kind:     global_buffer
      - .offset:         432
        .size:           4
        .value_kind:     by_value
      - .offset:         440
        .size:           8
        .value_kind:     by_value
      - .offset:         448
        .size:           4
        .value_kind:     by_value
      - .offset:         452
        .size:           4
        .value_kind:     by_value
      - .offset:         456
        .size:           4
        .value_kind:     by_value
      - .offset:         460
        .size:           4
        .value_kind:     by_value
      - .address_space:  global
        .offset:         464
        .size:           8
        .value_kind:     global_buffer
      - .address_space:  global
        .offset:         472
        .size:           8
        .value_kind:     global_buffer
      - .offset:         480
        .size:           4
        .value_kind:     hidden_block_count_x
      - .offset:         484
        .size:           4
        .value_kind:     hidden_block_count_y
      - .offset:         488
        .size:           4
        .value_kind:     hidden_block_count_z
      - .offset:         492
        .size:           2
        .value_kind:     hidden_group_size_x
      - .offset:         494
        .size:           2
        .value_kind:     hidden_group_size_y
      - .offset:         496
        .size:           2
        .value_kind:     hidden_group_size_z
      - .offset:         498
        .size:           2
        .value_kind:     hidden_remainder_x
      - .offset:         500
        .size:           2
        .value_kind:     hidden_remainder_y
      - .offset:         502
        .size:           2
        .value_kind:     hidden_remainder_z
      - .offset:         520
        .size:           8
        .value_kind:     hidden_global_offset_x
      - .offset:         528
        .size:           8
        .value_kind:     hidden_global_offset_y
      - .offset:         536
        .size:           8
        .value_kind:     hidden_global_offset_z
      - .offset:         544
        .size:           2
        .value_kind:     hidden_grid_dims
    .group_segment_fixed_size: 1024
    .kernarg_segment_align: 8
    .kernarg_segment_size: 736
    .language:       OpenCL C
    .language_version:
      - 2
      - 0
    .max_flat_workgroup_size: 256
    .name:           _ZN2at6native6mbtopk23computeBlockDigitCountsIimjLi1EEEvNS_4cuda6detail10TensorInfoIKT_T0_EEjPjjS8_iijT1_PSB_Ps
    .private_segment_fixed_size: 0
    .sgpr_count:     26
    .sgpr_spill_count: 0
    .symbol:         _ZN2at6native6mbtopk23computeBlockDigitCountsIimjLi1EEEvNS_4cuda6detail10TensorInfoIKT_T0_EEjPjjS8_iijT1_PSB_Ps.kd
    .uniform_work_group_size: 1
    .uses_dynamic_stack: false
    .vgpr_count:     8
    .vgpr_spill_count: 0
    .wavefront_size: 32
  - .args:
      - .offset:         0
        .size:           416
        .value_kind:     by_value
      - .offset:         416
        .size:           8
        .value_kind:     by_value
      - .offset:         424
        .size:           8
        .value_kind:     by_value
      - .offset:         432
        .size:           1
        .value_kind:     by_value
      - .offset:         436
        .size:           4
        .value_kind:     by_value
      - .offset:         440
        .size:           8
        .value_kind:     by_value
      - .offset:         448
        .size:           416
        .value_kind:     by_value
      - .offset:         864
        .size:           8
        .value_kind:     by_value
      - .offset:         872
        .size:           416
        .value_kind:     by_value
      - .offset:         1288
        .size:           8
        .value_kind:     by_value
      - .offset:         1296
        .size:           4
        .value_kind:     by_value
      - .offset:         1300
        .size:           4
        .value_kind:     by_value
      - .address_space:  global
        .offset:         1304
        .size:           8
        .value_kind:     global_buffer
      - .address_space:  global
        .offset:         1312
        .size:           8
        .value_kind:     global_buffer
      - .address_space:  global
        .offset:         1320
        .size:           8
        .value_kind:     global_buffer
      - .offset:         1328
        .size:           4
        .value_kind:     by_value
      - .offset:         1336
        .size:           4
        .value_kind:     hidden_block_count_x
      - .offset:         1340
        .size:           4
        .value_kind:     hidden_block_count_y
      - .offset:         1344
        .size:           4
        .value_kind:     hidden_block_count_z
      - .offset:         1348
        .size:           2
        .value_kind:     hidden_group_size_x
      - .offset:         1350
        .size:           2
        .value_kind:     hidden_group_size_y
      - .offset:         1352
        .size:           2
        .value_kind:     hidden_group_size_z
      - .offset:         1354
        .size:           2
        .value_kind:     hidden_remainder_x
      - .offset:         1356
        .size:           2
        .value_kind:     hidden_remainder_y
      - .offset:         1358
        .size:           2
        .value_kind:     hidden_remainder_z
      - .offset:         1376
        .size:           8
        .value_kind:     hidden_global_offset_x
      - .offset:         1384
        .size:           8
        .value_kind:     hidden_global_offset_y
      - .offset:         1392
        .size:           8
        .value_kind:     hidden_global_offset_z
      - .offset:         1400
        .size:           2
        .value_kind:     hidden_grid_dims
    .group_segment_fixed_size: 1068
    .kernarg_segment_align: 8
    .kernarg_segment_size: 1592
    .language:       OpenCL C
    .language_version:
      - 2
      - 0
    .max_flat_workgroup_size: 256
    .name:           _ZN2at6native6mbtopk10gatherTopKIimLi1EEEvNS_4cuda6detail10TensorInfoIKT_T0_EES8_S8_bjS8_NS5_IS6_S8_EES8_NS5_IlS8_EES8_jjPS6_PjSD_j
    .private_segment_fixed_size: 0
    .sgpr_count:     37
    .sgpr_spill_count: 0
    .symbol:         _ZN2at6native6mbtopk10gatherTopKIimLi1EEEvNS_4cuda6detail10TensorInfoIKT_T0_EES8_S8_bjS8_NS5_IS6_S8_EES8_NS5_IlS8_EES8_jjPS6_PjSD_j.kd
    .uniform_work_group_size: 1
    .uses_dynamic_stack: false
    .vgpr_count:     24
    .vgpr_spill_count: 0
    .wavefront_size: 32
  - .args:
      - .offset:         0
        .size:           416
        .value_kind:     by_value
      - .offset:         416
        .size:           8
        .value_kind:     by_value
      - .offset:         424
        .size:           8
        .value_kind:     by_value
      - .offset:         432
        .size:           1
        .value_kind:     by_value
      - .offset:         440
        .size:           8
        .value_kind:     by_value
      - .offset:         448
        .size:           8
        .value_kind:     by_value
      - .offset:         456
        .size:           416
        .value_kind:     by_value
      - .offset:         872
        .size:           8
        .value_kind:     by_value
      - .offset:         880
        .size:           416
        .value_kind:     by_value
      - .offset:         1296
        .size:           8
        .value_kind:     by_value
      - .address_space:  global
        .offset:         1304
        .size:           8
        .value_kind:     global_buffer
      - .offset:         1312
        .size:           4
        .value_kind:     hidden_block_count_x
      - .offset:         1316
        .size:           4
        .value_kind:     hidden_block_count_y
      - .offset:         1320
        .size:           4
        .value_kind:     hidden_block_count_z
      - .offset:         1324
        .size:           2
        .value_kind:     hidden_group_size_x
      - .offset:         1326
        .size:           2
        .value_kind:     hidden_group_size_y
      - .offset:         1328
        .size:           2
        .value_kind:     hidden_group_size_z
      - .offset:         1330
        .size:           2
        .value_kind:     hidden_remainder_x
      - .offset:         1332
        .size:           2
        .value_kind:     hidden_remainder_y
      - .offset:         1334
        .size:           2
        .value_kind:     hidden_remainder_z
      - .offset:         1352
        .size:           8
        .value_kind:     hidden_global_offset_x
      - .offset:         1360
        .size:           8
        .value_kind:     hidden_global_offset_y
      - .offset:         1368
        .size:           8
        .value_kind:     hidden_global_offset_z
      - .offset:         1376
        .size:           2
        .value_kind:     hidden_grid_dims
    .group_segment_fixed_size: 5152
    .kernarg_segment_align: 8
    .kernarg_segment_size: 1568
    .language:       OpenCL C
    .language_version:
      - 2
      - 0
    .max_flat_workgroup_size: 1024
    .name:           _ZN2at6native6sbtopk10gatherTopKIimLi1ELb0EEEvNS_4cuda6detail10TensorInfoIKT_T0_EES8_S8_bS8_S8_NS5_IS6_S8_EES8_NS5_IlS8_EES8_PS6_
    .private_segment_fixed_size: 0
    .sgpr_count:     107
    .sgpr_spill_count: 8
    .symbol:         _ZN2at6native6sbtopk10gatherTopKIimLi1ELb0EEEvNS_4cuda6detail10TensorInfoIKT_T0_EES8_S8_bS8_S8_NS5_IS6_S8_EES8_NS5_IlS8_EES8_PS6_.kd
    .uniform_work_group_size: 1
    .uses_dynamic_stack: false
    .vgpr_count:     55
    .vgpr_spill_count: 0
    .wavefront_size: 32
  - .args:
      - .offset:         0
        .size:           416
        .value_kind:     by_value
      - .offset:         416
        .size:           4
        .value_kind:     by_value
      - .address_space:  global
        .offset:         424
        .size:           8
        .value_kind:     global_buffer
      - .offset:         432
        .size:           4
        .value_kind:     by_value
      - .offset:         440
        .size:           8
        .value_kind:     by_value
      - .offset:         448
        .size:           4
        .value_kind:     by_value
      - .offset:         452
        .size:           4
        .value_kind:     by_value
      - .offset:         456
        .size:           4
        .value_kind:     by_value
      - .offset:         460
        .size:           4
        .value_kind:     by_value
      - .address_space:  global
        .offset:         464
        .size:           8
        .value_kind:     global_buffer
      - .address_space:  global
        .offset:         472
        .size:           8
        .value_kind:     global_buffer
      - .offset:         480
        .size:           4
        .value_kind:     hidden_block_count_x
      - .offset:         484
        .size:           4
        .value_kind:     hidden_block_count_y
      - .offset:         488
        .size:           4
        .value_kind:     hidden_block_count_z
      - .offset:         492
        .size:           2
        .value_kind:     hidden_group_size_x
      - .offset:         494
        .size:           2
        .value_kind:     hidden_group_size_y
      - .offset:         496
        .size:           2
        .value_kind:     hidden_group_size_z
      - .offset:         498
        .size:           2
        .value_kind:     hidden_remainder_x
      - .offset:         500
        .size:           2
        .value_kind:     hidden_remainder_y
      - .offset:         502
        .size:           2
        .value_kind:     hidden_remainder_z
      - .offset:         520
        .size:           8
        .value_kind:     hidden_global_offset_x
      - .offset:         528
        .size:           8
        .value_kind:     hidden_global_offset_y
      - .offset:         536
        .size:           8
        .value_kind:     hidden_global_offset_z
      - .offset:         544
        .size:           2
        .value_kind:     hidden_grid_dims
    .group_segment_fixed_size: 1024
    .kernarg_segment_align: 8
    .kernarg_segment_size: 736
    .language:       OpenCL C
    .language_version:
      - 2
      - 0
    .max_flat_workgroup_size: 256
    .name:           _ZN2at6native6mbtopk23computeBlockDigitCountsIimjLi2EEEvNS_4cuda6detail10TensorInfoIKT_T0_EEjPjjS8_iijT1_PSB_Ps
    .private_segment_fixed_size: 0
    .sgpr_count:     32
    .sgpr_spill_count: 0
    .symbol:         _ZN2at6native6mbtopk23computeBlockDigitCountsIimjLi2EEEvNS_4cuda6detail10TensorInfoIKT_T0_EEjPjjS8_iijT1_PSB_Ps.kd
    .uniform_work_group_size: 1
    .uses_dynamic_stack: false
    .vgpr_count:     8
    .vgpr_spill_count: 0
    .wavefront_size: 32
  - .args:
      - .offset:         0
        .size:           416
        .value_kind:     by_value
      - .offset:         416
        .size:           8
        .value_kind:     by_value
      - .offset:         424
        .size:           8
        .value_kind:     by_value
      - .offset:         432
        .size:           1
        .value_kind:     by_value
      - .offset:         436
        .size:           4
        .value_kind:     by_value
      - .offset:         440
        .size:           8
        .value_kind:     by_value
      - .offset:         448
        .size:           416
        .value_kind:     by_value
      - .offset:         864
        .size:           8
        .value_kind:     by_value
      - .offset:         872
        .size:           416
        .value_kind:     by_value
      - .offset:         1288
        .size:           8
        .value_kind:     by_value
      - .offset:         1296
        .size:           4
        .value_kind:     by_value
      - .offset:         1300
        .size:           4
        .value_kind:     by_value
      - .address_space:  global
        .offset:         1304
        .size:           8
        .value_kind:     global_buffer
      - .address_space:  global
        .offset:         1312
        .size:           8
        .value_kind:     global_buffer
      - .address_space:  global
        .offset:         1320
        .size:           8
        .value_kind:     global_buffer
      - .offset:         1328
        .size:           4
        .value_kind:     by_value
      - .offset:         1336
        .size:           4
        .value_kind:     hidden_block_count_x
      - .offset:         1340
        .size:           4
        .value_kind:     hidden_block_count_y
      - .offset:         1344
        .size:           4
        .value_kind:     hidden_block_count_z
      - .offset:         1348
        .size:           2
        .value_kind:     hidden_group_size_x
      - .offset:         1350
        .size:           2
        .value_kind:     hidden_group_size_y
      - .offset:         1352
        .size:           2
        .value_kind:     hidden_group_size_z
      - .offset:         1354
        .size:           2
        .value_kind:     hidden_remainder_x
      - .offset:         1356
        .size:           2
        .value_kind:     hidden_remainder_y
      - .offset:         1358
        .size:           2
        .value_kind:     hidden_remainder_z
      - .offset:         1376
        .size:           8
        .value_kind:     hidden_global_offset_x
      - .offset:         1384
        .size:           8
        .value_kind:     hidden_global_offset_y
      - .offset:         1392
        .size:           8
        .value_kind:     hidden_global_offset_z
      - .offset:         1400
        .size:           2
        .value_kind:     hidden_grid_dims
    .group_segment_fixed_size: 1068
    .kernarg_segment_align: 8
    .kernarg_segment_size: 1592
    .language:       OpenCL C
    .language_version:
      - 2
      - 0
    .max_flat_workgroup_size: 256
    .name:           _ZN2at6native6mbtopk10gatherTopKIimLi2EEEvNS_4cuda6detail10TensorInfoIKT_T0_EES8_S8_bjS8_NS5_IS6_S8_EES8_NS5_IlS8_EES8_jjPS6_PjSD_j
    .private_segment_fixed_size: 0
    .sgpr_count:     52
    .sgpr_spill_count: 0
    .symbol:         _ZN2at6native6mbtopk10gatherTopKIimLi2EEEvNS_4cuda6detail10TensorInfoIKT_T0_EES8_S8_bjS8_NS5_IS6_S8_EES8_NS5_IlS8_EES8_jjPS6_PjSD_j.kd
    .uniform_work_group_size: 1
    .uses_dynamic_stack: false
    .vgpr_count:     24
    .vgpr_spill_count: 0
    .wavefront_size: 32
  - .args:
      - .offset:         0
        .size:           416
        .value_kind:     by_value
      - .offset:         416
        .size:           8
        .value_kind:     by_value
      - .offset:         424
        .size:           8
        .value_kind:     by_value
      - .offset:         432
        .size:           1
        .value_kind:     by_value
      - .offset:         440
        .size:           8
        .value_kind:     by_value
      - .offset:         448
        .size:           8
        .value_kind:     by_value
      - .offset:         456
        .size:           416
        .value_kind:     by_value
      - .offset:         872
        .size:           8
        .value_kind:     by_value
      - .offset:         880
        .size:           416
        .value_kind:     by_value
      - .offset:         1296
        .size:           8
        .value_kind:     by_value
      - .address_space:  global
        .offset:         1304
        .size:           8
        .value_kind:     global_buffer
      - .offset:         1312
        .size:           4
        .value_kind:     hidden_block_count_x
      - .offset:         1316
        .size:           4
        .value_kind:     hidden_block_count_y
      - .offset:         1320
        .size:           4
        .value_kind:     hidden_block_count_z
      - .offset:         1324
        .size:           2
        .value_kind:     hidden_group_size_x
      - .offset:         1326
        .size:           2
        .value_kind:     hidden_group_size_y
      - .offset:         1328
        .size:           2
        .value_kind:     hidden_group_size_z
      - .offset:         1330
        .size:           2
        .value_kind:     hidden_remainder_x
      - .offset:         1332
        .size:           2
        .value_kind:     hidden_remainder_y
      - .offset:         1334
        .size:           2
        .value_kind:     hidden_remainder_z
      - .offset:         1352
        .size:           8
        .value_kind:     hidden_global_offset_x
      - .offset:         1360
        .size:           8
        .value_kind:     hidden_global_offset_y
      - .offset:         1368
        .size:           8
        .value_kind:     hidden_global_offset_z
      - .offset:         1376
        .size:           2
        .value_kind:     hidden_grid_dims
    .group_segment_fixed_size: 5152
    .kernarg_segment_align: 8
    .kernarg_segment_size: 1568
    .language:       OpenCL C
    .language_version:
      - 2
      - 0
    .max_flat_workgroup_size: 1024
    .name:           _ZN2at6native6sbtopk10gatherTopKIimLi2ELb0EEEvNS_4cuda6detail10TensorInfoIKT_T0_EES8_S8_bS8_S8_NS5_IS6_S8_EES8_NS5_IlS8_EES8_PS6_
    .private_segment_fixed_size: 0
    .sgpr_count:     107
    .sgpr_spill_count: 13
    .symbol:         _ZN2at6native6sbtopk10gatherTopKIimLi2ELb0EEEvNS_4cuda6detail10TensorInfoIKT_T0_EES8_S8_bS8_S8_NS5_IS6_S8_EES8_NS5_IlS8_EES8_PS6_.kd
    .uniform_work_group_size: 1
    .uses_dynamic_stack: false
    .vgpr_count:     46
    .vgpr_spill_count: 0
    .wavefront_size: 32
  - .args:
      - .offset:         0
        .size:           416
        .value_kind:     by_value
      - .offset:         416
        .size:           4
        .value_kind:     by_value
      - .address_space:  global
        .offset:         424
        .size:           8
        .value_kind:     global_buffer
      - .offset:         432
        .size:           4
        .value_kind:     by_value
      - .offset:         440
        .size:           8
        .value_kind:     by_value
      - .offset:         448
        .size:           4
        .value_kind:     by_value
      - .offset:         452
        .size:           4
        .value_kind:     by_value
      - .offset:         456
        .size:           4
        .value_kind:     by_value
      - .offset:         460
        .size:           4
        .value_kind:     by_value
      - .address_space:  global
        .offset:         464
        .size:           8
        .value_kind:     global_buffer
      - .address_space:  global
        .offset:         472
        .size:           8
        .value_kind:     global_buffer
      - .offset:         480
        .size:           4
        .value_kind:     hidden_block_count_x
      - .offset:         484
        .size:           4
        .value_kind:     hidden_block_count_y
      - .offset:         488
        .size:           4
        .value_kind:     hidden_block_count_z
      - .offset:         492
        .size:           2
        .value_kind:     hidden_group_size_x
      - .offset:         494
        .size:           2
        .value_kind:     hidden_group_size_y
      - .offset:         496
        .size:           2
        .value_kind:     hidden_group_size_z
      - .offset:         498
        .size:           2
        .value_kind:     hidden_remainder_x
      - .offset:         500
        .size:           2
        .value_kind:     hidden_remainder_y
      - .offset:         502
        .size:           2
        .value_kind:     hidden_remainder_z
      - .offset:         520
        .size:           8
        .value_kind:     hidden_global_offset_x
      - .offset:         528
        .size:           8
        .value_kind:     hidden_global_offset_y
      - .offset:         536
        .size:           8
        .value_kind:     hidden_global_offset_z
      - .offset:         544
        .size:           2
        .value_kind:     hidden_grid_dims
    .group_segment_fixed_size: 1024
    .kernarg_segment_align: 8
    .kernarg_segment_size: 736
    .language:       OpenCL C
    .language_version:
      - 2
      - 0
    .max_flat_workgroup_size: 256
    .name:           _ZN2at6native6mbtopk23computeBlockDigitCountsIimjLi3EEEvNS_4cuda6detail10TensorInfoIKT_T0_EEjPjjS8_iijT1_PSB_Ps
    .private_segment_fixed_size: 0
    .sgpr_count:     40
    .sgpr_spill_count: 0
    .symbol:         _ZN2at6native6mbtopk23computeBlockDigitCountsIimjLi3EEEvNS_4cuda6detail10TensorInfoIKT_T0_EEjPjjS8_iijT1_PSB_Ps.kd
    .uniform_work_group_size: 1
    .uses_dynamic_stack: false
    .vgpr_count:     8
    .vgpr_spill_count: 0
    .wavefront_size: 32
  - .args:
      - .offset:         0
        .size:           416
        .value_kind:     by_value
      - .offset:         416
        .size:           8
        .value_kind:     by_value
      - .offset:         424
        .size:           8
        .value_kind:     by_value
      - .offset:         432
        .size:           1
        .value_kind:     by_value
      - .offset:         436
        .size:           4
        .value_kind:     by_value
      - .offset:         440
        .size:           8
        .value_kind:     by_value
      - .offset:         448
        .size:           416
        .value_kind:     by_value
      - .offset:         864
        .size:           8
        .value_kind:     by_value
      - .offset:         872
        .size:           416
        .value_kind:     by_value
      - .offset:         1288
        .size:           8
        .value_kind:     by_value
      - .offset:         1296
        .size:           4
        .value_kind:     by_value
      - .offset:         1300
        .size:           4
        .value_kind:     by_value
      - .address_space:  global
        .offset:         1304
        .size:           8
        .value_kind:     global_buffer
      - .address_space:  global
        .offset:         1312
        .size:           8
        .value_kind:     global_buffer
      - .address_space:  global
        .offset:         1320
        .size:           8
        .value_kind:     global_buffer
      - .offset:         1328
        .size:           4
        .value_kind:     by_value
      - .offset:         1336
        .size:           4
        .value_kind:     hidden_block_count_x
      - .offset:         1340
        .size:           4
        .value_kind:     hidden_block_count_y
      - .offset:         1344
        .size:           4
        .value_kind:     hidden_block_count_z
      - .offset:         1348
        .size:           2
        .value_kind:     hidden_group_size_x
      - .offset:         1350
        .size:           2
        .value_kind:     hidden_group_size_y
      - .offset:         1352
        .size:           2
        .value_kind:     hidden_group_size_z
      - .offset:         1354
        .size:           2
        .value_kind:     hidden_remainder_x
      - .offset:         1356
        .size:           2
        .value_kind:     hidden_remainder_y
      - .offset:         1358
        .size:           2
        .value_kind:     hidden_remainder_z
      - .offset:         1376
        .size:           8
        .value_kind:     hidden_global_offset_x
      - .offset:         1384
        .size:           8
        .value_kind:     hidden_global_offset_y
      - .offset:         1392
        .size:           8
        .value_kind:     hidden_global_offset_z
      - .offset:         1400
        .size:           2
        .value_kind:     hidden_grid_dims
    .group_segment_fixed_size: 1068
    .kernarg_segment_align: 8
    .kernarg_segment_size: 1592
    .language:       OpenCL C
    .language_version:
      - 2
      - 0
    .max_flat_workgroup_size: 256
    .name:           _ZN2at6native6mbtopk10gatherTopKIimLi3EEEvNS_4cuda6detail10TensorInfoIKT_T0_EES8_S8_bjS8_NS5_IS6_S8_EES8_NS5_IlS8_EES8_jjPS6_PjSD_j
    .private_segment_fixed_size: 0
    .sgpr_count:     79
    .sgpr_spill_count: 0
    .symbol:         _ZN2at6native6mbtopk10gatherTopKIimLi3EEEvNS_4cuda6detail10TensorInfoIKT_T0_EES8_S8_bjS8_NS5_IS6_S8_EES8_NS5_IlS8_EES8_jjPS6_PjSD_j.kd
    .uniform_work_group_size: 1
    .uses_dynamic_stack: false
    .vgpr_count:     24
    .vgpr_spill_count: 0
    .wavefront_size: 32
  - .args:
      - .offset:         0
        .size:           416
        .value_kind:     by_value
      - .offset:         416
        .size:           8
        .value_kind:     by_value
      - .offset:         424
        .size:           8
        .value_kind:     by_value
      - .offset:         432
        .size:           1
        .value_kind:     by_value
      - .offset:         440
        .size:           8
        .value_kind:     by_value
      - .offset:         448
        .size:           8
        .value_kind:     by_value
      - .offset:         456
        .size:           416
        .value_kind:     by_value
      - .offset:         872
        .size:           8
        .value_kind:     by_value
      - .offset:         880
        .size:           416
        .value_kind:     by_value
      - .offset:         1296
        .size:           8
        .value_kind:     by_value
      - .address_space:  global
        .offset:         1304
        .size:           8
        .value_kind:     global_buffer
      - .offset:         1312
        .size:           4
        .value_kind:     hidden_block_count_x
      - .offset:         1316
        .size:           4
        .value_kind:     hidden_block_count_y
      - .offset:         1320
        .size:           4
        .value_kind:     hidden_block_count_z
      - .offset:         1324
        .size:           2
        .value_kind:     hidden_group_size_x
      - .offset:         1326
        .size:           2
        .value_kind:     hidden_group_size_y
      - .offset:         1328
        .size:           2
        .value_kind:     hidden_group_size_z
      - .offset:         1330
        .size:           2
        .value_kind:     hidden_remainder_x
      - .offset:         1332
        .size:           2
        .value_kind:     hidden_remainder_y
      - .offset:         1334
        .size:           2
        .value_kind:     hidden_remainder_z
      - .offset:         1352
        .size:           8
        .value_kind:     hidden_global_offset_x
      - .offset:         1360
        .size:           8
        .value_kind:     hidden_global_offset_y
      - .offset:         1368
        .size:           8
        .value_kind:     hidden_global_offset_z
      - .offset:         1376
        .size:           2
        .value_kind:     hidden_grid_dims
    .group_segment_fixed_size: 5152
    .kernarg_segment_align: 8
    .kernarg_segment_size: 1568
    .language:       OpenCL C
    .language_version:
      - 2
      - 0
    .max_flat_workgroup_size: 1024
    .name:           _ZN2at6native6sbtopk10gatherTopKIimLi3ELb0EEEvNS_4cuda6detail10TensorInfoIKT_T0_EES8_S8_bS8_S8_NS5_IS6_S8_EES8_NS5_IlS8_EES8_PS6_
    .private_segment_fixed_size: 0
    .sgpr_count:     107
    .sgpr_spill_count: 14
    .symbol:         _ZN2at6native6sbtopk10gatherTopKIimLi3ELb0EEEvNS_4cuda6detail10TensorInfoIKT_T0_EES8_S8_bS8_S8_NS5_IS6_S8_EES8_NS5_IlS8_EES8_PS6_.kd
    .uniform_work_group_size: 1
    .uses_dynamic_stack: false
    .vgpr_count:     46
    .vgpr_spill_count: 0
    .wavefront_size: 32
  - .args:
      - .offset:         0
        .size:           416
        .value_kind:     by_value
      - .offset:         416
        .size:           4
        .value_kind:     by_value
      - .address_space:  global
        .offset:         424
        .size:           8
        .value_kind:     global_buffer
      - .offset:         432
        .size:           4
        .value_kind:     by_value
      - .offset:         440
        .size:           8
        .value_kind:     by_value
      - .offset:         448
        .size:           4
        .value_kind:     by_value
      - .offset:         452
        .size:           4
        .value_kind:     by_value
      - .offset:         456
        .size:           4
        .value_kind:     by_value
      - .offset:         460
        .size:           4
        .value_kind:     by_value
      - .address_space:  global
        .offset:         464
        .size:           8
        .value_kind:     global_buffer
      - .address_space:  global
        .offset:         472
        .size:           8
        .value_kind:     global_buffer
      - .offset:         480
        .size:           4
        .value_kind:     hidden_block_count_x
      - .offset:         484
        .size:           4
        .value_kind:     hidden_block_count_y
      - .offset:         488
        .size:           4
        .value_kind:     hidden_block_count_z
      - .offset:         492
        .size:           2
        .value_kind:     hidden_group_size_x
      - .offset:         494
        .size:           2
        .value_kind:     hidden_group_size_y
      - .offset:         496
        .size:           2
        .value_kind:     hidden_group_size_z
      - .offset:         498
        .size:           2
        .value_kind:     hidden_remainder_x
      - .offset:         500
        .size:           2
        .value_kind:     hidden_remainder_y
      - .offset:         502
        .size:           2
        .value_kind:     hidden_remainder_z
      - .offset:         520
        .size:           8
        .value_kind:     hidden_global_offset_x
      - .offset:         528
        .size:           8
        .value_kind:     hidden_global_offset_y
      - .offset:         536
        .size:           8
        .value_kind:     hidden_global_offset_z
      - .offset:         544
        .size:           2
        .value_kind:     hidden_grid_dims
    .group_segment_fixed_size: 1024
    .kernarg_segment_align: 8
    .kernarg_segment_size: 736
    .language:       OpenCL C
    .language_version:
      - 2
      - 0
    .max_flat_workgroup_size: 256
    .name:           _ZN2at6native6mbtopk23computeBlockDigitCountsIimjLin1EEEvNS_4cuda6detail10TensorInfoIKT_T0_EEjPjjS8_iijT1_PSB_Ps
    .private_segment_fixed_size: 0
    .sgpr_count:     30
    .sgpr_spill_count: 0
    .symbol:         _ZN2at6native6mbtopk23computeBlockDigitCountsIimjLin1EEEvNS_4cuda6detail10TensorInfoIKT_T0_EEjPjjS8_iijT1_PSB_Ps.kd
    .uniform_work_group_size: 1
    .uses_dynamic_stack: false
    .vgpr_count:     8
    .vgpr_spill_count: 0
    .wavefront_size: 32
  - .args:
      - .offset:         0
        .size:           416
        .value_kind:     by_value
      - .offset:         416
        .size:           8
        .value_kind:     by_value
      - .offset:         424
        .size:           8
        .value_kind:     by_value
      - .offset:         432
        .size:           1
        .value_kind:     by_value
      - .offset:         436
        .size:           4
        .value_kind:     by_value
      - .offset:         440
        .size:           8
        .value_kind:     by_value
      - .offset:         448
        .size:           416
        .value_kind:     by_value
      - .offset:         864
        .size:           8
        .value_kind:     by_value
      - .offset:         872
        .size:           416
        .value_kind:     by_value
      - .offset:         1288
        .size:           8
        .value_kind:     by_value
      - .offset:         1296
        .size:           4
        .value_kind:     by_value
      - .offset:         1300
        .size:           4
        .value_kind:     by_value
      - .address_space:  global
        .offset:         1304
        .size:           8
        .value_kind:     global_buffer
      - .address_space:  global
        .offset:         1312
        .size:           8
        .value_kind:     global_buffer
      - .address_space:  global
        .offset:         1320
        .size:           8
        .value_kind:     global_buffer
      - .offset:         1328
        .size:           4
        .value_kind:     by_value
      - .offset:         1336
        .size:           4
        .value_kind:     hidden_block_count_x
      - .offset:         1340
        .size:           4
        .value_kind:     hidden_block_count_y
      - .offset:         1344
        .size:           4
        .value_kind:     hidden_block_count_z
      - .offset:         1348
        .size:           2
        .value_kind:     hidden_group_size_x
      - .offset:         1350
        .size:           2
        .value_kind:     hidden_group_size_y
      - .offset:         1352
        .size:           2
        .value_kind:     hidden_group_size_z
      - .offset:         1354
        .size:           2
        .value_kind:     hidden_remainder_x
      - .offset:         1356
        .size:           2
        .value_kind:     hidden_remainder_y
      - .offset:         1358
        .size:           2
        .value_kind:     hidden_remainder_z
      - .offset:         1376
        .size:           8
        .value_kind:     hidden_global_offset_x
      - .offset:         1384
        .size:           8
        .value_kind:     hidden_global_offset_y
      - .offset:         1392
        .size:           8
        .value_kind:     hidden_global_offset_z
      - .offset:         1400
        .size:           2
        .value_kind:     hidden_grid_dims
    .group_segment_fixed_size: 1068
    .kernarg_segment_align: 8
    .kernarg_segment_size: 1592
    .language:       OpenCL C
    .language_version:
      - 2
      - 0
    .max_flat_workgroup_size: 256
    .name:           _ZN2at6native6mbtopk10gatherTopKIimLin1EEEvNS_4cuda6detail10TensorInfoIKT_T0_EES8_S8_bjS8_NS5_IS6_S8_EES8_NS5_IlS8_EES8_jjPS6_PjSD_j
    .private_segment_fixed_size: 0
    .sgpr_count:     51
    .sgpr_spill_count: 0
    .symbol:         _ZN2at6native6mbtopk10gatherTopKIimLin1EEEvNS_4cuda6detail10TensorInfoIKT_T0_EES8_S8_bjS8_NS5_IS6_S8_EES8_NS5_IlS8_EES8_jjPS6_PjSD_j.kd
    .uniform_work_group_size: 1
    .uses_dynamic_stack: false
    .vgpr_count:     24
    .vgpr_spill_count: 0
    .wavefront_size: 32
  - .args:
      - .offset:         0
        .size:           416
        .value_kind:     by_value
      - .offset:         416
        .size:           8
        .value_kind:     by_value
      - .offset:         424
        .size:           8
        .value_kind:     by_value
      - .offset:         432
        .size:           1
        .value_kind:     by_value
      - .offset:         440
        .size:           8
        .value_kind:     by_value
      - .offset:         448
        .size:           8
        .value_kind:     by_value
      - .offset:         456
        .size:           416
        .value_kind:     by_value
      - .offset:         872
        .size:           8
        .value_kind:     by_value
      - .offset:         880
        .size:           416
        .value_kind:     by_value
      - .offset:         1296
        .size:           8
        .value_kind:     by_value
      - .address_space:  global
        .offset:         1304
        .size:           8
        .value_kind:     global_buffer
      - .offset:         1312
        .size:           4
        .value_kind:     hidden_block_count_x
      - .offset:         1316
        .size:           4
        .value_kind:     hidden_block_count_y
      - .offset:         1320
        .size:           4
        .value_kind:     hidden_block_count_z
      - .offset:         1324
        .size:           2
        .value_kind:     hidden_group_size_x
      - .offset:         1326
        .size:           2
        .value_kind:     hidden_group_size_y
      - .offset:         1328
        .size:           2
        .value_kind:     hidden_group_size_z
      - .offset:         1330
        .size:           2
        .value_kind:     hidden_remainder_x
      - .offset:         1332
        .size:           2
        .value_kind:     hidden_remainder_y
      - .offset:         1334
        .size:           2
        .value_kind:     hidden_remainder_z
      - .offset:         1352
        .size:           8
        .value_kind:     hidden_global_offset_x
      - .offset:         1360
        .size:           8
        .value_kind:     hidden_global_offset_y
      - .offset:         1368
        .size:           8
        .value_kind:     hidden_global_offset_z
      - .offset:         1376
        .size:           2
        .value_kind:     hidden_grid_dims
    .group_segment_fixed_size: 5152
    .kernarg_segment_align: 8
    .kernarg_segment_size: 1568
    .language:       OpenCL C
    .language_version:
      - 2
      - 0
    .max_flat_workgroup_size: 1024
    .name:           _ZN2at6native6sbtopk10gatherTopKIimLin1ELb0EEEvNS_4cuda6detail10TensorInfoIKT_T0_EES8_S8_bS8_S8_NS5_IS6_S8_EES8_NS5_IlS8_EES8_PS6_
    .private_segment_fixed_size: 0
    .sgpr_count:     107
    .sgpr_spill_count: 20
    .symbol:         _ZN2at6native6sbtopk10gatherTopKIimLin1ELb0EEEvNS_4cuda6detail10TensorInfoIKT_T0_EES8_S8_bS8_S8_NS5_IS6_S8_EES8_NS5_IlS8_EES8_PS6_.kd
    .uniform_work_group_size: 1
    .uses_dynamic_stack: false
    .vgpr_count:     63
    .vgpr_spill_count: 0
    .wavefront_size: 32
  - .args:
      - .offset:         0
        .size:           416
        .value_kind:     by_value
      - .offset:         416
        .size:           4
        .value_kind:     by_value
      - .address_space:  global
        .offset:         424
        .size:           8
        .value_kind:     global_buffer
      - .offset:         432
        .size:           4
        .value_kind:     by_value
      - .offset:         440
        .size:           8
        .value_kind:     by_value
      - .offset:         448
        .size:           4
        .value_kind:     by_value
      - .offset:         452
        .size:           4
        .value_kind:     by_value
      - .offset:         456
        .size:           4
        .value_kind:     by_value
      - .offset:         464
        .size:           8
        .value_kind:     by_value
      - .address_space:  global
        .offset:         472
        .size:           8
        .value_kind:     global_buffer
      - .address_space:  global
        .offset:         480
        .size:           8
        .value_kind:     global_buffer
      - .offset:         488
        .size:           4
        .value_kind:     hidden_block_count_x
      - .offset:         492
        .size:           4
        .value_kind:     hidden_block_count_y
      - .offset:         496
        .size:           4
        .value_kind:     hidden_block_count_z
      - .offset:         500
        .size:           2
        .value_kind:     hidden_group_size_x
      - .offset:         502
        .size:           2
        .value_kind:     hidden_group_size_y
      - .offset:         504
        .size:           2
        .value_kind:     hidden_group_size_z
      - .offset:         506
        .size:           2
        .value_kind:     hidden_remainder_x
      - .offset:         508
        .size:           2
        .value_kind:     hidden_remainder_y
      - .offset:         510
        .size:           2
        .value_kind:     hidden_remainder_z
      - .offset:         528
        .size:           8
        .value_kind:     hidden_global_offset_x
      - .offset:         536
        .size:           8
        .value_kind:     hidden_global_offset_y
      - .offset:         544
        .size:           8
        .value_kind:     hidden_global_offset_z
      - .offset:         552
        .size:           2
        .value_kind:     hidden_grid_dims
    .group_segment_fixed_size: 1024
    .kernarg_segment_align: 8
    .kernarg_segment_size: 744
    .language:       OpenCL C
    .language_version:
      - 2
      - 0
    .max_flat_workgroup_size: 256
    .name:           _ZN2at6native6mbtopk23computeBlockDigitCountsIlmmLi1EEEvNS_4cuda6detail10TensorInfoIKT_T0_EEjPjjS8_iijT1_PSB_Ps
    .private_segment_fixed_size: 0
    .sgpr_count:     28
    .sgpr_spill_count: 0
    .symbol:         _ZN2at6native6mbtopk23computeBlockDigitCountsIlmmLi1EEEvNS_4cuda6detail10TensorInfoIKT_T0_EEjPjjS8_iijT1_PSB_Ps.kd
    .uniform_work_group_size: 1
    .uses_dynamic_stack: false
    .vgpr_count:     11
    .vgpr_spill_count: 0
    .wavefront_size: 32
  - .args:
      - .offset:         0
        .size:           416
        .value_kind:     by_value
      - .offset:         416
        .size:           8
        .value_kind:     by_value
      - .offset:         424
        .size:           8
        .value_kind:     by_value
      - .offset:         432
        .size:           1
        .value_kind:     by_value
      - .offset:         436
        .size:           4
        .value_kind:     by_value
      - .offset:         440
        .size:           8
        .value_kind:     by_value
      - .offset:         448
        .size:           416
        .value_kind:     by_value
      - .offset:         864
        .size:           8
        .value_kind:     by_value
      - .offset:         872
        .size:           416
        .value_kind:     by_value
      - .offset:         1288
        .size:           8
        .value_kind:     by_value
      - .offset:         1296
        .size:           4
        .value_kind:     by_value
      - .offset:         1300
        .size:           4
        .value_kind:     by_value
      - .address_space:  global
        .offset:         1304
        .size:           8
        .value_kind:     global_buffer
      - .address_space:  global
        .offset:         1312
        .size:           8
        .value_kind:     global_buffer
      - .address_space:  global
        .offset:         1320
        .size:           8
        .value_kind:     global_buffer
      - .offset:         1328
        .size:           4
        .value_kind:     by_value
      - .offset:         1336
        .size:           4
        .value_kind:     hidden_block_count_x
      - .offset:         1340
        .size:           4
        .value_kind:     hidden_block_count_y
      - .offset:         1344
        .size:           4
        .value_kind:     hidden_block_count_z
      - .offset:         1348
        .size:           2
        .value_kind:     hidden_group_size_x
      - .offset:         1350
        .size:           2
        .value_kind:     hidden_group_size_y
      - .offset:         1352
        .size:           2
        .value_kind:     hidden_group_size_z
      - .offset:         1354
        .size:           2
        .value_kind:     hidden_remainder_x
      - .offset:         1356
        .size:           2
        .value_kind:     hidden_remainder_y
      - .offset:         1358
        .size:           2
        .value_kind:     hidden_remainder_z
      - .offset:         1376
        .size:           8
        .value_kind:     hidden_global_offset_x
      - .offset:         1384
        .size:           8
        .value_kind:     hidden_global_offset_y
      - .offset:         1392
        .size:           8
        .value_kind:     hidden_global_offset_z
      - .offset:         1400
        .size:           2
        .value_kind:     hidden_grid_dims
    .group_segment_fixed_size: 1068
    .kernarg_segment_align: 8
    .kernarg_segment_size: 1592
    .language:       OpenCL C
    .language_version:
      - 2
      - 0
    .max_flat_workgroup_size: 256
    .name:           _ZN2at6native6mbtopk10gatherTopKIlmLi1EEEvNS_4cuda6detail10TensorInfoIKT_T0_EES8_S8_bjS8_NS5_IS6_S8_EES8_NS5_IlS8_EES8_jjPS6_PjSD_j
    .private_segment_fixed_size: 0
    .sgpr_count:     38
    .sgpr_spill_count: 0
    .symbol:         _ZN2at6native6mbtopk10gatherTopKIlmLi1EEEvNS_4cuda6detail10TensorInfoIKT_T0_EES8_S8_bjS8_NS5_IS6_S8_EES8_NS5_IlS8_EES8_jjPS6_PjSD_j.kd
    .uniform_work_group_size: 1
    .uses_dynamic_stack: false
    .vgpr_count:     26
    .vgpr_spill_count: 0
    .wavefront_size: 32
  - .args:
      - .offset:         0
        .size:           416
        .value_kind:     by_value
      - .offset:         416
        .size:           8
        .value_kind:     by_value
      - .offset:         424
        .size:           8
        .value_kind:     by_value
      - .offset:         432
        .size:           1
        .value_kind:     by_value
      - .offset:         440
        .size:           8
        .value_kind:     by_value
      - .offset:         448
        .size:           8
        .value_kind:     by_value
      - .offset:         456
        .size:           416
        .value_kind:     by_value
      - .offset:         872
        .size:           8
        .value_kind:     by_value
      - .offset:         880
        .size:           416
        .value_kind:     by_value
      - .offset:         1296
        .size:           8
        .value_kind:     by_value
      - .address_space:  global
        .offset:         1304
        .size:           8
        .value_kind:     global_buffer
      - .offset:         1312
        .size:           4
        .value_kind:     hidden_block_count_x
      - .offset:         1316
        .size:           4
        .value_kind:     hidden_block_count_y
      - .offset:         1320
        .size:           4
        .value_kind:     hidden_block_count_z
      - .offset:         1324
        .size:           2
        .value_kind:     hidden_group_size_x
      - .offset:         1326
        .size:           2
        .value_kind:     hidden_group_size_y
      - .offset:         1328
        .size:           2
        .value_kind:     hidden_group_size_z
      - .offset:         1330
        .size:           2
        .value_kind:     hidden_remainder_x
      - .offset:         1332
        .size:           2
        .value_kind:     hidden_remainder_y
      - .offset:         1334
        .size:           2
        .value_kind:     hidden_remainder_z
      - .offset:         1352
        .size:           8
        .value_kind:     hidden_global_offset_x
      - .offset:         1360
        .size:           8
        .value_kind:     hidden_global_offset_y
      - .offset:         1368
        .size:           8
        .value_kind:     hidden_global_offset_z
      - .offset:         1376
        .size:           2
        .value_kind:     hidden_grid_dims
    .group_segment_fixed_size: 5152
    .kernarg_segment_align: 8
    .kernarg_segment_size: 1568
    .language:       OpenCL C
    .language_version:
      - 2
      - 0
    .max_flat_workgroup_size: 1024
    .name:           _ZN2at6native6sbtopk10gatherTopKIlmLi1ELb0EEEvNS_4cuda6detail10TensorInfoIKT_T0_EES8_S8_bS8_S8_NS5_IS6_S8_EES8_NS5_IlS8_EES8_PS6_
    .private_segment_fixed_size: 0
    .sgpr_count:     107
    .sgpr_spill_count: 6
    .symbol:         _ZN2at6native6sbtopk10gatherTopKIlmLi1ELb0EEEvNS_4cuda6detail10TensorInfoIKT_T0_EES8_S8_bS8_S8_NS5_IS6_S8_EES8_NS5_IlS8_EES8_PS6_.kd
    .uniform_work_group_size: 1
    .uses_dynamic_stack: false
    .vgpr_count:     67
    .vgpr_spill_count: 0
    .wavefront_size: 32
  - .args:
      - .offset:         0
        .size:           416
        .value_kind:     by_value
      - .offset:         416
        .size:           4
        .value_kind:     by_value
      - .address_space:  global
        .offset:         424
        .size:           8
        .value_kind:     global_buffer
      - .offset:         432
        .size:           4
        .value_kind:     by_value
      - .offset:         440
        .size:           8
        .value_kind:     by_value
      - .offset:         448
        .size:           4
        .value_kind:     by_value
      - .offset:         452
        .size:           4
        .value_kind:     by_value
      - .offset:         456
        .size:           4
        .value_kind:     by_value
      - .offset:         464
        .size:           8
        .value_kind:     by_value
      - .address_space:  global
        .offset:         472
        .size:           8
        .value_kind:     global_buffer
      - .address_space:  global
        .offset:         480
        .size:           8
        .value_kind:     global_buffer
      - .offset:         488
        .size:           4
        .value_kind:     hidden_block_count_x
      - .offset:         492
        .size:           4
        .value_kind:     hidden_block_count_y
      - .offset:         496
        .size:           4
        .value_kind:     hidden_block_count_z
      - .offset:         500
        .size:           2
        .value_kind:     hidden_group_size_x
      - .offset:         502
        .size:           2
        .value_kind:     hidden_group_size_y
      - .offset:         504
        .size:           2
        .value_kind:     hidden_group_size_z
      - .offset:         506
        .size:           2
        .value_kind:     hidden_remainder_x
      - .offset:         508
        .size:           2
        .value_kind:     hidden_remainder_y
      - .offset:         510
        .size:           2
        .value_kind:     hidden_remainder_z
      - .offset:         528
        .size:           8
        .value_kind:     hidden_global_offset_x
      - .offset:         536
        .size:           8
        .value_kind:     hidden_global_offset_y
      - .offset:         544
        .size:           8
        .value_kind:     hidden_global_offset_z
      - .offset:         552
        .size:           2
        .value_kind:     hidden_grid_dims
    .group_segment_fixed_size: 1024
    .kernarg_segment_align: 8
    .kernarg_segment_size: 744
    .language:       OpenCL C
    .language_version:
      - 2
      - 0
    .max_flat_workgroup_size: 256
    .name:           _ZN2at6native6mbtopk23computeBlockDigitCountsIlmmLi2EEEvNS_4cuda6detail10TensorInfoIKT_T0_EEjPjjS8_iijT1_PSB_Ps
    .private_segment_fixed_size: 0
    .sgpr_count:     34
    .sgpr_spill_count: 0
    .symbol:         _ZN2at6native6mbtopk23computeBlockDigitCountsIlmmLi2EEEvNS_4cuda6detail10TensorInfoIKT_T0_EEjPjjS8_iijT1_PSB_Ps.kd
    .uniform_work_group_size: 1
    .uses_dynamic_stack: false
    .vgpr_count:     11
    .vgpr_spill_count: 0
    .wavefront_size: 32
  - .args:
      - .offset:         0
        .size:           416
        .value_kind:     by_value
      - .offset:         416
        .size:           8
        .value_kind:     by_value
      - .offset:         424
        .size:           8
        .value_kind:     by_value
      - .offset:         432
        .size:           1
        .value_kind:     by_value
      - .offset:         436
        .size:           4
        .value_kind:     by_value
      - .offset:         440
        .size:           8
        .value_kind:     by_value
      - .offset:         448
        .size:           416
        .value_kind:     by_value
      - .offset:         864
        .size:           8
        .value_kind:     by_value
      - .offset:         872
        .size:           416
        .value_kind:     by_value
      - .offset:         1288
        .size:           8
        .value_kind:     by_value
      - .offset:         1296
        .size:           4
        .value_kind:     by_value
      - .offset:         1300
        .size:           4
        .value_kind:     by_value
      - .address_space:  global
        .offset:         1304
        .size:           8
        .value_kind:     global_buffer
      - .address_space:  global
        .offset:         1312
        .size:           8
        .value_kind:     global_buffer
      - .address_space:  global
        .offset:         1320
        .size:           8
        .value_kind:     global_buffer
      - .offset:         1328
        .size:           4
        .value_kind:     by_value
      - .offset:         1336
        .size:           4
        .value_kind:     hidden_block_count_x
      - .offset:         1340
        .size:           4
        .value_kind:     hidden_block_count_y
      - .offset:         1344
        .size:           4
        .value_kind:     hidden_block_count_z
      - .offset:         1348
        .size:           2
        .value_kind:     hidden_group_size_x
      - .offset:         1350
        .size:           2
        .value_kind:     hidden_group_size_y
      - .offset:         1352
        .size:           2
        .value_kind:     hidden_group_size_z
      - .offset:         1354
        .size:           2
        .value_kind:     hidden_remainder_x
      - .offset:         1356
        .size:           2
        .value_kind:     hidden_remainder_y
      - .offset:         1358
        .size:           2
        .value_kind:     hidden_remainder_z
      - .offset:         1376
        .size:           8
        .value_kind:     hidden_global_offset_x
      - .offset:         1384
        .size:           8
        .value_kind:     hidden_global_offset_y
      - .offset:         1392
        .size:           8
        .value_kind:     hidden_global_offset_z
      - .offset:         1400
        .size:           2
        .value_kind:     hidden_grid_dims
    .group_segment_fixed_size: 1068
    .kernarg_segment_align: 8
    .kernarg_segment_size: 1592
    .language:       OpenCL C
    .language_version:
      - 2
      - 0
    .max_flat_workgroup_size: 256
    .name:           _ZN2at6native6mbtopk10gatherTopKIlmLi2EEEvNS_4cuda6detail10TensorInfoIKT_T0_EES8_S8_bjS8_NS5_IS6_S8_EES8_NS5_IlS8_EES8_jjPS6_PjSD_j
    .private_segment_fixed_size: 0
    .sgpr_count:     53
    .sgpr_spill_count: 0
    .symbol:         _ZN2at6native6mbtopk10gatherTopKIlmLi2EEEvNS_4cuda6detail10TensorInfoIKT_T0_EES8_S8_bjS8_NS5_IS6_S8_EES8_NS5_IlS8_EES8_jjPS6_PjSD_j.kd
    .uniform_work_group_size: 1
    .uses_dynamic_stack: false
    .vgpr_count:     26
    .vgpr_spill_count: 0
    .wavefront_size: 32
  - .args:
      - .offset:         0
        .size:           416
        .value_kind:     by_value
      - .offset:         416
        .size:           8
        .value_kind:     by_value
      - .offset:         424
        .size:           8
        .value_kind:     by_value
      - .offset:         432
        .size:           1
        .value_kind:     by_value
      - .offset:         440
        .size:           8
        .value_kind:     by_value
      - .offset:         448
        .size:           8
        .value_kind:     by_value
      - .offset:         456
        .size:           416
        .value_kind:     by_value
      - .offset:         872
        .size:           8
        .value_kind:     by_value
      - .offset:         880
        .size:           416
        .value_kind:     by_value
      - .offset:         1296
        .size:           8
        .value_kind:     by_value
      - .address_space:  global
        .offset:         1304
        .size:           8
        .value_kind:     global_buffer
      - .offset:         1312
        .size:           4
        .value_kind:     hidden_block_count_x
      - .offset:         1316
        .size:           4
        .value_kind:     hidden_block_count_y
      - .offset:         1320
        .size:           4
        .value_kind:     hidden_block_count_z
      - .offset:         1324
        .size:           2
        .value_kind:     hidden_group_size_x
      - .offset:         1326
        .size:           2
        .value_kind:     hidden_group_size_y
      - .offset:         1328
        .size:           2
        .value_kind:     hidden_group_size_z
      - .offset:         1330
        .size:           2
        .value_kind:     hidden_remainder_x
      - .offset:         1332
        .size:           2
        .value_kind:     hidden_remainder_y
      - .offset:         1334
        .size:           2
        .value_kind:     hidden_remainder_z
      - .offset:         1352
        .size:           8
        .value_kind:     hidden_global_offset_x
      - .offset:         1360
        .size:           8
        .value_kind:     hidden_global_offset_y
      - .offset:         1368
        .size:           8
        .value_kind:     hidden_global_offset_z
      - .offset:         1376
        .size:           2
        .value_kind:     hidden_grid_dims
    .group_segment_fixed_size: 5152
    .kernarg_segment_align: 8
    .kernarg_segment_size: 1568
    .language:       OpenCL C
    .language_version:
      - 2
      - 0
    .max_flat_workgroup_size: 1024
    .name:           _ZN2at6native6sbtopk10gatherTopKIlmLi2ELb0EEEvNS_4cuda6detail10TensorInfoIKT_T0_EES8_S8_bS8_S8_NS5_IS6_S8_EES8_NS5_IlS8_EES8_PS6_
    .private_segment_fixed_size: 0
    .sgpr_count:     107
    .sgpr_spill_count: 12
    .symbol:         _ZN2at6native6sbtopk10gatherTopKIlmLi2ELb0EEEvNS_4cuda6detail10TensorInfoIKT_T0_EES8_S8_bS8_S8_NS5_IS6_S8_EES8_NS5_IlS8_EES8_PS6_.kd
    .uniform_work_group_size: 1
    .uses_dynamic_stack: false
    .vgpr_count:     57
    .vgpr_spill_count: 0
    .wavefront_size: 32
  - .args:
      - .offset:         0
        .size:           416
        .value_kind:     by_value
      - .offset:         416
        .size:           4
        .value_kind:     by_value
      - .address_space:  global
        .offset:         424
        .size:           8
        .value_kind:     global_buffer
      - .offset:         432
        .size:           4
        .value_kind:     by_value
      - .offset:         440
        .size:           8
        .value_kind:     by_value
      - .offset:         448
        .size:           4
        .value_kind:     by_value
      - .offset:         452
        .size:           4
        .value_kind:     by_value
      - .offset:         456
        .size:           4
        .value_kind:     by_value
      - .offset:         464
        .size:           8
        .value_kind:     by_value
      - .address_space:  global
        .offset:         472
        .size:           8
        .value_kind:     global_buffer
      - .address_space:  global
        .offset:         480
        .size:           8
        .value_kind:     global_buffer
      - .offset:         488
        .size:           4
        .value_kind:     hidden_block_count_x
      - .offset:         492
        .size:           4
        .value_kind:     hidden_block_count_y
      - .offset:         496
        .size:           4
        .value_kind:     hidden_block_count_z
      - .offset:         500
        .size:           2
        .value_kind:     hidden_group_size_x
      - .offset:         502
        .size:           2
        .value_kind:     hidden_group_size_y
      - .offset:         504
        .size:           2
        .value_kind:     hidden_group_size_z
      - .offset:         506
        .size:           2
        .value_kind:     hidden_remainder_x
      - .offset:         508
        .size:           2
        .value_kind:     hidden_remainder_y
      - .offset:         510
        .size:           2
        .value_kind:     hidden_remainder_z
      - .offset:         528
        .size:           8
        .value_kind:     hidden_global_offset_x
      - .offset:         536
        .size:           8
        .value_kind:     hidden_global_offset_y
      - .offset:         544
        .size:           8
        .value_kind:     hidden_global_offset_z
      - .offset:         552
        .size:           2
        .value_kind:     hidden_grid_dims
    .group_segment_fixed_size: 1024
    .kernarg_segment_align: 8
    .kernarg_segment_size: 744
    .language:       OpenCL C
    .language_version:
      - 2
      - 0
    .max_flat_workgroup_size: 256
    .name:           _ZN2at6native6mbtopk23computeBlockDigitCountsIlmmLi3EEEvNS_4cuda6detail10TensorInfoIKT_T0_EEjPjjS8_iijT1_PSB_Ps
    .private_segment_fixed_size: 0
    .sgpr_count:     42
    .sgpr_spill_count: 0
    .symbol:         _ZN2at6native6mbtopk23computeBlockDigitCountsIlmmLi3EEEvNS_4cuda6detail10TensorInfoIKT_T0_EEjPjjS8_iijT1_PSB_Ps.kd
    .uniform_work_group_size: 1
    .uses_dynamic_stack: false
    .vgpr_count:     11
    .vgpr_spill_count: 0
    .wavefront_size: 32
  - .args:
      - .offset:         0
        .size:           416
        .value_kind:     by_value
      - .offset:         416
        .size:           8
        .value_kind:     by_value
      - .offset:         424
        .size:           8
        .value_kind:     by_value
      - .offset:         432
        .size:           1
        .value_kind:     by_value
      - .offset:         436
        .size:           4
        .value_kind:     by_value
      - .offset:         440
        .size:           8
        .value_kind:     by_value
      - .offset:         448
        .size:           416
        .value_kind:     by_value
      - .offset:         864
        .size:           8
        .value_kind:     by_value
      - .offset:         872
        .size:           416
        .value_kind:     by_value
      - .offset:         1288
        .size:           8
        .value_kind:     by_value
      - .offset:         1296
        .size:           4
        .value_kind:     by_value
      - .offset:         1300
        .size:           4
        .value_kind:     by_value
      - .address_space:  global
        .offset:         1304
        .size:           8
        .value_kind:     global_buffer
      - .address_space:  global
        .offset:         1312
        .size:           8
        .value_kind:     global_buffer
      - .address_space:  global
        .offset:         1320
        .size:           8
        .value_kind:     global_buffer
      - .offset:         1328
        .size:           4
        .value_kind:     by_value
      - .offset:         1336
        .size:           4
        .value_kind:     hidden_block_count_x
      - .offset:         1340
        .size:           4
        .value_kind:     hidden_block_count_y
      - .offset:         1344
        .size:           4
        .value_kind:     hidden_block_count_z
      - .offset:         1348
        .size:           2
        .value_kind:     hidden_group_size_x
      - .offset:         1350
        .size:           2
        .value_kind:     hidden_group_size_y
      - .offset:         1352
        .size:           2
        .value_kind:     hidden_group_size_z
      - .offset:         1354
        .size:           2
        .value_kind:     hidden_remainder_x
      - .offset:         1356
        .size:           2
        .value_kind:     hidden_remainder_y
      - .offset:         1358
        .size:           2
        .value_kind:     hidden_remainder_z
      - .offset:         1376
        .size:           8
        .value_kind:     hidden_global_offset_x
      - .offset:         1384
        .size:           8
        .value_kind:     hidden_global_offset_y
      - .offset:         1392
        .size:           8
        .value_kind:     hidden_global_offset_z
      - .offset:         1400
        .size:           2
        .value_kind:     hidden_grid_dims
    .group_segment_fixed_size: 1068
    .kernarg_segment_align: 8
    .kernarg_segment_size: 1592
    .language:       OpenCL C
    .language_version:
      - 2
      - 0
    .max_flat_workgroup_size: 256
    .name:           _ZN2at6native6mbtopk10gatherTopKIlmLi3EEEvNS_4cuda6detail10TensorInfoIKT_T0_EES8_S8_bjS8_NS5_IS6_S8_EES8_NS5_IlS8_EES8_jjPS6_PjSD_j
    .private_segment_fixed_size: 0
    .sgpr_count:     80
    .sgpr_spill_count: 0
    .symbol:         _ZN2at6native6mbtopk10gatherTopKIlmLi3EEEvNS_4cuda6detail10TensorInfoIKT_T0_EES8_S8_bjS8_NS5_IS6_S8_EES8_NS5_IlS8_EES8_jjPS6_PjSD_j.kd
    .uniform_work_group_size: 1
    .uses_dynamic_stack: false
    .vgpr_count:     26
    .vgpr_spill_count: 0
    .wavefront_size: 32
  - .args:
      - .offset:         0
        .size:           416
        .value_kind:     by_value
      - .offset:         416
        .size:           8
        .value_kind:     by_value
      - .offset:         424
        .size:           8
        .value_kind:     by_value
      - .offset:         432
        .size:           1
        .value_kind:     by_value
      - .offset:         440
        .size:           8
        .value_kind:     by_value
      - .offset:         448
        .size:           8
        .value_kind:     by_value
      - .offset:         456
        .size:           416
        .value_kind:     by_value
      - .offset:         872
        .size:           8
        .value_kind:     by_value
      - .offset:         880
        .size:           416
        .value_kind:     by_value
      - .offset:         1296
        .size:           8
        .value_kind:     by_value
      - .address_space:  global
        .offset:         1304
        .size:           8
        .value_kind:     global_buffer
      - .offset:         1312
        .size:           4
        .value_kind:     hidden_block_count_x
      - .offset:         1316
        .size:           4
        .value_kind:     hidden_block_count_y
      - .offset:         1320
        .size:           4
        .value_kind:     hidden_block_count_z
      - .offset:         1324
        .size:           2
        .value_kind:     hidden_group_size_x
      - .offset:         1326
        .size:           2
        .value_kind:     hidden_group_size_y
      - .offset:         1328
        .size:           2
        .value_kind:     hidden_group_size_z
      - .offset:         1330
        .size:           2
        .value_kind:     hidden_remainder_x
      - .offset:         1332
        .size:           2
        .value_kind:     hidden_remainder_y
      - .offset:         1334
        .size:           2
        .value_kind:     hidden_remainder_z
      - .offset:         1352
        .size:           8
        .value_kind:     hidden_global_offset_x
      - .offset:         1360
        .size:           8
        .value_kind:     hidden_global_offset_y
      - .offset:         1368
        .size:           8
        .value_kind:     hidden_global_offset_z
      - .offset:         1376
        .size:           2
        .value_kind:     hidden_grid_dims
    .group_segment_fixed_size: 5152
    .kernarg_segment_align: 8
    .kernarg_segment_size: 1568
    .language:       OpenCL C
    .language_version:
      - 2
      - 0
    .max_flat_workgroup_size: 1024
    .name:           _ZN2at6native6sbtopk10gatherTopKIlmLi3ELb0EEEvNS_4cuda6detail10TensorInfoIKT_T0_EES8_S8_bS8_S8_NS5_IS6_S8_EES8_NS5_IlS8_EES8_PS6_
    .private_segment_fixed_size: 0
    .sgpr_count:     107
    .sgpr_spill_count: 12
    .symbol:         _ZN2at6native6sbtopk10gatherTopKIlmLi3ELb0EEEvNS_4cuda6detail10TensorInfoIKT_T0_EES8_S8_bS8_S8_NS5_IS6_S8_EES8_NS5_IlS8_EES8_PS6_.kd
    .uniform_work_group_size: 1
    .uses_dynamic_stack: false
    .vgpr_count:     57
    .vgpr_spill_count: 0
    .wavefront_size: 32
  - .args:
      - .offset:         0
        .size:           416
        .value_kind:     by_value
      - .offset:         416
        .size:           4
        .value_kind:     by_value
      - .address_space:  global
        .offset:         424
        .size:           8
        .value_kind:     global_buffer
      - .offset:         432
        .size:           4
        .value_kind:     by_value
      - .offset:         440
        .size:           8
        .value_kind:     by_value
      - .offset:         448
        .size:           4
        .value_kind:     by_value
      - .offset:         452
        .size:           4
        .value_kind:     by_value
      - .offset:         456
        .size:           4
        .value_kind:     by_value
      - .offset:         464
        .size:           8
        .value_kind:     by_value
      - .address_space:  global
        .offset:         472
        .size:           8
        .value_kind:     global_buffer
      - .address_space:  global
        .offset:         480
        .size:           8
        .value_kind:     global_buffer
      - .offset:         488
        .size:           4
        .value_kind:     hidden_block_count_x
      - .offset:         492
        .size:           4
        .value_kind:     hidden_block_count_y
      - .offset:         496
        .size:           4
        .value_kind:     hidden_block_count_z
      - .offset:         500
        .size:           2
        .value_kind:     hidden_group_size_x
      - .offset:         502
        .size:           2
        .value_kind:     hidden_group_size_y
      - .offset:         504
        .size:           2
        .value_kind:     hidden_group_size_z
      - .offset:         506
        .size:           2
        .value_kind:     hidden_remainder_x
      - .offset:         508
        .size:           2
        .value_kind:     hidden_remainder_y
      - .offset:         510
        .size:           2
        .value_kind:     hidden_remainder_z
      - .offset:         528
        .size:           8
        .value_kind:     hidden_global_offset_x
      - .offset:         536
        .size:           8
        .value_kind:     hidden_global_offset_y
      - .offset:         544
        .size:           8
        .value_kind:     hidden_global_offset_z
      - .offset:         552
        .size:           2
        .value_kind:     hidden_grid_dims
    .group_segment_fixed_size: 1024
    .kernarg_segment_align: 8
    .kernarg_segment_size: 744
    .language:       OpenCL C
    .language_version:
      - 2
      - 0
    .max_flat_workgroup_size: 256
    .name:           _ZN2at6native6mbtopk23computeBlockDigitCountsIlmmLin1EEEvNS_4cuda6detail10TensorInfoIKT_T0_EEjPjjS8_iijT1_PSB_Ps
    .private_segment_fixed_size: 0
    .sgpr_count:     32
    .sgpr_spill_count: 0
    .symbol:         _ZN2at6native6mbtopk23computeBlockDigitCountsIlmmLin1EEEvNS_4cuda6detail10TensorInfoIKT_T0_EEjPjjS8_iijT1_PSB_Ps.kd
    .uniform_work_group_size: 1
    .uses_dynamic_stack: false
    .vgpr_count:     11
    .vgpr_spill_count: 0
    .wavefront_size: 32
  - .args:
      - .offset:         0
        .size:           416
        .value_kind:     by_value
      - .offset:         416
        .size:           8
        .value_kind:     by_value
      - .offset:         424
        .size:           8
        .value_kind:     by_value
      - .offset:         432
        .size:           1
        .value_kind:     by_value
      - .offset:         436
        .size:           4
        .value_kind:     by_value
      - .offset:         440
        .size:           8
        .value_kind:     by_value
      - .offset:         448
        .size:           416
        .value_kind:     by_value
      - .offset:         864
        .size:           8
        .value_kind:     by_value
      - .offset:         872
        .size:           416
        .value_kind:     by_value
      - .offset:         1288
        .size:           8
        .value_kind:     by_value
      - .offset:         1296
        .size:           4
        .value_kind:     by_value
      - .offset:         1300
        .size:           4
        .value_kind:     by_value
      - .address_space:  global
        .offset:         1304
        .size:           8
        .value_kind:     global_buffer
      - .address_space:  global
        .offset:         1312
        .size:           8
        .value_kind:     global_buffer
      - .address_space:  global
        .offset:         1320
        .size:           8
        .value_kind:     global_buffer
      - .offset:         1328
        .size:           4
        .value_kind:     by_value
      - .offset:         1336
        .size:           4
        .value_kind:     hidden_block_count_x
      - .offset:         1340
        .size:           4
        .value_kind:     hidden_block_count_y
      - .offset:         1344
        .size:           4
        .value_kind:     hidden_block_count_z
      - .offset:         1348
        .size:           2
        .value_kind:     hidden_group_size_x
      - .offset:         1350
        .size:           2
        .value_kind:     hidden_group_size_y
      - .offset:         1352
        .size:           2
        .value_kind:     hidden_group_size_z
      - .offset:         1354
        .size:           2
        .value_kind:     hidden_remainder_x
      - .offset:         1356
        .size:           2
        .value_kind:     hidden_remainder_y
      - .offset:         1358
        .size:           2
        .value_kind:     hidden_remainder_z
      - .offset:         1376
        .size:           8
        .value_kind:     hidden_global_offset_x
      - .offset:         1384
        .size:           8
        .value_kind:     hidden_global_offset_y
      - .offset:         1392
        .size:           8
        .value_kind:     hidden_global_offset_z
      - .offset:         1400
        .size:           2
        .value_kind:     hidden_grid_dims
    .group_segment_fixed_size: 1068
    .kernarg_segment_align: 8
    .kernarg_segment_size: 1592
    .language:       OpenCL C
    .language_version:
      - 2
      - 0
    .max_flat_workgroup_size: 256
    .name:           _ZN2at6native6mbtopk10gatherTopKIlmLin1EEEvNS_4cuda6detail10TensorInfoIKT_T0_EES8_S8_bjS8_NS5_IS6_S8_EES8_NS5_IlS8_EES8_jjPS6_PjSD_j
    .private_segment_fixed_size: 0
    .sgpr_count:     52
    .sgpr_spill_count: 0
    .symbol:         _ZN2at6native6mbtopk10gatherTopKIlmLin1EEEvNS_4cuda6detail10TensorInfoIKT_T0_EES8_S8_bjS8_NS5_IS6_S8_EES8_NS5_IlS8_EES8_jjPS6_PjSD_j.kd
    .uniform_work_group_size: 1
    .uses_dynamic_stack: false
    .vgpr_count:     26
    .vgpr_spill_count: 0
    .wavefront_size: 32
  - .args:
      - .offset:         0
        .size:           416
        .value_kind:     by_value
      - .offset:         416
        .size:           8
        .value_kind:     by_value
      - .offset:         424
        .size:           8
        .value_kind:     by_value
      - .offset:         432
        .size:           1
        .value_kind:     by_value
      - .offset:         440
        .size:           8
        .value_kind:     by_value
      - .offset:         448
        .size:           8
        .value_kind:     by_value
      - .offset:         456
        .size:           416
        .value_kind:     by_value
      - .offset:         872
        .size:           8
        .value_kind:     by_value
      - .offset:         880
        .size:           416
        .value_kind:     by_value
      - .offset:         1296
        .size:           8
        .value_kind:     by_value
      - .address_space:  global
        .offset:         1304
        .size:           8
        .value_kind:     global_buffer
      - .offset:         1312
        .size:           4
        .value_kind:     hidden_block_count_x
      - .offset:         1316
        .size:           4
        .value_kind:     hidden_block_count_y
      - .offset:         1320
        .size:           4
        .value_kind:     hidden_block_count_z
      - .offset:         1324
        .size:           2
        .value_kind:     hidden_group_size_x
      - .offset:         1326
        .size:           2
        .value_kind:     hidden_group_size_y
      - .offset:         1328
        .size:           2
        .value_kind:     hidden_group_size_z
      - .offset:         1330
        .size:           2
        .value_kind:     hidden_remainder_x
      - .offset:         1332
        .size:           2
        .value_kind:     hidden_remainder_y
      - .offset:         1334
        .size:           2
        .value_kind:     hidden_remainder_z
      - .offset:         1352
        .size:           8
        .value_kind:     hidden_global_offset_x
      - .offset:         1360
        .size:           8
        .value_kind:     hidden_global_offset_y
      - .offset:         1368
        .size:           8
        .value_kind:     hidden_global_offset_z
      - .offset:         1376
        .size:           2
        .value_kind:     hidden_grid_dims
    .group_segment_fixed_size: 5152
    .kernarg_segment_align: 8
    .kernarg_segment_size: 1568
    .language:       OpenCL C
    .language_version:
      - 2
      - 0
    .max_flat_workgroup_size: 1024
    .name:           _ZN2at6native6sbtopk10gatherTopKIlmLin1ELb0EEEvNS_4cuda6detail10TensorInfoIKT_T0_EES8_S8_bS8_S8_NS5_IS6_S8_EES8_NS5_IlS8_EES8_PS6_
    .private_segment_fixed_size: 0
    .sgpr_count:     107
    .sgpr_spill_count: 18
    .symbol:         _ZN2at6native6sbtopk10gatherTopKIlmLin1ELb0EEEvNS_4cuda6detail10TensorInfoIKT_T0_EES8_S8_bS8_S8_NS5_IS6_S8_EES8_NS5_IlS8_EES8_PS6_.kd
    .uniform_work_group_size: 1
    .uses_dynamic_stack: false
    .vgpr_count:     75
    .vgpr_spill_count: 0
    .wavefront_size: 32
  - .args:
      - .offset:         0
        .size:           416
        .value_kind:     by_value
      - .offset:         416
        .size:           4
        .value_kind:     by_value
      - .address_space:  global
        .offset:         424
        .size:           8
        .value_kind:     global_buffer
      - .offset:         432
        .size:           4
        .value_kind:     by_value
      - .offset:         440
        .size:           8
        .value_kind:     by_value
      - .offset:         448
        .size:           4
        .value_kind:     by_value
      - .offset:         452
        .size:           4
        .value_kind:     by_value
      - .offset:         456
        .size:           4
        .value_kind:     by_value
      - .offset:         460
        .size:           4
        .value_kind:     by_value
      - .address_space:  global
        .offset:         464
        .size:           8
        .value_kind:     global_buffer
      - .address_space:  global
        .offset:         472
        .size:           8
        .value_kind:     global_buffer
      - .offset:         480
        .size:           4
        .value_kind:     hidden_block_count_x
      - .offset:         484
        .size:           4
        .value_kind:     hidden_block_count_y
      - .offset:         488
        .size:           4
        .value_kind:     hidden_block_count_z
      - .offset:         492
        .size:           2
        .value_kind:     hidden_group_size_x
      - .offset:         494
        .size:           2
        .value_kind:     hidden_group_size_y
      - .offset:         496
        .size:           2
        .value_kind:     hidden_group_size_z
      - .offset:         498
        .size:           2
        .value_kind:     hidden_remainder_x
      - .offset:         500
        .size:           2
        .value_kind:     hidden_remainder_y
      - .offset:         502
        .size:           2
        .value_kind:     hidden_remainder_z
      - .offset:         520
        .size:           8
        .value_kind:     hidden_global_offset_x
      - .offset:         528
        .size:           8
        .value_kind:     hidden_global_offset_y
      - .offset:         536
        .size:           8
        .value_kind:     hidden_global_offset_z
      - .offset:         544
        .size:           2
        .value_kind:     hidden_grid_dims
    .group_segment_fixed_size: 1024
    .kernarg_segment_align: 8
    .kernarg_segment_size: 736
    .language:       OpenCL C
    .language_version:
      - 2
      - 0
    .max_flat_workgroup_size: 256
    .name:           _ZN2at6native6mbtopk23computeBlockDigitCountsIsmjLi1EEEvNS_4cuda6detail10TensorInfoIKT_T0_EEjPjjS8_iijT1_PSB_Ps
    .private_segment_fixed_size: 0
    .sgpr_count:     26
    .sgpr_spill_count: 0
    .symbol:         _ZN2at6native6mbtopk23computeBlockDigitCountsIsmjLi1EEEvNS_4cuda6detail10TensorInfoIKT_T0_EEjPjjS8_iijT1_PSB_Ps.kd
    .uniform_work_group_size: 1
    .uses_dynamic_stack: false
    .vgpr_count:     8
    .vgpr_spill_count: 0
    .wavefront_size: 32
  - .args:
      - .offset:         0
        .size:           416
        .value_kind:     by_value
      - .offset:         416
        .size:           8
        .value_kind:     by_value
      - .offset:         424
        .size:           8
        .value_kind:     by_value
      - .offset:         432
        .size:           1
        .value_kind:     by_value
      - .offset:         436
        .size:           4
        .value_kind:     by_value
      - .offset:         440
        .size:           8
        .value_kind:     by_value
      - .offset:         448
        .size:           416
        .value_kind:     by_value
      - .offset:         864
        .size:           8
        .value_kind:     by_value
      - .offset:         872
        .size:           416
        .value_kind:     by_value
      - .offset:         1288
        .size:           8
        .value_kind:     by_value
      - .offset:         1296
        .size:           4
        .value_kind:     by_value
      - .offset:         1300
        .size:           4
        .value_kind:     by_value
      - .address_space:  global
        .offset:         1304
        .size:           8
        .value_kind:     global_buffer
      - .address_space:  global
        .offset:         1312
        .size:           8
        .value_kind:     global_buffer
      - .address_space:  global
        .offset:         1320
        .size:           8
        .value_kind:     global_buffer
      - .offset:         1328
        .size:           4
        .value_kind:     by_value
      - .offset:         1336
        .size:           4
        .value_kind:     hidden_block_count_x
      - .offset:         1340
        .size:           4
        .value_kind:     hidden_block_count_y
      - .offset:         1344
        .size:           4
        .value_kind:     hidden_block_count_z
      - .offset:         1348
        .size:           2
        .value_kind:     hidden_group_size_x
      - .offset:         1350
        .size:           2
        .value_kind:     hidden_group_size_y
      - .offset:         1352
        .size:           2
        .value_kind:     hidden_group_size_z
      - .offset:         1354
        .size:           2
        .value_kind:     hidden_remainder_x
      - .offset:         1356
        .size:           2
        .value_kind:     hidden_remainder_y
      - .offset:         1358
        .size:           2
        .value_kind:     hidden_remainder_z
      - .offset:         1376
        .size:           8
        .value_kind:     hidden_global_offset_x
      - .offset:         1384
        .size:           8
        .value_kind:     hidden_global_offset_y
      - .offset:         1392
        .size:           8
        .value_kind:     hidden_global_offset_z
      - .offset:         1400
        .size:           2
        .value_kind:     hidden_grid_dims
    .group_segment_fixed_size: 1068
    .kernarg_segment_align: 8
    .kernarg_segment_size: 1592
    .language:       OpenCL C
    .language_version:
      - 2
      - 0
    .max_flat_workgroup_size: 256
    .name:           _ZN2at6native6mbtopk10gatherTopKIsmLi1EEEvNS_4cuda6detail10TensorInfoIKT_T0_EES8_S8_bjS8_NS5_IS6_S8_EES8_NS5_IlS8_EES8_jjPS6_PjSD_j
    .private_segment_fixed_size: 0
    .sgpr_count:     36
    .sgpr_spill_count: 0
    .symbol:         _ZN2at6native6mbtopk10gatherTopKIsmLi1EEEvNS_4cuda6detail10TensorInfoIKT_T0_EES8_S8_bjS8_NS5_IS6_S8_EES8_NS5_IlS8_EES8_jjPS6_PjSD_j.kd
    .uniform_work_group_size: 1
    .uses_dynamic_stack: false
    .vgpr_count:     26
    .vgpr_spill_count: 0
    .wavefront_size: 32
  - .args:
      - .offset:         0
        .size:           416
        .value_kind:     by_value
      - .offset:         416
        .size:           8
        .value_kind:     by_value
      - .offset:         424
        .size:           8
        .value_kind:     by_value
      - .offset:         432
        .size:           1
        .value_kind:     by_value
      - .offset:         440
        .size:           8
        .value_kind:     by_value
      - .offset:         448
        .size:           8
        .value_kind:     by_value
      - .offset:         456
        .size:           416
        .value_kind:     by_value
      - .offset:         872
        .size:           8
        .value_kind:     by_value
      - .offset:         880
        .size:           416
        .value_kind:     by_value
      - .offset:         1296
        .size:           8
        .value_kind:     by_value
      - .address_space:  global
        .offset:         1304
        .size:           8
        .value_kind:     global_buffer
      - .offset:         1312
        .size:           4
        .value_kind:     hidden_block_count_x
      - .offset:         1316
        .size:           4
        .value_kind:     hidden_block_count_y
      - .offset:         1320
        .size:           4
        .value_kind:     hidden_block_count_z
      - .offset:         1324
        .size:           2
        .value_kind:     hidden_group_size_x
      - .offset:         1326
        .size:           2
        .value_kind:     hidden_group_size_y
      - .offset:         1328
        .size:           2
        .value_kind:     hidden_group_size_z
      - .offset:         1330
        .size:           2
        .value_kind:     hidden_remainder_x
      - .offset:         1332
        .size:           2
        .value_kind:     hidden_remainder_y
      - .offset:         1334
        .size:           2
        .value_kind:     hidden_remainder_z
      - .offset:         1352
        .size:           8
        .value_kind:     hidden_global_offset_x
      - .offset:         1360
        .size:           8
        .value_kind:     hidden_global_offset_y
      - .offset:         1368
        .size:           8
        .value_kind:     hidden_global_offset_z
      - .offset:         1376
        .size:           2
        .value_kind:     hidden_grid_dims
    .group_segment_fixed_size: 5152
    .kernarg_segment_align: 8
    .kernarg_segment_size: 1568
    .language:       OpenCL C
    .language_version:
      - 2
      - 0
    .max_flat_workgroup_size: 1024
    .name:           _ZN2at6native6sbtopk10gatherTopKIsmLi1ELb0EEEvNS_4cuda6detail10TensorInfoIKT_T0_EES8_S8_bS8_S8_NS5_IS6_S8_EES8_NS5_IlS8_EES8_PS6_
    .private_segment_fixed_size: 0
    .sgpr_count:     107
    .sgpr_spill_count: 12
    .symbol:         _ZN2at6native6sbtopk10gatherTopKIsmLi1ELb0EEEvNS_4cuda6detail10TensorInfoIKT_T0_EES8_S8_bS8_S8_NS5_IS6_S8_EES8_NS5_IlS8_EES8_PS6_.kd
    .uniform_work_group_size: 1
    .uses_dynamic_stack: false
    .vgpr_count:     55
    .vgpr_spill_count: 0
    .wavefront_size: 32
  - .args:
      - .offset:         0
        .size:           416
        .value_kind:     by_value
      - .offset:         416
        .size:           4
        .value_kind:     by_value
      - .address_space:  global
        .offset:         424
        .size:           8
        .value_kind:     global_buffer
      - .offset:         432
        .size:           4
        .value_kind:     by_value
      - .offset:         440
        .size:           8
        .value_kind:     by_value
      - .offset:         448
        .size:           4
        .value_kind:     by_value
      - .offset:         452
        .size:           4
        .value_kind:     by_value
      - .offset:         456
        .size:           4
        .value_kind:     by_value
      - .offset:         460
        .size:           4
        .value_kind:     by_value
      - .address_space:  global
        .offset:         464
        .size:           8
        .value_kind:     global_buffer
      - .address_space:  global
        .offset:         472
        .size:           8
        .value_kind:     global_buffer
      - .offset:         480
        .size:           4
        .value_kind:     hidden_block_count_x
      - .offset:         484
        .size:           4
        .value_kind:     hidden_block_count_y
      - .offset:         488
        .size:           4
        .value_kind:     hidden_block_count_z
      - .offset:         492
        .size:           2
        .value_kind:     hidden_group_size_x
      - .offset:         494
        .size:           2
        .value_kind:     hidden_group_size_y
      - .offset:         496
        .size:           2
        .value_kind:     hidden_group_size_z
      - .offset:         498
        .size:           2
        .value_kind:     hidden_remainder_x
      - .offset:         500
        .size:           2
        .value_kind:     hidden_remainder_y
      - .offset:         502
        .size:           2
        .value_kind:     hidden_remainder_z
      - .offset:         520
        .size:           8
        .value_kind:     hidden_global_offset_x
      - .offset:         528
        .size:           8
        .value_kind:     hidden_global_offset_y
      - .offset:         536
        .size:           8
        .value_kind:     hidden_global_offset_z
      - .offset:         544
        .size:           2
        .value_kind:     hidden_grid_dims
    .group_segment_fixed_size: 1024
    .kernarg_segment_align: 8
    .kernarg_segment_size: 736
    .language:       OpenCL C
    .language_version:
      - 2
      - 0
    .max_flat_workgroup_size: 256
    .name:           _ZN2at6native6mbtopk23computeBlockDigitCountsIsmjLi2EEEvNS_4cuda6detail10TensorInfoIKT_T0_EEjPjjS8_iijT1_PSB_Ps
    .private_segment_fixed_size: 0
    .sgpr_count:     32
    .sgpr_spill_count: 0
    .symbol:         _ZN2at6native6mbtopk23computeBlockDigitCountsIsmjLi2EEEvNS_4cuda6detail10TensorInfoIKT_T0_EEjPjjS8_iijT1_PSB_Ps.kd
    .uniform_work_group_size: 1
    .uses_dynamic_stack: false
    .vgpr_count:     8
    .vgpr_spill_count: 0
    .wavefront_size: 32
  - .args:
      - .offset:         0
        .size:           416
        .value_kind:     by_value
      - .offset:         416
        .size:           8
        .value_kind:     by_value
      - .offset:         424
        .size:           8
        .value_kind:     by_value
      - .offset:         432
        .size:           1
        .value_kind:     by_value
      - .offset:         436
        .size:           4
        .value_kind:     by_value
      - .offset:         440
        .size:           8
        .value_kind:     by_value
      - .offset:         448
        .size:           416
        .value_kind:     by_value
      - .offset:         864
        .size:           8
        .value_kind:     by_value
      - .offset:         872
        .size:           416
        .value_kind:     by_value
      - .offset:         1288
        .size:           8
        .value_kind:     by_value
      - .offset:         1296
        .size:           4
        .value_kind:     by_value
      - .offset:         1300
        .size:           4
        .value_kind:     by_value
      - .address_space:  global
        .offset:         1304
        .size:           8
        .value_kind:     global_buffer
      - .address_space:  global
        .offset:         1312
        .size:           8
        .value_kind:     global_buffer
      - .address_space:  global
        .offset:         1320
        .size:           8
        .value_kind:     global_buffer
      - .offset:         1328
        .size:           4
        .value_kind:     by_value
      - .offset:         1336
        .size:           4
        .value_kind:     hidden_block_count_x
      - .offset:         1340
        .size:           4
        .value_kind:     hidden_block_count_y
      - .offset:         1344
        .size:           4
        .value_kind:     hidden_block_count_z
      - .offset:         1348
        .size:           2
        .value_kind:     hidden_group_size_x
      - .offset:         1350
        .size:           2
        .value_kind:     hidden_group_size_y
      - .offset:         1352
        .size:           2
        .value_kind:     hidden_group_size_z
      - .offset:         1354
        .size:           2
        .value_kind:     hidden_remainder_x
      - .offset:         1356
        .size:           2
        .value_kind:     hidden_remainder_y
      - .offset:         1358
        .size:           2
        .value_kind:     hidden_remainder_z
      - .offset:         1376
        .size:           8
        .value_kind:     hidden_global_offset_x
      - .offset:         1384
        .size:           8
        .value_kind:     hidden_global_offset_y
      - .offset:         1392
        .size:           8
        .value_kind:     hidden_global_offset_z
      - .offset:         1400
        .size:           2
        .value_kind:     hidden_grid_dims
    .group_segment_fixed_size: 1068
    .kernarg_segment_align: 8
    .kernarg_segment_size: 1592
    .language:       OpenCL C
    .language_version:
      - 2
      - 0
    .max_flat_workgroup_size: 256
    .name:           _ZN2at6native6mbtopk10gatherTopKIsmLi2EEEvNS_4cuda6detail10TensorInfoIKT_T0_EES8_S8_bjS8_NS5_IS6_S8_EES8_NS5_IlS8_EES8_jjPS6_PjSD_j
    .private_segment_fixed_size: 0
    .sgpr_count:     51
    .sgpr_spill_count: 0
    .symbol:         _ZN2at6native6mbtopk10gatherTopKIsmLi2EEEvNS_4cuda6detail10TensorInfoIKT_T0_EES8_S8_bjS8_NS5_IS6_S8_EES8_NS5_IlS8_EES8_jjPS6_PjSD_j.kd
    .uniform_work_group_size: 1
    .uses_dynamic_stack: false
    .vgpr_count:     26
    .vgpr_spill_count: 0
    .wavefront_size: 32
  - .args:
      - .offset:         0
        .size:           416
        .value_kind:     by_value
      - .offset:         416
        .size:           8
        .value_kind:     by_value
      - .offset:         424
        .size:           8
        .value_kind:     by_value
      - .offset:         432
        .size:           1
        .value_kind:     by_value
      - .offset:         440
        .size:           8
        .value_kind:     by_value
      - .offset:         448
        .size:           8
        .value_kind:     by_value
      - .offset:         456
        .size:           416
        .value_kind:     by_value
      - .offset:         872
        .size:           8
        .value_kind:     by_value
      - .offset:         880
        .size:           416
        .value_kind:     by_value
      - .offset:         1296
        .size:           8
        .value_kind:     by_value
      - .address_space:  global
        .offset:         1304
        .size:           8
        .value_kind:     global_buffer
      - .offset:         1312
        .size:           4
        .value_kind:     hidden_block_count_x
      - .offset:         1316
        .size:           4
        .value_kind:     hidden_block_count_y
      - .offset:         1320
        .size:           4
        .value_kind:     hidden_block_count_z
      - .offset:         1324
        .size:           2
        .value_kind:     hidden_group_size_x
      - .offset:         1326
        .size:           2
        .value_kind:     hidden_group_size_y
      - .offset:         1328
        .size:           2
        .value_kind:     hidden_group_size_z
      - .offset:         1330
        .size:           2
        .value_kind:     hidden_remainder_x
      - .offset:         1332
        .size:           2
        .value_kind:     hidden_remainder_y
      - .offset:         1334
        .size:           2
        .value_kind:     hidden_remainder_z
      - .offset:         1352
        .size:           8
        .value_kind:     hidden_global_offset_x
      - .offset:         1360
        .size:           8
        .value_kind:     hidden_global_offset_y
      - .offset:         1368
        .size:           8
        .value_kind:     hidden_global_offset_z
      - .offset:         1376
        .size:           2
        .value_kind:     hidden_grid_dims
    .group_segment_fixed_size: 5152
    .kernarg_segment_align: 8
    .kernarg_segment_size: 1568
    .language:       OpenCL C
    .language_version:
      - 2
      - 0
    .max_flat_workgroup_size: 1024
    .name:           _ZN2at6native6sbtopk10gatherTopKIsmLi2ELb0EEEvNS_4cuda6detail10TensorInfoIKT_T0_EES8_S8_bS8_S8_NS5_IS6_S8_EES8_NS5_IlS8_EES8_PS6_
    .private_segment_fixed_size: 0
    .sgpr_count:     107
    .sgpr_spill_count: 15
    .symbol:         _ZN2at6native6sbtopk10gatherTopKIsmLi2ELb0EEEvNS_4cuda6detail10TensorInfoIKT_T0_EES8_S8_bS8_S8_NS5_IS6_S8_EES8_NS5_IlS8_EES8_PS6_.kd
    .uniform_work_group_size: 1
    .uses_dynamic_stack: false
    .vgpr_count:     47
    .vgpr_spill_count: 0
    .wavefront_size: 32
  - .args:
      - .offset:         0
        .size:           416
        .value_kind:     by_value
      - .offset:         416
        .size:           4
        .value_kind:     by_value
      - .address_space:  global
        .offset:         424
        .size:           8
        .value_kind:     global_buffer
      - .offset:         432
        .size:           4
        .value_kind:     by_value
      - .offset:         440
        .size:           8
        .value_kind:     by_value
      - .offset:         448
        .size:           4
        .value_kind:     by_value
      - .offset:         452
        .size:           4
        .value_kind:     by_value
      - .offset:         456
        .size:           4
        .value_kind:     by_value
      - .offset:         460
        .size:           4
        .value_kind:     by_value
      - .address_space:  global
        .offset:         464
        .size:           8
        .value_kind:     global_buffer
      - .address_space:  global
        .offset:         472
        .size:           8
        .value_kind:     global_buffer
      - .offset:         480
        .size:           4
        .value_kind:     hidden_block_count_x
      - .offset:         484
        .size:           4
        .value_kind:     hidden_block_count_y
      - .offset:         488
        .size:           4
        .value_kind:     hidden_block_count_z
      - .offset:         492
        .size:           2
        .value_kind:     hidden_group_size_x
      - .offset:         494
        .size:           2
        .value_kind:     hidden_group_size_y
      - .offset:         496
        .size:           2
        .value_kind:     hidden_group_size_z
      - .offset:         498
        .size:           2
        .value_kind:     hidden_remainder_x
      - .offset:         500
        .size:           2
        .value_kind:     hidden_remainder_y
      - .offset:         502
        .size:           2
        .value_kind:     hidden_remainder_z
      - .offset:         520
        .size:           8
        .value_kind:     hidden_global_offset_x
      - .offset:         528
        .size:           8
        .value_kind:     hidden_global_offset_y
      - .offset:         536
        .size:           8
        .value_kind:     hidden_global_offset_z
      - .offset:         544
        .size:           2
        .value_kind:     hidden_grid_dims
    .group_segment_fixed_size: 1024
    .kernarg_segment_align: 8
    .kernarg_segment_size: 736
    .language:       OpenCL C
    .language_version:
      - 2
      - 0
    .max_flat_workgroup_size: 256
    .name:           _ZN2at6native6mbtopk23computeBlockDigitCountsIsmjLi3EEEvNS_4cuda6detail10TensorInfoIKT_T0_EEjPjjS8_iijT1_PSB_Ps
    .private_segment_fixed_size: 0
    .sgpr_count:     40
    .sgpr_spill_count: 0
    .symbol:         _ZN2at6native6mbtopk23computeBlockDigitCountsIsmjLi3EEEvNS_4cuda6detail10TensorInfoIKT_T0_EEjPjjS8_iijT1_PSB_Ps.kd
    .uniform_work_group_size: 1
    .uses_dynamic_stack: false
    .vgpr_count:     8
    .vgpr_spill_count: 0
    .wavefront_size: 32
  - .args:
      - .offset:         0
        .size:           416
        .value_kind:     by_value
      - .offset:         416
        .size:           8
        .value_kind:     by_value
      - .offset:         424
        .size:           8
        .value_kind:     by_value
      - .offset:         432
        .size:           1
        .value_kind:     by_value
      - .offset:         436
        .size:           4
        .value_kind:     by_value
      - .offset:         440
        .size:           8
        .value_kind:     by_value
      - .offset:         448
        .size:           416
        .value_kind:     by_value
      - .offset:         864
        .size:           8
        .value_kind:     by_value
      - .offset:         872
        .size:           416
        .value_kind:     by_value
      - .offset:         1288
        .size:           8
        .value_kind:     by_value
      - .offset:         1296
        .size:           4
        .value_kind:     by_value
      - .offset:         1300
        .size:           4
        .value_kind:     by_value
      - .address_space:  global
        .offset:         1304
        .size:           8
        .value_kind:     global_buffer
      - .address_space:  global
        .offset:         1312
        .size:           8
        .value_kind:     global_buffer
      - .address_space:  global
        .offset:         1320
        .size:           8
        .value_kind:     global_buffer
      - .offset:         1328
        .size:           4
        .value_kind:     by_value
      - .offset:         1336
        .size:           4
        .value_kind:     hidden_block_count_x
      - .offset:         1340
        .size:           4
        .value_kind:     hidden_block_count_y
      - .offset:         1344
        .size:           4
        .value_kind:     hidden_block_count_z
      - .offset:         1348
        .size:           2
        .value_kind:     hidden_group_size_x
      - .offset:         1350
        .size:           2
        .value_kind:     hidden_group_size_y
      - .offset:         1352
        .size:           2
        .value_kind:     hidden_group_size_z
      - .offset:         1354
        .size:           2
        .value_kind:     hidden_remainder_x
      - .offset:         1356
        .size:           2
        .value_kind:     hidden_remainder_y
      - .offset:         1358
        .size:           2
        .value_kind:     hidden_remainder_z
      - .offset:         1376
        .size:           8
        .value_kind:     hidden_global_offset_x
      - .offset:         1384
        .size:           8
        .value_kind:     hidden_global_offset_y
      - .offset:         1392
        .size:           8
        .value_kind:     hidden_global_offset_z
      - .offset:         1400
        .size:           2
        .value_kind:     hidden_grid_dims
    .group_segment_fixed_size: 1068
    .kernarg_segment_align: 8
    .kernarg_segment_size: 1592
    .language:       OpenCL C
    .language_version:
      - 2
      - 0
    .max_flat_workgroup_size: 256
    .name:           _ZN2at6native6mbtopk10gatherTopKIsmLi3EEEvNS_4cuda6detail10TensorInfoIKT_T0_EES8_S8_bjS8_NS5_IS6_S8_EES8_NS5_IlS8_EES8_jjPS6_PjSD_j
    .private_segment_fixed_size: 0
    .sgpr_count:     78
    .sgpr_spill_count: 0
    .symbol:         _ZN2at6native6mbtopk10gatherTopKIsmLi3EEEvNS_4cuda6detail10TensorInfoIKT_T0_EES8_S8_bjS8_NS5_IS6_S8_EES8_NS5_IlS8_EES8_jjPS6_PjSD_j.kd
    .uniform_work_group_size: 1
    .uses_dynamic_stack: false
    .vgpr_count:     26
    .vgpr_spill_count: 0
    .wavefront_size: 32
  - .args:
      - .offset:         0
        .size:           416
        .value_kind:     by_value
      - .offset:         416
        .size:           8
        .value_kind:     by_value
      - .offset:         424
        .size:           8
        .value_kind:     by_value
      - .offset:         432
        .size:           1
        .value_kind:     by_value
      - .offset:         440
        .size:           8
        .value_kind:     by_value
      - .offset:         448
        .size:           8
        .value_kind:     by_value
      - .offset:         456
        .size:           416
        .value_kind:     by_value
      - .offset:         872
        .size:           8
        .value_kind:     by_value
      - .offset:         880
        .size:           416
        .value_kind:     by_value
      - .offset:         1296
        .size:           8
        .value_kind:     by_value
      - .address_space:  global
        .offset:         1304
        .size:           8
        .value_kind:     global_buffer
      - .offset:         1312
        .size:           4
        .value_kind:     hidden_block_count_x
      - .offset:         1316
        .size:           4
        .value_kind:     hidden_block_count_y
      - .offset:         1320
        .size:           4
        .value_kind:     hidden_block_count_z
      - .offset:         1324
        .size:           2
        .value_kind:     hidden_group_size_x
      - .offset:         1326
        .size:           2
        .value_kind:     hidden_group_size_y
      - .offset:         1328
        .size:           2
        .value_kind:     hidden_group_size_z
      - .offset:         1330
        .size:           2
        .value_kind:     hidden_remainder_x
      - .offset:         1332
        .size:           2
        .value_kind:     hidden_remainder_y
      - .offset:         1334
        .size:           2
        .value_kind:     hidden_remainder_z
      - .offset:         1352
        .size:           8
        .value_kind:     hidden_global_offset_x
      - .offset:         1360
        .size:           8
        .value_kind:     hidden_global_offset_y
      - .offset:         1368
        .size:           8
        .value_kind:     hidden_global_offset_z
      - .offset:         1376
        .size:           2
        .value_kind:     hidden_grid_dims
    .group_segment_fixed_size: 5152
    .kernarg_segment_align: 8
    .kernarg_segment_size: 1568
    .language:       OpenCL C
    .language_version:
      - 2
      - 0
    .max_flat_workgroup_size: 1024
    .name:           _ZN2at6native6sbtopk10gatherTopKIsmLi3ELb0EEEvNS_4cuda6detail10TensorInfoIKT_T0_EES8_S8_bS8_S8_NS5_IS6_S8_EES8_NS5_IlS8_EES8_PS6_
    .private_segment_fixed_size: 0
    .sgpr_count:     107
    .sgpr_spill_count: 15
    .symbol:         _ZN2at6native6sbtopk10gatherTopKIsmLi3ELb0EEEvNS_4cuda6detail10TensorInfoIKT_T0_EES8_S8_bS8_S8_NS5_IS6_S8_EES8_NS5_IlS8_EES8_PS6_.kd
    .uniform_work_group_size: 1
    .uses_dynamic_stack: false
    .vgpr_count:     47
    .vgpr_spill_count: 0
    .wavefront_size: 32
  - .args:
      - .offset:         0
        .size:           416
        .value_kind:     by_value
      - .offset:         416
        .size:           4
        .value_kind:     by_value
      - .address_space:  global
        .offset:         424
        .size:           8
        .value_kind:     global_buffer
      - .offset:         432
        .size:           4
        .value_kind:     by_value
      - .offset:         440
        .size:           8
        .value_kind:     by_value
      - .offset:         448
        .size:           4
        .value_kind:     by_value
      - .offset:         452
        .size:           4
        .value_kind:     by_value
      - .offset:         456
        .size:           4
        .value_kind:     by_value
      - .offset:         460
        .size:           4
        .value_kind:     by_value
      - .address_space:  global
        .offset:         464
        .size:           8
        .value_kind:     global_buffer
      - .address_space:  global
        .offset:         472
        .size:           8
        .value_kind:     global_buffer
      - .offset:         480
        .size:           4
        .value_kind:     hidden_block_count_x
      - .offset:         484
        .size:           4
        .value_kind:     hidden_block_count_y
      - .offset:         488
        .size:           4
        .value_kind:     hidden_block_count_z
      - .offset:         492
        .size:           2
        .value_kind:     hidden_group_size_x
      - .offset:         494
        .size:           2
        .value_kind:     hidden_group_size_y
      - .offset:         496
        .size:           2
        .value_kind:     hidden_group_size_z
      - .offset:         498
        .size:           2
        .value_kind:     hidden_remainder_x
      - .offset:         500
        .size:           2
        .value_kind:     hidden_remainder_y
      - .offset:         502
        .size:           2
        .value_kind:     hidden_remainder_z
      - .offset:         520
        .size:           8
        .value_kind:     hidden_global_offset_x
      - .offset:         528
        .size:           8
        .value_kind:     hidden_global_offset_y
      - .offset:         536
        .size:           8
        .value_kind:     hidden_global_offset_z
      - .offset:         544
        .size:           2
        .value_kind:     hidden_grid_dims
    .group_segment_fixed_size: 1024
    .kernarg_segment_align: 8
    .kernarg_segment_size: 736
    .language:       OpenCL C
    .language_version:
      - 2
      - 0
    .max_flat_workgroup_size: 256
    .name:           _ZN2at6native6mbtopk23computeBlockDigitCountsIsmjLin1EEEvNS_4cuda6detail10TensorInfoIKT_T0_EEjPjjS8_iijT1_PSB_Ps
    .private_segment_fixed_size: 0
    .sgpr_count:     30
    .sgpr_spill_count: 0
    .symbol:         _ZN2at6native6mbtopk23computeBlockDigitCountsIsmjLin1EEEvNS_4cuda6detail10TensorInfoIKT_T0_EEjPjjS8_iijT1_PSB_Ps.kd
    .uniform_work_group_size: 1
    .uses_dynamic_stack: false
    .vgpr_count:     8
    .vgpr_spill_count: 0
    .wavefront_size: 32
  - .args:
      - .offset:         0
        .size:           416
        .value_kind:     by_value
      - .offset:         416
        .size:           8
        .value_kind:     by_value
      - .offset:         424
        .size:           8
        .value_kind:     by_value
      - .offset:         432
        .size:           1
        .value_kind:     by_value
      - .offset:         436
        .size:           4
        .value_kind:     by_value
      - .offset:         440
        .size:           8
        .value_kind:     by_value
      - .offset:         448
        .size:           416
        .value_kind:     by_value
      - .offset:         864
        .size:           8
        .value_kind:     by_value
      - .offset:         872
        .size:           416
        .value_kind:     by_value
      - .offset:         1288
        .size:           8
        .value_kind:     by_value
      - .offset:         1296
        .size:           4
        .value_kind:     by_value
      - .offset:         1300
        .size:           4
        .value_kind:     by_value
      - .address_space:  global
        .offset:         1304
        .size:           8
        .value_kind:     global_buffer
      - .address_space:  global
        .offset:         1312
        .size:           8
        .value_kind:     global_buffer
      - .address_space:  global
        .offset:         1320
        .size:           8
        .value_kind:     global_buffer
      - .offset:         1328
        .size:           4
        .value_kind:     by_value
      - .offset:         1336
        .size:           4
        .value_kind:     hidden_block_count_x
      - .offset:         1340
        .size:           4
        .value_kind:     hidden_block_count_y
      - .offset:         1344
        .size:           4
        .value_kind:     hidden_block_count_z
      - .offset:         1348
        .size:           2
        .value_kind:     hidden_group_size_x
      - .offset:         1350
        .size:           2
        .value_kind:     hidden_group_size_y
      - .offset:         1352
        .size:           2
        .value_kind:     hidden_group_size_z
      - .offset:         1354
        .size:           2
        .value_kind:     hidden_remainder_x
      - .offset:         1356
        .size:           2
        .value_kind:     hidden_remainder_y
      - .offset:         1358
        .size:           2
        .value_kind:     hidden_remainder_z
      - .offset:         1376
        .size:           8
        .value_kind:     hidden_global_offset_x
      - .offset:         1384
        .size:           8
        .value_kind:     hidden_global_offset_y
      - .offset:         1392
        .size:           8
        .value_kind:     hidden_global_offset_z
      - .offset:         1400
        .size:           2
        .value_kind:     hidden_grid_dims
    .group_segment_fixed_size: 1068
    .kernarg_segment_align: 8
    .kernarg_segment_size: 1592
    .language:       OpenCL C
    .language_version:
      - 2
      - 0
    .max_flat_workgroup_size: 256
    .name:           _ZN2at6native6mbtopk10gatherTopKIsmLin1EEEvNS_4cuda6detail10TensorInfoIKT_T0_EES8_S8_bjS8_NS5_IS6_S8_EES8_NS5_IlS8_EES8_jjPS6_PjSD_j
    .private_segment_fixed_size: 0
    .sgpr_count:     50
    .sgpr_spill_count: 0
    .symbol:         _ZN2at6native6mbtopk10gatherTopKIsmLin1EEEvNS_4cuda6detail10TensorInfoIKT_T0_EES8_S8_bjS8_NS5_IS6_S8_EES8_NS5_IlS8_EES8_jjPS6_PjSD_j.kd
    .uniform_work_group_size: 1
    .uses_dynamic_stack: false
    .vgpr_count:     26
    .vgpr_spill_count: 0
    .wavefront_size: 32
  - .args:
      - .offset:         0
        .size:           416
        .value_kind:     by_value
      - .offset:         416
        .size:           8
        .value_kind:     by_value
      - .offset:         424
        .size:           8
        .value_kind:     by_value
      - .offset:         432
        .size:           1
        .value_kind:     by_value
      - .offset:         440
        .size:           8
        .value_kind:     by_value
      - .offset:         448
        .size:           8
        .value_kind:     by_value
      - .offset:         456
        .size:           416
        .value_kind:     by_value
      - .offset:         872
        .size:           8
        .value_kind:     by_value
      - .offset:         880
        .size:           416
        .value_kind:     by_value
      - .offset:         1296
        .size:           8
        .value_kind:     by_value
      - .address_space:  global
        .offset:         1304
        .size:           8
        .value_kind:     global_buffer
      - .offset:         1312
        .size:           4
        .value_kind:     hidden_block_count_x
      - .offset:         1316
        .size:           4
        .value_kind:     hidden_block_count_y
      - .offset:         1320
        .size:           4
        .value_kind:     hidden_block_count_z
      - .offset:         1324
        .size:           2
        .value_kind:     hidden_group_size_x
      - .offset:         1326
        .size:           2
        .value_kind:     hidden_group_size_y
      - .offset:         1328
        .size:           2
        .value_kind:     hidden_group_size_z
      - .offset:         1330
        .size:           2
        .value_kind:     hidden_remainder_x
      - .offset:         1332
        .size:           2
        .value_kind:     hidden_remainder_y
      - .offset:         1334
        .size:           2
        .value_kind:     hidden_remainder_z
      - .offset:         1352
        .size:           8
        .value_kind:     hidden_global_offset_x
      - .offset:         1360
        .size:           8
        .value_kind:     hidden_global_offset_y
      - .offset:         1368
        .size:           8
        .value_kind:     hidden_global_offset_z
      - .offset:         1376
        .size:           2
        .value_kind:     hidden_grid_dims
    .group_segment_fixed_size: 5152
    .kernarg_segment_align: 8
    .kernarg_segment_size: 1568
    .language:       OpenCL C
    .language_version:
      - 2
      - 0
    .max_flat_workgroup_size: 1024
    .name:           _ZN2at6native6sbtopk10gatherTopKIsmLin1ELb0EEEvNS_4cuda6detail10TensorInfoIKT_T0_EES8_S8_bS8_S8_NS5_IS6_S8_EES8_NS5_IlS8_EES8_PS6_
    .private_segment_fixed_size: 0
    .sgpr_count:     107
    .sgpr_spill_count: 24
    .symbol:         _ZN2at6native6sbtopk10gatherTopKIsmLin1ELb0EEEvNS_4cuda6detail10TensorInfoIKT_T0_EES8_S8_bS8_S8_NS5_IS6_S8_EES8_NS5_IlS8_EES8_PS6_.kd
    .uniform_work_group_size: 1
    .uses_dynamic_stack: false
    .vgpr_count:     63
    .vgpr_spill_count: 0
    .wavefront_size: 32
  - .args:
      - .offset:         0
        .size:           416
        .value_kind:     by_value
      - .offset:         416
        .size:           4
        .value_kind:     by_value
      - .address_space:  global
        .offset:         424
        .size:           8
        .value_kind:     global_buffer
      - .offset:         432
        .size:           4
        .value_kind:     by_value
      - .offset:         440
        .size:           8
        .value_kind:     by_value
      - .offset:         448
        .size:           4
        .value_kind:     by_value
      - .offset:         452
        .size:           4
        .value_kind:     by_value
      - .offset:         456
        .size:           4
        .value_kind:     by_value
      - .offset:         464
        .size:           8
        .value_kind:     by_value
      - .address_space:  global
        .offset:         472
        .size:           8
        .value_kind:     global_buffer
      - .address_space:  global
        .offset:         480
        .size:           8
        .value_kind:     global_buffer
      - .offset:         488
        .size:           4
        .value_kind:     hidden_block_count_x
      - .offset:         492
        .size:           4
        .value_kind:     hidden_block_count_y
      - .offset:         496
        .size:           4
        .value_kind:     hidden_block_count_z
      - .offset:         500
        .size:           2
        .value_kind:     hidden_group_size_x
      - .offset:         502
        .size:           2
        .value_kind:     hidden_group_size_y
      - .offset:         504
        .size:           2
        .value_kind:     hidden_group_size_z
      - .offset:         506
        .size:           2
        .value_kind:     hidden_remainder_x
      - .offset:         508
        .size:           2
        .value_kind:     hidden_remainder_y
      - .offset:         510
        .size:           2
        .value_kind:     hidden_remainder_z
      - .offset:         528
        .size:           8
        .value_kind:     hidden_global_offset_x
      - .offset:         536
        .size:           8
        .value_kind:     hidden_global_offset_y
      - .offset:         544
        .size:           8
        .value_kind:     hidden_global_offset_z
      - .offset:         552
        .size:           2
        .value_kind:     hidden_grid_dims
    .group_segment_fixed_size: 1024
    .kernarg_segment_align: 8
    .kernarg_segment_size: 744
    .language:       OpenCL C
    .language_version:
      - 2
      - 0
    .max_flat_workgroup_size: 256
    .name:           _ZN2at6native6mbtopk23computeBlockDigitCountsIdmmLi1EEEvNS_4cuda6detail10TensorInfoIKT_T0_EEjPjjS8_iijT1_PSB_Ps
    .private_segment_fixed_size: 0
    .sgpr_count:     28
    .sgpr_spill_count: 0
    .symbol:         _ZN2at6native6mbtopk23computeBlockDigitCountsIdmmLi1EEEvNS_4cuda6detail10TensorInfoIKT_T0_EEjPjjS8_iijT1_PSB_Ps.kd
    .uniform_work_group_size: 1
    .uses_dynamic_stack: false
    .vgpr_count:     11
    .vgpr_spill_count: 0
    .wavefront_size: 32
  - .args:
      - .offset:         0
        .size:           416
        .value_kind:     by_value
      - .offset:         416
        .size:           8
        .value_kind:     by_value
      - .offset:         424
        .size:           8
        .value_kind:     by_value
      - .offset:         432
        .size:           1
        .value_kind:     by_value
      - .offset:         436
        .size:           4
        .value_kind:     by_value
      - .offset:         440
        .size:           8
        .value_kind:     by_value
      - .offset:         448
        .size:           416
        .value_kind:     by_value
      - .offset:         864
        .size:           8
        .value_kind:     by_value
      - .offset:         872
        .size:           416
        .value_kind:     by_value
      - .offset:         1288
        .size:           8
        .value_kind:     by_value
      - .offset:         1296
        .size:           4
        .value_kind:     by_value
      - .offset:         1300
        .size:           4
        .value_kind:     by_value
      - .address_space:  global
        .offset:         1304
        .size:           8
        .value_kind:     global_buffer
      - .address_space:  global
        .offset:         1312
        .size:           8
        .value_kind:     global_buffer
      - .address_space:  global
        .offset:         1320
        .size:           8
        .value_kind:     global_buffer
      - .offset:         1328
        .size:           4
        .value_kind:     by_value
      - .offset:         1336
        .size:           4
        .value_kind:     hidden_block_count_x
      - .offset:         1340
        .size:           4
        .value_kind:     hidden_block_count_y
      - .offset:         1344
        .size:           4
        .value_kind:     hidden_block_count_z
      - .offset:         1348
        .size:           2
        .value_kind:     hidden_group_size_x
      - .offset:         1350
        .size:           2
        .value_kind:     hidden_group_size_y
      - .offset:         1352
        .size:           2
        .value_kind:     hidden_group_size_z
      - .offset:         1354
        .size:           2
        .value_kind:     hidden_remainder_x
      - .offset:         1356
        .size:           2
        .value_kind:     hidden_remainder_y
      - .offset:         1358
        .size:           2
        .value_kind:     hidden_remainder_z
      - .offset:         1376
        .size:           8
        .value_kind:     hidden_global_offset_x
      - .offset:         1384
        .size:           8
        .value_kind:     hidden_global_offset_y
      - .offset:         1392
        .size:           8
        .value_kind:     hidden_global_offset_z
      - .offset:         1400
        .size:           2
        .value_kind:     hidden_grid_dims
    .group_segment_fixed_size: 1068
    .kernarg_segment_align: 8
    .kernarg_segment_size: 1592
    .language:       OpenCL C
    .language_version:
      - 2
      - 0
    .max_flat_workgroup_size: 256
    .name:           _ZN2at6native6mbtopk10gatherTopKIdmLi1EEEvNS_4cuda6detail10TensorInfoIKT_T0_EES8_S8_bjS8_NS5_IS6_S8_EES8_NS5_IlS8_EES8_jjPS6_PjSD_j
    .private_segment_fixed_size: 0
    .sgpr_count:     38
    .sgpr_spill_count: 0
    .symbol:         _ZN2at6native6mbtopk10gatherTopKIdmLi1EEEvNS_4cuda6detail10TensorInfoIKT_T0_EES8_S8_bjS8_NS5_IS6_S8_EES8_NS5_IlS8_EES8_jjPS6_PjSD_j.kd
    .uniform_work_group_size: 1
    .uses_dynamic_stack: false
    .vgpr_count:     26
    .vgpr_spill_count: 0
    .wavefront_size: 32
  - .args:
      - .offset:         0
        .size:           416
        .value_kind:     by_value
      - .offset:         416
        .size:           8
        .value_kind:     by_value
      - .offset:         424
        .size:           8
        .value_kind:     by_value
      - .offset:         432
        .size:           1
        .value_kind:     by_value
      - .offset:         440
        .size:           8
        .value_kind:     by_value
      - .offset:         448
        .size:           8
        .value_kind:     by_value
      - .offset:         456
        .size:           416
        .value_kind:     by_value
      - .offset:         872
        .size:           8
        .value_kind:     by_value
      - .offset:         880
        .size:           416
        .value_kind:     by_value
      - .offset:         1296
        .size:           8
        .value_kind:     by_value
      - .address_space:  global
        .offset:         1304
        .size:           8
        .value_kind:     global_buffer
      - .offset:         1312
        .size:           4
        .value_kind:     hidden_block_count_x
      - .offset:         1316
        .size:           4
        .value_kind:     hidden_block_count_y
      - .offset:         1320
        .size:           4
        .value_kind:     hidden_block_count_z
      - .offset:         1324
        .size:           2
        .value_kind:     hidden_group_size_x
      - .offset:         1326
        .size:           2
        .value_kind:     hidden_group_size_y
      - .offset:         1328
        .size:           2
        .value_kind:     hidden_group_size_z
      - .offset:         1330
        .size:           2
        .value_kind:     hidden_remainder_x
      - .offset:         1332
        .size:           2
        .value_kind:     hidden_remainder_y
      - .offset:         1334
        .size:           2
        .value_kind:     hidden_remainder_z
      - .offset:         1352
        .size:           8
        .value_kind:     hidden_global_offset_x
      - .offset:         1360
        .size:           8
        .value_kind:     hidden_global_offset_y
      - .offset:         1368
        .size:           8
        .value_kind:     hidden_global_offset_z
      - .offset:         1376
        .size:           2
        .value_kind:     hidden_grid_dims
    .group_segment_fixed_size: 5152
    .kernarg_segment_align: 8
    .kernarg_segment_size: 1568
    .language:       OpenCL C
    .language_version:
      - 2
      - 0
    .max_flat_workgroup_size: 1024
    .name:           _ZN2at6native6sbtopk10gatherTopKIdmLi1ELb0EEEvNS_4cuda6detail10TensorInfoIKT_T0_EES8_S8_bS8_S8_NS5_IS6_S8_EES8_NS5_IlS8_EES8_PS6_
    .private_segment_fixed_size: 0
    .sgpr_count:     107
    .sgpr_spill_count: 6
    .symbol:         _ZN2at6native6sbtopk10gatherTopKIdmLi1ELb0EEEvNS_4cuda6detail10TensorInfoIKT_T0_EES8_S8_bS8_S8_NS5_IS6_S8_EES8_NS5_IlS8_EES8_PS6_.kd
    .uniform_work_group_size: 1
    .uses_dynamic_stack: false
    .vgpr_count:     67
    .vgpr_spill_count: 0
    .wavefront_size: 32
  - .args:
      - .offset:         0
        .size:           416
        .value_kind:     by_value
      - .offset:         416
        .size:           4
        .value_kind:     by_value
      - .address_space:  global
        .offset:         424
        .size:           8
        .value_kind:     global_buffer
      - .offset:         432
        .size:           4
        .value_kind:     by_value
      - .offset:         440
        .size:           8
        .value_kind:     by_value
      - .offset:         448
        .size:           4
        .value_kind:     by_value
      - .offset:         452
        .size:           4
        .value_kind:     by_value
      - .offset:         456
        .size:           4
        .value_kind:     by_value
      - .offset:         464
        .size:           8
        .value_kind:     by_value
      - .address_space:  global
        .offset:         472
        .size:           8
        .value_kind:     global_buffer
      - .address_space:  global
        .offset:         480
        .size:           8
        .value_kind:     global_buffer
      - .offset:         488
        .size:           4
        .value_kind:     hidden_block_count_x
      - .offset:         492
        .size:           4
        .value_kind:     hidden_block_count_y
      - .offset:         496
        .size:           4
        .value_kind:     hidden_block_count_z
      - .offset:         500
        .size:           2
        .value_kind:     hidden_group_size_x
      - .offset:         502
        .size:           2
        .value_kind:     hidden_group_size_y
      - .offset:         504
        .size:           2
        .value_kind:     hidden_group_size_z
      - .offset:         506
        .size:           2
        .value_kind:     hidden_remainder_x
      - .offset:         508
        .size:           2
        .value_kind:     hidden_remainder_y
      - .offset:         510
        .size:           2
        .value_kind:     hidden_remainder_z
      - .offset:         528
        .size:           8
        .value_kind:     hidden_global_offset_x
      - .offset:         536
        .size:           8
        .value_kind:     hidden_global_offset_y
      - .offset:         544
        .size:           8
        .value_kind:     hidden_global_offset_z
      - .offset:         552
        .size:           2
        .value_kind:     hidden_grid_dims
    .group_segment_fixed_size: 1024
    .kernarg_segment_align: 8
    .kernarg_segment_size: 744
    .language:       OpenCL C
    .language_version:
      - 2
      - 0
    .max_flat_workgroup_size: 256
    .name:           _ZN2at6native6mbtopk23computeBlockDigitCountsIdmmLi2EEEvNS_4cuda6detail10TensorInfoIKT_T0_EEjPjjS8_iijT1_PSB_Ps
    .private_segment_fixed_size: 0
    .sgpr_count:     34
    .sgpr_spill_count: 0
    .symbol:         _ZN2at6native6mbtopk23computeBlockDigitCountsIdmmLi2EEEvNS_4cuda6detail10TensorInfoIKT_T0_EEjPjjS8_iijT1_PSB_Ps.kd
    .uniform_work_group_size: 1
    .uses_dynamic_stack: false
    .vgpr_count:     11
    .vgpr_spill_count: 0
    .wavefront_size: 32
  - .args:
      - .offset:         0
        .size:           416
        .value_kind:     by_value
      - .offset:         416
        .size:           8
        .value_kind:     by_value
      - .offset:         424
        .size:           8
        .value_kind:     by_value
      - .offset:         432
        .size:           1
        .value_kind:     by_value
      - .offset:         436
        .size:           4
        .value_kind:     by_value
      - .offset:         440
        .size:           8
        .value_kind:     by_value
      - .offset:         448
        .size:           416
        .value_kind:     by_value
      - .offset:         864
        .size:           8
        .value_kind:     by_value
      - .offset:         872
        .size:           416
        .value_kind:     by_value
      - .offset:         1288
        .size:           8
        .value_kind:     by_value
      - .offset:         1296
        .size:           4
        .value_kind:     by_value
      - .offset:         1300
        .size:           4
        .value_kind:     by_value
      - .address_space:  global
        .offset:         1304
        .size:           8
        .value_kind:     global_buffer
      - .address_space:  global
        .offset:         1312
        .size:           8
        .value_kind:     global_buffer
      - .address_space:  global
        .offset:         1320
        .size:           8
        .value_kind:     global_buffer
      - .offset:         1328
        .size:           4
        .value_kind:     by_value
      - .offset:         1336
        .size:           4
        .value_kind:     hidden_block_count_x
      - .offset:         1340
        .size:           4
        .value_kind:     hidden_block_count_y
      - .offset:         1344
        .size:           4
        .value_kind:     hidden_block_count_z
      - .offset:         1348
        .size:           2
        .value_kind:     hidden_group_size_x
      - .offset:         1350
        .size:           2
        .value_kind:     hidden_group_size_y
      - .offset:         1352
        .size:           2
        .value_kind:     hidden_group_size_z
      - .offset:         1354
        .size:           2
        .value_kind:     hidden_remainder_x
      - .offset:         1356
        .size:           2
        .value_kind:     hidden_remainder_y
      - .offset:         1358
        .size:           2
        .value_kind:     hidden_remainder_z
      - .offset:         1376
        .size:           8
        .value_kind:     hidden_global_offset_x
      - .offset:         1384
        .size:           8
        .value_kind:     hidden_global_offset_y
      - .offset:         1392
        .size:           8
        .value_kind:     hidden_global_offset_z
      - .offset:         1400
        .size:           2
        .value_kind:     hidden_grid_dims
    .group_segment_fixed_size: 1068
    .kernarg_segment_align: 8
    .kernarg_segment_size: 1592
    .language:       OpenCL C
    .language_version:
      - 2
      - 0
    .max_flat_workgroup_size: 256
    .name:           _ZN2at6native6mbtopk10gatherTopKIdmLi2EEEvNS_4cuda6detail10TensorInfoIKT_T0_EES8_S8_bjS8_NS5_IS6_S8_EES8_NS5_IlS8_EES8_jjPS6_PjSD_j
    .private_segment_fixed_size: 0
    .sgpr_count:     53
    .sgpr_spill_count: 0
    .symbol:         _ZN2at6native6mbtopk10gatherTopKIdmLi2EEEvNS_4cuda6detail10TensorInfoIKT_T0_EES8_S8_bjS8_NS5_IS6_S8_EES8_NS5_IlS8_EES8_jjPS6_PjSD_j.kd
    .uniform_work_group_size: 1
    .uses_dynamic_stack: false
    .vgpr_count:     26
    .vgpr_spill_count: 0
    .wavefront_size: 32
  - .args:
      - .offset:         0
        .size:           416
        .value_kind:     by_value
      - .offset:         416
        .size:           8
        .value_kind:     by_value
      - .offset:         424
        .size:           8
        .value_kind:     by_value
      - .offset:         432
        .size:           1
        .value_kind:     by_value
      - .offset:         440
        .size:           8
        .value_kind:     by_value
      - .offset:         448
        .size:           8
        .value_kind:     by_value
      - .offset:         456
        .size:           416
        .value_kind:     by_value
      - .offset:         872
        .size:           8
        .value_kind:     by_value
      - .offset:         880
        .size:           416
        .value_kind:     by_value
      - .offset:         1296
        .size:           8
        .value_kind:     by_value
      - .address_space:  global
        .offset:         1304
        .size:           8
        .value_kind:     global_buffer
      - .offset:         1312
        .size:           4
        .value_kind:     hidden_block_count_x
      - .offset:         1316
        .size:           4
        .value_kind:     hidden_block_count_y
      - .offset:         1320
        .size:           4
        .value_kind:     hidden_block_count_z
      - .offset:         1324
        .size:           2
        .value_kind:     hidden_group_size_x
      - .offset:         1326
        .size:           2
        .value_kind:     hidden_group_size_y
      - .offset:         1328
        .size:           2
        .value_kind:     hidden_group_size_z
      - .offset:         1330
        .size:           2
        .value_kind:     hidden_remainder_x
      - .offset:         1332
        .size:           2
        .value_kind:     hidden_remainder_y
      - .offset:         1334
        .size:           2
        .value_kind:     hidden_remainder_z
      - .offset:         1352
        .size:           8
        .value_kind:     hidden_global_offset_x
      - .offset:         1360
        .size:           8
        .value_kind:     hidden_global_offset_y
      - .offset:         1368
        .size:           8
        .value_kind:     hidden_global_offset_z
      - .offset:         1376
        .size:           2
        .value_kind:     hidden_grid_dims
    .group_segment_fixed_size: 5152
    .kernarg_segment_align: 8
    .kernarg_segment_size: 1568
    .language:       OpenCL C
    .language_version:
      - 2
      - 0
    .max_flat_workgroup_size: 1024
    .name:           _ZN2at6native6sbtopk10gatherTopKIdmLi2ELb0EEEvNS_4cuda6detail10TensorInfoIKT_T0_EES8_S8_bS8_S8_NS5_IS6_S8_EES8_NS5_IlS8_EES8_PS6_
    .private_segment_fixed_size: 0
    .sgpr_count:     107
    .sgpr_spill_count: 4
    .symbol:         _ZN2at6native6sbtopk10gatherTopKIdmLi2ELb0EEEvNS_4cuda6detail10TensorInfoIKT_T0_EES8_S8_bS8_S8_NS5_IS6_S8_EES8_NS5_IlS8_EES8_PS6_.kd
    .uniform_work_group_size: 1
    .uses_dynamic_stack: false
    .vgpr_count:     57
    .vgpr_spill_count: 0
    .wavefront_size: 32
  - .args:
      - .offset:         0
        .size:           416
        .value_kind:     by_value
      - .offset:         416
        .size:           4
        .value_kind:     by_value
      - .address_space:  global
        .offset:         424
        .size:           8
        .value_kind:     global_buffer
      - .offset:         432
        .size:           4
        .value_kind:     by_value
      - .offset:         440
        .size:           8
        .value_kind:     by_value
      - .offset:         448
        .size:           4
        .value_kind:     by_value
      - .offset:         452
        .size:           4
        .value_kind:     by_value
      - .offset:         456
        .size:           4
        .value_kind:     by_value
      - .offset:         464
        .size:           8
        .value_kind:     by_value
      - .address_space:  global
        .offset:         472
        .size:           8
        .value_kind:     global_buffer
      - .address_space:  global
        .offset:         480
        .size:           8
        .value_kind:     global_buffer
      - .offset:         488
        .size:           4
        .value_kind:     hidden_block_count_x
      - .offset:         492
        .size:           4
        .value_kind:     hidden_block_count_y
      - .offset:         496
        .size:           4
        .value_kind:     hidden_block_count_z
      - .offset:         500
        .size:           2
        .value_kind:     hidden_group_size_x
      - .offset:         502
        .size:           2
        .value_kind:     hidden_group_size_y
      - .offset:         504
        .size:           2
        .value_kind:     hidden_group_size_z
      - .offset:         506
        .size:           2
        .value_kind:     hidden_remainder_x
      - .offset:         508
        .size:           2
        .value_kind:     hidden_remainder_y
      - .offset:         510
        .size:           2
        .value_kind:     hidden_remainder_z
      - .offset:         528
        .size:           8
        .value_kind:     hidden_global_offset_x
      - .offset:         536
        .size:           8
        .value_kind:     hidden_global_offset_y
      - .offset:         544
        .size:           8
        .value_kind:     hidden_global_offset_z
      - .offset:         552
        .size:           2
        .value_kind:     hidden_grid_dims
    .group_segment_fixed_size: 1024
    .kernarg_segment_align: 8
    .kernarg_segment_size: 744
    .language:       OpenCL C
    .language_version:
      - 2
      - 0
    .max_flat_workgroup_size: 256
    .name:           _ZN2at6native6mbtopk23computeBlockDigitCountsIdmmLi3EEEvNS_4cuda6detail10TensorInfoIKT_T0_EEjPjjS8_iijT1_PSB_Ps
    .private_segment_fixed_size: 0
    .sgpr_count:     42
    .sgpr_spill_count: 0
    .symbol:         _ZN2at6native6mbtopk23computeBlockDigitCountsIdmmLi3EEEvNS_4cuda6detail10TensorInfoIKT_T0_EEjPjjS8_iijT1_PSB_Ps.kd
    .uniform_work_group_size: 1
    .uses_dynamic_stack: false
    .vgpr_count:     11
    .vgpr_spill_count: 0
    .wavefront_size: 32
  - .args:
      - .offset:         0
        .size:           416
        .value_kind:     by_value
      - .offset:         416
        .size:           8
        .value_kind:     by_value
      - .offset:         424
        .size:           8
        .value_kind:     by_value
      - .offset:         432
        .size:           1
        .value_kind:     by_value
      - .offset:         436
        .size:           4
        .value_kind:     by_value
      - .offset:         440
        .size:           8
        .value_kind:     by_value
      - .offset:         448
        .size:           416
        .value_kind:     by_value
      - .offset:         864
        .size:           8
        .value_kind:     by_value
      - .offset:         872
        .size:           416
        .value_kind:     by_value
      - .offset:         1288
        .size:           8
        .value_kind:     by_value
      - .offset:         1296
        .size:           4
        .value_kind:     by_value
      - .offset:         1300
        .size:           4
        .value_kind:     by_value
      - .address_space:  global
        .offset:         1304
        .size:           8
        .value_kind:     global_buffer
      - .address_space:  global
        .offset:         1312
        .size:           8
        .value_kind:     global_buffer
      - .address_space:  global
        .offset:         1320
        .size:           8
        .value_kind:     global_buffer
      - .offset:         1328
        .size:           4
        .value_kind:     by_value
      - .offset:         1336
        .size:           4
        .value_kind:     hidden_block_count_x
      - .offset:         1340
        .size:           4
        .value_kind:     hidden_block_count_y
      - .offset:         1344
        .size:           4
        .value_kind:     hidden_block_count_z
      - .offset:         1348
        .size:           2
        .value_kind:     hidden_group_size_x
      - .offset:         1350
        .size:           2
        .value_kind:     hidden_group_size_y
      - .offset:         1352
        .size:           2
        .value_kind:     hidden_group_size_z
      - .offset:         1354
        .size:           2
        .value_kind:     hidden_remainder_x
      - .offset:         1356
        .size:           2
        .value_kind:     hidden_remainder_y
      - .offset:         1358
        .size:           2
        .value_kind:     hidden_remainder_z
      - .offset:         1376
        .size:           8
        .value_kind:     hidden_global_offset_x
      - .offset:         1384
        .size:           8
        .value_kind:     hidden_global_offset_y
      - .offset:         1392
        .size:           8
        .value_kind:     hidden_global_offset_z
      - .offset:         1400
        .size:           2
        .value_kind:     hidden_grid_dims
    .group_segment_fixed_size: 1068
    .kernarg_segment_align: 8
    .kernarg_segment_size: 1592
    .language:       OpenCL C
    .language_version:
      - 2
      - 0
    .max_flat_workgroup_size: 256
    .name:           _ZN2at6native6mbtopk10gatherTopKIdmLi3EEEvNS_4cuda6detail10TensorInfoIKT_T0_EES8_S8_bjS8_NS5_IS6_S8_EES8_NS5_IlS8_EES8_jjPS6_PjSD_j
    .private_segment_fixed_size: 0
    .sgpr_count:     80
    .sgpr_spill_count: 0
    .symbol:         _ZN2at6native6mbtopk10gatherTopKIdmLi3EEEvNS_4cuda6detail10TensorInfoIKT_T0_EES8_S8_bjS8_NS5_IS6_S8_EES8_NS5_IlS8_EES8_jjPS6_PjSD_j.kd
    .uniform_work_group_size: 1
    .uses_dynamic_stack: false
    .vgpr_count:     26
    .vgpr_spill_count: 0
    .wavefront_size: 32
  - .args:
      - .offset:         0
        .size:           416
        .value_kind:     by_value
      - .offset:         416
        .size:           8
        .value_kind:     by_value
      - .offset:         424
        .size:           8
        .value_kind:     by_value
      - .offset:         432
        .size:           1
        .value_kind:     by_value
      - .offset:         440
        .size:           8
        .value_kind:     by_value
      - .offset:         448
        .size:           8
        .value_kind:     by_value
      - .offset:         456
        .size:           416
        .value_kind:     by_value
      - .offset:         872
        .size:           8
        .value_kind:     by_value
      - .offset:         880
        .size:           416
        .value_kind:     by_value
      - .offset:         1296
        .size:           8
        .value_kind:     by_value
      - .address_space:  global
        .offset:         1304
        .size:           8
        .value_kind:     global_buffer
      - .offset:         1312
        .size:           4
        .value_kind:     hidden_block_count_x
      - .offset:         1316
        .size:           4
        .value_kind:     hidden_block_count_y
      - .offset:         1320
        .size:           4
        .value_kind:     hidden_block_count_z
      - .offset:         1324
        .size:           2
        .value_kind:     hidden_group_size_x
      - .offset:         1326
        .size:           2
        .value_kind:     hidden_group_size_y
      - .offset:         1328
        .size:           2
        .value_kind:     hidden_group_size_z
      - .offset:         1330
        .size:           2
        .value_kind:     hidden_remainder_x
      - .offset:         1332
        .size:           2
        .value_kind:     hidden_remainder_y
      - .offset:         1334
        .size:           2
        .value_kind:     hidden_remainder_z
      - .offset:         1352
        .size:           8
        .value_kind:     hidden_global_offset_x
      - .offset:         1360
        .size:           8
        .value_kind:     hidden_global_offset_y
      - .offset:         1368
        .size:           8
        .value_kind:     hidden_global_offset_z
      - .offset:         1376
        .size:           2
        .value_kind:     hidden_grid_dims
    .group_segment_fixed_size: 5152
    .kernarg_segment_align: 8
    .kernarg_segment_size: 1568
    .language:       OpenCL C
    .language_version:
      - 2
      - 0
    .max_flat_workgroup_size: 1024
    .name:           _ZN2at6native6sbtopk10gatherTopKIdmLi3ELb0EEEvNS_4cuda6detail10TensorInfoIKT_T0_EES8_S8_bS8_S8_NS5_IS6_S8_EES8_NS5_IlS8_EES8_PS6_
    .private_segment_fixed_size: 0
    .sgpr_count:     107
    .sgpr_spill_count: 10
    .symbol:         _ZN2at6native6sbtopk10gatherTopKIdmLi3ELb0EEEvNS_4cuda6detail10TensorInfoIKT_T0_EES8_S8_bS8_S8_NS5_IS6_S8_EES8_NS5_IlS8_EES8_PS6_.kd
    .uniform_work_group_size: 1
    .uses_dynamic_stack: false
    .vgpr_count:     57
    .vgpr_spill_count: 0
    .wavefront_size: 32
  - .args:
      - .offset:         0
        .size:           416
        .value_kind:     by_value
      - .offset:         416
        .size:           4
        .value_kind:     by_value
      - .address_space:  global
        .offset:         424
        .size:           8
        .value_kind:     global_buffer
      - .offset:         432
        .size:           4
        .value_kind:     by_value
      - .offset:         440
        .size:           8
        .value_kind:     by_value
      - .offset:         448
        .size:           4
        .value_kind:     by_value
      - .offset:         452
        .size:           4
        .value_kind:     by_value
      - .offset:         456
        .size:           4
        .value_kind:     by_value
      - .offset:         464
        .size:           8
        .value_kind:     by_value
      - .address_space:  global
        .offset:         472
        .size:           8
        .value_kind:     global_buffer
      - .address_space:  global
        .offset:         480
        .size:           8
        .value_kind:     global_buffer
      - .offset:         488
        .size:           4
        .value_kind:     hidden_block_count_x
      - .offset:         492
        .size:           4
        .value_kind:     hidden_block_count_y
      - .offset:         496
        .size:           4
        .value_kind:     hidden_block_count_z
      - .offset:         500
        .size:           2
        .value_kind:     hidden_group_size_x
      - .offset:         502
        .size:           2
        .value_kind:     hidden_group_size_y
      - .offset:         504
        .size:           2
        .value_kind:     hidden_group_size_z
      - .offset:         506
        .size:           2
        .value_kind:     hidden_remainder_x
      - .offset:         508
        .size:           2
        .value_kind:     hidden_remainder_y
      - .offset:         510
        .size:           2
        .value_kind:     hidden_remainder_z
      - .offset:         528
        .size:           8
        .value_kind:     hidden_global_offset_x
      - .offset:         536
        .size:           8
        .value_kind:     hidden_global_offset_y
      - .offset:         544
        .size:           8
        .value_kind:     hidden_global_offset_z
      - .offset:         552
        .size:           2
        .value_kind:     hidden_grid_dims
    .group_segment_fixed_size: 1024
    .kernarg_segment_align: 8
    .kernarg_segment_size: 744
    .language:       OpenCL C
    .language_version:
      - 2
      - 0
    .max_flat_workgroup_size: 256
    .name:           _ZN2at6native6mbtopk23computeBlockDigitCountsIdmmLin1EEEvNS_4cuda6detail10TensorInfoIKT_T0_EEjPjjS8_iijT1_PSB_Ps
    .private_segment_fixed_size: 0
    .sgpr_count:     32
    .sgpr_spill_count: 0
    .symbol:         _ZN2at6native6mbtopk23computeBlockDigitCountsIdmmLin1EEEvNS_4cuda6detail10TensorInfoIKT_T0_EEjPjjS8_iijT1_PSB_Ps.kd
    .uniform_work_group_size: 1
    .uses_dynamic_stack: false
    .vgpr_count:     11
    .vgpr_spill_count: 0
    .wavefront_size: 32
  - .args:
      - .offset:         0
        .size:           416
        .value_kind:     by_value
      - .offset:         416
        .size:           8
        .value_kind:     by_value
      - .offset:         424
        .size:           8
        .value_kind:     by_value
      - .offset:         432
        .size:           1
        .value_kind:     by_value
      - .offset:         436
        .size:           4
        .value_kind:     by_value
      - .offset:         440
        .size:           8
        .value_kind:     by_value
      - .offset:         448
        .size:           416
        .value_kind:     by_value
      - .offset:         864
        .size:           8
        .value_kind:     by_value
      - .offset:         872
        .size:           416
        .value_kind:     by_value
      - .offset:         1288
        .size:           8
        .value_kind:     by_value
      - .offset:         1296
        .size:           4
        .value_kind:     by_value
      - .offset:         1300
        .size:           4
        .value_kind:     by_value
      - .address_space:  global
        .offset:         1304
        .size:           8
        .value_kind:     global_buffer
      - .address_space:  global
        .offset:         1312
        .size:           8
        .value_kind:     global_buffer
      - .address_space:  global
        .offset:         1320
        .size:           8
        .value_kind:     global_buffer
      - .offset:         1328
        .size:           4
        .value_kind:     by_value
      - .offset:         1336
        .size:           4
        .value_kind:     hidden_block_count_x
      - .offset:         1340
        .size:           4
        .value_kind:     hidden_block_count_y
      - .offset:         1344
        .size:           4
        .value_kind:     hidden_block_count_z
      - .offset:         1348
        .size:           2
        .value_kind:     hidden_group_size_x
      - .offset:         1350
        .size:           2
        .value_kind:     hidden_group_size_y
      - .offset:         1352
        .size:           2
        .value_kind:     hidden_group_size_z
      - .offset:         1354
        .size:           2
        .value_kind:     hidden_remainder_x
      - .offset:         1356
        .size:           2
        .value_kind:     hidden_remainder_y
      - .offset:         1358
        .size:           2
        .value_kind:     hidden_remainder_z
      - .offset:         1376
        .size:           8
        .value_kind:     hidden_global_offset_x
      - .offset:         1384
        .size:           8
        .value_kind:     hidden_global_offset_y
      - .offset:         1392
        .size:           8
        .value_kind:     hidden_global_offset_z
      - .offset:         1400
        .size:           2
        .value_kind:     hidden_grid_dims
    .group_segment_fixed_size: 1068
    .kernarg_segment_align: 8
    .kernarg_segment_size: 1592
    .language:       OpenCL C
    .language_version:
      - 2
      - 0
    .max_flat_workgroup_size: 256
    .name:           _ZN2at6native6mbtopk10gatherTopKIdmLin1EEEvNS_4cuda6detail10TensorInfoIKT_T0_EES8_S8_bjS8_NS5_IS6_S8_EES8_NS5_IlS8_EES8_jjPS6_PjSD_j
    .private_segment_fixed_size: 0
    .sgpr_count:     52
    .sgpr_spill_count: 0
    .symbol:         _ZN2at6native6mbtopk10gatherTopKIdmLin1EEEvNS_4cuda6detail10TensorInfoIKT_T0_EES8_S8_bjS8_NS5_IS6_S8_EES8_NS5_IlS8_EES8_jjPS6_PjSD_j.kd
    .uniform_work_group_size: 1
    .uses_dynamic_stack: false
    .vgpr_count:     26
    .vgpr_spill_count: 0
    .wavefront_size: 32
  - .args:
      - .offset:         0
        .size:           416
        .value_kind:     by_value
      - .offset:         416
        .size:           8
        .value_kind:     by_value
      - .offset:         424
        .size:           8
        .value_kind:     by_value
      - .offset:         432
        .size:           1
        .value_kind:     by_value
      - .offset:         440
        .size:           8
        .value_kind:     by_value
      - .offset:         448
        .size:           8
        .value_kind:     by_value
      - .offset:         456
        .size:           416
        .value_kind:     by_value
      - .offset:         872
        .size:           8
        .value_kind:     by_value
      - .offset:         880
        .size:           416
        .value_kind:     by_value
      - .offset:         1296
        .size:           8
        .value_kind:     by_value
      - .address_space:  global
        .offset:         1304
        .size:           8
        .value_kind:     global_buffer
      - .offset:         1312
        .size:           4
        .value_kind:     hidden_block_count_x
      - .offset:         1316
        .size:           4
        .value_kind:     hidden_block_count_y
      - .offset:         1320
        .size:           4
        .value_kind:     hidden_block_count_z
      - .offset:         1324
        .size:           2
        .value_kind:     hidden_group_size_x
      - .offset:         1326
        .size:           2
        .value_kind:     hidden_group_size_y
      - .offset:         1328
        .size:           2
        .value_kind:     hidden_group_size_z
      - .offset:         1330
        .size:           2
        .value_kind:     hidden_remainder_x
      - .offset:         1332
        .size:           2
        .value_kind:     hidden_remainder_y
      - .offset:         1334
        .size:           2
        .value_kind:     hidden_remainder_z
      - .offset:         1352
        .size:           8
        .value_kind:     hidden_global_offset_x
      - .offset:         1360
        .size:           8
        .value_kind:     hidden_global_offset_y
      - .offset:         1368
        .size:           8
        .value_kind:     hidden_global_offset_z
      - .offset:         1376
        .size:           2
        .value_kind:     hidden_grid_dims
    .group_segment_fixed_size: 5152
    .kernarg_segment_align: 8
    .kernarg_segment_size: 1568
    .language:       OpenCL C
    .language_version:
      - 2
      - 0
    .max_flat_workgroup_size: 1024
    .name:           _ZN2at6native6sbtopk10gatherTopKIdmLin1ELb0EEEvNS_4cuda6detail10TensorInfoIKT_T0_EES8_S8_bS8_S8_NS5_IS6_S8_EES8_NS5_IlS8_EES8_PS6_
    .private_segment_fixed_size: 0
    .sgpr_count:     107
    .sgpr_spill_count: 18
    .symbol:         _ZN2at6native6sbtopk10gatherTopKIdmLin1ELb0EEEvNS_4cuda6detail10TensorInfoIKT_T0_EES8_S8_bS8_S8_NS5_IS6_S8_EES8_NS5_IlS8_EES8_PS6_.kd
    .uniform_work_group_size: 1
    .uses_dynamic_stack: false
    .vgpr_count:     75
    .vgpr_spill_count: 0
    .wavefront_size: 32
  - .args:
      - .offset:         0
        .size:           416
        .value_kind:     by_value
      - .offset:         416
        .size:           4
        .value_kind:     by_value
      - .address_space:  global
        .offset:         424
        .size:           8
        .value_kind:     global_buffer
      - .offset:         432
        .size:           4
        .value_kind:     by_value
      - .offset:         440
        .size:           8
        .value_kind:     by_value
      - .offset:         448
        .size:           4
        .value_kind:     by_value
      - .offset:         452
        .size:           4
        .value_kind:     by_value
      - .offset:         456
        .size:           4
        .value_kind:     by_value
      - .offset:         460
        .size:           4
        .value_kind:     by_value
      - .address_space:  global
        .offset:         464
        .size:           8
        .value_kind:     global_buffer
      - .address_space:  global
        .offset:         472
        .size:           8
        .value_kind:     global_buffer
      - .offset:         480
        .size:           4
        .value_kind:     hidden_block_count_x
      - .offset:         484
        .size:           4
        .value_kind:     hidden_block_count_y
      - .offset:         488
        .size:           4
        .value_kind:     hidden_block_count_z
      - .offset:         492
        .size:           2
        .value_kind:     hidden_group_size_x
      - .offset:         494
        .size:           2
        .value_kind:     hidden_group_size_y
      - .offset:         496
        .size:           2
        .value_kind:     hidden_group_size_z
      - .offset:         498
        .size:           2
        .value_kind:     hidden_remainder_x
      - .offset:         500
        .size:           2
        .value_kind:     hidden_remainder_y
      - .offset:         502
        .size:           2
        .value_kind:     hidden_remainder_z
      - .offset:         520
        .size:           8
        .value_kind:     hidden_global_offset_x
      - .offset:         528
        .size:           8
        .value_kind:     hidden_global_offset_y
      - .offset:         536
        .size:           8
        .value_kind:     hidden_global_offset_z
      - .offset:         544
        .size:           2
        .value_kind:     hidden_grid_dims
    .group_segment_fixed_size: 1024
    .kernarg_segment_align: 8
    .kernarg_segment_size: 736
    .language:       OpenCL C
    .language_version:
      - 2
      - 0
    .max_flat_workgroup_size: 256
    .name:           _ZN2at6native6mbtopk23computeBlockDigitCountsIfmjLi1EEEvNS_4cuda6detail10TensorInfoIKT_T0_EEjPjjS8_iijT1_PSB_Ps
    .private_segment_fixed_size: 0
    .sgpr_count:     26
    .sgpr_spill_count: 0
    .symbol:         _ZN2at6native6mbtopk23computeBlockDigitCountsIfmjLi1EEEvNS_4cuda6detail10TensorInfoIKT_T0_EEjPjjS8_iijT1_PSB_Ps.kd
    .uniform_work_group_size: 1
    .uses_dynamic_stack: false
    .vgpr_count:     8
    .vgpr_spill_count: 0
    .wavefront_size: 32
  - .args:
      - .offset:         0
        .size:           416
        .value_kind:     by_value
      - .offset:         416
        .size:           8
        .value_kind:     by_value
      - .offset:         424
        .size:           8
        .value_kind:     by_value
      - .offset:         432
        .size:           1
        .value_kind:     by_value
      - .offset:         436
        .size:           4
        .value_kind:     by_value
      - .offset:         440
        .size:           8
        .value_kind:     by_value
      - .offset:         448
        .size:           416
        .value_kind:     by_value
      - .offset:         864
        .size:           8
        .value_kind:     by_value
      - .offset:         872
        .size:           416
        .value_kind:     by_value
      - .offset:         1288
        .size:           8
        .value_kind:     by_value
      - .offset:         1296
        .size:           4
        .value_kind:     by_value
      - .offset:         1300
        .size:           4
        .value_kind:     by_value
      - .address_space:  global
        .offset:         1304
        .size:           8
        .value_kind:     global_buffer
      - .address_space:  global
        .offset:         1312
        .size:           8
        .value_kind:     global_buffer
      - .address_space:  global
        .offset:         1320
        .size:           8
        .value_kind:     global_buffer
      - .offset:         1328
        .size:           4
        .value_kind:     by_value
      - .offset:         1336
        .size:           4
        .value_kind:     hidden_block_count_x
      - .offset:         1340
        .size:           4
        .value_kind:     hidden_block_count_y
      - .offset:         1344
        .size:           4
        .value_kind:     hidden_block_count_z
      - .offset:         1348
        .size:           2
        .value_kind:     hidden_group_size_x
      - .offset:         1350
        .size:           2
        .value_kind:     hidden_group_size_y
      - .offset:         1352
        .size:           2
        .value_kind:     hidden_group_size_z
      - .offset:         1354
        .size:           2
        .value_kind:     hidden_remainder_x
      - .offset:         1356
        .size:           2
        .value_kind:     hidden_remainder_y
      - .offset:         1358
        .size:           2
        .value_kind:     hidden_remainder_z
      - .offset:         1376
        .size:           8
        .value_kind:     hidden_global_offset_x
      - .offset:         1384
        .size:           8
        .value_kind:     hidden_global_offset_y
      - .offset:         1392
        .size:           8
        .value_kind:     hidden_global_offset_z
      - .offset:         1400
        .size:           2
        .value_kind:     hidden_grid_dims
    .group_segment_fixed_size: 1068
    .kernarg_segment_align: 8
    .kernarg_segment_size: 1592
    .language:       OpenCL C
    .language_version:
      - 2
      - 0
    .max_flat_workgroup_size: 256
    .name:           _ZN2at6native6mbtopk10gatherTopKIfmLi1EEEvNS_4cuda6detail10TensorInfoIKT_T0_EES8_S8_bjS8_NS5_IS6_S8_EES8_NS5_IlS8_EES8_jjPS6_PjSD_j
    .private_segment_fixed_size: 0
    .sgpr_count:     37
    .sgpr_spill_count: 0
    .symbol:         _ZN2at6native6mbtopk10gatherTopKIfmLi1EEEvNS_4cuda6detail10TensorInfoIKT_T0_EES8_S8_bjS8_NS5_IS6_S8_EES8_NS5_IlS8_EES8_jjPS6_PjSD_j.kd
    .uniform_work_group_size: 1
    .uses_dynamic_stack: false
    .vgpr_count:     24
    .vgpr_spill_count: 0
    .wavefront_size: 32
  - .args:
      - .offset:         0
        .size:           416
        .value_kind:     by_value
      - .offset:         416
        .size:           8
        .value_kind:     by_value
      - .offset:         424
        .size:           8
        .value_kind:     by_value
      - .offset:         432
        .size:           1
        .value_kind:     by_value
      - .offset:         440
        .size:           8
        .value_kind:     by_value
      - .offset:         448
        .size:           8
        .value_kind:     by_value
      - .offset:         456
        .size:           416
        .value_kind:     by_value
      - .offset:         872
        .size:           8
        .value_kind:     by_value
      - .offset:         880
        .size:           416
        .value_kind:     by_value
      - .offset:         1296
        .size:           8
        .value_kind:     by_value
      - .address_space:  global
        .offset:         1304
        .size:           8
        .value_kind:     global_buffer
      - .offset:         1312
        .size:           4
        .value_kind:     hidden_block_count_x
      - .offset:         1316
        .size:           4
        .value_kind:     hidden_block_count_y
      - .offset:         1320
        .size:           4
        .value_kind:     hidden_block_count_z
      - .offset:         1324
        .size:           2
        .value_kind:     hidden_group_size_x
      - .offset:         1326
        .size:           2
        .value_kind:     hidden_group_size_y
      - .offset:         1328
        .size:           2
        .value_kind:     hidden_group_size_z
      - .offset:         1330
        .size:           2
        .value_kind:     hidden_remainder_x
      - .offset:         1332
        .size:           2
        .value_kind:     hidden_remainder_y
      - .offset:         1334
        .size:           2
        .value_kind:     hidden_remainder_z
      - .offset:         1352
        .size:           8
        .value_kind:     hidden_global_offset_x
      - .offset:         1360
        .size:           8
        .value_kind:     hidden_global_offset_y
      - .offset:         1368
        .size:           8
        .value_kind:     hidden_global_offset_z
      - .offset:         1376
        .size:           2
        .value_kind:     hidden_grid_dims
    .group_segment_fixed_size: 5152
    .kernarg_segment_align: 8
    .kernarg_segment_size: 1568
    .language:       OpenCL C
    .language_version:
      - 2
      - 0
    .max_flat_workgroup_size: 1024
    .name:           _ZN2at6native6sbtopk10gatherTopKIfmLi1ELb0EEEvNS_4cuda6detail10TensorInfoIKT_T0_EES8_S8_bS8_S8_NS5_IS6_S8_EES8_NS5_IlS8_EES8_PS6_
    .private_segment_fixed_size: 0
    .sgpr_count:     107
    .sgpr_spill_count: 8
    .symbol:         _ZN2at6native6sbtopk10gatherTopKIfmLi1ELb0EEEvNS_4cuda6detail10TensorInfoIKT_T0_EES8_S8_bS8_S8_NS5_IS6_S8_EES8_NS5_IlS8_EES8_PS6_.kd
    .uniform_work_group_size: 1
    .uses_dynamic_stack: false
    .vgpr_count:     55
    .vgpr_spill_count: 0
    .wavefront_size: 32
  - .args:
      - .offset:         0
        .size:           416
        .value_kind:     by_value
      - .offset:         416
        .size:           4
        .value_kind:     by_value
      - .address_space:  global
        .offset:         424
        .size:           8
        .value_kind:     global_buffer
      - .offset:         432
        .size:           4
        .value_kind:     by_value
      - .offset:         440
        .size:           8
        .value_kind:     by_value
      - .offset:         448
        .size:           4
        .value_kind:     by_value
      - .offset:         452
        .size:           4
        .value_kind:     by_value
      - .offset:         456
        .size:           4
        .value_kind:     by_value
      - .offset:         460
        .size:           4
        .value_kind:     by_value
      - .address_space:  global
        .offset:         464
        .size:           8
        .value_kind:     global_buffer
      - .address_space:  global
        .offset:         472
        .size:           8
        .value_kind:     global_buffer
      - .offset:         480
        .size:           4
        .value_kind:     hidden_block_count_x
      - .offset:         484
        .size:           4
        .value_kind:     hidden_block_count_y
      - .offset:         488
        .size:           4
        .value_kind:     hidden_block_count_z
      - .offset:         492
        .size:           2
        .value_kind:     hidden_group_size_x
      - .offset:         494
        .size:           2
        .value_kind:     hidden_group_size_y
      - .offset:         496
        .size:           2
        .value_kind:     hidden_group_size_z
      - .offset:         498
        .size:           2
        .value_kind:     hidden_remainder_x
      - .offset:         500
        .size:           2
        .value_kind:     hidden_remainder_y
      - .offset:         502
        .size:           2
        .value_kind:     hidden_remainder_z
      - .offset:         520
        .size:           8
        .value_kind:     hidden_global_offset_x
      - .offset:         528
        .size:           8
        .value_kind:     hidden_global_offset_y
      - .offset:         536
        .size:           8
        .value_kind:     hidden_global_offset_z
      - .offset:         544
        .size:           2
        .value_kind:     hidden_grid_dims
    .group_segment_fixed_size: 1024
    .kernarg_segment_align: 8
    .kernarg_segment_size: 736
    .language:       OpenCL C
    .language_version:
      - 2
      - 0
    .max_flat_workgroup_size: 256
    .name:           _ZN2at6native6mbtopk23computeBlockDigitCountsIfmjLi2EEEvNS_4cuda6detail10TensorInfoIKT_T0_EEjPjjS8_iijT1_PSB_Ps
    .private_segment_fixed_size: 0
    .sgpr_count:     32
    .sgpr_spill_count: 0
    .symbol:         _ZN2at6native6mbtopk23computeBlockDigitCountsIfmjLi2EEEvNS_4cuda6detail10TensorInfoIKT_T0_EEjPjjS8_iijT1_PSB_Ps.kd
    .uniform_work_group_size: 1
    .uses_dynamic_stack: false
    .vgpr_count:     8
    .vgpr_spill_count: 0
    .wavefront_size: 32
  - .args:
      - .offset:         0
        .size:           416
        .value_kind:     by_value
      - .offset:         416
        .size:           8
        .value_kind:     by_value
      - .offset:         424
        .size:           8
        .value_kind:     by_value
      - .offset:         432
        .size:           1
        .value_kind:     by_value
      - .offset:         436
        .size:           4
        .value_kind:     by_value
      - .offset:         440
        .size:           8
        .value_kind:     by_value
      - .offset:         448
        .size:           416
        .value_kind:     by_value
      - .offset:         864
        .size:           8
        .value_kind:     by_value
      - .offset:         872
        .size:           416
        .value_kind:     by_value
      - .offset:         1288
        .size:           8
        .value_kind:     by_value
      - .offset:         1296
        .size:           4
        .value_kind:     by_value
      - .offset:         1300
        .size:           4
        .value_kind:     by_value
      - .address_space:  global
        .offset:         1304
        .size:           8
        .value_kind:     global_buffer
      - .address_space:  global
        .offset:         1312
        .size:           8
        .value_kind:     global_buffer
      - .address_space:  global
        .offset:         1320
        .size:           8
        .value_kind:     global_buffer
      - .offset:         1328
        .size:           4
        .value_kind:     by_value
      - .offset:         1336
        .size:           4
        .value_kind:     hidden_block_count_x
      - .offset:         1340
        .size:           4
        .value_kind:     hidden_block_count_y
      - .offset:         1344
        .size:           4
        .value_kind:     hidden_block_count_z
      - .offset:         1348
        .size:           2
        .value_kind:     hidden_group_size_x
      - .offset:         1350
        .size:           2
        .value_kind:     hidden_group_size_y
      - .offset:         1352
        .size:           2
        .value_kind:     hidden_group_size_z
      - .offset:         1354
        .size:           2
        .value_kind:     hidden_remainder_x
      - .offset:         1356
        .size:           2
        .value_kind:     hidden_remainder_y
      - .offset:         1358
        .size:           2
        .value_kind:     hidden_remainder_z
      - .offset:         1376
        .size:           8
        .value_kind:     hidden_global_offset_x
      - .offset:         1384
        .size:           8
        .value_kind:     hidden_global_offset_y
      - .offset:         1392
        .size:           8
        .value_kind:     hidden_global_offset_z
      - .offset:         1400
        .size:           2
        .value_kind:     hidden_grid_dims
    .group_segment_fixed_size: 1068
    .kernarg_segment_align: 8
    .kernarg_segment_size: 1592
    .language:       OpenCL C
    .language_version:
      - 2
      - 0
    .max_flat_workgroup_size: 256
    .name:           _ZN2at6native6mbtopk10gatherTopKIfmLi2EEEvNS_4cuda6detail10TensorInfoIKT_T0_EES8_S8_bjS8_NS5_IS6_S8_EES8_NS5_IlS8_EES8_jjPS6_PjSD_j
    .private_segment_fixed_size: 0
    .sgpr_count:     52
    .sgpr_spill_count: 0
    .symbol:         _ZN2at6native6mbtopk10gatherTopKIfmLi2EEEvNS_4cuda6detail10TensorInfoIKT_T0_EES8_S8_bjS8_NS5_IS6_S8_EES8_NS5_IlS8_EES8_jjPS6_PjSD_j.kd
    .uniform_work_group_size: 1
    .uses_dynamic_stack: false
    .vgpr_count:     24
    .vgpr_spill_count: 0
    .wavefront_size: 32
  - .args:
      - .offset:         0
        .size:           416
        .value_kind:     by_value
      - .offset:         416
        .size:           8
        .value_kind:     by_value
      - .offset:         424
        .size:           8
        .value_kind:     by_value
      - .offset:         432
        .size:           1
        .value_kind:     by_value
      - .offset:         440
        .size:           8
        .value_kind:     by_value
      - .offset:         448
        .size:           8
        .value_kind:     by_value
      - .offset:         456
        .size:           416
        .value_kind:     by_value
      - .offset:         872
        .size:           8
        .value_kind:     by_value
      - .offset:         880
        .size:           416
        .value_kind:     by_value
      - .offset:         1296
        .size:           8
        .value_kind:     by_value
      - .address_space:  global
        .offset:         1304
        .size:           8
        .value_kind:     global_buffer
      - .offset:         1312
        .size:           4
        .value_kind:     hidden_block_count_x
      - .offset:         1316
        .size:           4
        .value_kind:     hidden_block_count_y
      - .offset:         1320
        .size:           4
        .value_kind:     hidden_block_count_z
      - .offset:         1324
        .size:           2
        .value_kind:     hidden_group_size_x
      - .offset:         1326
        .size:           2
        .value_kind:     hidden_group_size_y
      - .offset:         1328
        .size:           2
        .value_kind:     hidden_group_size_z
      - .offset:         1330
        .size:           2
        .value_kind:     hidden_remainder_x
      - .offset:         1332
        .size:           2
        .value_kind:     hidden_remainder_y
      - .offset:         1334
        .size:           2
        .value_kind:     hidden_remainder_z
      - .offset:         1352
        .size:           8
        .value_kind:     hidden_global_offset_x
      - .offset:         1360
        .size:           8
        .value_kind:     hidden_global_offset_y
      - .offset:         1368
        .size:           8
        .value_kind:     hidden_global_offset_z
      - .offset:         1376
        .size:           2
        .value_kind:     hidden_grid_dims
    .group_segment_fixed_size: 5152
    .kernarg_segment_align: 8
    .kernarg_segment_size: 1568
    .language:       OpenCL C
    .language_version:
      - 2
      - 0
    .max_flat_workgroup_size: 1024
    .name:           _ZN2at6native6sbtopk10gatherTopKIfmLi2ELb0EEEvNS_4cuda6detail10TensorInfoIKT_T0_EES8_S8_bS8_S8_NS5_IS6_S8_EES8_NS5_IlS8_EES8_PS6_
    .private_segment_fixed_size: 0
    .sgpr_count:     107
    .sgpr_spill_count: 13
    .symbol:         _ZN2at6native6sbtopk10gatherTopKIfmLi2ELb0EEEvNS_4cuda6detail10TensorInfoIKT_T0_EES8_S8_bS8_S8_NS5_IS6_S8_EES8_NS5_IlS8_EES8_PS6_.kd
    .uniform_work_group_size: 1
    .uses_dynamic_stack: false
    .vgpr_count:     46
    .vgpr_spill_count: 0
    .wavefront_size: 32
  - .args:
      - .offset:         0
        .size:           416
        .value_kind:     by_value
      - .offset:         416
        .size:           4
        .value_kind:     by_value
      - .address_space:  global
        .offset:         424
        .size:           8
        .value_kind:     global_buffer
      - .offset:         432
        .size:           4
        .value_kind:     by_value
      - .offset:         440
        .size:           8
        .value_kind:     by_value
      - .offset:         448
        .size:           4
        .value_kind:     by_value
      - .offset:         452
        .size:           4
        .value_kind:     by_value
      - .offset:         456
        .size:           4
        .value_kind:     by_value
      - .offset:         460
        .size:           4
        .value_kind:     by_value
      - .address_space:  global
        .offset:         464
        .size:           8
        .value_kind:     global_buffer
      - .address_space:  global
        .offset:         472
        .size:           8
        .value_kind:     global_buffer
      - .offset:         480
        .size:           4
        .value_kind:     hidden_block_count_x
      - .offset:         484
        .size:           4
        .value_kind:     hidden_block_count_y
      - .offset:         488
        .size:           4
        .value_kind:     hidden_block_count_z
      - .offset:         492
        .size:           2
        .value_kind:     hidden_group_size_x
      - .offset:         494
        .size:           2
        .value_kind:     hidden_group_size_y
      - .offset:         496
        .size:           2
        .value_kind:     hidden_group_size_z
      - .offset:         498
        .size:           2
        .value_kind:     hidden_remainder_x
      - .offset:         500
        .size:           2
        .value_kind:     hidden_remainder_y
      - .offset:         502
        .size:           2
        .value_kind:     hidden_remainder_z
      - .offset:         520
        .size:           8
        .value_kind:     hidden_global_offset_x
      - .offset:         528
        .size:           8
        .value_kind:     hidden_global_offset_y
      - .offset:         536
        .size:           8
        .value_kind:     hidden_global_offset_z
      - .offset:         544
        .size:           2
        .value_kind:     hidden_grid_dims
    .group_segment_fixed_size: 1024
    .kernarg_segment_align: 8
    .kernarg_segment_size: 736
    .language:       OpenCL C
    .language_version:
      - 2
      - 0
    .max_flat_workgroup_size: 256
    .name:           _ZN2at6native6mbtopk23computeBlockDigitCountsIfmjLi3EEEvNS_4cuda6detail10TensorInfoIKT_T0_EEjPjjS8_iijT1_PSB_Ps
    .private_segment_fixed_size: 0
    .sgpr_count:     40
    .sgpr_spill_count: 0
    .symbol:         _ZN2at6native6mbtopk23computeBlockDigitCountsIfmjLi3EEEvNS_4cuda6detail10TensorInfoIKT_T0_EEjPjjS8_iijT1_PSB_Ps.kd
    .uniform_work_group_size: 1
    .uses_dynamic_stack: false
    .vgpr_count:     8
    .vgpr_spill_count: 0
    .wavefront_size: 32
  - .args:
      - .offset:         0
        .size:           416
        .value_kind:     by_value
      - .offset:         416
        .size:           8
        .value_kind:     by_value
      - .offset:         424
        .size:           8
        .value_kind:     by_value
      - .offset:         432
        .size:           1
        .value_kind:     by_value
      - .offset:         436
        .size:           4
        .value_kind:     by_value
      - .offset:         440
        .size:           8
        .value_kind:     by_value
      - .offset:         448
        .size:           416
        .value_kind:     by_value
      - .offset:         864
        .size:           8
        .value_kind:     by_value
      - .offset:         872
        .size:           416
        .value_kind:     by_value
      - .offset:         1288
        .size:           8
        .value_kind:     by_value
      - .offset:         1296
        .size:           4
        .value_kind:     by_value
      - .offset:         1300
        .size:           4
        .value_kind:     by_value
      - .address_space:  global
        .offset:         1304
        .size:           8
        .value_kind:     global_buffer
      - .address_space:  global
        .offset:         1312
        .size:           8
        .value_kind:     global_buffer
      - .address_space:  global
        .offset:         1320
        .size:           8
        .value_kind:     global_buffer
      - .offset:         1328
        .size:           4
        .value_kind:     by_value
      - .offset:         1336
        .size:           4
        .value_kind:     hidden_block_count_x
      - .offset:         1340
        .size:           4
        .value_kind:     hidden_block_count_y
      - .offset:         1344
        .size:           4
        .value_kind:     hidden_block_count_z
      - .offset:         1348
        .size:           2
        .value_kind:     hidden_group_size_x
      - .offset:         1350
        .size:           2
        .value_kind:     hidden_group_size_y
      - .offset:         1352
        .size:           2
        .value_kind:     hidden_group_size_z
      - .offset:         1354
        .size:           2
        .value_kind:     hidden_remainder_x
      - .offset:         1356
        .size:           2
        .value_kind:     hidden_remainder_y
      - .offset:         1358
        .size:           2
        .value_kind:     hidden_remainder_z
      - .offset:         1376
        .size:           8
        .value_kind:     hidden_global_offset_x
      - .offset:         1384
        .size:           8
        .value_kind:     hidden_global_offset_y
      - .offset:         1392
        .size:           8
        .value_kind:     hidden_global_offset_z
      - .offset:         1400
        .size:           2
        .value_kind:     hidden_grid_dims
    .group_segment_fixed_size: 1068
    .kernarg_segment_align: 8
    .kernarg_segment_size: 1592
    .language:       OpenCL C
    .language_version:
      - 2
      - 0
    .max_flat_workgroup_size: 256
    .name:           _ZN2at6native6mbtopk10gatherTopKIfmLi3EEEvNS_4cuda6detail10TensorInfoIKT_T0_EES8_S8_bjS8_NS5_IS6_S8_EES8_NS5_IlS8_EES8_jjPS6_PjSD_j
    .private_segment_fixed_size: 0
    .sgpr_count:     79
    .sgpr_spill_count: 0
    .symbol:         _ZN2at6native6mbtopk10gatherTopKIfmLi3EEEvNS_4cuda6detail10TensorInfoIKT_T0_EES8_S8_bjS8_NS5_IS6_S8_EES8_NS5_IlS8_EES8_jjPS6_PjSD_j.kd
    .uniform_work_group_size: 1
    .uses_dynamic_stack: false
    .vgpr_count:     24
    .vgpr_spill_count: 0
    .wavefront_size: 32
  - .args:
      - .offset:         0
        .size:           416
        .value_kind:     by_value
      - .offset:         416
        .size:           8
        .value_kind:     by_value
      - .offset:         424
        .size:           8
        .value_kind:     by_value
      - .offset:         432
        .size:           1
        .value_kind:     by_value
      - .offset:         440
        .size:           8
        .value_kind:     by_value
      - .offset:         448
        .size:           8
        .value_kind:     by_value
      - .offset:         456
        .size:           416
        .value_kind:     by_value
      - .offset:         872
        .size:           8
        .value_kind:     by_value
      - .offset:         880
        .size:           416
        .value_kind:     by_value
      - .offset:         1296
        .size:           8
        .value_kind:     by_value
      - .address_space:  global
        .offset:         1304
        .size:           8
        .value_kind:     global_buffer
      - .offset:         1312
        .size:           4
        .value_kind:     hidden_block_count_x
      - .offset:         1316
        .size:           4
        .value_kind:     hidden_block_count_y
      - .offset:         1320
        .size:           4
        .value_kind:     hidden_block_count_z
      - .offset:         1324
        .size:           2
        .value_kind:     hidden_group_size_x
      - .offset:         1326
        .size:           2
        .value_kind:     hidden_group_size_y
      - .offset:         1328
        .size:           2
        .value_kind:     hidden_group_size_z
      - .offset:         1330
        .size:           2
        .value_kind:     hidden_remainder_x
      - .offset:         1332
        .size:           2
        .value_kind:     hidden_remainder_y
      - .offset:         1334
        .size:           2
        .value_kind:     hidden_remainder_z
      - .offset:         1352
        .size:           8
        .value_kind:     hidden_global_offset_x
      - .offset:         1360
        .size:           8
        .value_kind:     hidden_global_offset_y
      - .offset:         1368
        .size:           8
        .value_kind:     hidden_global_offset_z
      - .offset:         1376
        .size:           2
        .value_kind:     hidden_grid_dims
    .group_segment_fixed_size: 5152
    .kernarg_segment_align: 8
    .kernarg_segment_size: 1568
    .language:       OpenCL C
    .language_version:
      - 2
      - 0
    .max_flat_workgroup_size: 1024
    .name:           _ZN2at6native6sbtopk10gatherTopKIfmLi3ELb0EEEvNS_4cuda6detail10TensorInfoIKT_T0_EES8_S8_bS8_S8_NS5_IS6_S8_EES8_NS5_IlS8_EES8_PS6_
    .private_segment_fixed_size: 0
    .sgpr_count:     107
    .sgpr_spill_count: 17
    .symbol:         _ZN2at6native6sbtopk10gatherTopKIfmLi3ELb0EEEvNS_4cuda6detail10TensorInfoIKT_T0_EES8_S8_bS8_S8_NS5_IS6_S8_EES8_NS5_IlS8_EES8_PS6_.kd
    .uniform_work_group_size: 1
    .uses_dynamic_stack: false
    .vgpr_count:     46
    .vgpr_spill_count: 0
    .wavefront_size: 32
  - .args:
      - .offset:         0
        .size:           416
        .value_kind:     by_value
      - .offset:         416
        .size:           4
        .value_kind:     by_value
      - .address_space:  global
        .offset:         424
        .size:           8
        .value_kind:     global_buffer
      - .offset:         432
        .size:           4
        .value_kind:     by_value
      - .offset:         440
        .size:           8
        .value_kind:     by_value
      - .offset:         448
        .size:           4
        .value_kind:     by_value
      - .offset:         452
        .size:           4
        .value_kind:     by_value
      - .offset:         456
        .size:           4
        .value_kind:     by_value
      - .offset:         460
        .size:           4
        .value_kind:     by_value
      - .address_space:  global
        .offset:         464
        .size:           8
        .value_kind:     global_buffer
      - .address_space:  global
        .offset:         472
        .size:           8
        .value_kind:     global_buffer
      - .offset:         480
        .size:           4
        .value_kind:     hidden_block_count_x
      - .offset:         484
        .size:           4
        .value_kind:     hidden_block_count_y
      - .offset:         488
        .size:           4
        .value_kind:     hidden_block_count_z
      - .offset:         492
        .size:           2
        .value_kind:     hidden_group_size_x
      - .offset:         494
        .size:           2
        .value_kind:     hidden_group_size_y
      - .offset:         496
        .size:           2
        .value_kind:     hidden_group_size_z
      - .offset:         498
        .size:           2
        .value_kind:     hidden_remainder_x
      - .offset:         500
        .size:           2
        .value_kind:     hidden_remainder_y
      - .offset:         502
        .size:           2
        .value_kind:     hidden_remainder_z
      - .offset:         520
        .size:           8
        .value_kind:     hidden_global_offset_x
      - .offset:         528
        .size:           8
        .value_kind:     hidden_global_offset_y
      - .offset:         536
        .size:           8
        .value_kind:     hidden_global_offset_z
      - .offset:         544
        .size:           2
        .value_kind:     hidden_grid_dims
    .group_segment_fixed_size: 1024
    .kernarg_segment_align: 8
    .kernarg_segment_size: 736
    .language:       OpenCL C
    .language_version:
      - 2
      - 0
    .max_flat_workgroup_size: 256
    .name:           _ZN2at6native6mbtopk23computeBlockDigitCountsIfmjLin1EEEvNS_4cuda6detail10TensorInfoIKT_T0_EEjPjjS8_iijT1_PSB_Ps
    .private_segment_fixed_size: 0
    .sgpr_count:     30
    .sgpr_spill_count: 0
    .symbol:         _ZN2at6native6mbtopk23computeBlockDigitCountsIfmjLin1EEEvNS_4cuda6detail10TensorInfoIKT_T0_EEjPjjS8_iijT1_PSB_Ps.kd
    .uniform_work_group_size: 1
    .uses_dynamic_stack: false
    .vgpr_count:     8
    .vgpr_spill_count: 0
    .wavefront_size: 32
  - .args:
      - .offset:         0
        .size:           416
        .value_kind:     by_value
      - .offset:         416
        .size:           8
        .value_kind:     by_value
      - .offset:         424
        .size:           8
        .value_kind:     by_value
      - .offset:         432
        .size:           1
        .value_kind:     by_value
      - .offset:         436
        .size:           4
        .value_kind:     by_value
      - .offset:         440
        .size:           8
        .value_kind:     by_value
      - .offset:         448
        .size:           416
        .value_kind:     by_value
      - .offset:         864
        .size:           8
        .value_kind:     by_value
      - .offset:         872
        .size:           416
        .value_kind:     by_value
      - .offset:         1288
        .size:           8
        .value_kind:     by_value
      - .offset:         1296
        .size:           4
        .value_kind:     by_value
      - .offset:         1300
        .size:           4
        .value_kind:     by_value
      - .address_space:  global
        .offset:         1304
        .size:           8
        .value_kind:     global_buffer
      - .address_space:  global
        .offset:         1312
        .size:           8
        .value_kind:     global_buffer
      - .address_space:  global
        .offset:         1320
        .size:           8
        .value_kind:     global_buffer
      - .offset:         1328
        .size:           4
        .value_kind:     by_value
      - .offset:         1336
        .size:           4
        .value_kind:     hidden_block_count_x
      - .offset:         1340
        .size:           4
        .value_kind:     hidden_block_count_y
      - .offset:         1344
        .size:           4
        .value_kind:     hidden_block_count_z
      - .offset:         1348
        .size:           2
        .value_kind:     hidden_group_size_x
      - .offset:         1350
        .size:           2
        .value_kind:     hidden_group_size_y
      - .offset:         1352
        .size:           2
        .value_kind:     hidden_group_size_z
      - .offset:         1354
        .size:           2
        .value_kind:     hidden_remainder_x
      - .offset:         1356
        .size:           2
        .value_kind:     hidden_remainder_y
      - .offset:         1358
        .size:           2
        .value_kind:     hidden_remainder_z
      - .offset:         1376
        .size:           8
        .value_kind:     hidden_global_offset_x
      - .offset:         1384
        .size:           8
        .value_kind:     hidden_global_offset_y
      - .offset:         1392
        .size:           8
        .value_kind:     hidden_global_offset_z
      - .offset:         1400
        .size:           2
        .value_kind:     hidden_grid_dims
    .group_segment_fixed_size: 1068
    .kernarg_segment_align: 8
    .kernarg_segment_size: 1592
    .language:       OpenCL C
    .language_version:
      - 2
      - 0
    .max_flat_workgroup_size: 256
    .name:           _ZN2at6native6mbtopk10gatherTopKIfmLin1EEEvNS_4cuda6detail10TensorInfoIKT_T0_EES8_S8_bjS8_NS5_IS6_S8_EES8_NS5_IlS8_EES8_jjPS6_PjSD_j
    .private_segment_fixed_size: 0
    .sgpr_count:     51
    .sgpr_spill_count: 0
    .symbol:         _ZN2at6native6mbtopk10gatherTopKIfmLin1EEEvNS_4cuda6detail10TensorInfoIKT_T0_EES8_S8_bjS8_NS5_IS6_S8_EES8_NS5_IlS8_EES8_jjPS6_PjSD_j.kd
    .uniform_work_group_size: 1
    .uses_dynamic_stack: false
    .vgpr_count:     24
    .vgpr_spill_count: 0
    .wavefront_size: 32
  - .args:
      - .offset:         0
        .size:           416
        .value_kind:     by_value
      - .offset:         416
        .size:           8
        .value_kind:     by_value
      - .offset:         424
        .size:           8
        .value_kind:     by_value
      - .offset:         432
        .size:           1
        .value_kind:     by_value
      - .offset:         440
        .size:           8
        .value_kind:     by_value
      - .offset:         448
        .size:           8
        .value_kind:     by_value
      - .offset:         456
        .size:           416
        .value_kind:     by_value
      - .offset:         872
        .size:           8
        .value_kind:     by_value
      - .offset:         880
        .size:           416
        .value_kind:     by_value
      - .offset:         1296
        .size:           8
        .value_kind:     by_value
      - .address_space:  global
        .offset:         1304
        .size:           8
        .value_kind:     global_buffer
      - .offset:         1312
        .size:           4
        .value_kind:     hidden_block_count_x
      - .offset:         1316
        .size:           4
        .value_kind:     hidden_block_count_y
      - .offset:         1320
        .size:           4
        .value_kind:     hidden_block_count_z
      - .offset:         1324
        .size:           2
        .value_kind:     hidden_group_size_x
      - .offset:         1326
        .size:           2
        .value_kind:     hidden_group_size_y
      - .offset:         1328
        .size:           2
        .value_kind:     hidden_group_size_z
      - .offset:         1330
        .size:           2
        .value_kind:     hidden_remainder_x
      - .offset:         1332
        .size:           2
        .value_kind:     hidden_remainder_y
      - .offset:         1334
        .size:           2
        .value_kind:     hidden_remainder_z
      - .offset:         1352
        .size:           8
        .value_kind:     hidden_global_offset_x
      - .offset:         1360
        .size:           8
        .value_kind:     hidden_global_offset_y
      - .offset:         1368
        .size:           8
        .value_kind:     hidden_global_offset_z
      - .offset:         1376
        .size:           2
        .value_kind:     hidden_grid_dims
    .group_segment_fixed_size: 5152
    .kernarg_segment_align: 8
    .kernarg_segment_size: 1568
    .language:       OpenCL C
    .language_version:
      - 2
      - 0
    .max_flat_workgroup_size: 1024
    .name:           _ZN2at6native6sbtopk10gatherTopKIfmLin1ELb0EEEvNS_4cuda6detail10TensorInfoIKT_T0_EES8_S8_bS8_S8_NS5_IS6_S8_EES8_NS5_IlS8_EES8_PS6_
    .private_segment_fixed_size: 0
    .sgpr_count:     107
    .sgpr_spill_count: 20
    .symbol:         _ZN2at6native6sbtopk10gatherTopKIfmLin1ELb0EEEvNS_4cuda6detail10TensorInfoIKT_T0_EES8_S8_bS8_S8_NS5_IS6_S8_EES8_NS5_IlS8_EES8_PS6_.kd
    .uniform_work_group_size: 1
    .uses_dynamic_stack: false
    .vgpr_count:     63
    .vgpr_spill_count: 0
    .wavefront_size: 32
  - .args:
      - .offset:         0
        .size:           416
        .value_kind:     by_value
      - .offset:         416
        .size:           4
        .value_kind:     by_value
      - .address_space:  global
        .offset:         424
        .size:           8
        .value_kind:     global_buffer
      - .offset:         432
        .size:           4
        .value_kind:     by_value
      - .offset:         440
        .size:           8
        .value_kind:     by_value
      - .offset:         448
        .size:           4
        .value_kind:     by_value
      - .offset:         452
        .size:           4
        .value_kind:     by_value
      - .offset:         456
        .size:           4
        .value_kind:     by_value
      - .offset:         460
        .size:           4
        .value_kind:     by_value
      - .address_space:  global
        .offset:         464
        .size:           8
        .value_kind:     global_buffer
      - .address_space:  global
        .offset:         472
        .size:           8
        .value_kind:     global_buffer
      - .offset:         480
        .size:           4
        .value_kind:     hidden_block_count_x
      - .offset:         484
        .size:           4
        .value_kind:     hidden_block_count_y
      - .offset:         488
        .size:           4
        .value_kind:     hidden_block_count_z
      - .offset:         492
        .size:           2
        .value_kind:     hidden_group_size_x
      - .offset:         494
        .size:           2
        .value_kind:     hidden_group_size_y
      - .offset:         496
        .size:           2
        .value_kind:     hidden_group_size_z
      - .offset:         498
        .size:           2
        .value_kind:     hidden_remainder_x
      - .offset:         500
        .size:           2
        .value_kind:     hidden_remainder_y
      - .offset:         502
        .size:           2
        .value_kind:     hidden_remainder_z
      - .offset:         520
        .size:           8
        .value_kind:     hidden_global_offset_x
      - .offset:         528
        .size:           8
        .value_kind:     hidden_global_offset_y
      - .offset:         536
        .size:           8
        .value_kind:     hidden_global_offset_z
      - .offset:         544
        .size:           2
        .value_kind:     hidden_grid_dims
    .group_segment_fixed_size: 1024
    .kernarg_segment_align: 8
    .kernarg_segment_size: 736
    .language:       OpenCL C
    .language_version:
      - 2
      - 0
    .max_flat_workgroup_size: 256
    .name:           _ZN2at6native6mbtopk23computeBlockDigitCountsIN3c104HalfEmjLi1EEEvNS_4cuda6detail10TensorInfoIKT_T0_EEjPjjSA_iijT1_PSD_Ps
    .private_segment_fixed_size: 0
    .sgpr_count:     26
    .sgpr_spill_count: 0
    .symbol:         _ZN2at6native6mbtopk23computeBlockDigitCountsIN3c104HalfEmjLi1EEEvNS_4cuda6detail10TensorInfoIKT_T0_EEjPjjSA_iijT1_PSD_Ps.kd
    .uniform_work_group_size: 1
    .uses_dynamic_stack: false
    .vgpr_count:     10
    .vgpr_spill_count: 0
    .wavefront_size: 32
  - .args:
      - .offset:         0
        .size:           416
        .value_kind:     by_value
      - .offset:         416
        .size:           8
        .value_kind:     by_value
      - .offset:         424
        .size:           8
        .value_kind:     by_value
      - .offset:         432
        .size:           1
        .value_kind:     by_value
      - .offset:         436
        .size:           4
        .value_kind:     by_value
      - .offset:         440
        .size:           8
        .value_kind:     by_value
      - .offset:         448
        .size:           416
        .value_kind:     by_value
      - .offset:         864
        .size:           8
        .value_kind:     by_value
      - .offset:         872
        .size:           416
        .value_kind:     by_value
      - .offset:         1288
        .size:           8
        .value_kind:     by_value
      - .offset:         1296
        .size:           4
        .value_kind:     by_value
      - .offset:         1300
        .size:           4
        .value_kind:     by_value
      - .address_space:  global
        .offset:         1304
        .size:           8
        .value_kind:     global_buffer
      - .address_space:  global
        .offset:         1312
        .size:           8
        .value_kind:     global_buffer
      - .address_space:  global
        .offset:         1320
        .size:           8
        .value_kind:     global_buffer
      - .offset:         1328
        .size:           4
        .value_kind:     by_value
      - .offset:         1336
        .size:           4
        .value_kind:     hidden_block_count_x
      - .offset:         1340
        .size:           4
        .value_kind:     hidden_block_count_y
      - .offset:         1344
        .size:           4
        .value_kind:     hidden_block_count_z
      - .offset:         1348
        .size:           2
        .value_kind:     hidden_group_size_x
      - .offset:         1350
        .size:           2
        .value_kind:     hidden_group_size_y
      - .offset:         1352
        .size:           2
        .value_kind:     hidden_group_size_z
      - .offset:         1354
        .size:           2
        .value_kind:     hidden_remainder_x
      - .offset:         1356
        .size:           2
        .value_kind:     hidden_remainder_y
      - .offset:         1358
        .size:           2
        .value_kind:     hidden_remainder_z
      - .offset:         1376
        .size:           8
        .value_kind:     hidden_global_offset_x
      - .offset:         1384
        .size:           8
        .value_kind:     hidden_global_offset_y
      - .offset:         1392
        .size:           8
        .value_kind:     hidden_global_offset_z
      - .offset:         1400
        .size:           2
        .value_kind:     hidden_grid_dims
    .group_segment_fixed_size: 1068
    .kernarg_segment_align: 8
    .kernarg_segment_size: 1592
    .language:       OpenCL C
    .language_version:
      - 2
      - 0
    .max_flat_workgroup_size: 256
    .name:           _ZN2at6native6mbtopk10gatherTopKIN3c104HalfEmLi1EEEvNS_4cuda6detail10TensorInfoIKT_T0_EESA_SA_bjSA_NS7_IS8_SA_EESA_NS7_IlSA_EESA_jjPS8_PjSF_j
    .private_segment_fixed_size: 0
    .sgpr_count:     37
    .sgpr_spill_count: 0
    .symbol:         _ZN2at6native6mbtopk10gatherTopKIN3c104HalfEmLi1EEEvNS_4cuda6detail10TensorInfoIKT_T0_EESA_SA_bjSA_NS7_IS8_SA_EESA_NS7_IlSA_EESA_jjPS8_PjSF_j.kd
    .uniform_work_group_size: 1
    .uses_dynamic_stack: false
    .vgpr_count:     26
    .vgpr_spill_count: 0
    .wavefront_size: 32
  - .args:
      - .offset:         0
        .size:           416
        .value_kind:     by_value
      - .offset:         416
        .size:           8
        .value_kind:     by_value
      - .offset:         424
        .size:           8
        .value_kind:     by_value
      - .offset:         432
        .size:           1
        .value_kind:     by_value
      - .offset:         440
        .size:           8
        .value_kind:     by_value
      - .offset:         448
        .size:           8
        .value_kind:     by_value
      - .offset:         456
        .size:           416
        .value_kind:     by_value
      - .offset:         872
        .size:           8
        .value_kind:     by_value
      - .offset:         880
        .size:           416
        .value_kind:     by_value
      - .offset:         1296
        .size:           8
        .value_kind:     by_value
      - .address_space:  global
        .offset:         1304
        .size:           8
        .value_kind:     global_buffer
      - .offset:         1312
        .size:           4
        .value_kind:     hidden_block_count_x
      - .offset:         1316
        .size:           4
        .value_kind:     hidden_block_count_y
      - .offset:         1320
        .size:           4
        .value_kind:     hidden_block_count_z
      - .offset:         1324
        .size:           2
        .value_kind:     hidden_group_size_x
      - .offset:         1326
        .size:           2
        .value_kind:     hidden_group_size_y
      - .offset:         1328
        .size:           2
        .value_kind:     hidden_group_size_z
      - .offset:         1330
        .size:           2
        .value_kind:     hidden_remainder_x
      - .offset:         1332
        .size:           2
        .value_kind:     hidden_remainder_y
      - .offset:         1334
        .size:           2
        .value_kind:     hidden_remainder_z
      - .offset:         1352
        .size:           8
        .value_kind:     hidden_global_offset_x
      - .offset:         1360
        .size:           8
        .value_kind:     hidden_global_offset_y
      - .offset:         1368
        .size:           8
        .value_kind:     hidden_global_offset_z
      - .offset:         1376
        .size:           2
        .value_kind:     hidden_grid_dims
    .group_segment_fixed_size: 5152
    .kernarg_segment_align: 8
    .kernarg_segment_size: 1568
    .language:       OpenCL C
    .language_version:
      - 2
      - 0
    .max_flat_workgroup_size: 1024
    .name:           _ZN2at6native6sbtopk10gatherTopKIN3c104HalfEmLi1ELb0EEEvNS_4cuda6detail10TensorInfoIKT_T0_EESA_SA_bSA_SA_NS7_IS8_SA_EESA_NS7_IlSA_EESA_PS8_
    .private_segment_fixed_size: 0
    .sgpr_count:     107
    .sgpr_spill_count: 13
    .symbol:         _ZN2at6native6sbtopk10gatherTopKIN3c104HalfEmLi1ELb0EEEvNS_4cuda6detail10TensorInfoIKT_T0_EESA_SA_bSA_SA_NS7_IS8_SA_EESA_NS7_IlSA_EESA_PS8_.kd
    .uniform_work_group_size: 1
    .uses_dynamic_stack: false
    .vgpr_count:     57
    .vgpr_spill_count: 0
    .wavefront_size: 32
  - .args:
      - .offset:         0
        .size:           416
        .value_kind:     by_value
      - .offset:         416
        .size:           4
        .value_kind:     by_value
      - .address_space:  global
        .offset:         424
        .size:           8
        .value_kind:     global_buffer
      - .offset:         432
        .size:           4
        .value_kind:     by_value
      - .offset:         440
        .size:           8
        .value_kind:     by_value
      - .offset:         448
        .size:           4
        .value_kind:     by_value
      - .offset:         452
        .size:           4
        .value_kind:     by_value
      - .offset:         456
        .size:           4
        .value_kind:     by_value
      - .offset:         460
        .size:           4
        .value_kind:     by_value
      - .address_space:  global
        .offset:         464
        .size:           8
        .value_kind:     global_buffer
      - .address_space:  global
        .offset:         472
        .size:           8
        .value_kind:     global_buffer
      - .offset:         480
        .size:           4
        .value_kind:     hidden_block_count_x
      - .offset:         484
        .size:           4
        .value_kind:     hidden_block_count_y
      - .offset:         488
        .size:           4
        .value_kind:     hidden_block_count_z
      - .offset:         492
        .size:           2
        .value_kind:     hidden_group_size_x
      - .offset:         494
        .size:           2
        .value_kind:     hidden_group_size_y
      - .offset:         496
        .size:           2
        .value_kind:     hidden_group_size_z
      - .offset:         498
        .size:           2
        .value_kind:     hidden_remainder_x
      - .offset:         500
        .size:           2
        .value_kind:     hidden_remainder_y
      - .offset:         502
        .size:           2
        .value_kind:     hidden_remainder_z
      - .offset:         520
        .size:           8
        .value_kind:     hidden_global_offset_x
      - .offset:         528
        .size:           8
        .value_kind:     hidden_global_offset_y
      - .offset:         536
        .size:           8
        .value_kind:     hidden_global_offset_z
      - .offset:         544
        .size:           2
        .value_kind:     hidden_grid_dims
    .group_segment_fixed_size: 1024
    .kernarg_segment_align: 8
    .kernarg_segment_size: 736
    .language:       OpenCL C
    .language_version:
      - 2
      - 0
    .max_flat_workgroup_size: 256
    .name:           _ZN2at6native6mbtopk23computeBlockDigitCountsIN3c104HalfEmjLi2EEEvNS_4cuda6detail10TensorInfoIKT_T0_EEjPjjSA_iijT1_PSD_Ps
    .private_segment_fixed_size: 0
    .sgpr_count:     32
    .sgpr_spill_count: 0
    .symbol:         _ZN2at6native6mbtopk23computeBlockDigitCountsIN3c104HalfEmjLi2EEEvNS_4cuda6detail10TensorInfoIKT_T0_EEjPjjSA_iijT1_PSD_Ps.kd
    .uniform_work_group_size: 1
    .uses_dynamic_stack: false
    .vgpr_count:     10
    .vgpr_spill_count: 0
    .wavefront_size: 32
  - .args:
      - .offset:         0
        .size:           416
        .value_kind:     by_value
      - .offset:         416
        .size:           8
        .value_kind:     by_value
      - .offset:         424
        .size:           8
        .value_kind:     by_value
      - .offset:         432
        .size:           1
        .value_kind:     by_value
      - .offset:         436
        .size:           4
        .value_kind:     by_value
      - .offset:         440
        .size:           8
        .value_kind:     by_value
      - .offset:         448
        .size:           416
        .value_kind:     by_value
      - .offset:         864
        .size:           8
        .value_kind:     by_value
      - .offset:         872
        .size:           416
        .value_kind:     by_value
      - .offset:         1288
        .size:           8
        .value_kind:     by_value
      - .offset:         1296
        .size:           4
        .value_kind:     by_value
      - .offset:         1300
        .size:           4
        .value_kind:     by_value
      - .address_space:  global
        .offset:         1304
        .size:           8
        .value_kind:     global_buffer
      - .address_space:  global
        .offset:         1312
        .size:           8
        .value_kind:     global_buffer
      - .address_space:  global
        .offset:         1320
        .size:           8
        .value_kind:     global_buffer
      - .offset:         1328
        .size:           4
        .value_kind:     by_value
      - .offset:         1336
        .size:           4
        .value_kind:     hidden_block_count_x
      - .offset:         1340
        .size:           4
        .value_kind:     hidden_block_count_y
      - .offset:         1344
        .size:           4
        .value_kind:     hidden_block_count_z
      - .offset:         1348
        .size:           2
        .value_kind:     hidden_group_size_x
      - .offset:         1350
        .size:           2
        .value_kind:     hidden_group_size_y
      - .offset:         1352
        .size:           2
        .value_kind:     hidden_group_size_z
      - .offset:         1354
        .size:           2
        .value_kind:     hidden_remainder_x
      - .offset:         1356
        .size:           2
        .value_kind:     hidden_remainder_y
      - .offset:         1358
        .size:           2
        .value_kind:     hidden_remainder_z
      - .offset:         1376
        .size:           8
        .value_kind:     hidden_global_offset_x
      - .offset:         1384
        .size:           8
        .value_kind:     hidden_global_offset_y
      - .offset:         1392
        .size:           8
        .value_kind:     hidden_global_offset_z
      - .offset:         1400
        .size:           2
        .value_kind:     hidden_grid_dims
    .group_segment_fixed_size: 1068
    .kernarg_segment_align: 8
    .kernarg_segment_size: 1592
    .language:       OpenCL C
    .language_version:
      - 2
      - 0
    .max_flat_workgroup_size: 256
    .name:           _ZN2at6native6mbtopk10gatherTopKIN3c104HalfEmLi2EEEvNS_4cuda6detail10TensorInfoIKT_T0_EESA_SA_bjSA_NS7_IS8_SA_EESA_NS7_IlSA_EESA_jjPS8_PjSF_j
    .private_segment_fixed_size: 0
    .sgpr_count:     52
    .sgpr_spill_count: 0
    .symbol:         _ZN2at6native6mbtopk10gatherTopKIN3c104HalfEmLi2EEEvNS_4cuda6detail10TensorInfoIKT_T0_EESA_SA_bjSA_NS7_IS8_SA_EESA_NS7_IlSA_EESA_jjPS8_PjSF_j.kd
    .uniform_work_group_size: 1
    .uses_dynamic_stack: false
    .vgpr_count:     26
    .vgpr_spill_count: 0
    .wavefront_size: 32
  - .args:
      - .offset:         0
        .size:           416
        .value_kind:     by_value
      - .offset:         416
        .size:           8
        .value_kind:     by_value
      - .offset:         424
        .size:           8
        .value_kind:     by_value
      - .offset:         432
        .size:           1
        .value_kind:     by_value
      - .offset:         440
        .size:           8
        .value_kind:     by_value
      - .offset:         448
        .size:           8
        .value_kind:     by_value
      - .offset:         456
        .size:           416
        .value_kind:     by_value
      - .offset:         872
        .size:           8
        .value_kind:     by_value
      - .offset:         880
        .size:           416
        .value_kind:     by_value
      - .offset:         1296
        .size:           8
        .value_kind:     by_value
      - .address_space:  global
        .offset:         1304
        .size:           8
        .value_kind:     global_buffer
      - .offset:         1312
        .size:           4
        .value_kind:     hidden_block_count_x
      - .offset:         1316
        .size:           4
        .value_kind:     hidden_block_count_y
      - .offset:         1320
        .size:           4
        .value_kind:     hidden_block_count_z
      - .offset:         1324
        .size:           2
        .value_kind:     hidden_group_size_x
      - .offset:         1326
        .size:           2
        .value_kind:     hidden_group_size_y
      - .offset:         1328
        .size:           2
        .value_kind:     hidden_group_size_z
      - .offset:         1330
        .size:           2
        .value_kind:     hidden_remainder_x
      - .offset:         1332
        .size:           2
        .value_kind:     hidden_remainder_y
      - .offset:         1334
        .size:           2
        .value_kind:     hidden_remainder_z
      - .offset:         1352
        .size:           8
        .value_kind:     hidden_global_offset_x
      - .offset:         1360
        .size:           8
        .value_kind:     hidden_global_offset_y
      - .offset:         1368
        .size:           8
        .value_kind:     hidden_global_offset_z
      - .offset:         1376
        .size:           2
        .value_kind:     hidden_grid_dims
    .group_segment_fixed_size: 5152
    .kernarg_segment_align: 8
    .kernarg_segment_size: 1568
    .language:       OpenCL C
    .language_version:
      - 2
      - 0
    .max_flat_workgroup_size: 1024
    .name:           _ZN2at6native6sbtopk10gatherTopKIN3c104HalfEmLi2ELb0EEEvNS_4cuda6detail10TensorInfoIKT_T0_EESA_SA_bSA_SA_NS7_IS8_SA_EESA_NS7_IlSA_EESA_PS8_
    .private_segment_fixed_size: 0
    .sgpr_count:     107
    .sgpr_spill_count: 19
    .symbol:         _ZN2at6native6sbtopk10gatherTopKIN3c104HalfEmLi2ELb0EEEvNS_4cuda6detail10TensorInfoIKT_T0_EESA_SA_bSA_SA_NS7_IS8_SA_EESA_NS7_IlSA_EESA_PS8_.kd
    .uniform_work_group_size: 1
    .uses_dynamic_stack: false
    .vgpr_count:     47
    .vgpr_spill_count: 0
    .wavefront_size: 32
  - .args:
      - .offset:         0
        .size:           416
        .value_kind:     by_value
      - .offset:         416
        .size:           4
        .value_kind:     by_value
      - .address_space:  global
        .offset:         424
        .size:           8
        .value_kind:     global_buffer
      - .offset:         432
        .size:           4
        .value_kind:     by_value
      - .offset:         440
        .size:           8
        .value_kind:     by_value
      - .offset:         448
        .size:           4
        .value_kind:     by_value
      - .offset:         452
        .size:           4
        .value_kind:     by_value
      - .offset:         456
        .size:           4
        .value_kind:     by_value
      - .offset:         460
        .size:           4
        .value_kind:     by_value
      - .address_space:  global
        .offset:         464
        .size:           8
        .value_kind:     global_buffer
      - .address_space:  global
        .offset:         472
        .size:           8
        .value_kind:     global_buffer
      - .offset:         480
        .size:           4
        .value_kind:     hidden_block_count_x
      - .offset:         484
        .size:           4
        .value_kind:     hidden_block_count_y
      - .offset:         488
        .size:           4
        .value_kind:     hidden_block_count_z
      - .offset:         492
        .size:           2
        .value_kind:     hidden_group_size_x
      - .offset:         494
        .size:           2
        .value_kind:     hidden_group_size_y
      - .offset:         496
        .size:           2
        .value_kind:     hidden_group_size_z
      - .offset:         498
        .size:           2
        .value_kind:     hidden_remainder_x
      - .offset:         500
        .size:           2
        .value_kind:     hidden_remainder_y
      - .offset:         502
        .size:           2
        .value_kind:     hidden_remainder_z
      - .offset:         520
        .size:           8
        .value_kind:     hidden_global_offset_x
      - .offset:         528
        .size:           8
        .value_kind:     hidden_global_offset_y
      - .offset:         536
        .size:           8
        .value_kind:     hidden_global_offset_z
      - .offset:         544
        .size:           2
        .value_kind:     hidden_grid_dims
    .group_segment_fixed_size: 1024
    .kernarg_segment_align: 8
    .kernarg_segment_size: 736
    .language:       OpenCL C
    .language_version:
      - 2
      - 0
    .max_flat_workgroup_size: 256
    .name:           _ZN2at6native6mbtopk23computeBlockDigitCountsIN3c104HalfEmjLi3EEEvNS_4cuda6detail10TensorInfoIKT_T0_EEjPjjSA_iijT1_PSD_Ps
    .private_segment_fixed_size: 0
    .sgpr_count:     40
    .sgpr_spill_count: 0
    .symbol:         _ZN2at6native6mbtopk23computeBlockDigitCountsIN3c104HalfEmjLi3EEEvNS_4cuda6detail10TensorInfoIKT_T0_EEjPjjSA_iijT1_PSD_Ps.kd
    .uniform_work_group_size: 1
    .uses_dynamic_stack: false
    .vgpr_count:     10
    .vgpr_spill_count: 0
    .wavefront_size: 32
  - .args:
      - .offset:         0
        .size:           416
        .value_kind:     by_value
      - .offset:         416
        .size:           8
        .value_kind:     by_value
      - .offset:         424
        .size:           8
        .value_kind:     by_value
      - .offset:         432
        .size:           1
        .value_kind:     by_value
      - .offset:         436
        .size:           4
        .value_kind:     by_value
      - .offset:         440
        .size:           8
        .value_kind:     by_value
      - .offset:         448
        .size:           416
        .value_kind:     by_value
      - .offset:         864
        .size:           8
        .value_kind:     by_value
      - .offset:         872
        .size:           416
        .value_kind:     by_value
      - .offset:         1288
        .size:           8
        .value_kind:     by_value
      - .offset:         1296
        .size:           4
        .value_kind:     by_value
      - .offset:         1300
        .size:           4
        .value_kind:     by_value
      - .address_space:  global
        .offset:         1304
        .size:           8
        .value_kind:     global_buffer
      - .address_space:  global
        .offset:         1312
        .size:           8
        .value_kind:     global_buffer
      - .address_space:  global
        .offset:         1320
        .size:           8
        .value_kind:     global_buffer
      - .offset:         1328
        .size:           4
        .value_kind:     by_value
      - .offset:         1336
        .size:           4
        .value_kind:     hidden_block_count_x
      - .offset:         1340
        .size:           4
        .value_kind:     hidden_block_count_y
      - .offset:         1344
        .size:           4
        .value_kind:     hidden_block_count_z
      - .offset:         1348
        .size:           2
        .value_kind:     hidden_group_size_x
      - .offset:         1350
        .size:           2
        .value_kind:     hidden_group_size_y
      - .offset:         1352
        .size:           2
        .value_kind:     hidden_group_size_z
      - .offset:         1354
        .size:           2
        .value_kind:     hidden_remainder_x
      - .offset:         1356
        .size:           2
        .value_kind:     hidden_remainder_y
      - .offset:         1358
        .size:           2
        .value_kind:     hidden_remainder_z
      - .offset:         1376
        .size:           8
        .value_kind:     hidden_global_offset_x
      - .offset:         1384
        .size:           8
        .value_kind:     hidden_global_offset_y
      - .offset:         1392
        .size:           8
        .value_kind:     hidden_global_offset_z
      - .offset:         1400
        .size:           2
        .value_kind:     hidden_grid_dims
    .group_segment_fixed_size: 1068
    .kernarg_segment_align: 8
    .kernarg_segment_size: 1592
    .language:       OpenCL C
    .language_version:
      - 2
      - 0
    .max_flat_workgroup_size: 256
    .name:           _ZN2at6native6mbtopk10gatherTopKIN3c104HalfEmLi3EEEvNS_4cuda6detail10TensorInfoIKT_T0_EESA_SA_bjSA_NS7_IS8_SA_EESA_NS7_IlSA_EESA_jjPS8_PjSF_j
    .private_segment_fixed_size: 0
    .sgpr_count:     79
    .sgpr_spill_count: 0
    .symbol:         _ZN2at6native6mbtopk10gatherTopKIN3c104HalfEmLi3EEEvNS_4cuda6detail10TensorInfoIKT_T0_EESA_SA_bjSA_NS7_IS8_SA_EESA_NS7_IlSA_EESA_jjPS8_PjSF_j.kd
    .uniform_work_group_size: 1
    .uses_dynamic_stack: false
    .vgpr_count:     26
    .vgpr_spill_count: 0
    .wavefront_size: 32
  - .args:
      - .offset:         0
        .size:           416
        .value_kind:     by_value
      - .offset:         416
        .size:           8
        .value_kind:     by_value
      - .offset:         424
        .size:           8
        .value_kind:     by_value
      - .offset:         432
        .size:           1
        .value_kind:     by_value
      - .offset:         440
        .size:           8
        .value_kind:     by_value
      - .offset:         448
        .size:           8
        .value_kind:     by_value
      - .offset:         456
        .size:           416
        .value_kind:     by_value
      - .offset:         872
        .size:           8
        .value_kind:     by_value
      - .offset:         880
        .size:           416
        .value_kind:     by_value
      - .offset:         1296
        .size:           8
        .value_kind:     by_value
      - .address_space:  global
        .offset:         1304
        .size:           8
        .value_kind:     global_buffer
      - .offset:         1312
        .size:           4
        .value_kind:     hidden_block_count_x
      - .offset:         1316
        .size:           4
        .value_kind:     hidden_block_count_y
      - .offset:         1320
        .size:           4
        .value_kind:     hidden_block_count_z
      - .offset:         1324
        .size:           2
        .value_kind:     hidden_group_size_x
      - .offset:         1326
        .size:           2
        .value_kind:     hidden_group_size_y
      - .offset:         1328
        .size:           2
        .value_kind:     hidden_group_size_z
      - .offset:         1330
        .size:           2
        .value_kind:     hidden_remainder_x
      - .offset:         1332
        .size:           2
        .value_kind:     hidden_remainder_y
      - .offset:         1334
        .size:           2
        .value_kind:     hidden_remainder_z
      - .offset:         1352
        .size:           8
        .value_kind:     hidden_global_offset_x
      - .offset:         1360
        .size:           8
        .value_kind:     hidden_global_offset_y
      - .offset:         1368
        .size:           8
        .value_kind:     hidden_global_offset_z
      - .offset:         1376
        .size:           2
        .value_kind:     hidden_grid_dims
    .group_segment_fixed_size: 5152
    .kernarg_segment_align: 8
    .kernarg_segment_size: 1568
    .language:       OpenCL C
    .language_version:
      - 2
      - 0
    .max_flat_workgroup_size: 1024
    .name:           _ZN2at6native6sbtopk10gatherTopKIN3c104HalfEmLi3ELb0EEEvNS_4cuda6detail10TensorInfoIKT_T0_EESA_SA_bSA_SA_NS7_IS8_SA_EESA_NS7_IlSA_EESA_PS8_
    .private_segment_fixed_size: 0
    .sgpr_count:     107
    .sgpr_spill_count: 27
    .symbol:         _ZN2at6native6sbtopk10gatherTopKIN3c104HalfEmLi3ELb0EEEvNS_4cuda6detail10TensorInfoIKT_T0_EESA_SA_bSA_SA_NS7_IS8_SA_EESA_NS7_IlSA_EESA_PS8_.kd
    .uniform_work_group_size: 1
    .uses_dynamic_stack: false
    .vgpr_count:     47
    .vgpr_spill_count: 0
    .wavefront_size: 32
  - .args:
      - .offset:         0
        .size:           416
        .value_kind:     by_value
      - .offset:         416
        .size:           4
        .value_kind:     by_value
      - .address_space:  global
        .offset:         424
        .size:           8
        .value_kind:     global_buffer
      - .offset:         432
        .size:           4
        .value_kind:     by_value
      - .offset:         440
        .size:           8
        .value_kind:     by_value
      - .offset:         448
        .size:           4
        .value_kind:     by_value
      - .offset:         452
        .size:           4
        .value_kind:     by_value
      - .offset:         456
        .size:           4
        .value_kind:     by_value
      - .offset:         460
        .size:           4
        .value_kind:     by_value
      - .address_space:  global
        .offset:         464
        .size:           8
        .value_kind:     global_buffer
      - .address_space:  global
        .offset:         472
        .size:           8
        .value_kind:     global_buffer
      - .offset:         480
        .size:           4
        .value_kind:     hidden_block_count_x
      - .offset:         484
        .size:           4
        .value_kind:     hidden_block_count_y
      - .offset:         488
        .size:           4
        .value_kind:     hidden_block_count_z
      - .offset:         492
        .size:           2
        .value_kind:     hidden_group_size_x
      - .offset:         494
        .size:           2
        .value_kind:     hidden_group_size_y
      - .offset:         496
        .size:           2
        .value_kind:     hidden_group_size_z
      - .offset:         498
        .size:           2
        .value_kind:     hidden_remainder_x
      - .offset:         500
        .size:           2
        .value_kind:     hidden_remainder_y
      - .offset:         502
        .size:           2
        .value_kind:     hidden_remainder_z
      - .offset:         520
        .size:           8
        .value_kind:     hidden_global_offset_x
      - .offset:         528
        .size:           8
        .value_kind:     hidden_global_offset_y
      - .offset:         536
        .size:           8
        .value_kind:     hidden_global_offset_z
      - .offset:         544
        .size:           2
        .value_kind:     hidden_grid_dims
    .group_segment_fixed_size: 1024
    .kernarg_segment_align: 8
    .kernarg_segment_size: 736
    .language:       OpenCL C
    .language_version:
      - 2
      - 0
    .max_flat_workgroup_size: 256
    .name:           _ZN2at6native6mbtopk23computeBlockDigitCountsIN3c104HalfEmjLin1EEEvNS_4cuda6detail10TensorInfoIKT_T0_EEjPjjSA_iijT1_PSD_Ps
    .private_segment_fixed_size: 0
    .sgpr_count:     30
    .sgpr_spill_count: 0
    .symbol:         _ZN2at6native6mbtopk23computeBlockDigitCountsIN3c104HalfEmjLin1EEEvNS_4cuda6detail10TensorInfoIKT_T0_EEjPjjSA_iijT1_PSD_Ps.kd
    .uniform_work_group_size: 1
    .uses_dynamic_stack: false
    .vgpr_count:     10
    .vgpr_spill_count: 0
    .wavefront_size: 32
  - .args:
      - .offset:         0
        .size:           416
        .value_kind:     by_value
      - .offset:         416
        .size:           8
        .value_kind:     by_value
      - .offset:         424
        .size:           8
        .value_kind:     by_value
      - .offset:         432
        .size:           1
        .value_kind:     by_value
      - .offset:         436
        .size:           4
        .value_kind:     by_value
      - .offset:         440
        .size:           8
        .value_kind:     by_value
      - .offset:         448
        .size:           416
        .value_kind:     by_value
      - .offset:         864
        .size:           8
        .value_kind:     by_value
      - .offset:         872
        .size:           416
        .value_kind:     by_value
      - .offset:         1288
        .size:           8
        .value_kind:     by_value
      - .offset:         1296
        .size:           4
        .value_kind:     by_value
      - .offset:         1300
        .size:           4
        .value_kind:     by_value
      - .address_space:  global
        .offset:         1304
        .size:           8
        .value_kind:     global_buffer
      - .address_space:  global
        .offset:         1312
        .size:           8
        .value_kind:     global_buffer
      - .address_space:  global
        .offset:         1320
        .size:           8
        .value_kind:     global_buffer
      - .offset:         1328
        .size:           4
        .value_kind:     by_value
      - .offset:         1336
        .size:           4
        .value_kind:     hidden_block_count_x
      - .offset:         1340
        .size:           4
        .value_kind:     hidden_block_count_y
      - .offset:         1344
        .size:           4
        .value_kind:     hidden_block_count_z
      - .offset:         1348
        .size:           2
        .value_kind:     hidden_group_size_x
      - .offset:         1350
        .size:           2
        .value_kind:     hidden_group_size_y
      - .offset:         1352
        .size:           2
        .value_kind:     hidden_group_size_z
      - .offset:         1354
        .size:           2
        .value_kind:     hidden_remainder_x
      - .offset:         1356
        .size:           2
        .value_kind:     hidden_remainder_y
      - .offset:         1358
        .size:           2
        .value_kind:     hidden_remainder_z
      - .offset:         1376
        .size:           8
        .value_kind:     hidden_global_offset_x
      - .offset:         1384
        .size:           8
        .value_kind:     hidden_global_offset_y
      - .offset:         1392
        .size:           8
        .value_kind:     hidden_global_offset_z
      - .offset:         1400
        .size:           2
        .value_kind:     hidden_grid_dims
    .group_segment_fixed_size: 1068
    .kernarg_segment_align: 8
    .kernarg_segment_size: 1592
    .language:       OpenCL C
    .language_version:
      - 2
      - 0
    .max_flat_workgroup_size: 256
    .name:           _ZN2at6native6mbtopk10gatherTopKIN3c104HalfEmLin1EEEvNS_4cuda6detail10TensorInfoIKT_T0_EESA_SA_bjSA_NS7_IS8_SA_EESA_NS7_IlSA_EESA_jjPS8_PjSF_j
    .private_segment_fixed_size: 0
    .sgpr_count:     51
    .sgpr_spill_count: 0
    .symbol:         _ZN2at6native6mbtopk10gatherTopKIN3c104HalfEmLin1EEEvNS_4cuda6detail10TensorInfoIKT_T0_EESA_SA_bjSA_NS7_IS8_SA_EESA_NS7_IlSA_EESA_jjPS8_PjSF_j.kd
    .uniform_work_group_size: 1
    .uses_dynamic_stack: false
    .vgpr_count:     26
    .vgpr_spill_count: 0
    .wavefront_size: 32
  - .args:
      - .offset:         0
        .size:           416
        .value_kind:     by_value
      - .offset:         416
        .size:           8
        .value_kind:     by_value
      - .offset:         424
        .size:           8
        .value_kind:     by_value
      - .offset:         432
        .size:           1
        .value_kind:     by_value
      - .offset:         440
        .size:           8
        .value_kind:     by_value
      - .offset:         448
        .size:           8
        .value_kind:     by_value
      - .offset:         456
        .size:           416
        .value_kind:     by_value
      - .offset:         872
        .size:           8
        .value_kind:     by_value
      - .offset:         880
        .size:           416
        .value_kind:     by_value
      - .offset:         1296
        .size:           8
        .value_kind:     by_value
      - .address_space:  global
        .offset:         1304
        .size:           8
        .value_kind:     global_buffer
      - .offset:         1312
        .size:           4
        .value_kind:     hidden_block_count_x
      - .offset:         1316
        .size:           4
        .value_kind:     hidden_block_count_y
      - .offset:         1320
        .size:           4
        .value_kind:     hidden_block_count_z
      - .offset:         1324
        .size:           2
        .value_kind:     hidden_group_size_x
      - .offset:         1326
        .size:           2
        .value_kind:     hidden_group_size_y
      - .offset:         1328
        .size:           2
        .value_kind:     hidden_group_size_z
      - .offset:         1330
        .size:           2
        .value_kind:     hidden_remainder_x
      - .offset:         1332
        .size:           2
        .value_kind:     hidden_remainder_y
      - .offset:         1334
        .size:           2
        .value_kind:     hidden_remainder_z
      - .offset:         1352
        .size:           8
        .value_kind:     hidden_global_offset_x
      - .offset:         1360
        .size:           8
        .value_kind:     hidden_global_offset_y
      - .offset:         1368
        .size:           8
        .value_kind:     hidden_global_offset_z
      - .offset:         1376
        .size:           2
        .value_kind:     hidden_grid_dims
    .group_segment_fixed_size: 5152
    .kernarg_segment_align: 8
    .kernarg_segment_size: 1568
    .language:       OpenCL C
    .language_version:
      - 2
      - 0
    .max_flat_workgroup_size: 1024
    .name:           _ZN2at6native6sbtopk10gatherTopKIN3c104HalfEmLin1ELb0EEEvNS_4cuda6detail10TensorInfoIKT_T0_EESA_SA_bSA_SA_NS7_IS8_SA_EESA_NS7_IlSA_EESA_PS8_
    .private_segment_fixed_size: 0
    .sgpr_count:     107
    .sgpr_spill_count: 24
    .symbol:         _ZN2at6native6sbtopk10gatherTopKIN3c104HalfEmLin1ELb0EEEvNS_4cuda6detail10TensorInfoIKT_T0_EESA_SA_bSA_SA_NS7_IS8_SA_EESA_NS7_IlSA_EESA_PS8_.kd
    .uniform_work_group_size: 1
    .uses_dynamic_stack: false
    .vgpr_count:     64
    .vgpr_spill_count: 0
    .wavefront_size: 32
  - .args:
      - .offset:         0
        .size:           416
        .value_kind:     by_value
      - .offset:         416
        .size:           4
        .value_kind:     by_value
      - .address_space:  global
        .offset:         424
        .size:           8
        .value_kind:     global_buffer
      - .offset:         432
        .size:           4
        .value_kind:     by_value
      - .offset:         440
        .size:           8
        .value_kind:     by_value
      - .offset:         448
        .size:           4
        .value_kind:     by_value
      - .offset:         452
        .size:           4
        .value_kind:     by_value
      - .offset:         456
        .size:           4
        .value_kind:     by_value
      - .offset:         460
        .size:           4
        .value_kind:     by_value
      - .address_space:  global
        .offset:         464
        .size:           8
        .value_kind:     global_buffer
      - .address_space:  global
        .offset:         472
        .size:           8
        .value_kind:     global_buffer
      - .offset:         480
        .size:           4
        .value_kind:     hidden_block_count_x
      - .offset:         484
        .size:           4
        .value_kind:     hidden_block_count_y
      - .offset:         488
        .size:           4
        .value_kind:     hidden_block_count_z
      - .offset:         492
        .size:           2
        .value_kind:     hidden_group_size_x
      - .offset:         494
        .size:           2
        .value_kind:     hidden_group_size_y
      - .offset:         496
        .size:           2
        .value_kind:     hidden_group_size_z
      - .offset:         498
        .size:           2
        .value_kind:     hidden_remainder_x
      - .offset:         500
        .size:           2
        .value_kind:     hidden_remainder_y
      - .offset:         502
        .size:           2
        .value_kind:     hidden_remainder_z
      - .offset:         520
        .size:           8
        .value_kind:     hidden_global_offset_x
      - .offset:         528
        .size:           8
        .value_kind:     hidden_global_offset_y
      - .offset:         536
        .size:           8
        .value_kind:     hidden_global_offset_z
      - .offset:         544
        .size:           2
        .value_kind:     hidden_grid_dims
    .group_segment_fixed_size: 1024
    .kernarg_segment_align: 8
    .kernarg_segment_size: 736
    .language:       OpenCL C
    .language_version:
      - 2
      - 0
    .max_flat_workgroup_size: 256
    .name:           _ZN2at6native6mbtopk23computeBlockDigitCountsIN3c108BFloat16EmjLi1EEEvNS_4cuda6detail10TensorInfoIKT_T0_EEjPjjSA_iijT1_PSD_Ps
    .private_segment_fixed_size: 0
    .sgpr_count:     26
    .sgpr_spill_count: 0
    .symbol:         _ZN2at6native6mbtopk23computeBlockDigitCountsIN3c108BFloat16EmjLi1EEEvNS_4cuda6detail10TensorInfoIKT_T0_EEjPjjSA_iijT1_PSD_Ps.kd
    .uniform_work_group_size: 1
    .uses_dynamic_stack: false
    .vgpr_count:     10
    .vgpr_spill_count: 0
    .wavefront_size: 32
  - .args:
      - .offset:         0
        .size:           416
        .value_kind:     by_value
      - .offset:         416
        .size:           8
        .value_kind:     by_value
      - .offset:         424
        .size:           8
        .value_kind:     by_value
      - .offset:         432
        .size:           1
        .value_kind:     by_value
      - .offset:         436
        .size:           4
        .value_kind:     by_value
      - .offset:         440
        .size:           8
        .value_kind:     by_value
      - .offset:         448
        .size:           416
        .value_kind:     by_value
      - .offset:         864
        .size:           8
        .value_kind:     by_value
      - .offset:         872
        .size:           416
        .value_kind:     by_value
      - .offset:         1288
        .size:           8
        .value_kind:     by_value
      - .offset:         1296
        .size:           4
        .value_kind:     by_value
      - .offset:         1300
        .size:           4
        .value_kind:     by_value
      - .address_space:  global
        .offset:         1304
        .size:           8
        .value_kind:     global_buffer
      - .address_space:  global
        .offset:         1312
        .size:           8
        .value_kind:     global_buffer
      - .address_space:  global
        .offset:         1320
        .size:           8
        .value_kind:     global_buffer
      - .offset:         1328
        .size:           4
        .value_kind:     by_value
      - .offset:         1336
        .size:           4
        .value_kind:     hidden_block_count_x
      - .offset:         1340
        .size:           4
        .value_kind:     hidden_block_count_y
      - .offset:         1344
        .size:           4
        .value_kind:     hidden_block_count_z
      - .offset:         1348
        .size:           2
        .value_kind:     hidden_group_size_x
      - .offset:         1350
        .size:           2
        .value_kind:     hidden_group_size_y
      - .offset:         1352
        .size:           2
        .value_kind:     hidden_group_size_z
      - .offset:         1354
        .size:           2
        .value_kind:     hidden_remainder_x
      - .offset:         1356
        .size:           2
        .value_kind:     hidden_remainder_y
      - .offset:         1358
        .size:           2
        .value_kind:     hidden_remainder_z
      - .offset:         1376
        .size:           8
        .value_kind:     hidden_global_offset_x
      - .offset:         1384
        .size:           8
        .value_kind:     hidden_global_offset_y
      - .offset:         1392
        .size:           8
        .value_kind:     hidden_global_offset_z
      - .offset:         1400
        .size:           2
        .value_kind:     hidden_grid_dims
    .group_segment_fixed_size: 1068
    .kernarg_segment_align: 8
    .kernarg_segment_size: 1592
    .language:       OpenCL C
    .language_version:
      - 2
      - 0
    .max_flat_workgroup_size: 256
    .name:           _ZN2at6native6mbtopk10gatherTopKIN3c108BFloat16EmLi1EEEvNS_4cuda6detail10TensorInfoIKT_T0_EESA_SA_bjSA_NS7_IS8_SA_EESA_NS7_IlSA_EESA_jjPS8_PjSF_j
    .private_segment_fixed_size: 0
    .sgpr_count:     37
    .sgpr_spill_count: 0
    .symbol:         _ZN2at6native6mbtopk10gatherTopKIN3c108BFloat16EmLi1EEEvNS_4cuda6detail10TensorInfoIKT_T0_EESA_SA_bjSA_NS7_IS8_SA_EESA_NS7_IlSA_EESA_jjPS8_PjSF_j.kd
    .uniform_work_group_size: 1
    .uses_dynamic_stack: false
    .vgpr_count:     26
    .vgpr_spill_count: 0
    .wavefront_size: 32
  - .args:
      - .offset:         0
        .size:           416
        .value_kind:     by_value
      - .offset:         416
        .size:           8
        .value_kind:     by_value
      - .offset:         424
        .size:           8
        .value_kind:     by_value
      - .offset:         432
        .size:           1
        .value_kind:     by_value
      - .offset:         440
        .size:           8
        .value_kind:     by_value
      - .offset:         448
        .size:           8
        .value_kind:     by_value
      - .offset:         456
        .size:           416
        .value_kind:     by_value
      - .offset:         872
        .size:           8
        .value_kind:     by_value
      - .offset:         880
        .size:           416
        .value_kind:     by_value
      - .offset:         1296
        .size:           8
        .value_kind:     by_value
      - .address_space:  global
        .offset:         1304
        .size:           8
        .value_kind:     global_buffer
      - .offset:         1312
        .size:           4
        .value_kind:     hidden_block_count_x
      - .offset:         1316
        .size:           4
        .value_kind:     hidden_block_count_y
      - .offset:         1320
        .size:           4
        .value_kind:     hidden_block_count_z
      - .offset:         1324
        .size:           2
        .value_kind:     hidden_group_size_x
      - .offset:         1326
        .size:           2
        .value_kind:     hidden_group_size_y
      - .offset:         1328
        .size:           2
        .value_kind:     hidden_group_size_z
      - .offset:         1330
        .size:           2
        .value_kind:     hidden_remainder_x
      - .offset:         1332
        .size:           2
        .value_kind:     hidden_remainder_y
      - .offset:         1334
        .size:           2
        .value_kind:     hidden_remainder_z
      - .offset:         1352
        .size:           8
        .value_kind:     hidden_global_offset_x
      - .offset:         1360
        .size:           8
        .value_kind:     hidden_global_offset_y
      - .offset:         1368
        .size:           8
        .value_kind:     hidden_global_offset_z
      - .offset:         1376
        .size:           2
        .value_kind:     hidden_grid_dims
    .group_segment_fixed_size: 5152
    .kernarg_segment_align: 8
    .kernarg_segment_size: 1568
    .language:       OpenCL C
    .language_version:
      - 2
      - 0
    .max_flat_workgroup_size: 1024
    .name:           _ZN2at6native6sbtopk10gatherTopKIN3c108BFloat16EmLi1ELb0EEEvNS_4cuda6detail10TensorInfoIKT_T0_EESA_SA_bSA_SA_NS7_IS8_SA_EESA_NS7_IlSA_EESA_PS8_
    .private_segment_fixed_size: 0
    .sgpr_count:     107
    .sgpr_spill_count: 13
    .symbol:         _ZN2at6native6sbtopk10gatherTopKIN3c108BFloat16EmLi1ELb0EEEvNS_4cuda6detail10TensorInfoIKT_T0_EESA_SA_bSA_SA_NS7_IS8_SA_EESA_NS7_IlSA_EESA_PS8_.kd
    .uniform_work_group_size: 1
    .uses_dynamic_stack: false
    .vgpr_count:     57
    .vgpr_spill_count: 0
    .wavefront_size: 32
  - .args:
      - .offset:         0
        .size:           416
        .value_kind:     by_value
      - .offset:         416
        .size:           4
        .value_kind:     by_value
      - .address_space:  global
        .offset:         424
        .size:           8
        .value_kind:     global_buffer
      - .offset:         432
        .size:           4
        .value_kind:     by_value
      - .offset:         440
        .size:           8
        .value_kind:     by_value
      - .offset:         448
        .size:           4
        .value_kind:     by_value
      - .offset:         452
        .size:           4
        .value_kind:     by_value
      - .offset:         456
        .size:           4
        .value_kind:     by_value
      - .offset:         460
        .size:           4
        .value_kind:     by_value
      - .address_space:  global
        .offset:         464
        .size:           8
        .value_kind:     global_buffer
      - .address_space:  global
        .offset:         472
        .size:           8
        .value_kind:     global_buffer
      - .offset:         480
        .size:           4
        .value_kind:     hidden_block_count_x
      - .offset:         484
        .size:           4
        .value_kind:     hidden_block_count_y
      - .offset:         488
        .size:           4
        .value_kind:     hidden_block_count_z
      - .offset:         492
        .size:           2
        .value_kind:     hidden_group_size_x
      - .offset:         494
        .size:           2
        .value_kind:     hidden_group_size_y
      - .offset:         496
        .size:           2
        .value_kind:     hidden_group_size_z
      - .offset:         498
        .size:           2
        .value_kind:     hidden_remainder_x
      - .offset:         500
        .size:           2
        .value_kind:     hidden_remainder_y
      - .offset:         502
        .size:           2
        .value_kind:     hidden_remainder_z
      - .offset:         520
        .size:           8
        .value_kind:     hidden_global_offset_x
      - .offset:         528
        .size:           8
        .value_kind:     hidden_global_offset_y
      - .offset:         536
        .size:           8
        .value_kind:     hidden_global_offset_z
      - .offset:         544
        .size:           2
        .value_kind:     hidden_grid_dims
    .group_segment_fixed_size: 1024
    .kernarg_segment_align: 8
    .kernarg_segment_size: 736
    .language:       OpenCL C
    .language_version:
      - 2
      - 0
    .max_flat_workgroup_size: 256
    .name:           _ZN2at6native6mbtopk23computeBlockDigitCountsIN3c108BFloat16EmjLi2EEEvNS_4cuda6detail10TensorInfoIKT_T0_EEjPjjSA_iijT1_PSD_Ps
    .private_segment_fixed_size: 0
    .sgpr_count:     32
    .sgpr_spill_count: 0
    .symbol:         _ZN2at6native6mbtopk23computeBlockDigitCountsIN3c108BFloat16EmjLi2EEEvNS_4cuda6detail10TensorInfoIKT_T0_EEjPjjSA_iijT1_PSD_Ps.kd
    .uniform_work_group_size: 1
    .uses_dynamic_stack: false
    .vgpr_count:     10
    .vgpr_spill_count: 0
    .wavefront_size: 32
  - .args:
      - .offset:         0
        .size:           416
        .value_kind:     by_value
      - .offset:         416
        .size:           8
        .value_kind:     by_value
      - .offset:         424
        .size:           8
        .value_kind:     by_value
      - .offset:         432
        .size:           1
        .value_kind:     by_value
      - .offset:         436
        .size:           4
        .value_kind:     by_value
      - .offset:         440
        .size:           8
        .value_kind:     by_value
      - .offset:         448
        .size:           416
        .value_kind:     by_value
      - .offset:         864
        .size:           8
        .value_kind:     by_value
      - .offset:         872
        .size:           416
        .value_kind:     by_value
      - .offset:         1288
        .size:           8
        .value_kind:     by_value
      - .offset:         1296
        .size:           4
        .value_kind:     by_value
      - .offset:         1300
        .size:           4
        .value_kind:     by_value
      - .address_space:  global
        .offset:         1304
        .size:           8
        .value_kind:     global_buffer
      - .address_space:  global
        .offset:         1312
        .size:           8
        .value_kind:     global_buffer
      - .address_space:  global
        .offset:         1320
        .size:           8
        .value_kind:     global_buffer
      - .offset:         1328
        .size:           4
        .value_kind:     by_value
      - .offset:         1336
        .size:           4
        .value_kind:     hidden_block_count_x
      - .offset:         1340
        .size:           4
        .value_kind:     hidden_block_count_y
      - .offset:         1344
        .size:           4
        .value_kind:     hidden_block_count_z
      - .offset:         1348
        .size:           2
        .value_kind:     hidden_group_size_x
      - .offset:         1350
        .size:           2
        .value_kind:     hidden_group_size_y
      - .offset:         1352
        .size:           2
        .value_kind:     hidden_group_size_z
      - .offset:         1354
        .size:           2
        .value_kind:     hidden_remainder_x
      - .offset:         1356
        .size:           2
        .value_kind:     hidden_remainder_y
      - .offset:         1358
        .size:           2
        .value_kind:     hidden_remainder_z
      - .offset:         1376
        .size:           8
        .value_kind:     hidden_global_offset_x
      - .offset:         1384
        .size:           8
        .value_kind:     hidden_global_offset_y
      - .offset:         1392
        .size:           8
        .value_kind:     hidden_global_offset_z
      - .offset:         1400
        .size:           2
        .value_kind:     hidden_grid_dims
    .group_segment_fixed_size: 1068
    .kernarg_segment_align: 8
    .kernarg_segment_size: 1592
    .language:       OpenCL C
    .language_version:
      - 2
      - 0
    .max_flat_workgroup_size: 256
    .name:           _ZN2at6native6mbtopk10gatherTopKIN3c108BFloat16EmLi2EEEvNS_4cuda6detail10TensorInfoIKT_T0_EESA_SA_bjSA_NS7_IS8_SA_EESA_NS7_IlSA_EESA_jjPS8_PjSF_j
    .private_segment_fixed_size: 0
    .sgpr_count:     52
    .sgpr_spill_count: 0
    .symbol:         _ZN2at6native6mbtopk10gatherTopKIN3c108BFloat16EmLi2EEEvNS_4cuda6detail10TensorInfoIKT_T0_EESA_SA_bjSA_NS7_IS8_SA_EESA_NS7_IlSA_EESA_jjPS8_PjSF_j.kd
    .uniform_work_group_size: 1
    .uses_dynamic_stack: false
    .vgpr_count:     26
    .vgpr_spill_count: 0
    .wavefront_size: 32
  - .args:
      - .offset:         0
        .size:           416
        .value_kind:     by_value
      - .offset:         416
        .size:           8
        .value_kind:     by_value
      - .offset:         424
        .size:           8
        .value_kind:     by_value
      - .offset:         432
        .size:           1
        .value_kind:     by_value
      - .offset:         440
        .size:           8
        .value_kind:     by_value
      - .offset:         448
        .size:           8
        .value_kind:     by_value
      - .offset:         456
        .size:           416
        .value_kind:     by_value
      - .offset:         872
        .size:           8
        .value_kind:     by_value
      - .offset:         880
        .size:           416
        .value_kind:     by_value
      - .offset:         1296
        .size:           8
        .value_kind:     by_value
      - .address_space:  global
        .offset:         1304
        .size:           8
        .value_kind:     global_buffer
      - .offset:         1312
        .size:           4
        .value_kind:     hidden_block_count_x
      - .offset:         1316
        .size:           4
        .value_kind:     hidden_block_count_y
      - .offset:         1320
        .size:           4
        .value_kind:     hidden_block_count_z
      - .offset:         1324
        .size:           2
        .value_kind:     hidden_group_size_x
      - .offset:         1326
        .size:           2
        .value_kind:     hidden_group_size_y
      - .offset:         1328
        .size:           2
        .value_kind:     hidden_group_size_z
      - .offset:         1330
        .size:           2
        .value_kind:     hidden_remainder_x
      - .offset:         1332
        .size:           2
        .value_kind:     hidden_remainder_y
      - .offset:         1334
        .size:           2
        .value_kind:     hidden_remainder_z
      - .offset:         1352
        .size:           8
        .value_kind:     hidden_global_offset_x
      - .offset:         1360
        .size:           8
        .value_kind:     hidden_global_offset_y
      - .offset:         1368
        .size:           8
        .value_kind:     hidden_global_offset_z
      - .offset:         1376
        .size:           2
        .value_kind:     hidden_grid_dims
    .group_segment_fixed_size: 5152
    .kernarg_segment_align: 8
    .kernarg_segment_size: 1568
    .language:       OpenCL C
    .language_version:
      - 2
      - 0
    .max_flat_workgroup_size: 1024
    .name:           _ZN2at6native6sbtopk10gatherTopKIN3c108BFloat16EmLi2ELb0EEEvNS_4cuda6detail10TensorInfoIKT_T0_EESA_SA_bSA_SA_NS7_IS8_SA_EESA_NS7_IlSA_EESA_PS8_
    .private_segment_fixed_size: 0
    .sgpr_count:     107
    .sgpr_spill_count: 20
    .symbol:         _ZN2at6native6sbtopk10gatherTopKIN3c108BFloat16EmLi2ELb0EEEvNS_4cuda6detail10TensorInfoIKT_T0_EESA_SA_bSA_SA_NS7_IS8_SA_EESA_NS7_IlSA_EESA_PS8_.kd
    .uniform_work_group_size: 1
    .uses_dynamic_stack: false
    .vgpr_count:     47
    .vgpr_spill_count: 0
    .wavefront_size: 32
  - .args:
      - .offset:         0
        .size:           416
        .value_kind:     by_value
      - .offset:         416
        .size:           4
        .value_kind:     by_value
      - .address_space:  global
        .offset:         424
        .size:           8
        .value_kind:     global_buffer
      - .offset:         432
        .size:           4
        .value_kind:     by_value
      - .offset:         440
        .size:           8
        .value_kind:     by_value
      - .offset:         448
        .size:           4
        .value_kind:     by_value
      - .offset:         452
        .size:           4
        .value_kind:     by_value
      - .offset:         456
        .size:           4
        .value_kind:     by_value
      - .offset:         460
        .size:           4
        .value_kind:     by_value
      - .address_space:  global
        .offset:         464
        .size:           8
        .value_kind:     global_buffer
      - .address_space:  global
        .offset:         472
        .size:           8
        .value_kind:     global_buffer
      - .offset:         480
        .size:           4
        .value_kind:     hidden_block_count_x
      - .offset:         484
        .size:           4
        .value_kind:     hidden_block_count_y
      - .offset:         488
        .size:           4
        .value_kind:     hidden_block_count_z
      - .offset:         492
        .size:           2
        .value_kind:     hidden_group_size_x
      - .offset:         494
        .size:           2
        .value_kind:     hidden_group_size_y
      - .offset:         496
        .size:           2
        .value_kind:     hidden_group_size_z
      - .offset:         498
        .size:           2
        .value_kind:     hidden_remainder_x
      - .offset:         500
        .size:           2
        .value_kind:     hidden_remainder_y
      - .offset:         502
        .size:           2
        .value_kind:     hidden_remainder_z
      - .offset:         520
        .size:           8
        .value_kind:     hidden_global_offset_x
      - .offset:         528
        .size:           8
        .value_kind:     hidden_global_offset_y
      - .offset:         536
        .size:           8
        .value_kind:     hidden_global_offset_z
      - .offset:         544
        .size:           2
        .value_kind:     hidden_grid_dims
    .group_segment_fixed_size: 1024
    .kernarg_segment_align: 8
    .kernarg_segment_size: 736
    .language:       OpenCL C
    .language_version:
      - 2
      - 0
    .max_flat_workgroup_size: 256
    .name:           _ZN2at6native6mbtopk23computeBlockDigitCountsIN3c108BFloat16EmjLi3EEEvNS_4cuda6detail10TensorInfoIKT_T0_EEjPjjSA_iijT1_PSD_Ps
    .private_segment_fixed_size: 0
    .sgpr_count:     40
    .sgpr_spill_count: 0
    .symbol:         _ZN2at6native6mbtopk23computeBlockDigitCountsIN3c108BFloat16EmjLi3EEEvNS_4cuda6detail10TensorInfoIKT_T0_EEjPjjSA_iijT1_PSD_Ps.kd
    .uniform_work_group_size: 1
    .uses_dynamic_stack: false
    .vgpr_count:     10
    .vgpr_spill_count: 0
    .wavefront_size: 32
  - .args:
      - .offset:         0
        .size:           416
        .value_kind:     by_value
      - .offset:         416
        .size:           8
        .value_kind:     by_value
      - .offset:         424
        .size:           8
        .value_kind:     by_value
      - .offset:         432
        .size:           1
        .value_kind:     by_value
      - .offset:         436
        .size:           4
        .value_kind:     by_value
      - .offset:         440
        .size:           8
        .value_kind:     by_value
      - .offset:         448
        .size:           416
        .value_kind:     by_value
      - .offset:         864
        .size:           8
        .value_kind:     by_value
      - .offset:         872
        .size:           416
        .value_kind:     by_value
      - .offset:         1288
        .size:           8
        .value_kind:     by_value
      - .offset:         1296
        .size:           4
        .value_kind:     by_value
      - .offset:         1300
        .size:           4
        .value_kind:     by_value
      - .address_space:  global
        .offset:         1304
        .size:           8
        .value_kind:     global_buffer
      - .address_space:  global
        .offset:         1312
        .size:           8
        .value_kind:     global_buffer
      - .address_space:  global
        .offset:         1320
        .size:           8
        .value_kind:     global_buffer
      - .offset:         1328
        .size:           4
        .value_kind:     by_value
      - .offset:         1336
        .size:           4
        .value_kind:     hidden_block_count_x
      - .offset:         1340
        .size:           4
        .value_kind:     hidden_block_count_y
      - .offset:         1344
        .size:           4
        .value_kind:     hidden_block_count_z
      - .offset:         1348
        .size:           2
        .value_kind:     hidden_group_size_x
      - .offset:         1350
        .size:           2
        .value_kind:     hidden_group_size_y
      - .offset:         1352
        .size:           2
        .value_kind:     hidden_group_size_z
      - .offset:         1354
        .size:           2
        .value_kind:     hidden_remainder_x
      - .offset:         1356
        .size:           2
        .value_kind:     hidden_remainder_y
      - .offset:         1358
        .size:           2
        .value_kind:     hidden_remainder_z
      - .offset:         1376
        .size:           8
        .value_kind:     hidden_global_offset_x
      - .offset:         1384
        .size:           8
        .value_kind:     hidden_global_offset_y
      - .offset:         1392
        .size:           8
        .value_kind:     hidden_global_offset_z
      - .offset:         1400
        .size:           2
        .value_kind:     hidden_grid_dims
    .group_segment_fixed_size: 1068
    .kernarg_segment_align: 8
    .kernarg_segment_size: 1592
    .language:       OpenCL C
    .language_version:
      - 2
      - 0
    .max_flat_workgroup_size: 256
    .name:           _ZN2at6native6mbtopk10gatherTopKIN3c108BFloat16EmLi3EEEvNS_4cuda6detail10TensorInfoIKT_T0_EESA_SA_bjSA_NS7_IS8_SA_EESA_NS7_IlSA_EESA_jjPS8_PjSF_j
    .private_segment_fixed_size: 0
    .sgpr_count:     79
    .sgpr_spill_count: 0
    .symbol:         _ZN2at6native6mbtopk10gatherTopKIN3c108BFloat16EmLi3EEEvNS_4cuda6detail10TensorInfoIKT_T0_EESA_SA_bjSA_NS7_IS8_SA_EESA_NS7_IlSA_EESA_jjPS8_PjSF_j.kd
    .uniform_work_group_size: 1
    .uses_dynamic_stack: false
    .vgpr_count:     26
    .vgpr_spill_count: 0
    .wavefront_size: 32
  - .args:
      - .offset:         0
        .size:           416
        .value_kind:     by_value
      - .offset:         416
        .size:           8
        .value_kind:     by_value
      - .offset:         424
        .size:           8
        .value_kind:     by_value
      - .offset:         432
        .size:           1
        .value_kind:     by_value
      - .offset:         440
        .size:           8
        .value_kind:     by_value
      - .offset:         448
        .size:           8
        .value_kind:     by_value
      - .offset:         456
        .size:           416
        .value_kind:     by_value
      - .offset:         872
        .size:           8
        .value_kind:     by_value
      - .offset:         880
        .size:           416
        .value_kind:     by_value
      - .offset:         1296
        .size:           8
        .value_kind:     by_value
      - .address_space:  global
        .offset:         1304
        .size:           8
        .value_kind:     global_buffer
      - .offset:         1312
        .size:           4
        .value_kind:     hidden_block_count_x
      - .offset:         1316
        .size:           4
        .value_kind:     hidden_block_count_y
      - .offset:         1320
        .size:           4
        .value_kind:     hidden_block_count_z
      - .offset:         1324
        .size:           2
        .value_kind:     hidden_group_size_x
      - .offset:         1326
        .size:           2
        .value_kind:     hidden_group_size_y
      - .offset:         1328
        .size:           2
        .value_kind:     hidden_group_size_z
      - .offset:         1330
        .size:           2
        .value_kind:     hidden_remainder_x
      - .offset:         1332
        .size:           2
        .value_kind:     hidden_remainder_y
      - .offset:         1334
        .size:           2
        .value_kind:     hidden_remainder_z
      - .offset:         1352
        .size:           8
        .value_kind:     hidden_global_offset_x
      - .offset:         1360
        .size:           8
        .value_kind:     hidden_global_offset_y
      - .offset:         1368
        .size:           8
        .value_kind:     hidden_global_offset_z
      - .offset:         1376
        .size:           2
        .value_kind:     hidden_grid_dims
    .group_segment_fixed_size: 5152
    .kernarg_segment_align: 8
    .kernarg_segment_size: 1568
    .language:       OpenCL C
    .language_version:
      - 2
      - 0
    .max_flat_workgroup_size: 1024
    .name:           _ZN2at6native6sbtopk10gatherTopKIN3c108BFloat16EmLi3ELb0EEEvNS_4cuda6detail10TensorInfoIKT_T0_EESA_SA_bSA_SA_NS7_IS8_SA_EESA_NS7_IlSA_EESA_PS8_
    .private_segment_fixed_size: 0
    .sgpr_count:     107
    .sgpr_spill_count: 27
    .symbol:         _ZN2at6native6sbtopk10gatherTopKIN3c108BFloat16EmLi3ELb0EEEvNS_4cuda6detail10TensorInfoIKT_T0_EESA_SA_bSA_SA_NS7_IS8_SA_EESA_NS7_IlSA_EESA_PS8_.kd
    .uniform_work_group_size: 1
    .uses_dynamic_stack: false
    .vgpr_count:     47
    .vgpr_spill_count: 0
    .wavefront_size: 32
  - .args:
      - .offset:         0
        .size:           416
        .value_kind:     by_value
      - .offset:         416
        .size:           4
        .value_kind:     by_value
      - .address_space:  global
        .offset:         424
        .size:           8
        .value_kind:     global_buffer
      - .offset:         432
        .size:           4
        .value_kind:     by_value
      - .offset:         440
        .size:           8
        .value_kind:     by_value
      - .offset:         448
        .size:           4
        .value_kind:     by_value
      - .offset:         452
        .size:           4
        .value_kind:     by_value
      - .offset:         456
        .size:           4
        .value_kind:     by_value
      - .offset:         460
        .size:           4
        .value_kind:     by_value
      - .address_space:  global
        .offset:         464
        .size:           8
        .value_kind:     global_buffer
      - .address_space:  global
        .offset:         472
        .size:           8
        .value_kind:     global_buffer
      - .offset:         480
        .size:           4
        .value_kind:     hidden_block_count_x
      - .offset:         484
        .size:           4
        .value_kind:     hidden_block_count_y
      - .offset:         488
        .size:           4
        .value_kind:     hidden_block_count_z
      - .offset:         492
        .size:           2
        .value_kind:     hidden_group_size_x
      - .offset:         494
        .size:           2
        .value_kind:     hidden_group_size_y
      - .offset:         496
        .size:           2
        .value_kind:     hidden_group_size_z
      - .offset:         498
        .size:           2
        .value_kind:     hidden_remainder_x
      - .offset:         500
        .size:           2
        .value_kind:     hidden_remainder_y
      - .offset:         502
        .size:           2
        .value_kind:     hidden_remainder_z
      - .offset:         520
        .size:           8
        .value_kind:     hidden_global_offset_x
      - .offset:         528
        .size:           8
        .value_kind:     hidden_global_offset_y
      - .offset:         536
        .size:           8
        .value_kind:     hidden_global_offset_z
      - .offset:         544
        .size:           2
        .value_kind:     hidden_grid_dims
    .group_segment_fixed_size: 1024
    .kernarg_segment_align: 8
    .kernarg_segment_size: 736
    .language:       OpenCL C
    .language_version:
      - 2
      - 0
    .max_flat_workgroup_size: 256
    .name:           _ZN2at6native6mbtopk23computeBlockDigitCountsIN3c108BFloat16EmjLin1EEEvNS_4cuda6detail10TensorInfoIKT_T0_EEjPjjSA_iijT1_PSD_Ps
    .private_segment_fixed_size: 0
    .sgpr_count:     30
    .sgpr_spill_count: 0
    .symbol:         _ZN2at6native6mbtopk23computeBlockDigitCountsIN3c108BFloat16EmjLin1EEEvNS_4cuda6detail10TensorInfoIKT_T0_EEjPjjSA_iijT1_PSD_Ps.kd
    .uniform_work_group_size: 1
    .uses_dynamic_stack: false
    .vgpr_count:     10
    .vgpr_spill_count: 0
    .wavefront_size: 32
  - .args:
      - .offset:         0
        .size:           416
        .value_kind:     by_value
      - .offset:         416
        .size:           8
        .value_kind:     by_value
      - .offset:         424
        .size:           8
        .value_kind:     by_value
      - .offset:         432
        .size:           1
        .value_kind:     by_value
      - .offset:         436
        .size:           4
        .value_kind:     by_value
      - .offset:         440
        .size:           8
        .value_kind:     by_value
      - .offset:         448
        .size:           416
        .value_kind:     by_value
      - .offset:         864
        .size:           8
        .value_kind:     by_value
      - .offset:         872
        .size:           416
        .value_kind:     by_value
      - .offset:         1288
        .size:           8
        .value_kind:     by_value
      - .offset:         1296
        .size:           4
        .value_kind:     by_value
      - .offset:         1300
        .size:           4
        .value_kind:     by_value
      - .address_space:  global
        .offset:         1304
        .size:           8
        .value_kind:     global_buffer
      - .address_space:  global
        .offset:         1312
        .size:           8
        .value_kind:     global_buffer
      - .address_space:  global
        .offset:         1320
        .size:           8
        .value_kind:     global_buffer
      - .offset:         1328
        .size:           4
        .value_kind:     by_value
      - .offset:         1336
        .size:           4
        .value_kind:     hidden_block_count_x
      - .offset:         1340
        .size:           4
        .value_kind:     hidden_block_count_y
      - .offset:         1344
        .size:           4
        .value_kind:     hidden_block_count_z
      - .offset:         1348
        .size:           2
        .value_kind:     hidden_group_size_x
      - .offset:         1350
        .size:           2
        .value_kind:     hidden_group_size_y
      - .offset:         1352
        .size:           2
        .value_kind:     hidden_group_size_z
      - .offset:         1354
        .size:           2
        .value_kind:     hidden_remainder_x
      - .offset:         1356
        .size:           2
        .value_kind:     hidden_remainder_y
      - .offset:         1358
        .size:           2
        .value_kind:     hidden_remainder_z
      - .offset:         1376
        .size:           8
        .value_kind:     hidden_global_offset_x
      - .offset:         1384
        .size:           8
        .value_kind:     hidden_global_offset_y
      - .offset:         1392
        .size:           8
        .value_kind:     hidden_global_offset_z
      - .offset:         1400
        .size:           2
        .value_kind:     hidden_grid_dims
    .group_segment_fixed_size: 1068
    .kernarg_segment_align: 8
    .kernarg_segment_size: 1592
    .language:       OpenCL C
    .language_version:
      - 2
      - 0
    .max_flat_workgroup_size: 256
    .name:           _ZN2at6native6mbtopk10gatherTopKIN3c108BFloat16EmLin1EEEvNS_4cuda6detail10TensorInfoIKT_T0_EESA_SA_bjSA_NS7_IS8_SA_EESA_NS7_IlSA_EESA_jjPS8_PjSF_j
    .private_segment_fixed_size: 0
    .sgpr_count:     51
    .sgpr_spill_count: 0
    .symbol:         _ZN2at6native6mbtopk10gatherTopKIN3c108BFloat16EmLin1EEEvNS_4cuda6detail10TensorInfoIKT_T0_EESA_SA_bjSA_NS7_IS8_SA_EESA_NS7_IlSA_EESA_jjPS8_PjSF_j.kd
    .uniform_work_group_size: 1
    .uses_dynamic_stack: false
    .vgpr_count:     26
    .vgpr_spill_count: 0
    .wavefront_size: 32
  - .args:
      - .offset:         0
        .size:           416
        .value_kind:     by_value
      - .offset:         416
        .size:           8
        .value_kind:     by_value
      - .offset:         424
        .size:           8
        .value_kind:     by_value
      - .offset:         432
        .size:           1
        .value_kind:     by_value
      - .offset:         440
        .size:           8
        .value_kind:     by_value
      - .offset:         448
        .size:           8
        .value_kind:     by_value
      - .offset:         456
        .size:           416
        .value_kind:     by_value
      - .offset:         872
        .size:           8
        .value_kind:     by_value
      - .offset:         880
        .size:           416
        .value_kind:     by_value
      - .offset:         1296
        .size:           8
        .value_kind:     by_value
      - .address_space:  global
        .offset:         1304
        .size:           8
        .value_kind:     global_buffer
      - .offset:         1312
        .size:           4
        .value_kind:     hidden_block_count_x
      - .offset:         1316
        .size:           4
        .value_kind:     hidden_block_count_y
      - .offset:         1320
        .size:           4
        .value_kind:     hidden_block_count_z
      - .offset:         1324
        .size:           2
        .value_kind:     hidden_group_size_x
      - .offset:         1326
        .size:           2
        .value_kind:     hidden_group_size_y
      - .offset:         1328
        .size:           2
        .value_kind:     hidden_group_size_z
      - .offset:         1330
        .size:           2
        .value_kind:     hidden_remainder_x
      - .offset:         1332
        .size:           2
        .value_kind:     hidden_remainder_y
      - .offset:         1334
        .size:           2
        .value_kind:     hidden_remainder_z
      - .offset:         1352
        .size:           8
        .value_kind:     hidden_global_offset_x
      - .offset:         1360
        .size:           8
        .value_kind:     hidden_global_offset_y
      - .offset:         1368
        .size:           8
        .value_kind:     hidden_global_offset_z
      - .offset:         1376
        .size:           2
        .value_kind:     hidden_grid_dims
    .group_segment_fixed_size: 5152
    .kernarg_segment_align: 8
    .kernarg_segment_size: 1568
    .language:       OpenCL C
    .language_version:
      - 2
      - 0
    .max_flat_workgroup_size: 1024
    .name:           _ZN2at6native6sbtopk10gatherTopKIN3c108BFloat16EmLin1ELb0EEEvNS_4cuda6detail10TensorInfoIKT_T0_EESA_SA_bSA_SA_NS7_IS8_SA_EESA_NS7_IlSA_EESA_PS8_
    .private_segment_fixed_size: 0
    .sgpr_count:     107
    .sgpr_spill_count: 25
    .symbol:         _ZN2at6native6sbtopk10gatherTopKIN3c108BFloat16EmLin1ELb0EEEvNS_4cuda6detail10TensorInfoIKT_T0_EESA_SA_bSA_SA_NS7_IS8_SA_EESA_NS7_IlSA_EESA_PS8_.kd
    .uniform_work_group_size: 1
    .uses_dynamic_stack: false
    .vgpr_count:     64
    .vgpr_spill_count: 0
    .wavefront_size: 32
amdhsa.target:   amdgcn-amd-amdhsa--gfx1250
amdhsa.version:
  - 1
  - 2
...

	.end_amdgpu_metadata
